;; amdgpu-corpus repo=ROCm/rocSOLVER kind=compiled arch=gfx90a opt=O3
	.text
	.amdgcn_target "amdgcn-amd-amdhsa--gfx90a"
	.amdhsa_code_object_version 6
	.section	.text._ZN9rocsolver6v33100L18getf2_small_kernelILi1EdiiPKPdEEvT1_T3_lS5_lPS5_llPT2_S5_S5_S7_l,"axG",@progbits,_ZN9rocsolver6v33100L18getf2_small_kernelILi1EdiiPKPdEEvT1_T3_lS5_lPS5_llPT2_S5_S5_S7_l,comdat
	.globl	_ZN9rocsolver6v33100L18getf2_small_kernelILi1EdiiPKPdEEvT1_T3_lS5_lPS5_llPT2_S5_S5_S7_l ; -- Begin function _ZN9rocsolver6v33100L18getf2_small_kernelILi1EdiiPKPdEEvT1_T3_lS5_lPS5_llPT2_S5_S5_S7_l
	.p2align	8
	.type	_ZN9rocsolver6v33100L18getf2_small_kernelILi1EdiiPKPdEEvT1_T3_lS5_lPS5_llPT2_S5_S5_S7_l,@function
_ZN9rocsolver6v33100L18getf2_small_kernelILi1EdiiPKPdEEvT1_T3_lS5_lPS5_llPT2_S5_S5_S7_l: ; @_ZN9rocsolver6v33100L18getf2_small_kernelILi1EdiiPKPdEEvT1_T3_lS5_lPS5_llPT2_S5_S5_S7_l
; %bb.0:
	s_load_dword s0, s[4:5], 0x6c
	s_load_dwordx2 s[12:13], s[4:5], 0x48
	v_bfe_u32 v8, v0, 10, 10
	s_waitcnt lgkmcnt(0)
	s_lshr_b32 s0, s0, 16
	s_mul_i32 s7, s7, s0
	v_add_u32_e32 v2, s7, v8
	v_cmp_gt_i32_e32 vcc, s12, v2
	s_and_saveexec_b64 s[0:1], vcc
	s_cbranch_execz .LBB0_20
; %bb.1:
	s_load_dwordx4 s[0:3], s[4:5], 0x8
	s_load_dwordx4 s[8:11], s[4:5], 0x50
	v_ashrrev_i32_e32 v3, 31, v2
	v_lshlrev_b64 v[4:5], 3, v[2:3]
	v_pk_mov_b32 v[6:7], 0, 0
	s_waitcnt lgkmcnt(0)
	v_mov_b32_e32 v1, s1
	v_add_co_u32_e32 v4, vcc, s0, v4
	v_addc_co_u32_e32 v5, vcc, v1, v5, vcc
	global_load_dwordx2 v[4:5], v[4:5], off
	s_cmp_lg_u64 s[8:9], 0
	s_cselect_b64 s[0:1], -1, 0
	s_cmp_eq_u64 s[8:9], 0
	s_cbranch_scc1 .LBB0_3
; %bb.2:
	v_mul_lo_u32 v1, v3, s10
	v_mul_lo_u32 v9, v2, s11
	v_mad_u64_u32 v[6:7], s[6:7], v2, s10, 0
	v_add3_u32 v7, v7, v9, v1
	v_lshlrev_b64 v[6:7], 2, v[6:7]
	v_mov_b32_e32 v1, s9
	v_add_co_u32_e32 v6, vcc, s8, v6
	v_addc_co_u32_e32 v7, vcc, v1, v7, vcc
.LBB0_3:
	s_lshl_b64 s[2:3], s[2:3], 3
	v_mov_b32_e32 v1, s3
	s_waitcnt vmcnt(0)
	v_add_co_u32_e32 v12, vcc, s2, v4
	v_and_b32_e32 v9, 0x3ff, v0
	v_addc_co_u32_e32 v13, vcc, v5, v1, vcc
	v_lshlrev_b32_e32 v4, 3, v9
	v_add_co_u32_e32 v0, vcc, v12, v4
	v_addc_co_u32_e32 v1, vcc, 0, v13, vcc
	global_load_dwordx2 v[0:1], v[0:1], off
	s_load_dword s2, s[4:5], 0x0
	v_mov_b32_e32 v10, 0
	s_waitcnt lgkmcnt(0)
	s_max_i32 s3, s2, 1
	v_mul_lo_u32 v8, s3, v8
	v_lshl_add_u32 v5, v8, 3, 0
	v_add_u32_e32 v4, v5, v4
	s_mov_b32 s3, 1
	s_cmp_lt_i32 s2, 2
	s_waitcnt vmcnt(0)
	ds_write_b64 v4, v[0:1]
	s_waitcnt lgkmcnt(0)
	s_barrier
	ds_read_b64 v[4:5], v5
	s_cbranch_scc1 .LBB0_6
; %bb.4:
	v_lshlrev_b32_e32 v8, 3, v8
	v_add3_u32 v8, v8, 0, 8
	v_mov_b32_e32 v10, 0
.LBB0_5:                                ; =>This Inner Loop Header: Depth=1
	ds_read_b64 v[14:15], v8
	v_mov_b32_e32 v11, s3
	s_add_i32 s3, s3, 1
	v_add_u32_e32 v8, 8, v8
	s_cmp_eq_u32 s2, s3
	s_waitcnt lgkmcnt(0)
	v_cmp_lt_f64_e64 vcc, |v[4:5]|, |v[14:15]|
	v_cndmask_b32_e32 v5, v5, v15, vcc
	v_cndmask_b32_e32 v4, v4, v14, vcc
	;; [unrolled: 1-line block ×3, first 2 shown]
	s_cbranch_scc0 .LBB0_5
.LBB0_6:
	v_add_u32_e32 v14, 1, v9
	v_cmp_ne_u32_e32 vcc, v9, v10
	v_mov_b32_e32 v8, 0
	s_and_saveexec_b64 s[2:3], vcc
	s_cbranch_execz .LBB0_14
; %bb.7:
	v_cmp_eq_u32_e32 vcc, 0, v9
	s_and_saveexec_b64 s[6:7], vcc
	s_cbranch_execz .LBB0_13
; %bb.8:
	s_andn2_b64 vcc, exec, s[0:1]
	v_add_u32_e32 v14, 1, v10
	s_cbranch_vccnz .LBB0_12
; %bb.9:
	v_cmp_ne_u32_e32 vcc, 0, v10
	v_mov_b32_e32 v8, 1
	v_mov_b32_e32 v9, 0
	s_and_saveexec_b64 s[0:1], vcc
	s_cbranch_execz .LBB0_11
; %bb.10:
	v_ashrrev_i32_e32 v11, 31, v10
	v_lshlrev_b64 v[8:9], 2, v[10:11]
	v_add_co_u32_e32 v16, vcc, v6, v8
	v_addc_co_u32_e32 v17, vcc, v7, v9, vcc
	flat_load_dword v9, v[16:17]
	flat_load_dword v11, v[6:7]
	v_mov_b32_e32 v8, v14
	s_waitcnt vmcnt(0) lgkmcnt(0)
	flat_store_dword v[6:7], v9
	flat_store_dword v[16:17], v11
	v_mov_b32_e32 v9, v10
.LBB0_11:
	s_or_b64 exec, exec, s[0:1]
	v_mov_b32_e32 v14, v8
	v_mov_b32_e32 v10, v9
.LBB0_12:
	v_mov_b32_e32 v9, v10
.LBB0_13:
	s_or_b64 exec, exec, s[6:7]
	v_mov_b32_e32 v8, v9
.LBB0_14:
	s_or_b64 exec, exec, s[2:3]
	s_load_dwordx8 s[0:7], s[4:5], 0x28
	v_cmp_gt_i32_e32 vcc, 1, v8
	v_ashrrev_i32_e32 v9, 31, v8
	s_waitcnt lgkmcnt(0)
	s_barrier
	s_barrier
	s_and_saveexec_b64 s[8:9], vcc
	s_cbranch_execz .LBB0_16
; %bb.15:
	v_mul_lo_u32 v10, v3, s4
	v_mul_lo_u32 v11, v2, s5
	v_mad_u64_u32 v[6:7], s[4:5], v2, s4, 0
	s_lshl_b64 s[2:3], s[2:3], 2
	v_add3_u32 v7, v7, v11, v10
	s_add_u32 s0, s2, s0
	v_lshlrev_b64 v[6:7], 2, v[6:7]
	s_addc_u32 s1, s3, s1
	v_mov_b32_e32 v10, s1
	v_add_co_u32_e32 v11, vcc, s0, v6
	v_addc_co_u32_e32 v10, vcc, v10, v7, vcc
	v_lshlrev_b64 v[6:7], 2, v[8:9]
	v_add_co_u32_e32 v6, vcc, v11, v6
	v_addc_co_u32_e32 v7, vcc, v10, v7, vcc
	v_add_u32_e32 v10, s13, v14
	global_store_dword v[6:7], v10, off
.LBB0_16:
	s_or_b64 exec, exec, s[8:9]
	v_cmp_eq_f64_e64 s[0:1], 0, v[4:5]
	v_cmp_eq_u32_e32 vcc, 0, v8
	s_and_saveexec_b64 s[2:3], vcc
	s_cbranch_execz .LBB0_19
; %bb.17:
	v_lshlrev_b64 v[2:3], 2, v[2:3]
	v_mov_b32_e32 v6, s7
	v_add_co_u32_e32 v2, vcc, s6, v2
	v_addc_co_u32_e32 v3, vcc, v6, v3, vcc
	global_load_dword v6, v[2:3], off
	s_waitcnt vmcnt(0)
	v_cmp_eq_u32_e32 vcc, 0, v6
	s_and_b64 s[4:5], vcc, s[0:1]
	s_and_b64 exec, exec, s[4:5]
	s_cbranch_execz .LBB0_19
; %bb.18:
	s_add_i32 s4, s13, 1
	v_mov_b32_e32 v6, s4
	global_store_dword v[2:3], v6, off
.LBB0_19:
	s_or_b64 exec, exec, s[2:3]
	v_div_scale_f64 v[2:3], s[2:3], v[4:5], v[4:5], 1.0
	v_rcp_f64_e32 v[6:7], v[2:3]
	v_div_scale_f64 v[10:11], vcc, 1.0, v[4:5], 1.0
	v_fma_f64 v[14:15], -v[2:3], v[6:7], 1.0
	v_fmac_f64_e32 v[6:7], v[6:7], v[14:15]
	v_fma_f64 v[14:15], -v[2:3], v[6:7], 1.0
	v_fmac_f64_e32 v[6:7], v[6:7], v[14:15]
	v_mul_f64 v[14:15], v[10:11], v[6:7]
	v_fma_f64 v[2:3], -v[2:3], v[14:15], v[10:11]
	v_div_fmas_f64 v[2:3], v[2:3], v[6:7], v[14:15]
	v_div_fixup_f64 v[2:3], v[2:3], v[4:5], 1.0
	v_cndmask_b32_e64 v3, v3, v5, s[0:1]
	v_cndmask_b32_e64 v2, v2, v4, s[0:1]
	v_mul_f64 v[2:3], v[0:1], v[2:3]
	v_cmp_lt_i32_e32 vcc, 0, v8
	v_cndmask_b32_e32 v1, v1, v3, vcc
	v_cndmask_b32_e32 v0, v0, v2, vcc
	v_lshlrev_b64 v[2:3], 3, v[8:9]
	v_add_co_u32_e32 v2, vcc, v12, v2
	v_addc_co_u32_e32 v3, vcc, v13, v3, vcc
	global_store_dwordx2 v[2:3], v[0:1], off
.LBB0_20:
	s_endpgm
	.section	.rodata,"a",@progbits
	.p2align	6, 0x0
	.amdhsa_kernel _ZN9rocsolver6v33100L18getf2_small_kernelILi1EdiiPKPdEEvT1_T3_lS5_lPS5_llPT2_S5_S5_S7_l
		.amdhsa_group_segment_fixed_size 0
		.amdhsa_private_segment_fixed_size 0
		.amdhsa_kernarg_size 352
		.amdhsa_user_sgpr_count 6
		.amdhsa_user_sgpr_private_segment_buffer 1
		.amdhsa_user_sgpr_dispatch_ptr 0
		.amdhsa_user_sgpr_queue_ptr 0
		.amdhsa_user_sgpr_kernarg_segment_ptr 1
		.amdhsa_user_sgpr_dispatch_id 0
		.amdhsa_user_sgpr_flat_scratch_init 0
		.amdhsa_user_sgpr_kernarg_preload_length 0
		.amdhsa_user_sgpr_kernarg_preload_offset 0
		.amdhsa_user_sgpr_private_segment_size 0
		.amdhsa_uses_dynamic_stack 0
		.amdhsa_system_sgpr_private_segment_wavefront_offset 0
		.amdhsa_system_sgpr_workgroup_id_x 1
		.amdhsa_system_sgpr_workgroup_id_y 1
		.amdhsa_system_sgpr_workgroup_id_z 0
		.amdhsa_system_sgpr_workgroup_info 0
		.amdhsa_system_vgpr_workitem_id 1
		.amdhsa_next_free_vgpr 18
		.amdhsa_next_free_sgpr 14
		.amdhsa_accum_offset 20
		.amdhsa_reserve_vcc 1
		.amdhsa_reserve_flat_scratch 0
		.amdhsa_float_round_mode_32 0
		.amdhsa_float_round_mode_16_64 0
		.amdhsa_float_denorm_mode_32 3
		.amdhsa_float_denorm_mode_16_64 3
		.amdhsa_dx10_clamp 1
		.amdhsa_ieee_mode 1
		.amdhsa_fp16_overflow 0
		.amdhsa_tg_split 0
		.amdhsa_exception_fp_ieee_invalid_op 0
		.amdhsa_exception_fp_denorm_src 0
		.amdhsa_exception_fp_ieee_div_zero 0
		.amdhsa_exception_fp_ieee_overflow 0
		.amdhsa_exception_fp_ieee_underflow 0
		.amdhsa_exception_fp_ieee_inexact 0
		.amdhsa_exception_int_div_zero 0
	.end_amdhsa_kernel
	.section	.text._ZN9rocsolver6v33100L18getf2_small_kernelILi1EdiiPKPdEEvT1_T3_lS5_lPS5_llPT2_S5_S5_S7_l,"axG",@progbits,_ZN9rocsolver6v33100L18getf2_small_kernelILi1EdiiPKPdEEvT1_T3_lS5_lPS5_llPT2_S5_S5_S7_l,comdat
.Lfunc_end0:
	.size	_ZN9rocsolver6v33100L18getf2_small_kernelILi1EdiiPKPdEEvT1_T3_lS5_lPS5_llPT2_S5_S5_S7_l, .Lfunc_end0-_ZN9rocsolver6v33100L18getf2_small_kernelILi1EdiiPKPdEEvT1_T3_lS5_lPS5_llPT2_S5_S5_S7_l
                                        ; -- End function
	.section	.AMDGPU.csdata,"",@progbits
; Kernel info:
; codeLenInByte = 892
; NumSgprs: 18
; NumVgprs: 18
; NumAgprs: 0
; TotalNumVgprs: 18
; ScratchSize: 0
; MemoryBound: 0
; FloatMode: 240
; IeeeMode: 1
; LDSByteSize: 0 bytes/workgroup (compile time only)
; SGPRBlocks: 2
; VGPRBlocks: 2
; NumSGPRsForWavesPerEU: 18
; NumVGPRsForWavesPerEU: 18
; AccumOffset: 20
; Occupancy: 8
; WaveLimiterHint : 1
; COMPUTE_PGM_RSRC2:SCRATCH_EN: 0
; COMPUTE_PGM_RSRC2:USER_SGPR: 6
; COMPUTE_PGM_RSRC2:TRAP_HANDLER: 0
; COMPUTE_PGM_RSRC2:TGID_X_EN: 1
; COMPUTE_PGM_RSRC2:TGID_Y_EN: 1
; COMPUTE_PGM_RSRC2:TGID_Z_EN: 0
; COMPUTE_PGM_RSRC2:TIDIG_COMP_CNT: 1
; COMPUTE_PGM_RSRC3_GFX90A:ACCUM_OFFSET: 4
; COMPUTE_PGM_RSRC3_GFX90A:TG_SPLIT: 0
	.section	.text._ZN9rocsolver6v33100L23getf2_npvt_small_kernelILi1EdiiPKPdEEvT1_T3_lS5_lPT2_S5_S5_,"axG",@progbits,_ZN9rocsolver6v33100L23getf2_npvt_small_kernelILi1EdiiPKPdEEvT1_T3_lS5_lPT2_S5_S5_,comdat
	.globl	_ZN9rocsolver6v33100L23getf2_npvt_small_kernelILi1EdiiPKPdEEvT1_T3_lS5_lPT2_S5_S5_ ; -- Begin function _ZN9rocsolver6v33100L23getf2_npvt_small_kernelILi1EdiiPKPdEEvT1_T3_lS5_lPT2_S5_S5_
	.p2align	8
	.type	_ZN9rocsolver6v33100L23getf2_npvt_small_kernelILi1EdiiPKPdEEvT1_T3_lS5_lPT2_S5_S5_,@function
_ZN9rocsolver6v33100L23getf2_npvt_small_kernelILi1EdiiPKPdEEvT1_T3_lS5_lPT2_S5_S5_: ; @_ZN9rocsolver6v33100L23getf2_npvt_small_kernelILi1EdiiPKPdEEvT1_T3_lS5_lPT2_S5_S5_
; %bb.0:
	s_load_dword s0, s[4:5], 0x44
	s_load_dwordx2 s[8:9], s[4:5], 0x30
	v_bfe_u32 v6, v0, 10, 10
	s_waitcnt lgkmcnt(0)
	s_lshr_b32 s0, s0, 16
	s_mul_i32 s7, s7, s0
	v_add_u32_e32 v2, s7, v6
	v_cmp_gt_i32_e32 vcc, s8, v2
	s_and_saveexec_b64 s[2:3], vcc
	s_cbranch_execz .LBB1_8
; %bb.1:
	s_load_dwordx4 s[12:15], s[4:5], 0x8
	v_ashrrev_i32_e32 v3, 31, v2
	v_lshlrev_b64 v[4:5], 3, v[2:3]
	v_and_b32_e32 v7, 0x3ff, v0
	v_lshlrev_b32_e32 v0, 3, v7
	s_waitcnt lgkmcnt(0)
	v_mov_b32_e32 v1, s13
	v_add_co_u32_e32 v4, vcc, s12, v4
	v_addc_co_u32_e32 v5, vcc, v1, v5, vcc
	global_load_dwordx2 v[4:5], v[4:5], off
	s_lshl_b64 s[2:3], s[14:15], 3
	v_mov_b32_e32 v1, s3
	s_lshl_b32 s0, s0, 3
	s_waitcnt vmcnt(0)
	v_add_co_u32_e32 v4, vcc, s2, v4
	v_addc_co_u32_e32 v1, vcc, v5, v1, vcc
	v_add_co_u32_e32 v0, vcc, v4, v0
	v_addc_co_u32_e32 v1, vcc, 0, v1, vcc
	global_load_dwordx2 v[4:5], v[0:1], off
	s_add_i32 s2, s0, 0
	v_cmp_eq_u32_e64 s[0:1], 0, v7
	v_lshl_add_u32 v6, v6, 3, s2
	s_and_saveexec_b64 s[2:3], s[0:1]
	s_cbranch_execz .LBB1_4
; %bb.2:
	s_waitcnt vmcnt(0)
	v_cmp_neq_f64_e32 vcc, 0, v[4:5]
	ds_write_b64 v6, v[4:5]
	s_and_b64 exec, exec, vcc
	s_cbranch_execz .LBB1_4
; %bb.3:
	v_div_scale_f64 v[8:9], s[6:7], v[4:5], v[4:5], 1.0
	v_rcp_f64_e32 v[10:11], v[8:9]
	v_div_scale_f64 v[12:13], vcc, 1.0, v[4:5], 1.0
	v_fma_f64 v[14:15], -v[8:9], v[10:11], 1.0
	v_fmac_f64_e32 v[10:11], v[10:11], v[14:15]
	v_fma_f64 v[14:15], -v[8:9], v[10:11], 1.0
	v_fmac_f64_e32 v[10:11], v[10:11], v[14:15]
	v_mul_f64 v[14:15], v[12:13], v[10:11]
	v_fma_f64 v[8:9], -v[8:9], v[14:15], v[12:13]
	v_div_fmas_f64 v[8:9], v[8:9], v[10:11], v[14:15]
	v_div_fixup_f64 v[8:9], v[8:9], v[4:5], 1.0
	ds_write_b64 v6, v[8:9]
.LBB1_4:
	s_or_b64 exec, exec, s[2:3]
	s_waitcnt lgkmcnt(0)
	s_barrier
	ds_read_b64 v[6:7], v6
	s_waitcnt lgkmcnt(0)
	s_barrier
	s_and_saveexec_b64 s[6:7], s[0:1]
	s_cbranch_execz .LBB1_7
; %bb.5:
	s_load_dwordx2 s[2:3], s[4:5], 0x28
	v_lshlrev_b64 v[2:3], 2, v[2:3]
	s_waitcnt lgkmcnt(0)
	v_mov_b32_e32 v8, s3
	v_add_co_u32_e32 v2, vcc, s2, v2
	v_addc_co_u32_e32 v3, vcc, v8, v3, vcc
	global_load_dword v8, v[2:3], off
	v_cmp_eq_f64_e32 vcc, 0, v[6:7]
	s_waitcnt vmcnt(0)
	v_cmp_eq_u32_e64 s[2:3], 0, v8
	s_and_b64 s[2:3], s[2:3], vcc
	s_and_b64 exec, exec, s[2:3]
	s_cbranch_execz .LBB1_7
; %bb.6:
	s_add_i32 s2, s9, 1
	v_mov_b32_e32 v8, s2
	global_store_dword v[2:3], v8, off
.LBB1_7:
	s_or_b64 exec, exec, s[6:7]
	s_waitcnt vmcnt(0)
	v_mul_f64 v[2:3], v[4:5], v[6:7]
	v_cndmask_b32_e64 v3, v3, v5, s[0:1]
	v_cndmask_b32_e64 v2, v2, v4, s[0:1]
	global_store_dwordx2 v[0:1], v[2:3], off
.LBB1_8:
	s_endpgm
	.section	.rodata,"a",@progbits
	.p2align	6, 0x0
	.amdhsa_kernel _ZN9rocsolver6v33100L23getf2_npvt_small_kernelILi1EdiiPKPdEEvT1_T3_lS5_lPT2_S5_S5_
		.amdhsa_group_segment_fixed_size 0
		.amdhsa_private_segment_fixed_size 0
		.amdhsa_kernarg_size 312
		.amdhsa_user_sgpr_count 6
		.amdhsa_user_sgpr_private_segment_buffer 1
		.amdhsa_user_sgpr_dispatch_ptr 0
		.amdhsa_user_sgpr_queue_ptr 0
		.amdhsa_user_sgpr_kernarg_segment_ptr 1
		.amdhsa_user_sgpr_dispatch_id 0
		.amdhsa_user_sgpr_flat_scratch_init 0
		.amdhsa_user_sgpr_kernarg_preload_length 0
		.amdhsa_user_sgpr_kernarg_preload_offset 0
		.amdhsa_user_sgpr_private_segment_size 0
		.amdhsa_uses_dynamic_stack 0
		.amdhsa_system_sgpr_private_segment_wavefront_offset 0
		.amdhsa_system_sgpr_workgroup_id_x 1
		.amdhsa_system_sgpr_workgroup_id_y 1
		.amdhsa_system_sgpr_workgroup_id_z 0
		.amdhsa_system_sgpr_workgroup_info 0
		.amdhsa_system_vgpr_workitem_id 1
		.amdhsa_next_free_vgpr 16
		.amdhsa_next_free_sgpr 16
		.amdhsa_accum_offset 16
		.amdhsa_reserve_vcc 1
		.amdhsa_reserve_flat_scratch 0
		.amdhsa_float_round_mode_32 0
		.amdhsa_float_round_mode_16_64 0
		.amdhsa_float_denorm_mode_32 3
		.amdhsa_float_denorm_mode_16_64 3
		.amdhsa_dx10_clamp 1
		.amdhsa_ieee_mode 1
		.amdhsa_fp16_overflow 0
		.amdhsa_tg_split 0
		.amdhsa_exception_fp_ieee_invalid_op 0
		.amdhsa_exception_fp_denorm_src 0
		.amdhsa_exception_fp_ieee_div_zero 0
		.amdhsa_exception_fp_ieee_overflow 0
		.amdhsa_exception_fp_ieee_underflow 0
		.amdhsa_exception_fp_ieee_inexact 0
		.amdhsa_exception_int_div_zero 0
	.end_amdhsa_kernel
	.section	.text._ZN9rocsolver6v33100L23getf2_npvt_small_kernelILi1EdiiPKPdEEvT1_T3_lS5_lPT2_S5_S5_,"axG",@progbits,_ZN9rocsolver6v33100L23getf2_npvt_small_kernelILi1EdiiPKPdEEvT1_T3_lS5_lPT2_S5_S5_,comdat
.Lfunc_end1:
	.size	_ZN9rocsolver6v33100L23getf2_npvt_small_kernelILi1EdiiPKPdEEvT1_T3_lS5_lPT2_S5_S5_, .Lfunc_end1-_ZN9rocsolver6v33100L23getf2_npvt_small_kernelILi1EdiiPKPdEEvT1_T3_lS5_lPT2_S5_S5_
                                        ; -- End function
	.section	.AMDGPU.csdata,"",@progbits
; Kernel info:
; codeLenInByte = 448
; NumSgprs: 20
; NumVgprs: 16
; NumAgprs: 0
; TotalNumVgprs: 16
; ScratchSize: 0
; MemoryBound: 0
; FloatMode: 240
; IeeeMode: 1
; LDSByteSize: 0 bytes/workgroup (compile time only)
; SGPRBlocks: 2
; VGPRBlocks: 1
; NumSGPRsForWavesPerEU: 20
; NumVGPRsForWavesPerEU: 16
; AccumOffset: 16
; Occupancy: 8
; WaveLimiterHint : 1
; COMPUTE_PGM_RSRC2:SCRATCH_EN: 0
; COMPUTE_PGM_RSRC2:USER_SGPR: 6
; COMPUTE_PGM_RSRC2:TRAP_HANDLER: 0
; COMPUTE_PGM_RSRC2:TGID_X_EN: 1
; COMPUTE_PGM_RSRC2:TGID_Y_EN: 1
; COMPUTE_PGM_RSRC2:TGID_Z_EN: 0
; COMPUTE_PGM_RSRC2:TIDIG_COMP_CNT: 1
; COMPUTE_PGM_RSRC3_GFX90A:ACCUM_OFFSET: 3
; COMPUTE_PGM_RSRC3_GFX90A:TG_SPLIT: 0
	.section	.text._ZN9rocsolver6v33100L18getf2_small_kernelILi2EdiiPKPdEEvT1_T3_lS5_lPS5_llPT2_S5_S5_S7_l,"axG",@progbits,_ZN9rocsolver6v33100L18getf2_small_kernelILi2EdiiPKPdEEvT1_T3_lS5_lPS5_llPT2_S5_S5_S7_l,comdat
	.globl	_ZN9rocsolver6v33100L18getf2_small_kernelILi2EdiiPKPdEEvT1_T3_lS5_lPS5_llPT2_S5_S5_S7_l ; -- Begin function _ZN9rocsolver6v33100L18getf2_small_kernelILi2EdiiPKPdEEvT1_T3_lS5_lPS5_llPT2_S5_S5_S7_l
	.p2align	8
	.type	_ZN9rocsolver6v33100L18getf2_small_kernelILi2EdiiPKPdEEvT1_T3_lS5_lPS5_llPT2_S5_S5_S7_l,@function
_ZN9rocsolver6v33100L18getf2_small_kernelILi2EdiiPKPdEEvT1_T3_lS5_lPS5_llPT2_S5_S5_S7_l: ; @_ZN9rocsolver6v33100L18getf2_small_kernelILi2EdiiPKPdEEvT1_T3_lS5_lPS5_llPT2_S5_S5_S7_l
; %bb.0:
	s_load_dword s0, s[4:5], 0x6c
	s_load_dwordx2 s[12:13], s[4:5], 0x48
	v_bfe_u32 v8, v0, 10, 10
	s_waitcnt lgkmcnt(0)
	s_lshr_b32 s0, s0, 16
	s_mul_i32 s7, s7, s0
	v_add_u32_e32 v2, s7, v8
	v_cmp_gt_i32_e32 vcc, s12, v2
	s_and_saveexec_b64 s[0:1], vcc
	s_cbranch_execz .LBB2_31
; %bb.1:
	s_load_dwordx4 s[0:3], s[4:5], 0x8
	s_load_dwordx4 s[8:11], s[4:5], 0x50
	v_ashrrev_i32_e32 v3, 31, v2
	v_lshlrev_b64 v[4:5], 3, v[2:3]
	v_pk_mov_b32 v[6:7], 0, 0
	s_waitcnt lgkmcnt(0)
	v_mov_b32_e32 v1, s1
	v_add_co_u32_e32 v4, vcc, s0, v4
	v_addc_co_u32_e32 v5, vcc, v1, v5, vcc
	global_load_dwordx2 v[4:5], v[4:5], off
	s_cmp_eq_u64 s[8:9], 0
	s_cselect_b64 s[6:7], -1, 0
	s_and_b64 vcc, exec, s[6:7]
	s_cbranch_vccnz .LBB2_3
; %bb.2:
	v_mul_lo_u32 v1, v3, s10
	v_mul_lo_u32 v9, v2, s11
	v_mad_u64_u32 v[6:7], s[0:1], v2, s10, 0
	v_add3_u32 v7, v7, v9, v1
	v_lshlrev_b64 v[6:7], 2, v[6:7]
	v_mov_b32_e32 v1, s9
	v_add_co_u32_e32 v6, vcc, s8, v6
	v_addc_co_u32_e32 v7, vcc, v1, v7, vcc
.LBB2_3:
	s_lshl_b64 s[0:1], s[2:3], 3
	v_mov_b32_e32 v1, s1
	s_waitcnt vmcnt(0)
	v_add_co_u32_e32 v14, vcc, s0, v4
	s_load_dword s0, s[4:5], 0x18
	s_load_dword s10, s[4:5], 0x0
	v_and_b32_e32 v17, 0x3ff, v0
	v_addc_co_u32_e32 v15, vcc, v5, v1, vcc
	v_lshlrev_b32_e32 v9, 3, v17
	v_add_co_u32_e32 v4, vcc, v14, v9
	v_addc_co_u32_e32 v5, vcc, 0, v15, vcc
	global_load_dwordx2 v[0:1], v[4:5], off
	s_waitcnt lgkmcnt(0)
	s_ashr_i32 s1, s0, 31
	s_lshl_b64 s[14:15], s[0:1], 3
	v_mov_b32_e32 v10, s15
	v_add_co_u32_e32 v4, vcc, s14, v4
	v_addc_co_u32_e32 v5, vcc, v5, v10, vcc
	global_load_dwordx2 v[4:5], v[4:5], off
	s_max_i32 s0, s10, 2
	v_mul_lo_u32 v11, s0, v8
	v_lshl_add_u32 v12, v11, 3, 0
	v_add_u32_e32 v8, v12, v9
	v_mov_b32_e32 v10, 0
	s_cmp_lt_i32 s10, 2
	v_lshlrev_b32_e32 v16, 3, v11
	s_waitcnt vmcnt(1)
	ds_write_b64 v8, v[0:1]
	s_waitcnt lgkmcnt(0)
	s_barrier
	ds_read_b64 v[8:9], v12
	s_cbranch_scc1 .LBB2_6
; %bb.4:
	v_add3_u32 v11, v16, 0, 8
	s_mov_b32 s0, 1
	v_mov_b32_e32 v10, 0
.LBB2_5:                                ; =>This Inner Loop Header: Depth=1
	ds_read_b64 v[18:19], v11
	v_mov_b32_e32 v13, s0
	s_add_i32 s0, s0, 1
	v_add_u32_e32 v11, 8, v11
	s_cmp_eq_u32 s10, s0
	s_waitcnt lgkmcnt(0)
	v_cmp_lt_f64_e64 vcc, |v[8:9]|, |v[18:19]|
	v_cndmask_b32_e32 v9, v9, v19, vcc
	v_cndmask_b32_e32 v8, v8, v18, vcc
	;; [unrolled: 1-line block ×3, first 2 shown]
	s_cbranch_scc0 .LBB2_5
.LBB2_6:
	v_cmp_ne_u32_e32 vcc, v17, v10
                                        ; implicit-def: $vgpr11
	s_and_saveexec_b64 s[0:1], vcc
	s_xor_b64 s[0:1], exec, s[0:1]
	s_cbranch_execz .LBB2_12
; %bb.7:
	v_cmp_eq_u32_e32 vcc, 0, v17
	s_and_saveexec_b64 s[2:3], vcc
	s_cbranch_execz .LBB2_11
; %bb.8:
	v_cmp_ne_u32_e32 vcc, 0, v10
	s_xor_b64 s[8:9], s[6:7], -1
	s_and_b64 s[16:17], s[8:9], vcc
	s_and_saveexec_b64 s[8:9], s[16:17]
	s_cbranch_execz .LBB2_10
; %bb.9:
	v_ashrrev_i32_e32 v11, 31, v10
	v_lshlrev_b64 v[18:19], 2, v[10:11]
	v_add_co_u32_e32 v18, vcc, v6, v18
	v_addc_co_u32_e32 v19, vcc, v7, v19, vcc
	flat_load_dword v11, v[18:19]
	flat_load_dword v13, v[6:7]
	s_waitcnt vmcnt(0) lgkmcnt(0)
	flat_store_dword v[6:7], v11
	flat_store_dword v[18:19], v13
.LBB2_10:
	s_or_b64 exec, exec, s[8:9]
	v_mov_b32_e32 v17, v10
.LBB2_11:
	s_or_b64 exec, exec, s[2:3]
	v_mov_b32_e32 v11, v17
                                        ; implicit-def: $vgpr17
.LBB2_12:
	s_or_saveexec_b64 s[0:1], s[0:1]
	v_mov_b32_e32 v13, v11
	s_xor_b64 exec, exec, s[0:1]
	s_cbranch_execz .LBB2_14
; %bb.13:
	v_mov_b32_e32 v11, 0
	v_mov_b32_e32 v13, v17
	s_waitcnt vmcnt(0)
	ds_write_b64 v12, v[4:5] offset:8
.LBB2_14:
	s_or_b64 exec, exec, s[0:1]
	s_waitcnt lgkmcnt(0)
	v_cmp_eq_f64_e64 s[0:1], 0, v[8:9]
	v_cmp_lt_i32_e32 vcc, 0, v11
	s_barrier
	s_and_saveexec_b64 s[2:3], vcc
	s_cbranch_execz .LBB2_16
; %bb.15:
	v_div_scale_f64 v[18:19], s[8:9], v[8:9], v[8:9], 1.0
	v_rcp_f64_e32 v[20:21], v[18:19]
	v_div_scale_f64 v[22:23], vcc, 1.0, v[8:9], 1.0
	v_fma_f64 v[24:25], -v[18:19], v[20:21], 1.0
	v_fmac_f64_e32 v[20:21], v[20:21], v[24:25]
	v_fma_f64 v[24:25], -v[18:19], v[20:21], 1.0
	v_fmac_f64_e32 v[20:21], v[20:21], v[24:25]
	v_mul_f64 v[24:25], v[22:23], v[20:21]
	v_fma_f64 v[18:19], -v[18:19], v[24:25], v[22:23]
	v_div_fmas_f64 v[18:19], v[18:19], v[20:21], v[24:25]
	ds_read_b64 v[20:21], v12 offset:8
	v_div_fixup_f64 v[18:19], v[18:19], v[8:9], 1.0
	v_cndmask_b32_e64 v9, v19, v9, s[0:1]
	v_cndmask_b32_e64 v8, v18, v8, s[0:1]
	v_mul_f64 v[0:1], v[0:1], v[8:9]
	s_waitcnt vmcnt(0) lgkmcnt(0)
	v_fma_f64 v[4:5], -v[0:1], v[20:21], v[4:5]
.LBB2_16:
	s_or_b64 exec, exec, s[2:3]
	v_lshl_add_u32 v8, v11, 3, v12
	s_barrier
	s_waitcnt vmcnt(0)
	ds_write_b64 v8, v[4:5]
	s_waitcnt lgkmcnt(0)
	s_barrier
	ds_read_b64 v[8:9], v12 offset:8
	s_cmp_lt_i32 s10, 3
	v_mov_b32_e32 v12, 1
	s_cbranch_scc1 .LBB2_19
; %bb.17:
	v_add3_u32 v10, v16, 0, 16
	s_mov_b32 s2, 2
	v_mov_b32_e32 v12, 1
.LBB2_18:                               ; =>This Inner Loop Header: Depth=1
	ds_read_b64 v[16:17], v10
	v_mov_b32_e32 v18, s2
	s_add_i32 s2, s2, 1
	v_add_u32_e32 v10, 8, v10
	s_cmp_lg_u32 s10, s2
	s_waitcnt lgkmcnt(0)
	v_cmp_lt_f64_e64 vcc, |v[8:9]|, |v[16:17]|
	v_cndmask_b32_e32 v9, v9, v17, vcc
	v_cndmask_b32_e32 v8, v8, v16, vcc
	;; [unrolled: 1-line block ×3, first 2 shown]
	s_cbranch_scc1 .LBB2_18
.LBB2_19:
	v_cmp_ne_u32_e32 vcc, v11, v12
	v_mov_b32_e32 v10, 1
	s_and_saveexec_b64 s[2:3], vcc
	s_cbranch_execz .LBB2_25
; %bb.20:
	v_cmp_eq_u32_e32 vcc, 1, v11
	s_and_saveexec_b64 s[8:9], vcc
	s_cbranch_execz .LBB2_24
; %bb.21:
	v_cmp_ne_u32_e32 vcc, 1, v12
	s_xor_b64 s[6:7], s[6:7], -1
	s_and_b64 s[10:11], s[6:7], vcc
	s_and_saveexec_b64 s[6:7], s[10:11]
	s_cbranch_execz .LBB2_23
; %bb.22:
	v_ashrrev_i32_e32 v13, 31, v12
	v_lshlrev_b64 v[10:11], 2, v[12:13]
	v_add_co_u32_e32 v10, vcc, v6, v10
	v_addc_co_u32_e32 v11, vcc, v7, v11, vcc
	flat_load_dword v13, v[10:11]
	flat_load_dword v16, v[6:7] offset:4
	s_waitcnt vmcnt(0) lgkmcnt(0)
	flat_store_dword v[6:7], v13 offset:4
	flat_store_dword v[10:11], v16
.LBB2_23:
	s_or_b64 exec, exec, s[6:7]
	v_mov_b32_e32 v13, v12
	v_mov_b32_e32 v11, v12
.LBB2_24:
	s_or_b64 exec, exec, s[8:9]
	v_mov_b32_e32 v10, v11
.LBB2_25:
	s_or_b64 exec, exec, s[2:3]
	s_load_dwordx8 s[4:11], s[4:5], 0x28
	v_cmp_gt_i32_e32 vcc, 2, v10
	v_ashrrev_i32_e32 v11, 31, v10
	s_waitcnt lgkmcnt(0)
	s_barrier
	s_barrier
	s_and_saveexec_b64 s[2:3], vcc
	s_cbranch_execz .LBB2_27
; %bb.26:
	v_mul_lo_u32 v12, v3, s8
	v_mul_lo_u32 v16, v2, s9
	v_mad_u64_u32 v[6:7], s[8:9], v2, s8, 0
	s_lshl_b64 s[6:7], s[6:7], 2
	v_add3_u32 v7, v7, v16, v12
	s_add_u32 s4, s6, s4
	v_lshlrev_b64 v[6:7], 2, v[6:7]
	s_addc_u32 s5, s7, s5
	v_mov_b32_e32 v12, s5
	v_add_co_u32_e32 v16, vcc, s4, v6
	v_addc_co_u32_e32 v12, vcc, v12, v7, vcc
	v_lshlrev_b64 v[6:7], 2, v[10:11]
	v_add_co_u32_e32 v6, vcc, v16, v6
	v_addc_co_u32_e32 v7, vcc, v12, v7, vcc
	v_add3_u32 v12, v13, s13, 1
	global_store_dword v[6:7], v12, off
.LBB2_27:
	s_or_b64 exec, exec, s[2:3]
	v_cmp_eq_f64_e64 s[2:3], 0, v[8:9]
	v_cmp_eq_u32_e32 vcc, 0, v10
	s_and_saveexec_b64 s[4:5], vcc
	s_cbranch_execz .LBB2_30
; %bb.28:
	v_lshlrev_b64 v[2:3], 2, v[2:3]
	v_mov_b32_e32 v6, s11
	v_add_co_u32_e32 v2, vcc, s10, v2
	v_addc_co_u32_e32 v3, vcc, v6, v3, vcc
	global_load_dword v6, v[2:3], off
	s_or_b64 s[6:7], s[2:3], s[0:1]
	s_waitcnt vmcnt(0)
	v_cmp_eq_u32_e32 vcc, 0, v6
	s_and_b64 s[6:7], vcc, s[6:7]
	s_and_b64 exec, exec, s[6:7]
	s_cbranch_execz .LBB2_30
; %bb.29:
	v_cndmask_b32_e64 v6, 2, 1, s[0:1]
	v_cndmask_b32_e64 v7, 0, 1, s[0:1]
	;; [unrolled: 1-line block ×3, first 2 shown]
	v_add_u32_e32 v6, s13, v6
	global_store_dword v[2:3], v6, off
.LBB2_30:
	s_or_b64 exec, exec, s[4:5]
	v_div_scale_f64 v[2:3], s[0:1], v[8:9], v[8:9], 1.0
	v_rcp_f64_e32 v[6:7], v[2:3]
	v_div_scale_f64 v[12:13], vcc, 1.0, v[8:9], 1.0
	v_fma_f64 v[16:17], -v[2:3], v[6:7], 1.0
	v_fmac_f64_e32 v[6:7], v[6:7], v[16:17]
	v_fma_f64 v[16:17], -v[2:3], v[6:7], 1.0
	v_fmac_f64_e32 v[6:7], v[6:7], v[16:17]
	v_mul_f64 v[16:17], v[12:13], v[6:7]
	v_fma_f64 v[2:3], -v[2:3], v[16:17], v[12:13]
	v_div_fmas_f64 v[2:3], v[2:3], v[6:7], v[16:17]
	v_div_fixup_f64 v[2:3], v[2:3], v[8:9], 1.0
	v_cndmask_b32_e64 v3, v3, v9, s[2:3]
	v_cndmask_b32_e64 v2, v2, v8, s[2:3]
	v_mul_f64 v[2:3], v[4:5], v[2:3]
	v_cmp_lt_i32_e32 vcc, 1, v10
	v_cndmask_b32_e32 v3, v5, v3, vcc
	v_cndmask_b32_e32 v2, v4, v2, vcc
	v_lshlrev_b64 v[4:5], 3, v[10:11]
	v_add_co_u32_e32 v4, vcc, v14, v4
	v_addc_co_u32_e32 v5, vcc, v15, v5, vcc
	global_store_dwordx2 v[4:5], v[0:1], off
	v_mov_b32_e32 v1, s15
	v_add_co_u32_e32 v0, vcc, s14, v4
	v_addc_co_u32_e32 v1, vcc, v5, v1, vcc
	global_store_dwordx2 v[0:1], v[2:3], off
.LBB2_31:
	s_endpgm
	.section	.rodata,"a",@progbits
	.p2align	6, 0x0
	.amdhsa_kernel _ZN9rocsolver6v33100L18getf2_small_kernelILi2EdiiPKPdEEvT1_T3_lS5_lPS5_llPT2_S5_S5_S7_l
		.amdhsa_group_segment_fixed_size 0
		.amdhsa_private_segment_fixed_size 0
		.amdhsa_kernarg_size 352
		.amdhsa_user_sgpr_count 6
		.amdhsa_user_sgpr_private_segment_buffer 1
		.amdhsa_user_sgpr_dispatch_ptr 0
		.amdhsa_user_sgpr_queue_ptr 0
		.amdhsa_user_sgpr_kernarg_segment_ptr 1
		.amdhsa_user_sgpr_dispatch_id 0
		.amdhsa_user_sgpr_flat_scratch_init 0
		.amdhsa_user_sgpr_kernarg_preload_length 0
		.amdhsa_user_sgpr_kernarg_preload_offset 0
		.amdhsa_user_sgpr_private_segment_size 0
		.amdhsa_uses_dynamic_stack 0
		.amdhsa_system_sgpr_private_segment_wavefront_offset 0
		.amdhsa_system_sgpr_workgroup_id_x 1
		.amdhsa_system_sgpr_workgroup_id_y 1
		.amdhsa_system_sgpr_workgroup_id_z 0
		.amdhsa_system_sgpr_workgroup_info 0
		.amdhsa_system_vgpr_workitem_id 1
		.amdhsa_next_free_vgpr 26
		.amdhsa_next_free_sgpr 18
		.amdhsa_accum_offset 28
		.amdhsa_reserve_vcc 1
		.amdhsa_reserve_flat_scratch 0
		.amdhsa_float_round_mode_32 0
		.amdhsa_float_round_mode_16_64 0
		.amdhsa_float_denorm_mode_32 3
		.amdhsa_float_denorm_mode_16_64 3
		.amdhsa_dx10_clamp 1
		.amdhsa_ieee_mode 1
		.amdhsa_fp16_overflow 0
		.amdhsa_tg_split 0
		.amdhsa_exception_fp_ieee_invalid_op 0
		.amdhsa_exception_fp_denorm_src 0
		.amdhsa_exception_fp_ieee_div_zero 0
		.amdhsa_exception_fp_ieee_overflow 0
		.amdhsa_exception_fp_ieee_underflow 0
		.amdhsa_exception_fp_ieee_inexact 0
		.amdhsa_exception_int_div_zero 0
	.end_amdhsa_kernel
	.section	.text._ZN9rocsolver6v33100L18getf2_small_kernelILi2EdiiPKPdEEvT1_T3_lS5_lPS5_llPT2_S5_S5_S7_l,"axG",@progbits,_ZN9rocsolver6v33100L18getf2_small_kernelILi2EdiiPKPdEEvT1_T3_lS5_lPS5_llPT2_S5_S5_S7_l,comdat
.Lfunc_end2:
	.size	_ZN9rocsolver6v33100L18getf2_small_kernelILi2EdiiPKPdEEvT1_T3_lS5_lPS5_llPT2_S5_S5_S7_l, .Lfunc_end2-_ZN9rocsolver6v33100L18getf2_small_kernelILi2EdiiPKPdEEvT1_T3_lS5_lPS5_llPT2_S5_S5_S7_l
                                        ; -- End function
	.section	.AMDGPU.csdata,"",@progbits
; Kernel info:
; codeLenInByte = 1380
; NumSgprs: 22
; NumVgprs: 26
; NumAgprs: 0
; TotalNumVgprs: 26
; ScratchSize: 0
; MemoryBound: 0
; FloatMode: 240
; IeeeMode: 1
; LDSByteSize: 0 bytes/workgroup (compile time only)
; SGPRBlocks: 2
; VGPRBlocks: 3
; NumSGPRsForWavesPerEU: 22
; NumVGPRsForWavesPerEU: 26
; AccumOffset: 28
; Occupancy: 8
; WaveLimiterHint : 1
; COMPUTE_PGM_RSRC2:SCRATCH_EN: 0
; COMPUTE_PGM_RSRC2:USER_SGPR: 6
; COMPUTE_PGM_RSRC2:TRAP_HANDLER: 0
; COMPUTE_PGM_RSRC2:TGID_X_EN: 1
; COMPUTE_PGM_RSRC2:TGID_Y_EN: 1
; COMPUTE_PGM_RSRC2:TGID_Z_EN: 0
; COMPUTE_PGM_RSRC2:TIDIG_COMP_CNT: 1
; COMPUTE_PGM_RSRC3_GFX90A:ACCUM_OFFSET: 6
; COMPUTE_PGM_RSRC3_GFX90A:TG_SPLIT: 0
	.section	.text._ZN9rocsolver6v33100L23getf2_npvt_small_kernelILi2EdiiPKPdEEvT1_T3_lS5_lPT2_S5_S5_,"axG",@progbits,_ZN9rocsolver6v33100L23getf2_npvt_small_kernelILi2EdiiPKPdEEvT1_T3_lS5_lPT2_S5_S5_,comdat
	.globl	_ZN9rocsolver6v33100L23getf2_npvt_small_kernelILi2EdiiPKPdEEvT1_T3_lS5_lPT2_S5_S5_ ; -- Begin function _ZN9rocsolver6v33100L23getf2_npvt_small_kernelILi2EdiiPKPdEEvT1_T3_lS5_lPT2_S5_S5_
	.p2align	8
	.type	_ZN9rocsolver6v33100L23getf2_npvt_small_kernelILi2EdiiPKPdEEvT1_T3_lS5_lPT2_S5_S5_,@function
_ZN9rocsolver6v33100L23getf2_npvt_small_kernelILi2EdiiPKPdEEvT1_T3_lS5_lPT2_S5_S5_: ; @_ZN9rocsolver6v33100L23getf2_npvt_small_kernelILi2EdiiPKPdEEvT1_T3_lS5_lPT2_S5_S5_
; %bb.0:
	s_load_dword s0, s[4:5], 0x44
	s_load_dwordx2 s[8:9], s[4:5], 0x30
	v_bfe_u32 v10, v0, 10, 10
	s_waitcnt lgkmcnt(0)
	s_lshr_b32 s0, s0, 16
	s_mul_i32 s7, s7, s0
	v_add_u32_e32 v2, s7, v10
	v_cmp_gt_i32_e32 vcc, s8, v2
	s_and_saveexec_b64 s[2:3], vcc
	s_cbranch_execz .LBB3_13
; %bb.1:
	s_load_dwordx4 s[12:15], s[4:5], 0x8
	s_load_dword s2, s[4:5], 0x18
	v_ashrrev_i32_e32 v3, 31, v2
	v_lshlrev_b64 v[4:5], 3, v[2:3]
	v_and_b32_e32 v14, 0x3ff, v0
	s_waitcnt lgkmcnt(0)
	v_mov_b32_e32 v1, s13
	v_add_co_u32_e32 v4, vcc, s12, v4
	v_addc_co_u32_e32 v5, vcc, v1, v5, vcc
	global_load_dwordx2 v[4:5], v[4:5], off
	s_lshl_b64 s[6:7], s[14:15], 3
	v_mov_b32_e32 v1, s7
	v_lshlrev_b32_e32 v0, 3, v14
	s_ashr_i32 s3, s2, 31
	s_lshl_b64 s[2:3], s[2:3], 3
	v_mov_b32_e32 v6, s3
	s_lshl_b32 s0, s0, 4
	v_lshlrev_b32_e32 v11, 4, v10
	s_add_i32 s0, s0, 0
	v_lshl_add_u32 v12, v10, 3, s0
	v_cmp_eq_u32_e64 s[0:1], 0, v14
	v_add_u32_e32 v13, 0, v11
	s_waitcnt vmcnt(0)
	v_add_co_u32_e32 v4, vcc, s6, v4
	v_addc_co_u32_e32 v1, vcc, v5, v1, vcc
	v_add_co_u32_e32 v0, vcc, v4, v0
	v_addc_co_u32_e32 v1, vcc, 0, v1, vcc
	;; [unrolled: 2-line block ×3, first 2 shown]
	global_load_dwordx2 v[6:7], v[0:1], off
	global_load_dwordx2 v[8:9], v[4:5], off
	v_cmp_ne_u32_e64 s[2:3], 0, v14
	s_and_saveexec_b64 s[6:7], s[0:1]
	s_cbranch_execz .LBB3_4
; %bb.2:
	s_waitcnt vmcnt(1)
	ds_write_b64 v12, v[6:7]
	s_waitcnt vmcnt(0)
	ds_write_b64 v13, v[8:9] offset:8
	ds_read_b64 v[10:11], v12
	s_waitcnt lgkmcnt(0)
	v_cmp_neq_f64_e32 vcc, 0, v[10:11]
	s_and_b64 exec, exec, vcc
	s_cbranch_execz .LBB3_4
; %bb.3:
	v_div_scale_f64 v[16:17], s[10:11], v[10:11], v[10:11], 1.0
	v_rcp_f64_e32 v[18:19], v[16:17]
	v_div_scale_f64 v[20:21], vcc, 1.0, v[10:11], 1.0
	v_fma_f64 v[22:23], -v[16:17], v[18:19], 1.0
	v_fmac_f64_e32 v[18:19], v[18:19], v[22:23]
	v_fma_f64 v[22:23], -v[16:17], v[18:19], 1.0
	v_fmac_f64_e32 v[18:19], v[18:19], v[22:23]
	v_mul_f64 v[22:23], v[20:21], v[18:19]
	v_fma_f64 v[16:17], -v[16:17], v[22:23], v[20:21]
	v_div_fmas_f64 v[16:17], v[16:17], v[18:19], v[22:23]
	v_div_fixup_f64 v[10:11], v[16:17], v[10:11], 1.0
	ds_write_b64 v12, v[10:11]
.LBB3_4:
	s_or_b64 exec, exec, s[6:7]
	s_waitcnt lgkmcnt(0)
	s_barrier
	ds_read_b64 v[10:11], v12
	s_and_saveexec_b64 s[6:7], s[2:3]
	s_cbranch_execz .LBB3_6
; %bb.5:
	ds_read_b64 v[16:17], v13 offset:8
	s_waitcnt vmcnt(1) lgkmcnt(1)
	v_mul_f64 v[6:7], v[6:7], v[10:11]
	s_waitcnt vmcnt(0) lgkmcnt(0)
	v_fma_f64 v[8:9], -v[6:7], v[16:17], v[8:9]
.LBB3_6:
	s_or_b64 exec, exec, s[6:7]
	v_cmp_eq_u32_e32 vcc, 1, v14
	s_waitcnt lgkmcnt(0)
	s_barrier
	s_and_saveexec_b64 s[2:3], vcc
	s_cbranch_execz .LBB3_9
; %bb.7:
	s_waitcnt vmcnt(0)
	v_cmp_neq_f64_e32 vcc, 0, v[8:9]
	ds_write_b64 v12, v[8:9]
	s_and_b64 exec, exec, vcc
	s_cbranch_execz .LBB3_9
; %bb.8:
	v_div_scale_f64 v[16:17], s[6:7], v[8:9], v[8:9], 1.0
	v_rcp_f64_e32 v[18:19], v[16:17]
	v_div_scale_f64 v[20:21], vcc, 1.0, v[8:9], 1.0
	v_fma_f64 v[22:23], -v[16:17], v[18:19], 1.0
	v_fmac_f64_e32 v[18:19], v[18:19], v[22:23]
	v_fma_f64 v[22:23], -v[16:17], v[18:19], 1.0
	v_fmac_f64_e32 v[18:19], v[18:19], v[22:23]
	v_mul_f64 v[22:23], v[20:21], v[18:19]
	v_fma_f64 v[16:17], -v[16:17], v[22:23], v[20:21]
	v_div_fmas_f64 v[16:17], v[16:17], v[18:19], v[22:23]
	v_div_fixup_f64 v[16:17], v[16:17], v[8:9], 1.0
	ds_write_b64 v12, v[16:17]
.LBB3_9:
	s_or_b64 exec, exec, s[2:3]
	s_waitcnt lgkmcnt(0)
	s_barrier
	ds_read_b64 v[12:13], v12
	s_waitcnt lgkmcnt(0)
	s_barrier
	s_and_saveexec_b64 s[6:7], s[0:1]
	s_cbranch_execz .LBB3_12
; %bb.10:
	s_load_dwordx2 s[0:1], s[4:5], 0x28
	v_lshlrev_b64 v[2:3], 2, v[2:3]
	s_waitcnt lgkmcnt(0)
	v_mov_b32_e32 v15, s1
	v_add_co_u32_e32 v2, vcc, s0, v2
	v_addc_co_u32_e32 v3, vcc, v15, v3, vcc
	global_load_dword v15, v[2:3], off
	v_cmp_eq_f64_e32 vcc, 0, v[10:11]
	v_cmp_neq_f64_e64 s[0:1], 0, v[12:13]
	s_or_b64 s[0:1], s[0:1], vcc
	s_xor_b64 s[4:5], s[0:1], -1
	s_or_b64 s[4:5], s[4:5], vcc
	s_waitcnt vmcnt(0)
	v_cmp_eq_u32_e64 s[2:3], 0, v15
	s_and_b64 s[2:3], s[2:3], s[4:5]
	s_and_b64 exec, exec, s[2:3]
	s_cbranch_execz .LBB3_12
; %bb.11:
	v_cndmask_b32_e64 v10, 0, 1, vcc
	v_cndmask_b32_e64 v10, 2, v10, s[0:1]
	v_add_u32_e32 v10, s9, v10
	global_store_dword v[2:3], v10, off
.LBB3_12:
	s_or_b64 exec, exec, s[6:7]
	s_waitcnt vmcnt(0)
	v_mul_f64 v[2:3], v[8:9], v[12:13]
	v_cmp_lt_u32_e32 vcc, 1, v14
	v_cndmask_b32_e32 v3, v9, v3, vcc
	v_cndmask_b32_e32 v2, v8, v2, vcc
	global_store_dwordx2 v[0:1], v[6:7], off
	global_store_dwordx2 v[4:5], v[2:3], off
.LBB3_13:
	s_endpgm
	.section	.rodata,"a",@progbits
	.p2align	6, 0x0
	.amdhsa_kernel _ZN9rocsolver6v33100L23getf2_npvt_small_kernelILi2EdiiPKPdEEvT1_T3_lS5_lPT2_S5_S5_
		.amdhsa_group_segment_fixed_size 0
		.amdhsa_private_segment_fixed_size 0
		.amdhsa_kernarg_size 312
		.amdhsa_user_sgpr_count 6
		.amdhsa_user_sgpr_private_segment_buffer 1
		.amdhsa_user_sgpr_dispatch_ptr 0
		.amdhsa_user_sgpr_queue_ptr 0
		.amdhsa_user_sgpr_kernarg_segment_ptr 1
		.amdhsa_user_sgpr_dispatch_id 0
		.amdhsa_user_sgpr_flat_scratch_init 0
		.amdhsa_user_sgpr_kernarg_preload_length 0
		.amdhsa_user_sgpr_kernarg_preload_offset 0
		.amdhsa_user_sgpr_private_segment_size 0
		.amdhsa_uses_dynamic_stack 0
		.amdhsa_system_sgpr_private_segment_wavefront_offset 0
		.amdhsa_system_sgpr_workgroup_id_x 1
		.amdhsa_system_sgpr_workgroup_id_y 1
		.amdhsa_system_sgpr_workgroup_id_z 0
		.amdhsa_system_sgpr_workgroup_info 0
		.amdhsa_system_vgpr_workitem_id 1
		.amdhsa_next_free_vgpr 24
		.amdhsa_next_free_sgpr 16
		.amdhsa_accum_offset 24
		.amdhsa_reserve_vcc 1
		.amdhsa_reserve_flat_scratch 0
		.amdhsa_float_round_mode_32 0
		.amdhsa_float_round_mode_16_64 0
		.amdhsa_float_denorm_mode_32 3
		.amdhsa_float_denorm_mode_16_64 3
		.amdhsa_dx10_clamp 1
		.amdhsa_ieee_mode 1
		.amdhsa_fp16_overflow 0
		.amdhsa_tg_split 0
		.amdhsa_exception_fp_ieee_invalid_op 0
		.amdhsa_exception_fp_denorm_src 0
		.amdhsa_exception_fp_ieee_div_zero 0
		.amdhsa_exception_fp_ieee_overflow 0
		.amdhsa_exception_fp_ieee_underflow 0
		.amdhsa_exception_fp_ieee_inexact 0
		.amdhsa_exception_int_div_zero 0
	.end_amdhsa_kernel
	.section	.text._ZN9rocsolver6v33100L23getf2_npvt_small_kernelILi2EdiiPKPdEEvT1_T3_lS5_lPT2_S5_S5_,"axG",@progbits,_ZN9rocsolver6v33100L23getf2_npvt_small_kernelILi2EdiiPKPdEEvT1_T3_lS5_lPT2_S5_S5_,comdat
.Lfunc_end3:
	.size	_ZN9rocsolver6v33100L23getf2_npvt_small_kernelILi2EdiiPKPdEEvT1_T3_lS5_lPT2_S5_S5_, .Lfunc_end3-_ZN9rocsolver6v33100L23getf2_npvt_small_kernelILi2EdiiPKPdEEvT1_T3_lS5_lPT2_S5_S5_
                                        ; -- End function
	.section	.AMDGPU.csdata,"",@progbits
; Kernel info:
; codeLenInByte = 752
; NumSgprs: 20
; NumVgprs: 24
; NumAgprs: 0
; TotalNumVgprs: 24
; ScratchSize: 0
; MemoryBound: 0
; FloatMode: 240
; IeeeMode: 1
; LDSByteSize: 0 bytes/workgroup (compile time only)
; SGPRBlocks: 2
; VGPRBlocks: 2
; NumSGPRsForWavesPerEU: 20
; NumVGPRsForWavesPerEU: 24
; AccumOffset: 24
; Occupancy: 8
; WaveLimiterHint : 1
; COMPUTE_PGM_RSRC2:SCRATCH_EN: 0
; COMPUTE_PGM_RSRC2:USER_SGPR: 6
; COMPUTE_PGM_RSRC2:TRAP_HANDLER: 0
; COMPUTE_PGM_RSRC2:TGID_X_EN: 1
; COMPUTE_PGM_RSRC2:TGID_Y_EN: 1
; COMPUTE_PGM_RSRC2:TGID_Z_EN: 0
; COMPUTE_PGM_RSRC2:TIDIG_COMP_CNT: 1
; COMPUTE_PGM_RSRC3_GFX90A:ACCUM_OFFSET: 5
; COMPUTE_PGM_RSRC3_GFX90A:TG_SPLIT: 0
	.section	.text._ZN9rocsolver6v33100L18getf2_small_kernelILi3EdiiPKPdEEvT1_T3_lS5_lPS5_llPT2_S5_S5_S7_l,"axG",@progbits,_ZN9rocsolver6v33100L18getf2_small_kernelILi3EdiiPKPdEEvT1_T3_lS5_lPS5_llPT2_S5_S5_S7_l,comdat
	.globl	_ZN9rocsolver6v33100L18getf2_small_kernelILi3EdiiPKPdEEvT1_T3_lS5_lPS5_llPT2_S5_S5_S7_l ; -- Begin function _ZN9rocsolver6v33100L18getf2_small_kernelILi3EdiiPKPdEEvT1_T3_lS5_lPS5_llPT2_S5_S5_S7_l
	.p2align	8
	.type	_ZN9rocsolver6v33100L18getf2_small_kernelILi3EdiiPKPdEEvT1_T3_lS5_lPS5_llPT2_S5_S5_S7_l,@function
_ZN9rocsolver6v33100L18getf2_small_kernelILi3EdiiPKPdEEvT1_T3_lS5_lPS5_llPT2_S5_S5_S7_l: ; @_ZN9rocsolver6v33100L18getf2_small_kernelILi3EdiiPKPdEEvT1_T3_lS5_lPS5_llPT2_S5_S5_S7_l
; %bb.0:
	s_load_dword s0, s[4:5], 0x6c
	s_load_dwordx2 s[12:13], s[4:5], 0x48
	v_bfe_u32 v10, v0, 10, 10
	s_waitcnt lgkmcnt(0)
	s_lshr_b32 s0, s0, 16
	s_mul_i32 s7, s7, s0
	v_add_u32_e32 v2, s7, v10
	v_cmp_gt_i32_e32 vcc, s12, v2
	s_and_saveexec_b64 s[0:1], vcc
	s_cbranch_execz .LBB4_48
; %bb.1:
	s_load_dwordx4 s[0:3], s[4:5], 0x8
	s_load_dwordx4 s[8:11], s[4:5], 0x50
	v_ashrrev_i32_e32 v3, 31, v2
	v_lshlrev_b64 v[4:5], 3, v[2:3]
	v_pk_mov_b32 v[8:9], 0, 0
	s_waitcnt lgkmcnt(0)
	v_mov_b32_e32 v1, s1
	v_add_co_u32_e32 v4, vcc, s0, v4
	v_addc_co_u32_e32 v5, vcc, v1, v5, vcc
	global_load_dwordx2 v[4:5], v[4:5], off
	s_cmp_eq_u64 s[8:9], 0
	s_cselect_b64 s[6:7], -1, 0
	s_and_b64 vcc, exec, s[6:7]
	s_cbranch_vccnz .LBB4_3
; %bb.2:
	v_mul_lo_u32 v1, v3, s10
	v_mul_lo_u32 v8, v2, s11
	v_mad_u64_u32 v[6:7], s[0:1], v2, s10, 0
	v_add3_u32 v7, v7, v8, v1
	v_lshlrev_b64 v[6:7], 2, v[6:7]
	v_mov_b32_e32 v1, s9
	v_add_co_u32_e32 v8, vcc, s8, v6
	v_addc_co_u32_e32 v9, vcc, v1, v7, vcc
.LBB4_3:
	s_lshl_b64 s[0:1], s[2:3], 3
	s_waitcnt vmcnt(0)
	v_add_co_u32_e32 v16, vcc, s0, v4
	s_load_dword s0, s[4:5], 0x18
	s_load_dword s16, s[4:5], 0x0
	v_mov_b32_e32 v1, s1
	v_and_b32_e32 v19, 0x3ff, v0
	v_addc_co_u32_e32 v17, vcc, v5, v1, vcc
	v_lshlrev_b32_e32 v11, 3, v19
	v_add_co_u32_e32 v4, vcc, v16, v11
	v_addc_co_u32_e32 v5, vcc, 0, v17, vcc
	s_waitcnt lgkmcnt(0)
	s_ashr_i32 s1, s0, 31
	global_load_dwordx2 v[0:1], v[4:5], off
	s_lshl_b64 s[8:9], s[0:1], 3
	s_add_i32 s12, s0, s0
	v_mov_b32_e32 v6, s9
	v_add_co_u32_e32 v12, vcc, s8, v4
	v_add_u32_e32 v4, s12, v19
	v_addc_co_u32_e32 v13, vcc, v5, v6, vcc
	v_ashrrev_i32_e32 v5, 31, v4
	v_lshlrev_b64 v[4:5], 3, v[4:5]
	v_add_co_u32_e32 v14, vcc, v16, v4
	v_addc_co_u32_e32 v15, vcc, v17, v5, vcc
	global_load_dwordx2 v[4:5], v[12:13], off
	global_load_dwordx2 v[6:7], v[14:15], off
	s_max_i32 s0, s16, 3
	v_mul_lo_u32 v13, s0, v10
	v_lshl_add_u32 v14, v13, 3, 0
	v_add_u32_e32 v10, v14, v11
	v_mov_b32_e32 v12, 0
	s_cmp_lt_i32 s16, 2
	v_lshlrev_b32_e32 v15, 3, v13
	s_waitcnt vmcnt(2)
	ds_write_b64 v10, v[0:1]
	s_waitcnt lgkmcnt(0)
	s_barrier
	ds_read_b64 v[10:11], v14
	s_cbranch_scc1 .LBB4_6
; %bb.4:
	v_add3_u32 v13, v15, 0, 8
	s_mov_b32 s0, 1
	v_mov_b32_e32 v12, 0
.LBB4_5:                                ; =>This Inner Loop Header: Depth=1
	ds_read_b64 v[20:21], v13
	v_mov_b32_e32 v18, s0
	s_add_i32 s0, s0, 1
	v_add_u32_e32 v13, 8, v13
	s_cmp_eq_u32 s16, s0
	s_waitcnt lgkmcnt(0)
	v_cmp_lt_f64_e64 vcc, |v[10:11]|, |v[20:21]|
	v_cndmask_b32_e32 v11, v11, v21, vcc
	v_cndmask_b32_e32 v10, v10, v20, vcc
	;; [unrolled: 1-line block ×3, first 2 shown]
	s_cbranch_scc0 .LBB4_5
.LBB4_6:
	v_cmp_ne_u32_e32 vcc, v19, v12
                                        ; implicit-def: $vgpr18
	s_and_saveexec_b64 s[0:1], vcc
	s_xor_b64 s[0:1], exec, s[0:1]
	s_cbranch_execz .LBB4_12
; %bb.7:
	v_cmp_eq_u32_e32 vcc, 0, v19
	s_and_saveexec_b64 s[2:3], vcc
	s_cbranch_execz .LBB4_11
; %bb.8:
	v_cmp_ne_u32_e32 vcc, 0, v12
	s_xor_b64 s[10:11], s[6:7], -1
	s_and_b64 s[14:15], s[10:11], vcc
	s_and_saveexec_b64 s[10:11], s[14:15]
	s_cbranch_execz .LBB4_10
; %bb.9:
	v_ashrrev_i32_e32 v13, 31, v12
	v_lshlrev_b64 v[18:19], 2, v[12:13]
	v_add_co_u32_e32 v18, vcc, v8, v18
	v_addc_co_u32_e32 v19, vcc, v9, v19, vcc
	flat_load_dword v13, v[18:19]
	flat_load_dword v20, v[8:9]
	s_waitcnt vmcnt(0) lgkmcnt(0)
	flat_store_dword v[8:9], v13
	flat_store_dword v[18:19], v20
.LBB4_10:
	s_or_b64 exec, exec, s[10:11]
	v_mov_b32_e32 v19, v12
.LBB4_11:
	s_or_b64 exec, exec, s[2:3]
	v_mov_b32_e32 v18, v19
                                        ; implicit-def: $vgpr19
.LBB4_12:
	s_or_saveexec_b64 s[0:1], s[0:1]
	v_mov_b32_e32 v13, v18
	s_xor_b64 exec, exec, s[0:1]
	s_cbranch_execz .LBB4_14
; %bb.13:
	v_mov_b32_e32 v18, 0
	v_mov_b32_e32 v13, v19
	s_waitcnt vmcnt(0)
	ds_write2_b64 v14, v[4:5], v[6:7] offset0:1 offset1:2
.LBB4_14:
	s_or_b64 exec, exec, s[0:1]
	s_waitcnt lgkmcnt(0)
	v_cmp_eq_f64_e64 s[0:1], 0, v[10:11]
	v_cmp_lt_i32_e32 vcc, 0, v18
	s_barrier
	s_and_saveexec_b64 s[2:3], vcc
	s_cbranch_execz .LBB4_16
; %bb.15:
	v_div_scale_f64 v[20:21], s[10:11], v[10:11], v[10:11], 1.0
	v_rcp_f64_e32 v[22:23], v[20:21]
	v_div_scale_f64 v[24:25], vcc, 1.0, v[10:11], 1.0
	v_fma_f64 v[26:27], -v[20:21], v[22:23], 1.0
	v_fmac_f64_e32 v[22:23], v[22:23], v[26:27]
	v_fma_f64 v[26:27], -v[20:21], v[22:23], 1.0
	v_fmac_f64_e32 v[22:23], v[22:23], v[26:27]
	v_mul_f64 v[26:27], v[24:25], v[22:23]
	v_fma_f64 v[20:21], -v[20:21], v[26:27], v[24:25]
	v_div_fmas_f64 v[24:25], v[20:21], v[22:23], v[26:27]
	ds_read2_b64 v[20:23], v14 offset0:1 offset1:2
	v_div_fixup_f64 v[24:25], v[24:25], v[10:11], 1.0
	v_cndmask_b32_e64 v11, v25, v11, s[0:1]
	v_cndmask_b32_e64 v10, v24, v10, s[0:1]
	v_mul_f64 v[0:1], v[0:1], v[10:11]
	s_waitcnt vmcnt(0) lgkmcnt(0)
	v_fma_f64 v[4:5], -v[0:1], v[20:21], v[4:5]
	v_fma_f64 v[6:7], -v[0:1], v[22:23], v[6:7]
.LBB4_16:
	s_or_b64 exec, exec, s[2:3]
	v_lshl_add_u32 v10, v18, 3, v14
	s_barrier
	s_waitcnt vmcnt(0)
	ds_write_b64 v10, v[4:5]
	s_waitcnt lgkmcnt(0)
	s_barrier
	ds_read_b64 v[10:11], v14 offset:8
	s_cmp_lt_i32 s16, 3
	v_mov_b32_e32 v12, 1
	s_cbranch_scc1 .LBB4_19
; %bb.17:
	v_add3_u32 v19, v15, 0, 16
	s_mov_b32 s2, 2
	v_mov_b32_e32 v12, 1
.LBB4_18:                               ; =>This Inner Loop Header: Depth=1
	ds_read_b64 v[20:21], v19
	v_mov_b32_e32 v22, s2
	s_add_i32 s2, s2, 1
	v_add_u32_e32 v19, 8, v19
	s_cmp_lg_u32 s16, s2
	s_waitcnt lgkmcnt(0)
	v_cmp_lt_f64_e64 vcc, |v[10:11]|, |v[20:21]|
	v_cndmask_b32_e32 v11, v11, v21, vcc
	v_cndmask_b32_e32 v10, v10, v20, vcc
	;; [unrolled: 1-line block ×3, first 2 shown]
	s_cbranch_scc1 .LBB4_18
.LBB4_19:
	v_cmp_ne_u32_e32 vcc, v18, v12
	s_and_saveexec_b64 s[2:3], vcc
	s_xor_b64 s[2:3], exec, s[2:3]
	s_cbranch_execz .LBB4_25
; %bb.20:
	v_cmp_eq_u32_e32 vcc, 1, v18
	s_and_saveexec_b64 s[10:11], vcc
	s_cbranch_execz .LBB4_24
; %bb.21:
	v_cmp_ne_u32_e32 vcc, 1, v12
	s_xor_b64 s[14:15], s[6:7], -1
	s_and_b64 s[18:19], s[14:15], vcc
	s_and_saveexec_b64 s[14:15], s[18:19]
	s_cbranch_execz .LBB4_23
; %bb.22:
	v_ashrrev_i32_e32 v13, 31, v12
	v_lshlrev_b64 v[18:19], 2, v[12:13]
	v_add_co_u32_e32 v18, vcc, v8, v18
	v_addc_co_u32_e32 v19, vcc, v9, v19, vcc
	flat_load_dword v13, v[18:19]
	flat_load_dword v20, v[8:9] offset:4
	s_waitcnt vmcnt(0) lgkmcnt(0)
	flat_store_dword v[8:9], v13 offset:4
	flat_store_dword v[18:19], v20
.LBB4_23:
	s_or_b64 exec, exec, s[14:15]
	v_mov_b32_e32 v13, v12
	v_mov_b32_e32 v18, v12
.LBB4_24:
	s_or_b64 exec, exec, s[10:11]
.LBB4_25:
	s_andn2_saveexec_b64 s[2:3], s[2:3]
	s_cbranch_execz .LBB4_27
; %bb.26:
	v_mov_b32_e32 v18, 1
	ds_write_b64 v14, v[6:7] offset:16
.LBB4_27:
	s_or_b64 exec, exec, s[2:3]
	s_waitcnt lgkmcnt(0)
	v_cmp_neq_f64_e64 s[2:3], 0, v[10:11]
	v_cmp_lt_i32_e32 vcc, 1, v18
	s_barrier
	s_and_saveexec_b64 s[10:11], vcc
	s_cbranch_execz .LBB4_29
; %bb.28:
	v_div_scale_f64 v[20:21], s[14:15], v[10:11], v[10:11], 1.0
	v_rcp_f64_e32 v[22:23], v[20:21]
	v_div_scale_f64 v[24:25], vcc, 1.0, v[10:11], 1.0
	v_fma_f64 v[26:27], -v[20:21], v[22:23], 1.0
	v_fmac_f64_e32 v[22:23], v[22:23], v[26:27]
	v_fma_f64 v[26:27], -v[20:21], v[22:23], 1.0
	v_fmac_f64_e32 v[22:23], v[22:23], v[26:27]
	v_mul_f64 v[26:27], v[24:25], v[22:23]
	v_fma_f64 v[20:21], -v[20:21], v[26:27], v[24:25]
	v_div_fmas_f64 v[20:21], v[20:21], v[22:23], v[26:27]
	ds_read_b64 v[22:23], v14 offset:16
	v_div_fixup_f64 v[20:21], v[20:21], v[10:11], 1.0
	v_cndmask_b32_e64 v11, v11, v21, s[2:3]
	v_cndmask_b32_e64 v10, v10, v20, s[2:3]
	v_mul_f64 v[4:5], v[4:5], v[10:11]
	s_waitcnt lgkmcnt(0)
	v_fma_f64 v[6:7], -v[4:5], v[22:23], v[6:7]
.LBB4_29:
	s_or_b64 exec, exec, s[10:11]
	v_lshl_add_u32 v10, v18, 3, v14
	s_barrier
	ds_write_b64 v10, v[6:7]
	s_waitcnt lgkmcnt(0)
	s_barrier
	ds_read_b64 v[10:11], v14 offset:16
	s_mov_b32 s10, 3
	s_cmp_lt_i32 s16, 4
	v_mov_b32_e32 v12, 2
	s_cbranch_scc1 .LBB4_32
; %bb.30:
	v_add3_u32 v14, v15, 0, 24
	v_mov_b32_e32 v12, 2
.LBB4_31:                               ; =>This Inner Loop Header: Depth=1
	ds_read_b64 v[20:21], v14
	v_mov_b32_e32 v15, s10
	s_add_i32 s10, s10, 1
	v_add_u32_e32 v14, 8, v14
	s_cmp_lg_u32 s16, s10
	s_waitcnt lgkmcnt(0)
	v_cmp_lt_f64_e64 vcc, |v[10:11]|, |v[20:21]|
	v_cndmask_b32_e32 v11, v11, v21, vcc
	v_cndmask_b32_e32 v10, v10, v20, vcc
	;; [unrolled: 1-line block ×3, first 2 shown]
	s_cbranch_scc1 .LBB4_31
.LBB4_32:
	v_cndmask_b32_e64 v14, 2, 1, s[0:1]
	v_cndmask_b32_e64 v15, 0, 1, s[0:1]
	;; [unrolled: 1-line block ×3, first 2 shown]
	s_waitcnt lgkmcnt(0)
	v_cmp_eq_f64_e32 vcc, 0, v[10:11]
	s_and_saveexec_b64 s[0:1], vcc
	s_xor_b64 s[0:1], exec, s[0:1]
; %bb.33:
	v_cmp_ne_u32_e32 vcc, 0, v19
	v_cndmask_b32_e32 v19, 3, v19, vcc
; %bb.34:
	s_andn2_saveexec_b64 s[0:1], s[0:1]
; %bb.35:
	v_div_scale_f64 v[14:15], s[2:3], v[10:11], v[10:11], 1.0
	v_rcp_f64_e32 v[20:21], v[14:15]
	v_div_scale_f64 v[22:23], vcc, 1.0, v[10:11], 1.0
	v_fma_f64 v[24:25], -v[14:15], v[20:21], 1.0
	v_fmac_f64_e32 v[20:21], v[20:21], v[24:25]
	v_fma_f64 v[24:25], -v[14:15], v[20:21], 1.0
	v_fmac_f64_e32 v[20:21], v[20:21], v[24:25]
	v_mul_f64 v[24:25], v[22:23], v[20:21]
	v_fma_f64 v[14:15], -v[14:15], v[24:25], v[22:23]
	v_div_fmas_f64 v[14:15], v[14:15], v[20:21], v[24:25]
	v_div_fixup_f64 v[10:11], v[14:15], v[10:11], 1.0
; %bb.36:
	s_or_b64 exec, exec, s[0:1]
	v_cmp_ne_u32_e32 vcc, v18, v12
	v_mov_b32_e32 v14, 2
	s_and_saveexec_b64 s[0:1], vcc
	s_cbranch_execz .LBB4_42
; %bb.37:
	v_cmp_eq_u32_e32 vcc, 2, v18
	s_and_saveexec_b64 s[2:3], vcc
	s_cbranch_execz .LBB4_41
; %bb.38:
	v_cmp_ne_u32_e32 vcc, 2, v12
	s_xor_b64 s[6:7], s[6:7], -1
	s_and_b64 s[10:11], s[6:7], vcc
	s_and_saveexec_b64 s[6:7], s[10:11]
	s_cbranch_execz .LBB4_40
; %bb.39:
	v_ashrrev_i32_e32 v13, 31, v12
	v_lshlrev_b64 v[14:15], 2, v[12:13]
	v_add_co_u32_e32 v14, vcc, v8, v14
	v_addc_co_u32_e32 v15, vcc, v9, v15, vcc
	flat_load_dword v13, v[14:15]
	flat_load_dword v18, v[8:9] offset:8
	s_waitcnt vmcnt(0) lgkmcnt(0)
	flat_store_dword v[8:9], v13 offset:8
	flat_store_dword v[14:15], v18
.LBB4_40:
	s_or_b64 exec, exec, s[6:7]
	v_mov_b32_e32 v13, v12
	v_mov_b32_e32 v18, v12
.LBB4_41:
	s_or_b64 exec, exec, s[2:3]
	v_mov_b32_e32 v14, v18
.LBB4_42:
	s_or_b64 exec, exec, s[0:1]
	s_load_dwordx8 s[0:7], s[4:5], 0x28
	v_cmp_gt_i32_e32 vcc, 3, v14
	v_ashrrev_i32_e32 v15, 31, v14
	s_waitcnt lgkmcnt(0)
	s_barrier
	s_barrier
	s_and_saveexec_b64 s[10:11], vcc
	s_cbranch_execz .LBB4_44
; %bb.43:
	v_mul_lo_u32 v12, v3, s4
	v_mul_lo_u32 v18, v2, s5
	v_mad_u64_u32 v[8:9], s[4:5], v2, s4, 0
	s_lshl_b64 s[2:3], s[2:3], 2
	v_add3_u32 v9, v9, v18, v12
	s_add_u32 s0, s2, s0
	v_lshlrev_b64 v[8:9], 2, v[8:9]
	s_addc_u32 s1, s3, s1
	v_mov_b32_e32 v12, s1
	v_add_co_u32_e32 v18, vcc, s0, v8
	v_addc_co_u32_e32 v12, vcc, v12, v9, vcc
	v_lshlrev_b64 v[8:9], 2, v[14:15]
	v_add_co_u32_e32 v8, vcc, v18, v8
	v_addc_co_u32_e32 v9, vcc, v12, v9, vcc
	v_add3_u32 v12, v13, s13, 1
	global_store_dword v[8:9], v12, off
.LBB4_44:
	s_or_b64 exec, exec, s[10:11]
	v_cmp_eq_u32_e32 vcc, 0, v14
	s_and_saveexec_b64 s[2:3], vcc
	s_cbranch_execz .LBB4_47
; %bb.45:
	v_lshlrev_b64 v[2:3], 2, v[2:3]
	v_mov_b32_e32 v8, s7
	v_add_co_u32_e32 v2, vcc, s6, v2
	v_addc_co_u32_e32 v3, vcc, v8, v3, vcc
	global_load_dword v8, v[2:3], off
	v_cmp_lt_i32_e64 s[0:1], 0, v19
	s_waitcnt vmcnt(0)
	v_cmp_eq_u32_e32 vcc, 0, v8
	s_and_b64 s[0:1], vcc, s[0:1]
	s_and_b64 exec, exec, s[0:1]
	s_cbranch_execz .LBB4_47
; %bb.46:
	v_add_u32_e32 v8, s13, v19
	global_store_dword v[2:3], v8, off
.LBB4_47:
	s_or_b64 exec, exec, s[2:3]
	v_mul_f64 v[2:3], v[6:7], v[10:11]
	v_cmp_lt_i32_e32 vcc, 2, v14
	v_cndmask_b32_e32 v3, v7, v3, vcc
	v_cndmask_b32_e32 v2, v6, v2, vcc
	v_lshlrev_b64 v[6:7], 3, v[14:15]
	v_add_co_u32_e32 v6, vcc, v16, v6
	v_addc_co_u32_e32 v7, vcc, v17, v7, vcc
	global_store_dwordx2 v[6:7], v[0:1], off
	v_mov_b32_e32 v1, s9
	v_add_co_u32_e32 v0, vcc, s8, v6
	v_addc_co_u32_e32 v1, vcc, v7, v1, vcc
	global_store_dwordx2 v[0:1], v[4:5], off
	v_add_u32_e32 v0, s12, v14
	v_ashrrev_i32_e32 v1, 31, v0
	v_lshlrev_b64 v[0:1], 3, v[0:1]
	v_add_co_u32_e32 v0, vcc, v16, v0
	v_addc_co_u32_e32 v1, vcc, v17, v1, vcc
	global_store_dwordx2 v[0:1], v[2:3], off
.LBB4_48:
	s_endpgm
	.section	.rodata,"a",@progbits
	.p2align	6, 0x0
	.amdhsa_kernel _ZN9rocsolver6v33100L18getf2_small_kernelILi3EdiiPKPdEEvT1_T3_lS5_lPS5_llPT2_S5_S5_S7_l
		.amdhsa_group_segment_fixed_size 0
		.amdhsa_private_segment_fixed_size 0
		.amdhsa_kernarg_size 352
		.amdhsa_user_sgpr_count 6
		.amdhsa_user_sgpr_private_segment_buffer 1
		.amdhsa_user_sgpr_dispatch_ptr 0
		.amdhsa_user_sgpr_queue_ptr 0
		.amdhsa_user_sgpr_kernarg_segment_ptr 1
		.amdhsa_user_sgpr_dispatch_id 0
		.amdhsa_user_sgpr_flat_scratch_init 0
		.amdhsa_user_sgpr_kernarg_preload_length 0
		.amdhsa_user_sgpr_kernarg_preload_offset 0
		.amdhsa_user_sgpr_private_segment_size 0
		.amdhsa_uses_dynamic_stack 0
		.amdhsa_system_sgpr_private_segment_wavefront_offset 0
		.amdhsa_system_sgpr_workgroup_id_x 1
		.amdhsa_system_sgpr_workgroup_id_y 1
		.amdhsa_system_sgpr_workgroup_id_z 0
		.amdhsa_system_sgpr_workgroup_info 0
		.amdhsa_system_vgpr_workitem_id 1
		.amdhsa_next_free_vgpr 28
		.amdhsa_next_free_sgpr 20
		.amdhsa_accum_offset 28
		.amdhsa_reserve_vcc 1
		.amdhsa_reserve_flat_scratch 0
		.amdhsa_float_round_mode_32 0
		.amdhsa_float_round_mode_16_64 0
		.amdhsa_float_denorm_mode_32 3
		.amdhsa_float_denorm_mode_16_64 3
		.amdhsa_dx10_clamp 1
		.amdhsa_ieee_mode 1
		.amdhsa_fp16_overflow 0
		.amdhsa_tg_split 0
		.amdhsa_exception_fp_ieee_invalid_op 0
		.amdhsa_exception_fp_denorm_src 0
		.amdhsa_exception_fp_ieee_div_zero 0
		.amdhsa_exception_fp_ieee_overflow 0
		.amdhsa_exception_fp_ieee_underflow 0
		.amdhsa_exception_fp_ieee_inexact 0
		.amdhsa_exception_int_div_zero 0
	.end_amdhsa_kernel
	.section	.text._ZN9rocsolver6v33100L18getf2_small_kernelILi3EdiiPKPdEEvT1_T3_lS5_lPS5_llPT2_S5_S5_S7_l,"axG",@progbits,_ZN9rocsolver6v33100L18getf2_small_kernelILi3EdiiPKPdEEvT1_T3_lS5_lPS5_llPT2_S5_S5_S7_l,comdat
.Lfunc_end4:
	.size	_ZN9rocsolver6v33100L18getf2_small_kernelILi3EdiiPKPdEEvT1_T3_lS5_lPS5_llPT2_S5_S5_S7_l, .Lfunc_end4-_ZN9rocsolver6v33100L18getf2_small_kernelILi3EdiiPKPdEEvT1_T3_lS5_lPS5_llPT2_S5_S5_S7_l
                                        ; -- End function
	.section	.AMDGPU.csdata,"",@progbits
; Kernel info:
; codeLenInByte = 1880
; NumSgprs: 24
; NumVgprs: 28
; NumAgprs: 0
; TotalNumVgprs: 28
; ScratchSize: 0
; MemoryBound: 0
; FloatMode: 240
; IeeeMode: 1
; LDSByteSize: 0 bytes/workgroup (compile time only)
; SGPRBlocks: 2
; VGPRBlocks: 3
; NumSGPRsForWavesPerEU: 24
; NumVGPRsForWavesPerEU: 28
; AccumOffset: 28
; Occupancy: 8
; WaveLimiterHint : 1
; COMPUTE_PGM_RSRC2:SCRATCH_EN: 0
; COMPUTE_PGM_RSRC2:USER_SGPR: 6
; COMPUTE_PGM_RSRC2:TRAP_HANDLER: 0
; COMPUTE_PGM_RSRC2:TGID_X_EN: 1
; COMPUTE_PGM_RSRC2:TGID_Y_EN: 1
; COMPUTE_PGM_RSRC2:TGID_Z_EN: 0
; COMPUTE_PGM_RSRC2:TIDIG_COMP_CNT: 1
; COMPUTE_PGM_RSRC3_GFX90A:ACCUM_OFFSET: 6
; COMPUTE_PGM_RSRC3_GFX90A:TG_SPLIT: 0
	.section	.text._ZN9rocsolver6v33100L23getf2_npvt_small_kernelILi3EdiiPKPdEEvT1_T3_lS5_lPT2_S5_S5_,"axG",@progbits,_ZN9rocsolver6v33100L23getf2_npvt_small_kernelILi3EdiiPKPdEEvT1_T3_lS5_lPT2_S5_S5_,comdat
	.globl	_ZN9rocsolver6v33100L23getf2_npvt_small_kernelILi3EdiiPKPdEEvT1_T3_lS5_lPT2_S5_S5_ ; -- Begin function _ZN9rocsolver6v33100L23getf2_npvt_small_kernelILi3EdiiPKPdEEvT1_T3_lS5_lPT2_S5_S5_
	.p2align	8
	.type	_ZN9rocsolver6v33100L23getf2_npvt_small_kernelILi3EdiiPKPdEEvT1_T3_lS5_lPT2_S5_S5_,@function
_ZN9rocsolver6v33100L23getf2_npvt_small_kernelILi3EdiiPKPdEEvT1_T3_lS5_lPT2_S5_S5_: ; @_ZN9rocsolver6v33100L23getf2_npvt_small_kernelILi3EdiiPKPdEEvT1_T3_lS5_lPT2_S5_S5_
; %bb.0:
	s_load_dword s0, s[4:5], 0x44
	s_load_dwordx2 s[8:9], s[4:5], 0x30
	v_bfe_u32 v14, v0, 10, 10
	s_waitcnt lgkmcnt(0)
	s_lshr_b32 s0, s0, 16
	s_mul_i32 s7, s7, s0
	v_add_u32_e32 v2, s7, v14
	v_cmp_gt_i32_e32 vcc, s8, v2
	s_and_saveexec_b64 s[2:3], vcc
	s_cbranch_execz .LBB5_19
; %bb.1:
	s_load_dwordx4 s[12:15], s[4:5], 0x8
	s_load_dword s2, s[4:5], 0x18
	v_ashrrev_i32_e32 v3, 31, v2
	v_lshlrev_b64 v[4:5], 3, v[2:3]
	v_and_b32_e32 v20, 0x3ff, v0
	s_waitcnt lgkmcnt(0)
	v_mov_b32_e32 v1, s13
	v_add_co_u32_e32 v4, vcc, s12, v4
	v_addc_co_u32_e32 v5, vcc, v1, v5, vcc
	global_load_dwordx2 v[4:5], v[4:5], off
	s_lshl_b64 s[6:7], s[14:15], 3
	s_add_i32 s1, s2, s2
	v_mov_b32_e32 v9, s7
	v_add_u32_e32 v0, s1, v20
	v_lshlrev_b32_e32 v8, 3, v20
	v_ashrrev_i32_e32 v1, 31, v0
	v_lshlrev_b64 v[6:7], 3, v[0:1]
	s_ashr_i32 s3, s2, 31
	s_lshl_b64 s[2:3], s[2:3], 3
	v_mov_b32_e32 v10, s3
	s_mul_i32 s0, s0, 24
	v_mul_u32_u24_e32 v15, 24, v14
	s_add_i32 s0, s0, 0
	v_lshl_add_u32 v18, v14, 3, s0
	v_cmp_eq_u32_e64 s[0:1], 0, v20
	v_add_u32_e32 v19, 0, v15
	s_waitcnt vmcnt(0)
	v_add_co_u32_e32 v4, vcc, s6, v4
	v_addc_co_u32_e32 v5, vcc, v5, v9, vcc
	v_add_co_u32_e32 v0, vcc, v4, v8
	v_addc_co_u32_e32 v1, vcc, 0, v5, vcc
	v_add_co_u32_e32 v4, vcc, v4, v6
	v_addc_co_u32_e32 v5, vcc, v5, v7, vcc
	v_add_co_u32_e32 v6, vcc, s2, v0
	v_addc_co_u32_e32 v7, vcc, v1, v10, vcc
	global_load_dwordx2 v[8:9], v[0:1], off
	global_load_dwordx2 v[10:11], v[6:7], off
	;; [unrolled: 1-line block ×3, first 2 shown]
	v_cmp_ne_u32_e64 s[2:3], 0, v20
	s_and_saveexec_b64 s[6:7], s[0:1]
	s_cbranch_execz .LBB5_4
; %bb.2:
	s_waitcnt vmcnt(2)
	ds_write_b64 v18, v[8:9]
	s_waitcnt vmcnt(0)
	ds_write2_b64 v19, v[10:11], v[12:13] offset0:1 offset1:2
	ds_read_b64 v[14:15], v18
	s_waitcnt lgkmcnt(0)
	v_cmp_neq_f64_e32 vcc, 0, v[14:15]
	s_and_b64 exec, exec, vcc
	s_cbranch_execz .LBB5_4
; %bb.3:
	v_div_scale_f64 v[16:17], s[10:11], v[14:15], v[14:15], 1.0
	v_rcp_f64_e32 v[22:23], v[16:17]
	v_div_scale_f64 v[24:25], vcc, 1.0, v[14:15], 1.0
	v_fma_f64 v[26:27], -v[16:17], v[22:23], 1.0
	v_fmac_f64_e32 v[22:23], v[22:23], v[26:27]
	v_fma_f64 v[26:27], -v[16:17], v[22:23], 1.0
	v_fmac_f64_e32 v[22:23], v[22:23], v[26:27]
	v_mul_f64 v[26:27], v[24:25], v[22:23]
	v_fma_f64 v[16:17], -v[16:17], v[26:27], v[24:25]
	v_div_fmas_f64 v[16:17], v[16:17], v[22:23], v[26:27]
	v_div_fixup_f64 v[14:15], v[16:17], v[14:15], 1.0
	ds_write_b64 v18, v[14:15]
.LBB5_4:
	s_or_b64 exec, exec, s[6:7]
	s_waitcnt lgkmcnt(0)
	s_barrier
	ds_read_b64 v[14:15], v18
	s_and_saveexec_b64 s[6:7], s[2:3]
	s_cbranch_execz .LBB5_6
; %bb.5:
	ds_read2_b64 v[22:25], v19 offset0:1 offset1:2
	s_waitcnt vmcnt(2) lgkmcnt(1)
	v_mul_f64 v[8:9], v[8:9], v[14:15]
	s_waitcnt vmcnt(1) lgkmcnt(0)
	v_fma_f64 v[10:11], -v[8:9], v[22:23], v[10:11]
	s_waitcnt vmcnt(0)
	v_fma_f64 v[12:13], -v[8:9], v[24:25], v[12:13]
.LBB5_6:
	s_or_b64 exec, exec, s[6:7]
	v_cmp_eq_u32_e32 vcc, 1, v20
	s_waitcnt lgkmcnt(0)
	s_barrier
	s_and_saveexec_b64 s[2:3], vcc
	s_cbranch_execz .LBB5_9
; %bb.7:
	s_waitcnt vmcnt(1)
	ds_write_b64 v18, v[10:11]
	s_waitcnt vmcnt(0)
	ds_write_b64 v19, v[12:13] offset:16
	ds_read_b64 v[16:17], v18
	s_waitcnt lgkmcnt(0)
	v_cmp_neq_f64_e32 vcc, 0, v[16:17]
	s_and_b64 exec, exec, vcc
	s_cbranch_execz .LBB5_9
; %bb.8:
	v_div_scale_f64 v[22:23], s[6:7], v[16:17], v[16:17], 1.0
	v_rcp_f64_e32 v[24:25], v[22:23]
	v_div_scale_f64 v[26:27], vcc, 1.0, v[16:17], 1.0
	v_fma_f64 v[28:29], -v[22:23], v[24:25], 1.0
	v_fmac_f64_e32 v[24:25], v[24:25], v[28:29]
	v_fma_f64 v[28:29], -v[22:23], v[24:25], 1.0
	v_fmac_f64_e32 v[24:25], v[24:25], v[28:29]
	v_mul_f64 v[28:29], v[26:27], v[24:25]
	v_fma_f64 v[22:23], -v[22:23], v[28:29], v[26:27]
	v_div_fmas_f64 v[22:23], v[22:23], v[24:25], v[28:29]
	v_div_fixup_f64 v[16:17], v[22:23], v[16:17], 1.0
	ds_write_b64 v18, v[16:17]
.LBB5_9:
	s_or_b64 exec, exec, s[2:3]
	s_waitcnt lgkmcnt(0)
	s_barrier
	ds_read_b64 v[16:17], v18
	v_cmp_lt_u32_e32 vcc, 1, v20
	s_and_saveexec_b64 s[2:3], vcc
	s_cbranch_execz .LBB5_11
; %bb.10:
	ds_read_b64 v[22:23], v19 offset:16
	s_waitcnt vmcnt(1) lgkmcnt(1)
	v_mul_f64 v[10:11], v[10:11], v[16:17]
	s_waitcnt vmcnt(0) lgkmcnt(0)
	v_fma_f64 v[12:13], -v[10:11], v[22:23], v[12:13]
.LBB5_11:
	s_or_b64 exec, exec, s[2:3]
	v_cmp_ne_u32_e32 vcc, 2, v20
	s_waitcnt lgkmcnt(0)
	s_barrier
	s_and_saveexec_b64 s[2:3], vcc
	s_xor_b64 s[2:3], exec, s[2:3]
	s_andn2_saveexec_b64 s[2:3], s[2:3]
	s_cbranch_execz .LBB5_15
; %bb.12:
	s_waitcnt vmcnt(0)
	v_cmp_neq_f64_e32 vcc, 0, v[12:13]
	ds_write_b64 v18, v[12:13]
	s_and_saveexec_b64 s[6:7], vcc
	s_cbranch_execz .LBB5_14
; %bb.13:
	v_div_scale_f64 v[22:23], s[10:11], v[12:13], v[12:13], 1.0
	v_rcp_f64_e32 v[24:25], v[22:23]
	v_div_scale_f64 v[26:27], vcc, 1.0, v[12:13], 1.0
	v_fma_f64 v[28:29], -v[22:23], v[24:25], 1.0
	v_fmac_f64_e32 v[24:25], v[24:25], v[28:29]
	v_fma_f64 v[28:29], -v[22:23], v[24:25], 1.0
	v_fmac_f64_e32 v[24:25], v[24:25], v[28:29]
	v_mul_f64 v[28:29], v[26:27], v[24:25]
	v_fma_f64 v[22:23], -v[22:23], v[28:29], v[26:27]
	v_div_fmas_f64 v[22:23], v[22:23], v[24:25], v[28:29]
	v_div_fixup_f64 v[22:23], v[22:23], v[12:13], 1.0
	ds_write_b64 v18, v[22:23]
.LBB5_14:
	s_or_b64 exec, exec, s[6:7]
.LBB5_15:
	s_or_b64 exec, exec, s[2:3]
	s_waitcnt lgkmcnt(0)
	s_barrier
	ds_read_b64 v[18:19], v18
	s_waitcnt lgkmcnt(0)
	s_barrier
	s_and_saveexec_b64 s[6:7], s[0:1]
	s_cbranch_execz .LBB5_18
; %bb.16:
	s_load_dwordx2 s[0:1], s[4:5], 0x28
	v_lshlrev_b64 v[2:3], 2, v[2:3]
	v_cmp_eq_f64_e64 s[2:3], 0, v[18:19]
	s_waitcnt lgkmcnt(0)
	v_mov_b32_e32 v21, s1
	v_add_co_u32_e32 v2, vcc, s0, v2
	v_addc_co_u32_e32 v3, vcc, v21, v3, vcc
	global_load_dword v21, v[2:3], off
	v_cmp_eq_f64_e32 vcc, 0, v[14:15]
	v_cmp_neq_f64_e64 s[0:1], 0, v[16:17]
	v_cndmask_b32_e64 v14, 0, 1, vcc
	s_or_b64 vcc, s[0:1], vcc
	v_cndmask_b32_e32 v14, 2, v14, vcc
	v_cmp_eq_u32_e32 vcc, 0, v14
	s_and_b64 s[0:1], s[2:3], vcc
	v_cndmask_b32_e64 v14, v14, 3, s[0:1]
	v_cmp_ne_u32_e64 s[0:1], 0, v14
	s_waitcnt vmcnt(0)
	v_cmp_eq_u32_e32 vcc, 0, v21
	s_and_b64 s[0:1], vcc, s[0:1]
	s_and_b64 exec, exec, s[0:1]
	s_cbranch_execz .LBB5_18
; %bb.17:
	v_add_u32_e32 v14, s9, v14
	global_store_dword v[2:3], v14, off
.LBB5_18:
	s_or_b64 exec, exec, s[6:7]
	s_waitcnt vmcnt(0)
	v_mul_f64 v[2:3], v[12:13], v[18:19]
	v_cmp_lt_u32_e32 vcc, 2, v20
	v_cndmask_b32_e32 v3, v13, v3, vcc
	v_cndmask_b32_e32 v2, v12, v2, vcc
	global_store_dwordx2 v[0:1], v[8:9], off
	global_store_dwordx2 v[6:7], v[10:11], off
	global_store_dwordx2 v[4:5], v[2:3], off
.LBB5_19:
	s_endpgm
	.section	.rodata,"a",@progbits
	.p2align	6, 0x0
	.amdhsa_kernel _ZN9rocsolver6v33100L23getf2_npvt_small_kernelILi3EdiiPKPdEEvT1_T3_lS5_lPT2_S5_S5_
		.amdhsa_group_segment_fixed_size 0
		.amdhsa_private_segment_fixed_size 0
		.amdhsa_kernarg_size 312
		.amdhsa_user_sgpr_count 6
		.amdhsa_user_sgpr_private_segment_buffer 1
		.amdhsa_user_sgpr_dispatch_ptr 0
		.amdhsa_user_sgpr_queue_ptr 0
		.amdhsa_user_sgpr_kernarg_segment_ptr 1
		.amdhsa_user_sgpr_dispatch_id 0
		.amdhsa_user_sgpr_flat_scratch_init 0
		.amdhsa_user_sgpr_kernarg_preload_length 0
		.amdhsa_user_sgpr_kernarg_preload_offset 0
		.amdhsa_user_sgpr_private_segment_size 0
		.amdhsa_uses_dynamic_stack 0
		.amdhsa_system_sgpr_private_segment_wavefront_offset 0
		.amdhsa_system_sgpr_workgroup_id_x 1
		.amdhsa_system_sgpr_workgroup_id_y 1
		.amdhsa_system_sgpr_workgroup_id_z 0
		.amdhsa_system_sgpr_workgroup_info 0
		.amdhsa_system_vgpr_workitem_id 1
		.amdhsa_next_free_vgpr 30
		.amdhsa_next_free_sgpr 16
		.amdhsa_accum_offset 32
		.amdhsa_reserve_vcc 1
		.amdhsa_reserve_flat_scratch 0
		.amdhsa_float_round_mode_32 0
		.amdhsa_float_round_mode_16_64 0
		.amdhsa_float_denorm_mode_32 3
		.amdhsa_float_denorm_mode_16_64 3
		.amdhsa_dx10_clamp 1
		.amdhsa_ieee_mode 1
		.amdhsa_fp16_overflow 0
		.amdhsa_tg_split 0
		.amdhsa_exception_fp_ieee_invalid_op 0
		.amdhsa_exception_fp_denorm_src 0
		.amdhsa_exception_fp_ieee_div_zero 0
		.amdhsa_exception_fp_ieee_overflow 0
		.amdhsa_exception_fp_ieee_underflow 0
		.amdhsa_exception_fp_ieee_inexact 0
		.amdhsa_exception_int_div_zero 0
	.end_amdhsa_kernel
	.section	.text._ZN9rocsolver6v33100L23getf2_npvt_small_kernelILi3EdiiPKPdEEvT1_T3_lS5_lPT2_S5_S5_,"axG",@progbits,_ZN9rocsolver6v33100L23getf2_npvt_small_kernelILi3EdiiPKPdEEvT1_T3_lS5_lPT2_S5_S5_,comdat
.Lfunc_end5:
	.size	_ZN9rocsolver6v33100L23getf2_npvt_small_kernelILi3EdiiPKPdEEvT1_T3_lS5_lPT2_S5_S5_, .Lfunc_end5-_ZN9rocsolver6v33100L23getf2_npvt_small_kernelILi3EdiiPKPdEEvT1_T3_lS5_lPT2_S5_S5_
                                        ; -- End function
	.section	.AMDGPU.csdata,"",@progbits
; Kernel info:
; codeLenInByte = 1056
; NumSgprs: 20
; NumVgprs: 30
; NumAgprs: 0
; TotalNumVgprs: 30
; ScratchSize: 0
; MemoryBound: 0
; FloatMode: 240
; IeeeMode: 1
; LDSByteSize: 0 bytes/workgroup (compile time only)
; SGPRBlocks: 2
; VGPRBlocks: 3
; NumSGPRsForWavesPerEU: 20
; NumVGPRsForWavesPerEU: 30
; AccumOffset: 32
; Occupancy: 8
; WaveLimiterHint : 1
; COMPUTE_PGM_RSRC2:SCRATCH_EN: 0
; COMPUTE_PGM_RSRC2:USER_SGPR: 6
; COMPUTE_PGM_RSRC2:TRAP_HANDLER: 0
; COMPUTE_PGM_RSRC2:TGID_X_EN: 1
; COMPUTE_PGM_RSRC2:TGID_Y_EN: 1
; COMPUTE_PGM_RSRC2:TGID_Z_EN: 0
; COMPUTE_PGM_RSRC2:TIDIG_COMP_CNT: 1
; COMPUTE_PGM_RSRC3_GFX90A:ACCUM_OFFSET: 7
; COMPUTE_PGM_RSRC3_GFX90A:TG_SPLIT: 0
	.section	.text._ZN9rocsolver6v33100L18getf2_small_kernelILi4EdiiPKPdEEvT1_T3_lS5_lPS5_llPT2_S5_S5_S7_l,"axG",@progbits,_ZN9rocsolver6v33100L18getf2_small_kernelILi4EdiiPKPdEEvT1_T3_lS5_lPS5_llPT2_S5_S5_S7_l,comdat
	.globl	_ZN9rocsolver6v33100L18getf2_small_kernelILi4EdiiPKPdEEvT1_T3_lS5_lPS5_llPT2_S5_S5_S7_l ; -- Begin function _ZN9rocsolver6v33100L18getf2_small_kernelILi4EdiiPKPdEEvT1_T3_lS5_lPS5_llPT2_S5_S5_S7_l
	.p2align	8
	.type	_ZN9rocsolver6v33100L18getf2_small_kernelILi4EdiiPKPdEEvT1_T3_lS5_lPS5_llPT2_S5_S5_S7_l,@function
_ZN9rocsolver6v33100L18getf2_small_kernelILi4EdiiPKPdEEvT1_T3_lS5_lPS5_llPT2_S5_S5_S7_l: ; @_ZN9rocsolver6v33100L18getf2_small_kernelILi4EdiiPKPdEEvT1_T3_lS5_lPS5_llPT2_S5_S5_S7_l
; %bb.0:
	s_load_dword s0, s[4:5], 0x6c
	s_load_dwordx2 s[12:13], s[4:5], 0x48
	v_bfe_u32 v12, v0, 10, 10
	s_waitcnt lgkmcnt(0)
	s_lshr_b32 s0, s0, 16
	s_mul_i32 s7, s7, s0
	v_add_u32_e32 v2, s7, v12
	v_cmp_gt_i32_e32 vcc, s12, v2
	s_and_saveexec_b64 s[0:1], vcc
	s_cbranch_execz .LBB6_65
; %bb.1:
	s_load_dwordx4 s[0:3], s[4:5], 0x8
	s_load_dwordx4 s[8:11], s[4:5], 0x50
	v_ashrrev_i32_e32 v3, 31, v2
	v_lshlrev_b64 v[4:5], 3, v[2:3]
	v_pk_mov_b32 v[10:11], 0, 0
	s_waitcnt lgkmcnt(0)
	v_mov_b32_e32 v1, s1
	v_add_co_u32_e32 v4, vcc, s0, v4
	v_addc_co_u32_e32 v5, vcc, v1, v5, vcc
	global_load_dwordx2 v[4:5], v[4:5], off
	s_cmp_eq_u64 s[8:9], 0
	s_cselect_b64 s[6:7], -1, 0
	s_and_b64 vcc, exec, s[6:7]
	s_cbranch_vccnz .LBB6_3
; %bb.2:
	v_mul_lo_u32 v1, v3, s10
	v_mul_lo_u32 v8, v2, s11
	v_mad_u64_u32 v[6:7], s[0:1], v2, s10, 0
	v_add3_u32 v7, v7, v8, v1
	v_lshlrev_b64 v[6:7], 2, v[6:7]
	v_mov_b32_e32 v1, s9
	v_add_co_u32_e32 v10, vcc, s8, v6
	v_addc_co_u32_e32 v11, vcc, v1, v7, vcc
.LBB6_3:
	s_load_dword s8, s[4:5], 0x18
	s_load_dword s12, s[4:5], 0x0
	s_lshl_b64 s[0:1], s[2:3], 3
	v_mov_b32_e32 v1, s1
	s_waitcnt vmcnt(0)
	v_add_co_u32_e32 v18, vcc, s0, v4
	v_and_b32_e32 v21, 0x3ff, v0
	v_addc_co_u32_e32 v19, vcc, v5, v1, vcc
	v_lshlrev_b32_e32 v13, 3, v21
	v_add_co_u32_e32 v4, vcc, v18, v13
	s_waitcnt lgkmcnt(0)
	s_ashr_i32 s9, s8, 31
	v_addc_co_u32_e32 v5, vcc, 0, v19, vcc
	s_lshl_b64 s[10:11], s[8:9], 3
	s_add_i32 s9, s8, s8
	global_load_dwordx2 v[0:1], v[4:5], off
	v_mov_b32_e32 v6, s11
	v_add_co_u32_e32 v14, vcc, s10, v4
	v_add_u32_e32 v4, s9, v21
	v_addc_co_u32_e32 v15, vcc, v5, v6, vcc
	v_ashrrev_i32_e32 v5, 31, v4
	v_lshlrev_b64 v[6:7], 3, v[4:5]
	v_add_u32_e32 v4, s8, v4
	v_add_co_u32_e32 v16, vcc, v18, v6
	v_ashrrev_i32_e32 v5, 31, v4
	v_addc_co_u32_e32 v17, vcc, v19, v7, vcc
	v_lshlrev_b64 v[4:5], 3, v[4:5]
	v_add_co_u32_e32 v22, vcc, v18, v4
	v_addc_co_u32_e32 v23, vcc, v19, v5, vcc
	global_load_dwordx2 v[6:7], v[14:15], off
	global_load_dwordx2 v[4:5], v[16:17], off
	;; [unrolled: 1-line block ×3, first 2 shown]
	s_max_i32 s0, s12, 4
	v_mul_lo_u32 v15, s0, v12
	v_lshl_add_u32 v16, v15, 3, 0
	v_add_u32_e32 v12, v16, v13
	v_mov_b32_e32 v14, 0
	s_cmp_lt_i32 s12, 2
	v_lshlrev_b32_e32 v17, 3, v15
	s_waitcnt vmcnt(3)
	ds_write_b64 v12, v[0:1]
	s_waitcnt lgkmcnt(0)
	s_barrier
	ds_read_b64 v[12:13], v16
	s_cbranch_scc1 .LBB6_6
; %bb.4:
	v_add3_u32 v15, v17, 0, 8
	s_mov_b32 s0, 1
	v_mov_b32_e32 v14, 0
.LBB6_5:                                ; =>This Inner Loop Header: Depth=1
	ds_read_b64 v[22:23], v15
	v_mov_b32_e32 v20, s0
	s_add_i32 s0, s0, 1
	v_add_u32_e32 v15, 8, v15
	s_cmp_eq_u32 s12, s0
	s_waitcnt lgkmcnt(0)
	v_cmp_lt_f64_e64 vcc, |v[12:13]|, |v[22:23]|
	v_cndmask_b32_e32 v13, v13, v23, vcc
	v_cndmask_b32_e32 v12, v12, v22, vcc
	;; [unrolled: 1-line block ×3, first 2 shown]
	s_cbranch_scc0 .LBB6_5
.LBB6_6:
	v_cmp_ne_u32_e32 vcc, v21, v14
                                        ; implicit-def: $vgpr20
	s_and_saveexec_b64 s[0:1], vcc
	s_xor_b64 s[0:1], exec, s[0:1]
	s_cbranch_execz .LBB6_12
; %bb.7:
	v_cmp_eq_u32_e32 vcc, 0, v21
	s_and_saveexec_b64 s[2:3], vcc
	s_cbranch_execz .LBB6_11
; %bb.8:
	v_cmp_ne_u32_e32 vcc, 0, v14
	s_xor_b64 s[14:15], s[6:7], -1
	s_and_b64 s[16:17], s[14:15], vcc
	s_and_saveexec_b64 s[14:15], s[16:17]
	s_cbranch_execz .LBB6_10
; %bb.9:
	v_ashrrev_i32_e32 v15, 31, v14
	v_lshlrev_b64 v[20:21], 2, v[14:15]
	v_add_co_u32_e32 v20, vcc, v10, v20
	v_addc_co_u32_e32 v21, vcc, v11, v21, vcc
	flat_load_dword v15, v[20:21]
	flat_load_dword v22, v[10:11]
	s_waitcnt vmcnt(0) lgkmcnt(0)
	flat_store_dword v[10:11], v15
	flat_store_dword v[20:21], v22
.LBB6_10:
	s_or_b64 exec, exec, s[14:15]
	v_mov_b32_e32 v21, v14
.LBB6_11:
	s_or_b64 exec, exec, s[2:3]
	v_mov_b32_e32 v20, v21
                                        ; implicit-def: $vgpr21
.LBB6_12:
	s_or_saveexec_b64 s[0:1], s[0:1]
	v_mov_b32_e32 v15, v20
	s_xor_b64 exec, exec, s[0:1]
	s_cbranch_execz .LBB6_14
; %bb.13:
	v_mov_b32_e32 v20, 0
	v_mov_b32_e32 v15, v21
	s_waitcnt vmcnt(0)
	ds_write2_b64 v16, v[6:7], v[4:5] offset0:1 offset1:2
	ds_write_b64 v16, v[8:9] offset:24
.LBB6_14:
	s_or_b64 exec, exec, s[0:1]
	s_waitcnt lgkmcnt(0)
	v_cmp_eq_f64_e64 s[0:1], 0, v[12:13]
	v_cmp_lt_i32_e32 vcc, 0, v20
	s_barrier
	s_and_saveexec_b64 s[2:3], vcc
	s_cbranch_execz .LBB6_16
; %bb.15:
	v_div_scale_f64 v[22:23], s[14:15], v[12:13], v[12:13], 1.0
	v_rcp_f64_e32 v[24:25], v[22:23]
	v_div_scale_f64 v[26:27], vcc, 1.0, v[12:13], 1.0
	v_fma_f64 v[28:29], -v[22:23], v[24:25], 1.0
	v_fmac_f64_e32 v[24:25], v[24:25], v[28:29]
	v_fma_f64 v[28:29], -v[22:23], v[24:25], 1.0
	v_fmac_f64_e32 v[24:25], v[24:25], v[28:29]
	v_mul_f64 v[28:29], v[26:27], v[24:25]
	v_fma_f64 v[22:23], -v[22:23], v[28:29], v[26:27]
	v_div_fmas_f64 v[22:23], v[22:23], v[24:25], v[28:29]
	v_div_fixup_f64 v[26:27], v[22:23], v[12:13], 1.0
	ds_read2_b64 v[22:25], v16 offset0:1 offset1:2
	ds_read_b64 v[28:29], v16 offset:24
	v_cndmask_b32_e64 v13, v27, v13, s[0:1]
	v_cndmask_b32_e64 v12, v26, v12, s[0:1]
	v_mul_f64 v[0:1], v[0:1], v[12:13]
	s_waitcnt vmcnt(0) lgkmcnt(0)
	v_fma_f64 v[6:7], -v[0:1], v[22:23], v[6:7]
	v_fma_f64 v[4:5], -v[0:1], v[24:25], v[4:5]
	;; [unrolled: 1-line block ×3, first 2 shown]
.LBB6_16:
	s_or_b64 exec, exec, s[2:3]
	v_lshl_add_u32 v12, v20, 3, v16
	s_barrier
	s_waitcnt vmcnt(0)
	ds_write_b64 v12, v[6:7]
	s_waitcnt lgkmcnt(0)
	s_barrier
	ds_read_b64 v[12:13], v16 offset:8
	s_cmp_lt_i32 s12, 3
	v_mov_b32_e32 v14, 1
	s_cbranch_scc1 .LBB6_19
; %bb.17:
	v_add3_u32 v21, v17, 0, 16
	s_mov_b32 s2, 2
	v_mov_b32_e32 v14, 1
.LBB6_18:                               ; =>This Inner Loop Header: Depth=1
	ds_read_b64 v[22:23], v21
	v_mov_b32_e32 v24, s2
	s_add_i32 s2, s2, 1
	v_add_u32_e32 v21, 8, v21
	s_cmp_lg_u32 s12, s2
	s_waitcnt lgkmcnt(0)
	v_cmp_lt_f64_e64 vcc, |v[12:13]|, |v[22:23]|
	v_cndmask_b32_e32 v13, v13, v23, vcc
	v_cndmask_b32_e32 v12, v12, v22, vcc
	;; [unrolled: 1-line block ×3, first 2 shown]
	s_cbranch_scc1 .LBB6_18
.LBB6_19:
	v_cmp_ne_u32_e32 vcc, v20, v14
	s_and_saveexec_b64 s[2:3], vcc
	s_xor_b64 s[2:3], exec, s[2:3]
	s_cbranch_execz .LBB6_25
; %bb.20:
	v_cmp_eq_u32_e32 vcc, 1, v20
	s_and_saveexec_b64 s[14:15], vcc
	s_cbranch_execz .LBB6_24
; %bb.21:
	v_cmp_ne_u32_e32 vcc, 1, v14
	s_xor_b64 s[16:17], s[6:7], -1
	s_and_b64 s[18:19], s[16:17], vcc
	s_and_saveexec_b64 s[16:17], s[18:19]
	s_cbranch_execz .LBB6_23
; %bb.22:
	v_ashrrev_i32_e32 v15, 31, v14
	v_lshlrev_b64 v[20:21], 2, v[14:15]
	v_add_co_u32_e32 v20, vcc, v10, v20
	v_addc_co_u32_e32 v21, vcc, v11, v21, vcc
	flat_load_dword v15, v[20:21]
	flat_load_dword v22, v[10:11] offset:4
	s_waitcnt vmcnt(0) lgkmcnt(0)
	flat_store_dword v[10:11], v15 offset:4
	flat_store_dword v[20:21], v22
.LBB6_23:
	s_or_b64 exec, exec, s[16:17]
	v_mov_b32_e32 v15, v14
	v_mov_b32_e32 v20, v14
.LBB6_24:
	s_or_b64 exec, exec, s[14:15]
.LBB6_25:
	s_andn2_saveexec_b64 s[2:3], s[2:3]
	s_cbranch_execz .LBB6_27
; %bb.26:
	v_mov_b32_e32 v20, 1
	ds_write2_b64 v16, v[4:5], v[8:9] offset0:2 offset1:3
.LBB6_27:
	s_or_b64 exec, exec, s[2:3]
	s_waitcnt lgkmcnt(0)
	v_cmp_neq_f64_e64 s[2:3], 0, v[12:13]
	v_cmp_lt_i32_e32 vcc, 1, v20
	s_barrier
	s_and_saveexec_b64 s[14:15], vcc
	s_cbranch_execz .LBB6_29
; %bb.28:
	v_div_scale_f64 v[22:23], s[16:17], v[12:13], v[12:13], 1.0
	v_rcp_f64_e32 v[24:25], v[22:23]
	v_div_scale_f64 v[26:27], vcc, 1.0, v[12:13], 1.0
	v_fma_f64 v[28:29], -v[22:23], v[24:25], 1.0
	v_fmac_f64_e32 v[24:25], v[24:25], v[28:29]
	v_fma_f64 v[28:29], -v[22:23], v[24:25], 1.0
	v_fmac_f64_e32 v[24:25], v[24:25], v[28:29]
	v_mul_f64 v[28:29], v[26:27], v[24:25]
	v_fma_f64 v[22:23], -v[22:23], v[28:29], v[26:27]
	v_div_fmas_f64 v[26:27], v[22:23], v[24:25], v[28:29]
	ds_read2_b64 v[22:25], v16 offset0:2 offset1:3
	v_div_fixup_f64 v[26:27], v[26:27], v[12:13], 1.0
	v_cndmask_b32_e64 v13, v13, v27, s[2:3]
	v_cndmask_b32_e64 v12, v12, v26, s[2:3]
	v_mul_f64 v[6:7], v[6:7], v[12:13]
	s_waitcnt lgkmcnt(0)
	v_fma_f64 v[4:5], -v[6:7], v[22:23], v[4:5]
	v_fma_f64 v[8:9], -v[6:7], v[24:25], v[8:9]
.LBB6_29:
	s_or_b64 exec, exec, s[14:15]
	v_lshl_add_u32 v12, v20, 3, v16
	s_barrier
	ds_write_b64 v12, v[4:5]
	s_waitcnt lgkmcnt(0)
	s_barrier
	ds_read_b64 v[12:13], v16 offset:16
	s_mov_b32 s14, 3
	s_cmp_lt_i32 s12, 4
	v_mov_b32_e32 v14, 2
	s_cbranch_scc1 .LBB6_32
; %bb.30:
	v_add3_u32 v21, v17, 0, 24
	v_mov_b32_e32 v14, 2
.LBB6_31:                               ; =>This Inner Loop Header: Depth=1
	ds_read_b64 v[22:23], v21
	v_mov_b32_e32 v24, s14
	s_add_i32 s14, s14, 1
	v_add_u32_e32 v21, 8, v21
	s_cmp_lg_u32 s12, s14
	s_waitcnt lgkmcnt(0)
	v_cmp_lt_f64_e64 vcc, |v[12:13]|, |v[22:23]|
	v_cndmask_b32_e32 v13, v13, v23, vcc
	v_cndmask_b32_e32 v12, v12, v22, vcc
	;; [unrolled: 1-line block ×3, first 2 shown]
	s_cbranch_scc1 .LBB6_31
.LBB6_32:
	v_cndmask_b32_e64 v21, 2, 1, s[0:1]
	v_cndmask_b32_e64 v22, 0, 1, s[0:1]
	;; [unrolled: 1-line block ×3, first 2 shown]
	s_waitcnt lgkmcnt(0)
	v_cmp_eq_f64_e32 vcc, 0, v[12:13]
	s_and_saveexec_b64 s[0:1], vcc
	s_xor_b64 s[0:1], exec, s[0:1]
; %bb.33:
	v_cmp_ne_u32_e32 vcc, 0, v21
	v_cndmask_b32_e32 v21, 3, v21, vcc
; %bb.34:
	s_andn2_saveexec_b64 s[0:1], s[0:1]
; %bb.35:
	v_div_scale_f64 v[22:23], s[2:3], v[12:13], v[12:13], 1.0
	v_rcp_f64_e32 v[24:25], v[22:23]
	v_div_scale_f64 v[26:27], vcc, 1.0, v[12:13], 1.0
	v_fma_f64 v[28:29], -v[22:23], v[24:25], 1.0
	v_fmac_f64_e32 v[24:25], v[24:25], v[28:29]
	v_fma_f64 v[28:29], -v[22:23], v[24:25], 1.0
	v_fmac_f64_e32 v[24:25], v[24:25], v[28:29]
	v_mul_f64 v[28:29], v[26:27], v[24:25]
	v_fma_f64 v[22:23], -v[22:23], v[28:29], v[26:27]
	v_div_fmas_f64 v[22:23], v[22:23], v[24:25], v[28:29]
	v_div_fixup_f64 v[12:13], v[22:23], v[12:13], 1.0
; %bb.36:
	s_or_b64 exec, exec, s[0:1]
	v_cmp_ne_u32_e32 vcc, v20, v14
	s_and_saveexec_b64 s[0:1], vcc
	s_xor_b64 s[0:1], exec, s[0:1]
	s_cbranch_execz .LBB6_42
; %bb.37:
	v_cmp_eq_u32_e32 vcc, 2, v20
	s_and_saveexec_b64 s[2:3], vcc
	s_cbranch_execz .LBB6_41
; %bb.38:
	v_cmp_ne_u32_e32 vcc, 2, v14
	s_xor_b64 s[14:15], s[6:7], -1
	s_and_b64 s[16:17], s[14:15], vcc
	s_and_saveexec_b64 s[14:15], s[16:17]
	s_cbranch_execz .LBB6_40
; %bb.39:
	v_ashrrev_i32_e32 v15, 31, v14
	v_lshlrev_b64 v[22:23], 2, v[14:15]
	v_add_co_u32_e32 v22, vcc, v10, v22
	v_addc_co_u32_e32 v23, vcc, v11, v23, vcc
	flat_load_dword v15, v[22:23]
	flat_load_dword v20, v[10:11] offset:8
	s_waitcnt vmcnt(0) lgkmcnt(0)
	flat_store_dword v[10:11], v15 offset:8
	flat_store_dword v[22:23], v20
.LBB6_40:
	s_or_b64 exec, exec, s[14:15]
	v_mov_b32_e32 v15, v14
	v_mov_b32_e32 v20, v14
.LBB6_41:
	s_or_b64 exec, exec, s[2:3]
.LBB6_42:
	s_andn2_saveexec_b64 s[0:1], s[0:1]
	s_cbranch_execz .LBB6_44
; %bb.43:
	v_mov_b32_e32 v20, 2
	ds_write_b64 v16, v[8:9] offset:24
.LBB6_44:
	s_or_b64 exec, exec, s[0:1]
	v_cmp_lt_i32_e32 vcc, 2, v20
	s_waitcnt lgkmcnt(0)
	s_barrier
	s_and_saveexec_b64 s[0:1], vcc
	s_cbranch_execz .LBB6_46
; %bb.45:
	ds_read_b64 v[22:23], v16 offset:24
	v_mul_f64 v[4:5], v[4:5], v[12:13]
	s_waitcnt lgkmcnt(0)
	v_fma_f64 v[8:9], -v[4:5], v[22:23], v[8:9]
.LBB6_46:
	s_or_b64 exec, exec, s[0:1]
	v_lshl_add_u32 v12, v20, 3, v16
	s_barrier
	ds_write_b64 v12, v[8:9]
	s_waitcnt lgkmcnt(0)
	s_barrier
	ds_read_b64 v[12:13], v16 offset:24
	s_cmp_lt_i32 s12, 5
	v_mov_b32_e32 v14, 3
	s_cbranch_scc1 .LBB6_49
; %bb.47:
	v_add3_u32 v16, v17, 0, 32
	s_mov_b32 s0, 4
	v_mov_b32_e32 v14, 3
.LBB6_48:                               ; =>This Inner Loop Header: Depth=1
	ds_read_b64 v[22:23], v16
	v_mov_b32_e32 v17, s0
	s_add_i32 s0, s0, 1
	v_add_u32_e32 v16, 8, v16
	s_cmp_lg_u32 s12, s0
	s_waitcnt lgkmcnt(0)
	v_cmp_lt_f64_e64 vcc, |v[12:13]|, |v[22:23]|
	v_cndmask_b32_e32 v13, v13, v23, vcc
	v_cndmask_b32_e32 v12, v12, v22, vcc
	;; [unrolled: 1-line block ×3, first 2 shown]
	s_cbranch_scc1 .LBB6_48
.LBB6_49:
	s_waitcnt lgkmcnt(0)
	v_cmp_eq_f64_e32 vcc, 0, v[12:13]
	s_and_saveexec_b64 s[0:1], vcc
	s_xor_b64 s[0:1], exec, s[0:1]
; %bb.50:
	v_cmp_ne_u32_e32 vcc, 0, v21
	v_cndmask_b32_e32 v21, 4, v21, vcc
; %bb.51:
	s_andn2_saveexec_b64 s[0:1], s[0:1]
; %bb.52:
	v_div_scale_f64 v[16:17], s[2:3], v[12:13], v[12:13], 1.0
	v_rcp_f64_e32 v[22:23], v[16:17]
	v_div_scale_f64 v[24:25], vcc, 1.0, v[12:13], 1.0
	v_fma_f64 v[26:27], -v[16:17], v[22:23], 1.0
	v_fmac_f64_e32 v[22:23], v[22:23], v[26:27]
	v_fma_f64 v[26:27], -v[16:17], v[22:23], 1.0
	v_fmac_f64_e32 v[22:23], v[22:23], v[26:27]
	v_mul_f64 v[26:27], v[24:25], v[22:23]
	v_fma_f64 v[16:17], -v[16:17], v[26:27], v[24:25]
	v_div_fmas_f64 v[16:17], v[16:17], v[22:23], v[26:27]
	v_div_fixup_f64 v[12:13], v[16:17], v[12:13], 1.0
; %bb.53:
	s_or_b64 exec, exec, s[0:1]
	v_cmp_ne_u32_e32 vcc, v20, v14
	v_mov_b32_e32 v16, 3
	s_and_saveexec_b64 s[0:1], vcc
	s_cbranch_execz .LBB6_59
; %bb.54:
	v_cmp_eq_u32_e32 vcc, 3, v20
	s_and_saveexec_b64 s[2:3], vcc
	s_cbranch_execz .LBB6_58
; %bb.55:
	v_cmp_ne_u32_e32 vcc, 3, v14
	s_xor_b64 s[6:7], s[6:7], -1
	s_and_b64 s[14:15], s[6:7], vcc
	s_and_saveexec_b64 s[6:7], s[14:15]
	s_cbranch_execz .LBB6_57
; %bb.56:
	v_ashrrev_i32_e32 v15, 31, v14
	v_lshlrev_b64 v[16:17], 2, v[14:15]
	v_add_co_u32_e32 v16, vcc, v10, v16
	v_addc_co_u32_e32 v17, vcc, v11, v17, vcc
	flat_load_dword v15, v[16:17]
	flat_load_dword v20, v[10:11] offset:12
	s_waitcnt vmcnt(0) lgkmcnt(0)
	flat_store_dword v[10:11], v15 offset:12
	flat_store_dword v[16:17], v20
.LBB6_57:
	s_or_b64 exec, exec, s[6:7]
	v_mov_b32_e32 v15, v14
	v_mov_b32_e32 v20, v14
.LBB6_58:
	s_or_b64 exec, exec, s[2:3]
	v_mov_b32_e32 v16, v20
.LBB6_59:
	s_or_b64 exec, exec, s[0:1]
	s_load_dwordx8 s[0:7], s[4:5], 0x28
	v_cmp_gt_i32_e32 vcc, 4, v16
	v_ashrrev_i32_e32 v17, 31, v16
	s_waitcnt lgkmcnt(0)
	s_barrier
	s_barrier
	s_and_saveexec_b64 s[14:15], vcc
	s_cbranch_execz .LBB6_61
; %bb.60:
	v_mul_lo_u32 v14, v3, s4
	v_mul_lo_u32 v20, v2, s5
	v_mad_u64_u32 v[10:11], s[4:5], v2, s4, 0
	s_lshl_b64 s[2:3], s[2:3], 2
	v_add3_u32 v11, v11, v20, v14
	s_add_u32 s0, s2, s0
	v_lshlrev_b64 v[10:11], 2, v[10:11]
	s_addc_u32 s1, s3, s1
	v_mov_b32_e32 v14, s1
	v_add_co_u32_e32 v20, vcc, s0, v10
	v_addc_co_u32_e32 v14, vcc, v14, v11, vcc
	v_lshlrev_b64 v[10:11], 2, v[16:17]
	v_add_co_u32_e32 v10, vcc, v20, v10
	v_addc_co_u32_e32 v11, vcc, v14, v11, vcc
	v_add3_u32 v14, v15, s13, 1
	global_store_dword v[10:11], v14, off
.LBB6_61:
	s_or_b64 exec, exec, s[14:15]
	v_cmp_eq_u32_e32 vcc, 0, v16
	s_and_saveexec_b64 s[2:3], vcc
	s_cbranch_execz .LBB6_64
; %bb.62:
	v_lshlrev_b64 v[2:3], 2, v[2:3]
	v_mov_b32_e32 v10, s7
	v_add_co_u32_e32 v2, vcc, s6, v2
	v_addc_co_u32_e32 v3, vcc, v10, v3, vcc
	global_load_dword v10, v[2:3], off
	v_cmp_lt_i32_e64 s[0:1], 0, v21
	s_waitcnt vmcnt(0)
	v_cmp_eq_u32_e32 vcc, 0, v10
	s_and_b64 s[0:1], vcc, s[0:1]
	s_and_b64 exec, exec, s[0:1]
	s_cbranch_execz .LBB6_64
; %bb.63:
	v_add_u32_e32 v10, s13, v21
	global_store_dword v[2:3], v10, off
.LBB6_64:
	s_or_b64 exec, exec, s[2:3]
	v_mul_f64 v[2:3], v[8:9], v[12:13]
	v_cmp_lt_i32_e32 vcc, 3, v16
	v_cndmask_b32_e32 v3, v9, v3, vcc
	v_cndmask_b32_e32 v2, v8, v2, vcc
	v_lshlrev_b64 v[8:9], 3, v[16:17]
	v_add_co_u32_e32 v8, vcc, v18, v8
	v_addc_co_u32_e32 v9, vcc, v19, v9, vcc
	global_store_dwordx2 v[8:9], v[0:1], off
	v_mov_b32_e32 v1, s11
	v_add_co_u32_e32 v0, vcc, s10, v8
	v_addc_co_u32_e32 v1, vcc, v9, v1, vcc
	global_store_dwordx2 v[0:1], v[6:7], off
	v_add_u32_e32 v0, s9, v16
	v_ashrrev_i32_e32 v1, 31, v0
	v_lshlrev_b64 v[6:7], 3, v[0:1]
	v_add_u32_e32 v0, s8, v0
	v_add_co_u32_e32 v6, vcc, v18, v6
	v_ashrrev_i32_e32 v1, 31, v0
	v_addc_co_u32_e32 v7, vcc, v19, v7, vcc
	v_lshlrev_b64 v[0:1], 3, v[0:1]
	v_add_co_u32_e32 v0, vcc, v18, v0
	v_addc_co_u32_e32 v1, vcc, v19, v1, vcc
	global_store_dwordx2 v[6:7], v[4:5], off
	global_store_dwordx2 v[0:1], v[2:3], off
.LBB6_65:
	s_endpgm
	.section	.rodata,"a",@progbits
	.p2align	6, 0x0
	.amdhsa_kernel _ZN9rocsolver6v33100L18getf2_small_kernelILi4EdiiPKPdEEvT1_T3_lS5_lPS5_llPT2_S5_S5_S7_l
		.amdhsa_group_segment_fixed_size 0
		.amdhsa_private_segment_fixed_size 0
		.amdhsa_kernarg_size 352
		.amdhsa_user_sgpr_count 6
		.amdhsa_user_sgpr_private_segment_buffer 1
		.amdhsa_user_sgpr_dispatch_ptr 0
		.amdhsa_user_sgpr_queue_ptr 0
		.amdhsa_user_sgpr_kernarg_segment_ptr 1
		.amdhsa_user_sgpr_dispatch_id 0
		.amdhsa_user_sgpr_flat_scratch_init 0
		.amdhsa_user_sgpr_kernarg_preload_length 0
		.amdhsa_user_sgpr_kernarg_preload_offset 0
		.amdhsa_user_sgpr_private_segment_size 0
		.amdhsa_uses_dynamic_stack 0
		.amdhsa_system_sgpr_private_segment_wavefront_offset 0
		.amdhsa_system_sgpr_workgroup_id_x 1
		.amdhsa_system_sgpr_workgroup_id_y 1
		.amdhsa_system_sgpr_workgroup_id_z 0
		.amdhsa_system_sgpr_workgroup_info 0
		.amdhsa_system_vgpr_workitem_id 1
		.amdhsa_next_free_vgpr 30
		.amdhsa_next_free_sgpr 20
		.amdhsa_accum_offset 32
		.amdhsa_reserve_vcc 1
		.amdhsa_reserve_flat_scratch 0
		.amdhsa_float_round_mode_32 0
		.amdhsa_float_round_mode_16_64 0
		.amdhsa_float_denorm_mode_32 3
		.amdhsa_float_denorm_mode_16_64 3
		.amdhsa_dx10_clamp 1
		.amdhsa_ieee_mode 1
		.amdhsa_fp16_overflow 0
		.amdhsa_tg_split 0
		.amdhsa_exception_fp_ieee_invalid_op 0
		.amdhsa_exception_fp_denorm_src 0
		.amdhsa_exception_fp_ieee_div_zero 0
		.amdhsa_exception_fp_ieee_overflow 0
		.amdhsa_exception_fp_ieee_underflow 0
		.amdhsa_exception_fp_ieee_inexact 0
		.amdhsa_exception_int_div_zero 0
	.end_amdhsa_kernel
	.section	.text._ZN9rocsolver6v33100L18getf2_small_kernelILi4EdiiPKPdEEvT1_T3_lS5_lPS5_llPT2_S5_S5_S7_l,"axG",@progbits,_ZN9rocsolver6v33100L18getf2_small_kernelILi4EdiiPKPdEEvT1_T3_lS5_lPS5_llPT2_S5_S5_S7_l,comdat
.Lfunc_end6:
	.size	_ZN9rocsolver6v33100L18getf2_small_kernelILi4EdiiPKPdEEvT1_T3_lS5_lPS5_llPT2_S5_S5_S7_l, .Lfunc_end6-_ZN9rocsolver6v33100L18getf2_small_kernelILi4EdiiPKPdEEvT1_T3_lS5_lPS5_llPT2_S5_S5_S7_l
                                        ; -- End function
	.section	.AMDGPU.csdata,"",@progbits
; Kernel info:
; codeLenInByte = 2396
; NumSgprs: 24
; NumVgprs: 30
; NumAgprs: 0
; TotalNumVgprs: 30
; ScratchSize: 0
; MemoryBound: 0
; FloatMode: 240
; IeeeMode: 1
; LDSByteSize: 0 bytes/workgroup (compile time only)
; SGPRBlocks: 2
; VGPRBlocks: 3
; NumSGPRsForWavesPerEU: 24
; NumVGPRsForWavesPerEU: 30
; AccumOffset: 32
; Occupancy: 8
; WaveLimiterHint : 1
; COMPUTE_PGM_RSRC2:SCRATCH_EN: 0
; COMPUTE_PGM_RSRC2:USER_SGPR: 6
; COMPUTE_PGM_RSRC2:TRAP_HANDLER: 0
; COMPUTE_PGM_RSRC2:TGID_X_EN: 1
; COMPUTE_PGM_RSRC2:TGID_Y_EN: 1
; COMPUTE_PGM_RSRC2:TGID_Z_EN: 0
; COMPUTE_PGM_RSRC2:TIDIG_COMP_CNT: 1
; COMPUTE_PGM_RSRC3_GFX90A:ACCUM_OFFSET: 7
; COMPUTE_PGM_RSRC3_GFX90A:TG_SPLIT: 0
	.section	.text._ZN9rocsolver6v33100L23getf2_npvt_small_kernelILi4EdiiPKPdEEvT1_T3_lS5_lPT2_S5_S5_,"axG",@progbits,_ZN9rocsolver6v33100L23getf2_npvt_small_kernelILi4EdiiPKPdEEvT1_T3_lS5_lPT2_S5_S5_,comdat
	.globl	_ZN9rocsolver6v33100L23getf2_npvt_small_kernelILi4EdiiPKPdEEvT1_T3_lS5_lPT2_S5_S5_ ; -- Begin function _ZN9rocsolver6v33100L23getf2_npvt_small_kernelILi4EdiiPKPdEEvT1_T3_lS5_lPT2_S5_S5_
	.p2align	8
	.type	_ZN9rocsolver6v33100L23getf2_npvt_small_kernelILi4EdiiPKPdEEvT1_T3_lS5_lPT2_S5_S5_,@function
_ZN9rocsolver6v33100L23getf2_npvt_small_kernelILi4EdiiPKPdEEvT1_T3_lS5_lPT2_S5_S5_: ; @_ZN9rocsolver6v33100L23getf2_npvt_small_kernelILi4EdiiPKPdEEvT1_T3_lS5_lPT2_S5_S5_
; %bb.0:
	s_load_dword s0, s[4:5], 0x44
	s_load_dwordx2 s[8:9], s[4:5], 0x30
	v_bfe_u32 v18, v0, 10, 10
	s_waitcnt lgkmcnt(0)
	s_lshr_b32 s0, s0, 16
	s_mul_i32 s7, s7, s0
	v_add_u32_e32 v2, s7, v18
	v_cmp_gt_i32_e32 vcc, s8, v2
	s_and_saveexec_b64 s[2:3], vcc
	s_cbranch_execz .LBB7_24
; %bb.1:
	s_load_dwordx4 s[12:15], s[4:5], 0x8
	s_load_dword s2, s[4:5], 0x18
	v_ashrrev_i32_e32 v3, 31, v2
	v_lshlrev_b64 v[4:5], 3, v[2:3]
	v_and_b32_e32 v26, 0x3ff, v0
	s_waitcnt lgkmcnt(0)
	v_mov_b32_e32 v1, s13
	v_add_co_u32_e32 v4, vcc, s12, v4
	v_addc_co_u32_e32 v5, vcc, v1, v5, vcc
	global_load_dwordx2 v[4:5], v[4:5], off
	s_lshl_b64 s[6:7], s[14:15], 3
	s_add_i32 s1, s2, s2
	v_mov_b32_e32 v11, s7
	v_add_u32_e32 v0, s1, v26
	v_lshlrev_b32_e32 v10, 3, v26
	v_ashrrev_i32_e32 v1, 31, v0
	v_add_u32_e32 v6, s2, v0
	v_lshlrev_b64 v[8:9], 3, v[0:1]
	v_ashrrev_i32_e32 v7, 31, v6
	v_lshlrev_b64 v[6:7], 3, v[6:7]
	s_ashr_i32 s3, s2, 31
	s_lshl_b64 s[10:11], s[2:3], 3
	v_mov_b32_e32 v12, s11
	s_lshl_b32 s0, s0, 5
	v_lshlrev_b32_e32 v19, 5, v18
	s_add_i32 s0, s0, 0
	v_lshl_add_u32 v24, v18, 3, s0
	v_cmp_ne_u32_e64 s[2:3], 0, v26
	v_cmp_eq_u32_e64 s[0:1], 0, v26
	v_add_u32_e32 v25, 0, v19
	s_waitcnt vmcnt(0)
	v_add_co_u32_e32 v13, vcc, s6, v4
	v_addc_co_u32_e32 v11, vcc, v5, v11, vcc
	v_add_co_u32_e32 v0, vcc, v13, v10
	v_addc_co_u32_e32 v1, vcc, 0, v11, vcc
	;; [unrolled: 2-line block ×5, first 2 shown]
	global_load_dwordx2 v[10:11], v[0:1], off
	global_load_dwordx2 v[12:13], v[8:9], off
	;; [unrolled: 1-line block ×4, first 2 shown]
	s_and_saveexec_b64 s[6:7], s[0:1]
	s_cbranch_execz .LBB7_4
; %bb.2:
	s_waitcnt vmcnt(3)
	ds_write_b64 v24, v[10:11]
	s_waitcnt vmcnt(1)
	ds_write2_b64 v25, v[12:13], v[14:15] offset0:1 offset1:2
	s_waitcnt vmcnt(0)
	ds_write_b64 v25, v[16:17] offset:24
	ds_read_b64 v[18:19], v24
	s_waitcnt lgkmcnt(0)
	v_cmp_neq_f64_e32 vcc, 0, v[18:19]
	s_and_b64 exec, exec, vcc
	s_cbranch_execz .LBB7_4
; %bb.3:
	v_div_scale_f64 v[20:21], s[10:11], v[18:19], v[18:19], 1.0
	v_rcp_f64_e32 v[22:23], v[20:21]
	v_div_scale_f64 v[28:29], vcc, 1.0, v[18:19], 1.0
	v_fma_f64 v[30:31], -v[20:21], v[22:23], 1.0
	v_fmac_f64_e32 v[22:23], v[22:23], v[30:31]
	v_fma_f64 v[30:31], -v[20:21], v[22:23], 1.0
	v_fmac_f64_e32 v[22:23], v[22:23], v[30:31]
	v_mul_f64 v[30:31], v[28:29], v[22:23]
	v_fma_f64 v[20:21], -v[20:21], v[30:31], v[28:29]
	v_div_fmas_f64 v[20:21], v[20:21], v[22:23], v[30:31]
	v_div_fixup_f64 v[18:19], v[20:21], v[18:19], 1.0
	ds_write_b64 v24, v[18:19]
.LBB7_4:
	s_or_b64 exec, exec, s[6:7]
	s_waitcnt lgkmcnt(0)
	s_barrier
	ds_read_b64 v[18:19], v24
	s_and_saveexec_b64 s[6:7], s[2:3]
	s_cbranch_execz .LBB7_6
; %bb.5:
	ds_read2_b64 v[20:23], v25 offset0:1 offset1:2
	ds_read_b64 v[28:29], v25 offset:24
	s_waitcnt vmcnt(3) lgkmcnt(2)
	v_mul_f64 v[10:11], v[10:11], v[18:19]
	s_waitcnt vmcnt(2) lgkmcnt(1)
	v_fma_f64 v[12:13], -v[10:11], v[20:21], v[12:13]
	s_waitcnt vmcnt(1)
	v_fma_f64 v[14:15], -v[10:11], v[22:23], v[14:15]
	s_waitcnt vmcnt(0) lgkmcnt(0)
	v_fma_f64 v[16:17], -v[10:11], v[28:29], v[16:17]
.LBB7_6:
	s_or_b64 exec, exec, s[6:7]
	v_cmp_eq_u32_e32 vcc, 1, v26
	s_waitcnt lgkmcnt(0)
	s_barrier
	s_and_saveexec_b64 s[2:3], vcc
	s_cbranch_execz .LBB7_9
; %bb.7:
	s_waitcnt vmcnt(2)
	ds_write_b64 v24, v[12:13]
	s_waitcnt vmcnt(0)
	ds_write2_b64 v25, v[14:15], v[16:17] offset0:2 offset1:3
	ds_read_b64 v[20:21], v24
	s_waitcnt lgkmcnt(0)
	v_cmp_neq_f64_e32 vcc, 0, v[20:21]
	s_and_b64 exec, exec, vcc
	s_cbranch_execz .LBB7_9
; %bb.8:
	v_div_scale_f64 v[22:23], s[6:7], v[20:21], v[20:21], 1.0
	v_rcp_f64_e32 v[28:29], v[22:23]
	v_div_scale_f64 v[30:31], vcc, 1.0, v[20:21], 1.0
	v_fma_f64 v[32:33], -v[22:23], v[28:29], 1.0
	v_fmac_f64_e32 v[28:29], v[28:29], v[32:33]
	v_fma_f64 v[32:33], -v[22:23], v[28:29], 1.0
	v_fmac_f64_e32 v[28:29], v[28:29], v[32:33]
	v_mul_f64 v[32:33], v[30:31], v[28:29]
	v_fma_f64 v[22:23], -v[22:23], v[32:33], v[30:31]
	v_div_fmas_f64 v[22:23], v[22:23], v[28:29], v[32:33]
	v_div_fixup_f64 v[20:21], v[22:23], v[20:21], 1.0
	ds_write_b64 v24, v[20:21]
.LBB7_9:
	s_or_b64 exec, exec, s[2:3]
	s_waitcnt lgkmcnt(0)
	s_barrier
	ds_read_b64 v[20:21], v24
	v_cmp_lt_u32_e32 vcc, 1, v26
	s_and_saveexec_b64 s[2:3], vcc
	s_cbranch_execz .LBB7_11
; %bb.10:
	ds_read2_b64 v[28:31], v25 offset0:2 offset1:3
	s_waitcnt vmcnt(2) lgkmcnt(1)
	v_mul_f64 v[12:13], v[12:13], v[20:21]
	s_waitcnt vmcnt(1) lgkmcnt(0)
	v_fma_f64 v[14:15], -v[12:13], v[28:29], v[14:15]
	s_waitcnt vmcnt(0)
	v_fma_f64 v[16:17], -v[12:13], v[30:31], v[16:17]
.LBB7_11:
	s_or_b64 exec, exec, s[2:3]
	v_cmp_eq_u32_e32 vcc, 2, v26
	s_waitcnt lgkmcnt(0)
	s_barrier
	s_and_saveexec_b64 s[2:3], vcc
	s_cbranch_execz .LBB7_14
; %bb.12:
	s_waitcnt vmcnt(1)
	ds_write_b64 v24, v[14:15]
	s_waitcnt vmcnt(0)
	ds_write_b64 v25, v[16:17] offset:24
	ds_read_b64 v[22:23], v24
	s_waitcnt lgkmcnt(0)
	v_cmp_neq_f64_e32 vcc, 0, v[22:23]
	s_and_b64 exec, exec, vcc
	s_cbranch_execz .LBB7_14
; %bb.13:
	v_div_scale_f64 v[28:29], s[6:7], v[22:23], v[22:23], 1.0
	v_rcp_f64_e32 v[30:31], v[28:29]
	v_div_scale_f64 v[32:33], vcc, 1.0, v[22:23], 1.0
	v_fma_f64 v[34:35], -v[28:29], v[30:31], 1.0
	v_fmac_f64_e32 v[30:31], v[30:31], v[34:35]
	v_fma_f64 v[34:35], -v[28:29], v[30:31], 1.0
	v_fmac_f64_e32 v[30:31], v[30:31], v[34:35]
	v_mul_f64 v[34:35], v[32:33], v[30:31]
	v_fma_f64 v[28:29], -v[28:29], v[34:35], v[32:33]
	v_div_fmas_f64 v[28:29], v[28:29], v[30:31], v[34:35]
	v_div_fixup_f64 v[22:23], v[28:29], v[22:23], 1.0
	ds_write_b64 v24, v[22:23]
.LBB7_14:
	s_or_b64 exec, exec, s[2:3]
	s_waitcnt lgkmcnt(0)
	s_barrier
	ds_read_b64 v[22:23], v24
	v_cmp_lt_u32_e32 vcc, 2, v26
	s_and_saveexec_b64 s[2:3], vcc
	s_cbranch_execz .LBB7_16
; %bb.15:
	ds_read_b64 v[28:29], v25 offset:24
	s_waitcnt vmcnt(1) lgkmcnt(1)
	v_mul_f64 v[14:15], v[14:15], v[22:23]
	s_waitcnt vmcnt(0) lgkmcnt(0)
	v_fma_f64 v[16:17], -v[14:15], v[28:29], v[16:17]
.LBB7_16:
	s_or_b64 exec, exec, s[2:3]
	v_cmp_ne_u32_e32 vcc, 3, v26
	s_waitcnt lgkmcnt(0)
	s_barrier
	s_and_saveexec_b64 s[2:3], vcc
	s_xor_b64 s[2:3], exec, s[2:3]
	s_andn2_saveexec_b64 s[2:3], s[2:3]
	s_cbranch_execz .LBB7_20
; %bb.17:
	s_waitcnt vmcnt(0)
	v_cmp_neq_f64_e32 vcc, 0, v[16:17]
	ds_write_b64 v24, v[16:17]
	s_and_saveexec_b64 s[6:7], vcc
	s_cbranch_execz .LBB7_19
; %bb.18:
	v_div_scale_f64 v[28:29], s[10:11], v[16:17], v[16:17], 1.0
	v_rcp_f64_e32 v[30:31], v[28:29]
	v_div_scale_f64 v[32:33], vcc, 1.0, v[16:17], 1.0
	v_fma_f64 v[34:35], -v[28:29], v[30:31], 1.0
	v_fmac_f64_e32 v[30:31], v[30:31], v[34:35]
	v_fma_f64 v[34:35], -v[28:29], v[30:31], 1.0
	v_fmac_f64_e32 v[30:31], v[30:31], v[34:35]
	v_mul_f64 v[34:35], v[32:33], v[30:31]
	v_fma_f64 v[28:29], -v[28:29], v[34:35], v[32:33]
	v_div_fmas_f64 v[28:29], v[28:29], v[30:31], v[34:35]
	v_div_fixup_f64 v[28:29], v[28:29], v[16:17], 1.0
	ds_write_b64 v24, v[28:29]
.LBB7_19:
	s_or_b64 exec, exec, s[6:7]
.LBB7_20:
	s_or_b64 exec, exec, s[2:3]
	s_waitcnt lgkmcnt(0)
	s_barrier
	ds_read_b64 v[24:25], v24
	s_waitcnt lgkmcnt(0)
	s_barrier
	s_and_saveexec_b64 s[6:7], s[0:1]
	s_cbranch_execz .LBB7_23
; %bb.21:
	s_load_dwordx2 s[0:1], s[4:5], 0x28
	v_lshlrev_b64 v[2:3], 2, v[2:3]
	v_cmp_eq_f64_e64 s[2:3], 0, v[22:23]
	v_cmp_eq_f64_e64 s[4:5], 0, v[24:25]
	s_waitcnt lgkmcnt(0)
	v_mov_b32_e32 v27, s1
	v_add_co_u32_e32 v2, vcc, s0, v2
	v_addc_co_u32_e32 v3, vcc, v27, v3, vcc
	global_load_dword v27, v[2:3], off
	v_cmp_eq_f64_e32 vcc, 0, v[18:19]
	v_cmp_neq_f64_e64 s[0:1], 0, v[20:21]
	v_cndmask_b32_e64 v18, 0, 1, vcc
	s_or_b64 vcc, s[0:1], vcc
	v_cndmask_b32_e32 v18, 2, v18, vcc
	v_cmp_eq_u32_e32 vcc, 0, v18
	s_and_b64 s[0:1], s[2:3], vcc
	v_cndmask_b32_e64 v18, v18, 3, s[0:1]
	v_cmp_eq_u32_e32 vcc, 0, v18
	s_and_b64 s[0:1], s[4:5], vcc
	v_cndmask_b32_e64 v18, v18, 4, s[0:1]
	v_cmp_ne_u32_e64 s[0:1], 0, v18
	s_waitcnt vmcnt(0)
	v_cmp_eq_u32_e32 vcc, 0, v27
	s_and_b64 s[0:1], vcc, s[0:1]
	s_and_b64 exec, exec, s[0:1]
	s_cbranch_execz .LBB7_23
; %bb.22:
	v_add_u32_e32 v18, s9, v18
	global_store_dword v[2:3], v18, off
.LBB7_23:
	s_or_b64 exec, exec, s[6:7]
	s_waitcnt vmcnt(0)
	v_mul_f64 v[2:3], v[16:17], v[24:25]
	v_cmp_lt_u32_e32 vcc, 3, v26
	v_cndmask_b32_e32 v3, v17, v3, vcc
	v_cndmask_b32_e32 v2, v16, v2, vcc
	global_store_dwordx2 v[0:1], v[10:11], off
	global_store_dwordx2 v[8:9], v[12:13], off
	;; [unrolled: 1-line block ×4, first 2 shown]
.LBB7_24:
	s_endpgm
	.section	.rodata,"a",@progbits
	.p2align	6, 0x0
	.amdhsa_kernel _ZN9rocsolver6v33100L23getf2_npvt_small_kernelILi4EdiiPKPdEEvT1_T3_lS5_lPT2_S5_S5_
		.amdhsa_group_segment_fixed_size 0
		.amdhsa_private_segment_fixed_size 0
		.amdhsa_kernarg_size 312
		.amdhsa_user_sgpr_count 6
		.amdhsa_user_sgpr_private_segment_buffer 1
		.amdhsa_user_sgpr_dispatch_ptr 0
		.amdhsa_user_sgpr_queue_ptr 0
		.amdhsa_user_sgpr_kernarg_segment_ptr 1
		.amdhsa_user_sgpr_dispatch_id 0
		.amdhsa_user_sgpr_flat_scratch_init 0
		.amdhsa_user_sgpr_kernarg_preload_length 0
		.amdhsa_user_sgpr_kernarg_preload_offset 0
		.amdhsa_user_sgpr_private_segment_size 0
		.amdhsa_uses_dynamic_stack 0
		.amdhsa_system_sgpr_private_segment_wavefront_offset 0
		.amdhsa_system_sgpr_workgroup_id_x 1
		.amdhsa_system_sgpr_workgroup_id_y 1
		.amdhsa_system_sgpr_workgroup_id_z 0
		.amdhsa_system_sgpr_workgroup_info 0
		.amdhsa_system_vgpr_workitem_id 1
		.amdhsa_next_free_vgpr 36
		.amdhsa_next_free_sgpr 16
		.amdhsa_accum_offset 36
		.amdhsa_reserve_vcc 1
		.amdhsa_reserve_flat_scratch 0
		.amdhsa_float_round_mode_32 0
		.amdhsa_float_round_mode_16_64 0
		.amdhsa_float_denorm_mode_32 3
		.amdhsa_float_denorm_mode_16_64 3
		.amdhsa_dx10_clamp 1
		.amdhsa_ieee_mode 1
		.amdhsa_fp16_overflow 0
		.amdhsa_tg_split 0
		.amdhsa_exception_fp_ieee_invalid_op 0
		.amdhsa_exception_fp_denorm_src 0
		.amdhsa_exception_fp_ieee_div_zero 0
		.amdhsa_exception_fp_ieee_overflow 0
		.amdhsa_exception_fp_ieee_underflow 0
		.amdhsa_exception_fp_ieee_inexact 0
		.amdhsa_exception_int_div_zero 0
	.end_amdhsa_kernel
	.section	.text._ZN9rocsolver6v33100L23getf2_npvt_small_kernelILi4EdiiPKPdEEvT1_T3_lS5_lPT2_S5_S5_,"axG",@progbits,_ZN9rocsolver6v33100L23getf2_npvt_small_kernelILi4EdiiPKPdEEvT1_T3_lS5_lPT2_S5_S5_,comdat
.Lfunc_end7:
	.size	_ZN9rocsolver6v33100L23getf2_npvt_small_kernelILi4EdiiPKPdEEvT1_T3_lS5_lPT2_S5_S5_, .Lfunc_end7-_ZN9rocsolver6v33100L23getf2_npvt_small_kernelILi4EdiiPKPdEEvT1_T3_lS5_lPT2_S5_S5_
                                        ; -- End function
	.section	.AMDGPU.csdata,"",@progbits
; Kernel info:
; codeLenInByte = 1384
; NumSgprs: 20
; NumVgprs: 36
; NumAgprs: 0
; TotalNumVgprs: 36
; ScratchSize: 0
; MemoryBound: 0
; FloatMode: 240
; IeeeMode: 1
; LDSByteSize: 0 bytes/workgroup (compile time only)
; SGPRBlocks: 2
; VGPRBlocks: 4
; NumSGPRsForWavesPerEU: 20
; NumVGPRsForWavesPerEU: 36
; AccumOffset: 36
; Occupancy: 8
; WaveLimiterHint : 1
; COMPUTE_PGM_RSRC2:SCRATCH_EN: 0
; COMPUTE_PGM_RSRC2:USER_SGPR: 6
; COMPUTE_PGM_RSRC2:TRAP_HANDLER: 0
; COMPUTE_PGM_RSRC2:TGID_X_EN: 1
; COMPUTE_PGM_RSRC2:TGID_Y_EN: 1
; COMPUTE_PGM_RSRC2:TGID_Z_EN: 0
; COMPUTE_PGM_RSRC2:TIDIG_COMP_CNT: 1
; COMPUTE_PGM_RSRC3_GFX90A:ACCUM_OFFSET: 8
; COMPUTE_PGM_RSRC3_GFX90A:TG_SPLIT: 0
	.section	.text._ZN9rocsolver6v33100L18getf2_small_kernelILi5EdiiPKPdEEvT1_T3_lS5_lPS5_llPT2_S5_S5_S7_l,"axG",@progbits,_ZN9rocsolver6v33100L18getf2_small_kernelILi5EdiiPKPdEEvT1_T3_lS5_lPS5_llPT2_S5_S5_S7_l,comdat
	.globl	_ZN9rocsolver6v33100L18getf2_small_kernelILi5EdiiPKPdEEvT1_T3_lS5_lPS5_llPT2_S5_S5_S7_l ; -- Begin function _ZN9rocsolver6v33100L18getf2_small_kernelILi5EdiiPKPdEEvT1_T3_lS5_lPS5_llPT2_S5_S5_S7_l
	.p2align	8
	.type	_ZN9rocsolver6v33100L18getf2_small_kernelILi5EdiiPKPdEEvT1_T3_lS5_lPS5_llPT2_S5_S5_S7_l,@function
_ZN9rocsolver6v33100L18getf2_small_kernelILi5EdiiPKPdEEvT1_T3_lS5_lPS5_llPT2_S5_S5_S7_l: ; @_ZN9rocsolver6v33100L18getf2_small_kernelILi5EdiiPKPdEEvT1_T3_lS5_lPS5_llPT2_S5_S5_S7_l
; %bb.0:
	s_load_dword s0, s[4:5], 0x6c
	s_load_dwordx2 s[12:13], s[4:5], 0x48
	v_bfe_u32 v14, v0, 10, 10
	s_waitcnt lgkmcnt(0)
	s_lshr_b32 s0, s0, 16
	s_mul_i32 s7, s7, s0
	v_add_u32_e32 v2, s7, v14
	v_cmp_gt_i32_e32 vcc, s12, v2
	s_and_saveexec_b64 s[0:1], vcc
	s_cbranch_execz .LBB8_82
; %bb.1:
	s_load_dwordx4 s[0:3], s[4:5], 0x8
	s_load_dwordx4 s[8:11], s[4:5], 0x50
	v_ashrrev_i32_e32 v3, 31, v2
	v_lshlrev_b64 v[4:5], 3, v[2:3]
	v_pk_mov_b32 v[12:13], 0, 0
	s_waitcnt lgkmcnt(0)
	v_mov_b32_e32 v1, s1
	v_add_co_u32_e32 v4, vcc, s0, v4
	v_addc_co_u32_e32 v5, vcc, v1, v5, vcc
	global_load_dwordx2 v[4:5], v[4:5], off
	s_cmp_eq_u64 s[8:9], 0
	s_cselect_b64 s[6:7], -1, 0
	s_and_b64 vcc, exec, s[6:7]
	s_cbranch_vccnz .LBB8_3
; %bb.2:
	v_mul_lo_u32 v1, v3, s10
	v_mul_lo_u32 v8, v2, s11
	v_mad_u64_u32 v[6:7], s[0:1], v2, s10, 0
	v_add3_u32 v7, v7, v8, v1
	v_lshlrev_b64 v[6:7], 2, v[6:7]
	v_mov_b32_e32 v1, s9
	v_add_co_u32_e32 v12, vcc, s8, v6
	v_addc_co_u32_e32 v13, vcc, v1, v7, vcc
.LBB8_3:
	s_load_dword s8, s[4:5], 0x18
	s_load_dword s12, s[4:5], 0x0
	s_lshl_b64 s[0:1], s[2:3], 3
	v_mov_b32_e32 v1, s1
	s_waitcnt vmcnt(0)
	v_add_co_u32_e32 v20, vcc, s0, v4
	v_and_b32_e32 v23, 0x3ff, v0
	v_addc_co_u32_e32 v21, vcc, v5, v1, vcc
	v_lshlrev_b32_e32 v15, 3, v23
	v_add_co_u32_e32 v10, vcc, v20, v15
	s_waitcnt lgkmcnt(0)
	s_ashr_i32 s9, s8, 31
	v_addc_co_u32_e32 v11, vcc, 0, v21, vcc
	s_lshl_b64 s[10:11], s[8:9], 3
	v_mov_b32_e32 v0, s11
	v_add_co_u32_e32 v16, vcc, s10, v10
	s_add_i32 s9, s8, s8
	v_addc_co_u32_e32 v17, vcc, v11, v0, vcc
	v_add_u32_e32 v0, s9, v23
	v_ashrrev_i32_e32 v1, 31, v0
	v_lshlrev_b64 v[4:5], 3, v[0:1]
	v_add_u32_e32 v24, s8, v0
	v_add_co_u32_e32 v18, vcc, v20, v4
	v_ashrrev_i32_e32 v25, 31, v24
	v_addc_co_u32_e32 v19, vcc, v21, v5, vcc
	v_lshlrev_b64 v[0:1], 3, v[24:25]
	v_add_co_u32_e32 v26, vcc, v20, v0
	v_addc_co_u32_e32 v27, vcc, v21, v1, vcc
	global_load_dwordx2 v[8:9], v[10:11], off
	global_load_dwordx2 v[6:7], v[16:17], off
	;; [unrolled: 1-line block ×4, first 2 shown]
	v_add_u32_e32 v10, s8, v24
	v_ashrrev_i32_e32 v11, 31, v10
	v_lshlrev_b64 v[10:11], 3, v[10:11]
	v_add_co_u32_e32 v10, vcc, v20, v10
	v_addc_co_u32_e32 v11, vcc, v21, v11, vcc
	global_load_dwordx2 v[10:11], v[10:11], off
	s_max_i32 s0, s12, 5
	v_mul_lo_u32 v17, s0, v14
	v_lshl_add_u32 v18, v17, 3, 0
	v_add_u32_e32 v14, v18, v15
	v_mov_b32_e32 v16, 0
	s_cmp_lt_i32 s12, 2
	v_lshlrev_b32_e32 v19, 3, v17
	s_waitcnt vmcnt(4)
	ds_write_b64 v14, v[8:9]
	s_waitcnt lgkmcnt(0)
	s_barrier
	ds_read_b64 v[14:15], v18
	s_cbranch_scc1 .LBB8_6
; %bb.4:
	v_add3_u32 v17, v19, 0, 8
	s_mov_b32 s0, 1
	v_mov_b32_e32 v16, 0
.LBB8_5:                                ; =>This Inner Loop Header: Depth=1
	ds_read_b64 v[24:25], v17
	v_mov_b32_e32 v22, s0
	s_add_i32 s0, s0, 1
	v_add_u32_e32 v17, 8, v17
	s_cmp_eq_u32 s12, s0
	s_waitcnt lgkmcnt(0)
	v_cmp_lt_f64_e64 vcc, |v[14:15]|, |v[24:25]|
	v_cndmask_b32_e32 v15, v15, v25, vcc
	v_cndmask_b32_e32 v14, v14, v24, vcc
	;; [unrolled: 1-line block ×3, first 2 shown]
	s_cbranch_scc0 .LBB8_5
.LBB8_6:
	v_cmp_ne_u32_e32 vcc, v23, v16
                                        ; implicit-def: $vgpr22
	s_and_saveexec_b64 s[0:1], vcc
	s_xor_b64 s[0:1], exec, s[0:1]
	s_cbranch_execz .LBB8_12
; %bb.7:
	v_cmp_eq_u32_e32 vcc, 0, v23
	s_and_saveexec_b64 s[2:3], vcc
	s_cbranch_execz .LBB8_11
; %bb.8:
	v_cmp_ne_u32_e32 vcc, 0, v16
	s_xor_b64 s[14:15], s[6:7], -1
	s_and_b64 s[16:17], s[14:15], vcc
	s_and_saveexec_b64 s[14:15], s[16:17]
	s_cbranch_execz .LBB8_10
; %bb.9:
	v_ashrrev_i32_e32 v17, 31, v16
	v_lshlrev_b64 v[22:23], 2, v[16:17]
	v_add_co_u32_e32 v22, vcc, v12, v22
	v_addc_co_u32_e32 v23, vcc, v13, v23, vcc
	flat_load_dword v17, v[22:23]
	flat_load_dword v24, v[12:13]
	s_waitcnt vmcnt(0) lgkmcnt(0)
	flat_store_dword v[12:13], v17
	flat_store_dword v[22:23], v24
.LBB8_10:
	s_or_b64 exec, exec, s[14:15]
	v_mov_b32_e32 v23, v16
.LBB8_11:
	s_or_b64 exec, exec, s[2:3]
	v_mov_b32_e32 v22, v23
                                        ; implicit-def: $vgpr23
.LBB8_12:
	s_or_saveexec_b64 s[0:1], s[0:1]
	v_mov_b32_e32 v17, v22
	s_xor_b64 exec, exec, s[0:1]
	s_cbranch_execz .LBB8_14
; %bb.13:
	v_mov_b32_e32 v22, 0
	v_mov_b32_e32 v17, v23
	s_waitcnt vmcnt(0)
	ds_write2_b64 v18, v[6:7], v[4:5] offset0:1 offset1:2
	ds_write2_b64 v18, v[0:1], v[10:11] offset0:3 offset1:4
.LBB8_14:
	s_or_b64 exec, exec, s[0:1]
	s_waitcnt lgkmcnt(0)
	v_cmp_eq_f64_e64 s[0:1], 0, v[14:15]
	v_cmp_lt_i32_e32 vcc, 0, v22
	s_barrier
	s_and_saveexec_b64 s[2:3], vcc
	s_cbranch_execz .LBB8_16
; %bb.15:
	v_div_scale_f64 v[24:25], s[14:15], v[14:15], v[14:15], 1.0
	v_rcp_f64_e32 v[26:27], v[24:25]
	v_div_scale_f64 v[28:29], vcc, 1.0, v[14:15], 1.0
	v_fma_f64 v[30:31], -v[24:25], v[26:27], 1.0
	v_fmac_f64_e32 v[26:27], v[26:27], v[30:31]
	v_fma_f64 v[30:31], -v[24:25], v[26:27], 1.0
	v_fmac_f64_e32 v[26:27], v[26:27], v[30:31]
	v_mul_f64 v[30:31], v[28:29], v[26:27]
	v_fma_f64 v[24:25], -v[24:25], v[30:31], v[28:29]
	v_div_fmas_f64 v[24:25], v[24:25], v[26:27], v[30:31]
	v_div_fixup_f64 v[32:33], v[24:25], v[14:15], 1.0
	ds_read2_b64 v[24:27], v18 offset0:1 offset1:2
	ds_read2_b64 v[28:31], v18 offset0:3 offset1:4
	v_cndmask_b32_e64 v15, v33, v15, s[0:1]
	v_cndmask_b32_e64 v14, v32, v14, s[0:1]
	v_mul_f64 v[8:9], v[8:9], v[14:15]
	s_waitcnt vmcnt(0) lgkmcnt(0)
	v_fma_f64 v[6:7], -v[8:9], v[24:25], v[6:7]
	v_fma_f64 v[4:5], -v[8:9], v[26:27], v[4:5]
	;; [unrolled: 1-line block ×4, first 2 shown]
.LBB8_16:
	s_or_b64 exec, exec, s[2:3]
	v_lshl_add_u32 v14, v22, 3, v18
	s_barrier
	s_waitcnt vmcnt(0)
	ds_write_b64 v14, v[6:7]
	s_waitcnt lgkmcnt(0)
	s_barrier
	ds_read_b64 v[14:15], v18 offset:8
	s_cmp_lt_i32 s12, 3
	v_mov_b32_e32 v16, 1
	s_cbranch_scc1 .LBB8_19
; %bb.17:
	v_add3_u32 v23, v19, 0, 16
	s_mov_b32 s2, 2
	v_mov_b32_e32 v16, 1
.LBB8_18:                               ; =>This Inner Loop Header: Depth=1
	ds_read_b64 v[24:25], v23
	v_mov_b32_e32 v26, s2
	s_add_i32 s2, s2, 1
	v_add_u32_e32 v23, 8, v23
	s_cmp_lg_u32 s12, s2
	s_waitcnt lgkmcnt(0)
	v_cmp_lt_f64_e64 vcc, |v[14:15]|, |v[24:25]|
	v_cndmask_b32_e32 v15, v15, v25, vcc
	v_cndmask_b32_e32 v14, v14, v24, vcc
	;; [unrolled: 1-line block ×3, first 2 shown]
	s_cbranch_scc1 .LBB8_18
.LBB8_19:
	v_cmp_ne_u32_e32 vcc, v22, v16
	s_and_saveexec_b64 s[2:3], vcc
	s_xor_b64 s[2:3], exec, s[2:3]
	s_cbranch_execz .LBB8_25
; %bb.20:
	v_cmp_eq_u32_e32 vcc, 1, v22
	s_and_saveexec_b64 s[14:15], vcc
	s_cbranch_execz .LBB8_24
; %bb.21:
	v_cmp_ne_u32_e32 vcc, 1, v16
	s_xor_b64 s[16:17], s[6:7], -1
	s_and_b64 s[18:19], s[16:17], vcc
	s_and_saveexec_b64 s[16:17], s[18:19]
	s_cbranch_execz .LBB8_23
; %bb.22:
	v_ashrrev_i32_e32 v17, 31, v16
	v_lshlrev_b64 v[22:23], 2, v[16:17]
	v_add_co_u32_e32 v22, vcc, v12, v22
	v_addc_co_u32_e32 v23, vcc, v13, v23, vcc
	flat_load_dword v17, v[22:23]
	flat_load_dword v24, v[12:13] offset:4
	s_waitcnt vmcnt(0) lgkmcnt(0)
	flat_store_dword v[12:13], v17 offset:4
	flat_store_dword v[22:23], v24
.LBB8_23:
	s_or_b64 exec, exec, s[16:17]
	v_mov_b32_e32 v17, v16
	v_mov_b32_e32 v22, v16
.LBB8_24:
	s_or_b64 exec, exec, s[14:15]
.LBB8_25:
	s_andn2_saveexec_b64 s[2:3], s[2:3]
	s_cbranch_execz .LBB8_27
; %bb.26:
	v_mov_b32_e32 v22, 1
	ds_write2_b64 v18, v[4:5], v[0:1] offset0:2 offset1:3
	ds_write_b64 v18, v[10:11] offset:32
.LBB8_27:
	s_or_b64 exec, exec, s[2:3]
	s_waitcnt lgkmcnt(0)
	v_cmp_neq_f64_e64 s[2:3], 0, v[14:15]
	v_cmp_lt_i32_e32 vcc, 1, v22
	s_barrier
	s_and_saveexec_b64 s[14:15], vcc
	s_cbranch_execz .LBB8_29
; %bb.28:
	v_div_scale_f64 v[24:25], s[16:17], v[14:15], v[14:15], 1.0
	v_rcp_f64_e32 v[26:27], v[24:25]
	v_div_scale_f64 v[28:29], vcc, 1.0, v[14:15], 1.0
	v_fma_f64 v[30:31], -v[24:25], v[26:27], 1.0
	v_fmac_f64_e32 v[26:27], v[26:27], v[30:31]
	v_fma_f64 v[30:31], -v[24:25], v[26:27], 1.0
	v_fmac_f64_e32 v[26:27], v[26:27], v[30:31]
	v_mul_f64 v[30:31], v[28:29], v[26:27]
	v_fma_f64 v[24:25], -v[24:25], v[30:31], v[28:29]
	v_div_fmas_f64 v[24:25], v[24:25], v[26:27], v[30:31]
	v_div_fixup_f64 v[28:29], v[24:25], v[14:15], 1.0
	ds_read2_b64 v[24:27], v18 offset0:2 offset1:3
	ds_read_b64 v[30:31], v18 offset:32
	v_cndmask_b32_e64 v15, v15, v29, s[2:3]
	v_cndmask_b32_e64 v14, v14, v28, s[2:3]
	v_mul_f64 v[6:7], v[6:7], v[14:15]
	s_waitcnt lgkmcnt(0)
	v_fma_f64 v[4:5], -v[6:7], v[24:25], v[4:5]
	v_fma_f64 v[0:1], -v[6:7], v[26:27], v[0:1]
	;; [unrolled: 1-line block ×3, first 2 shown]
.LBB8_29:
	s_or_b64 exec, exec, s[14:15]
	v_lshl_add_u32 v14, v22, 3, v18
	s_barrier
	ds_write_b64 v14, v[4:5]
	s_waitcnt lgkmcnt(0)
	s_barrier
	ds_read_b64 v[14:15], v18 offset:16
	s_mov_b32 s14, 3
	s_cmp_lt_i32 s12, 4
	v_mov_b32_e32 v16, 2
	s_cbranch_scc1 .LBB8_32
; %bb.30:
	v_add3_u32 v23, v19, 0, 24
	v_mov_b32_e32 v16, 2
.LBB8_31:                               ; =>This Inner Loop Header: Depth=1
	ds_read_b64 v[24:25], v23
	v_mov_b32_e32 v26, s14
	s_add_i32 s14, s14, 1
	v_add_u32_e32 v23, 8, v23
	s_cmp_lg_u32 s12, s14
	s_waitcnt lgkmcnt(0)
	v_cmp_lt_f64_e64 vcc, |v[14:15]|, |v[24:25]|
	v_cndmask_b32_e32 v15, v15, v25, vcc
	v_cndmask_b32_e32 v14, v14, v24, vcc
	;; [unrolled: 1-line block ×3, first 2 shown]
	s_cbranch_scc1 .LBB8_31
.LBB8_32:
	v_cndmask_b32_e64 v23, 2, 1, s[0:1]
	v_cndmask_b32_e64 v24, 0, 1, s[0:1]
	;; [unrolled: 1-line block ×3, first 2 shown]
	s_waitcnt lgkmcnt(0)
	v_cmp_eq_f64_e32 vcc, 0, v[14:15]
	s_and_saveexec_b64 s[0:1], vcc
	s_xor_b64 s[0:1], exec, s[0:1]
; %bb.33:
	v_cmp_ne_u32_e32 vcc, 0, v23
	v_cndmask_b32_e32 v23, 3, v23, vcc
; %bb.34:
	s_andn2_saveexec_b64 s[0:1], s[0:1]
; %bb.35:
	v_div_scale_f64 v[24:25], s[2:3], v[14:15], v[14:15], 1.0
	v_rcp_f64_e32 v[26:27], v[24:25]
	v_div_scale_f64 v[28:29], vcc, 1.0, v[14:15], 1.0
	v_fma_f64 v[30:31], -v[24:25], v[26:27], 1.0
	v_fmac_f64_e32 v[26:27], v[26:27], v[30:31]
	v_fma_f64 v[30:31], -v[24:25], v[26:27], 1.0
	v_fmac_f64_e32 v[26:27], v[26:27], v[30:31]
	v_mul_f64 v[30:31], v[28:29], v[26:27]
	v_fma_f64 v[24:25], -v[24:25], v[30:31], v[28:29]
	v_div_fmas_f64 v[24:25], v[24:25], v[26:27], v[30:31]
	v_div_fixup_f64 v[14:15], v[24:25], v[14:15], 1.0
; %bb.36:
	s_or_b64 exec, exec, s[0:1]
	v_cmp_ne_u32_e32 vcc, v22, v16
	s_and_saveexec_b64 s[0:1], vcc
	s_xor_b64 s[0:1], exec, s[0:1]
	s_cbranch_execz .LBB8_42
; %bb.37:
	v_cmp_eq_u32_e32 vcc, 2, v22
	s_and_saveexec_b64 s[2:3], vcc
	s_cbranch_execz .LBB8_41
; %bb.38:
	v_cmp_ne_u32_e32 vcc, 2, v16
	s_xor_b64 s[14:15], s[6:7], -1
	s_and_b64 s[16:17], s[14:15], vcc
	s_and_saveexec_b64 s[14:15], s[16:17]
	s_cbranch_execz .LBB8_40
; %bb.39:
	v_ashrrev_i32_e32 v17, 31, v16
	v_lshlrev_b64 v[24:25], 2, v[16:17]
	v_add_co_u32_e32 v24, vcc, v12, v24
	v_addc_co_u32_e32 v25, vcc, v13, v25, vcc
	flat_load_dword v17, v[24:25]
	flat_load_dword v22, v[12:13] offset:8
	s_waitcnt vmcnt(0) lgkmcnt(0)
	flat_store_dword v[12:13], v17 offset:8
	flat_store_dword v[24:25], v22
.LBB8_40:
	s_or_b64 exec, exec, s[14:15]
	v_mov_b32_e32 v17, v16
	v_mov_b32_e32 v22, v16
.LBB8_41:
	s_or_b64 exec, exec, s[2:3]
.LBB8_42:
	s_andn2_saveexec_b64 s[0:1], s[0:1]
	s_cbranch_execz .LBB8_44
; %bb.43:
	v_mov_b32_e32 v22, 2
	ds_write2_b64 v18, v[0:1], v[10:11] offset0:3 offset1:4
.LBB8_44:
	s_or_b64 exec, exec, s[0:1]
	v_cmp_lt_i32_e32 vcc, 2, v22
	s_waitcnt lgkmcnt(0)
	s_barrier
	s_and_saveexec_b64 s[0:1], vcc
	s_cbranch_execz .LBB8_46
; %bb.45:
	ds_read2_b64 v[24:27], v18 offset0:3 offset1:4
	v_mul_f64 v[4:5], v[4:5], v[14:15]
	s_waitcnt lgkmcnt(0)
	v_fma_f64 v[0:1], -v[4:5], v[24:25], v[0:1]
	v_fma_f64 v[10:11], -v[4:5], v[26:27], v[10:11]
.LBB8_46:
	s_or_b64 exec, exec, s[0:1]
	v_lshl_add_u32 v14, v22, 3, v18
	s_barrier
	ds_write_b64 v14, v[0:1]
	s_waitcnt lgkmcnt(0)
	s_barrier
	ds_read_b64 v[14:15], v18 offset:24
	s_cmp_lt_i32 s12, 5
	v_mov_b32_e32 v16, 3
	s_cbranch_scc1 .LBB8_49
; %bb.47:
	v_add3_u32 v24, v19, 0, 32
	s_mov_b32 s0, 4
	v_mov_b32_e32 v16, 3
.LBB8_48:                               ; =>This Inner Loop Header: Depth=1
	ds_read_b64 v[26:27], v24
	v_mov_b32_e32 v25, s0
	s_add_i32 s0, s0, 1
	v_add_u32_e32 v24, 8, v24
	s_cmp_lg_u32 s12, s0
	s_waitcnt lgkmcnt(0)
	v_cmp_lt_f64_e64 vcc, |v[14:15]|, |v[26:27]|
	v_cndmask_b32_e32 v15, v15, v27, vcc
	v_cndmask_b32_e32 v14, v14, v26, vcc
	;; [unrolled: 1-line block ×3, first 2 shown]
	s_cbranch_scc1 .LBB8_48
.LBB8_49:
	s_waitcnt lgkmcnt(0)
	v_cmp_eq_f64_e32 vcc, 0, v[14:15]
	s_and_saveexec_b64 s[0:1], vcc
	s_xor_b64 s[0:1], exec, s[0:1]
; %bb.50:
	v_cmp_ne_u32_e32 vcc, 0, v23
	v_cndmask_b32_e32 v23, 4, v23, vcc
; %bb.51:
	s_andn2_saveexec_b64 s[0:1], s[0:1]
; %bb.52:
	v_div_scale_f64 v[24:25], s[2:3], v[14:15], v[14:15], 1.0
	v_rcp_f64_e32 v[26:27], v[24:25]
	v_div_scale_f64 v[28:29], vcc, 1.0, v[14:15], 1.0
	v_fma_f64 v[30:31], -v[24:25], v[26:27], 1.0
	v_fmac_f64_e32 v[26:27], v[26:27], v[30:31]
	v_fma_f64 v[30:31], -v[24:25], v[26:27], 1.0
	v_fmac_f64_e32 v[26:27], v[26:27], v[30:31]
	v_mul_f64 v[30:31], v[28:29], v[26:27]
	v_fma_f64 v[24:25], -v[24:25], v[30:31], v[28:29]
	v_div_fmas_f64 v[24:25], v[24:25], v[26:27], v[30:31]
	v_div_fixup_f64 v[14:15], v[24:25], v[14:15], 1.0
; %bb.53:
	s_or_b64 exec, exec, s[0:1]
	v_cmp_ne_u32_e32 vcc, v22, v16
	s_and_saveexec_b64 s[0:1], vcc
	s_xor_b64 s[0:1], exec, s[0:1]
	s_cbranch_execz .LBB8_59
; %bb.54:
	v_cmp_eq_u32_e32 vcc, 3, v22
	s_and_saveexec_b64 s[2:3], vcc
	s_cbranch_execz .LBB8_58
; %bb.55:
	v_cmp_ne_u32_e32 vcc, 3, v16
	s_xor_b64 s[14:15], s[6:7], -1
	s_and_b64 s[16:17], s[14:15], vcc
	s_and_saveexec_b64 s[14:15], s[16:17]
	s_cbranch_execz .LBB8_57
; %bb.56:
	v_ashrrev_i32_e32 v17, 31, v16
	v_lshlrev_b64 v[24:25], 2, v[16:17]
	v_add_co_u32_e32 v24, vcc, v12, v24
	v_addc_co_u32_e32 v25, vcc, v13, v25, vcc
	flat_load_dword v17, v[24:25]
	flat_load_dword v22, v[12:13] offset:12
	s_waitcnt vmcnt(0) lgkmcnt(0)
	flat_store_dword v[12:13], v17 offset:12
	flat_store_dword v[24:25], v22
.LBB8_57:
	s_or_b64 exec, exec, s[14:15]
	v_mov_b32_e32 v17, v16
	v_mov_b32_e32 v22, v16
.LBB8_58:
	s_or_b64 exec, exec, s[2:3]
.LBB8_59:
	s_andn2_saveexec_b64 s[0:1], s[0:1]
	s_cbranch_execz .LBB8_61
; %bb.60:
	v_mov_b32_e32 v22, 3
	ds_write_b64 v18, v[10:11] offset:32
.LBB8_61:
	s_or_b64 exec, exec, s[0:1]
	v_cmp_lt_i32_e32 vcc, 3, v22
	s_waitcnt lgkmcnt(0)
	s_barrier
	s_and_saveexec_b64 s[0:1], vcc
	s_cbranch_execz .LBB8_63
; %bb.62:
	ds_read_b64 v[24:25], v18 offset:32
	v_mul_f64 v[0:1], v[0:1], v[14:15]
	s_waitcnt lgkmcnt(0)
	v_fma_f64 v[10:11], -v[0:1], v[24:25], v[10:11]
.LBB8_63:
	s_or_b64 exec, exec, s[0:1]
	v_lshl_add_u32 v14, v22, 3, v18
	s_barrier
	ds_write_b64 v14, v[10:11]
	s_waitcnt lgkmcnt(0)
	s_barrier
	ds_read_b64 v[14:15], v18 offset:32
	s_cmp_lt_i32 s12, 6
	v_mov_b32_e32 v16, 4
	s_cbranch_scc1 .LBB8_66
; %bb.64:
	v_add3_u32 v18, v19, 0, 40
	s_mov_b32 s0, 5
	v_mov_b32_e32 v16, 4
.LBB8_65:                               ; =>This Inner Loop Header: Depth=1
	ds_read_b64 v[24:25], v18
	v_mov_b32_e32 v19, s0
	s_add_i32 s0, s0, 1
	v_add_u32_e32 v18, 8, v18
	s_cmp_lg_u32 s12, s0
	s_waitcnt lgkmcnt(0)
	v_cmp_lt_f64_e64 vcc, |v[14:15]|, |v[24:25]|
	v_cndmask_b32_e32 v15, v15, v25, vcc
	v_cndmask_b32_e32 v14, v14, v24, vcc
	;; [unrolled: 1-line block ×3, first 2 shown]
	s_cbranch_scc1 .LBB8_65
.LBB8_66:
	s_waitcnt lgkmcnt(0)
	v_cmp_eq_f64_e32 vcc, 0, v[14:15]
	s_and_saveexec_b64 s[0:1], vcc
	s_xor_b64 s[0:1], exec, s[0:1]
; %bb.67:
	v_cmp_ne_u32_e32 vcc, 0, v23
	v_cndmask_b32_e32 v23, 5, v23, vcc
; %bb.68:
	s_andn2_saveexec_b64 s[0:1], s[0:1]
; %bb.69:
	v_div_scale_f64 v[18:19], s[2:3], v[14:15], v[14:15], 1.0
	v_rcp_f64_e32 v[24:25], v[18:19]
	v_div_scale_f64 v[26:27], vcc, 1.0, v[14:15], 1.0
	v_fma_f64 v[28:29], -v[18:19], v[24:25], 1.0
	v_fmac_f64_e32 v[24:25], v[24:25], v[28:29]
	v_fma_f64 v[28:29], -v[18:19], v[24:25], 1.0
	v_fmac_f64_e32 v[24:25], v[24:25], v[28:29]
	v_mul_f64 v[28:29], v[26:27], v[24:25]
	v_fma_f64 v[18:19], -v[18:19], v[28:29], v[26:27]
	v_div_fmas_f64 v[18:19], v[18:19], v[24:25], v[28:29]
	v_div_fixup_f64 v[14:15], v[18:19], v[14:15], 1.0
; %bb.70:
	s_or_b64 exec, exec, s[0:1]
	v_cmp_ne_u32_e32 vcc, v22, v16
	v_mov_b32_e32 v18, 4
	s_and_saveexec_b64 s[0:1], vcc
	s_cbranch_execz .LBB8_76
; %bb.71:
	v_cmp_eq_u32_e32 vcc, 4, v22
	s_and_saveexec_b64 s[2:3], vcc
	s_cbranch_execz .LBB8_75
; %bb.72:
	v_cmp_ne_u32_e32 vcc, 4, v16
	s_xor_b64 s[6:7], s[6:7], -1
	s_and_b64 s[14:15], s[6:7], vcc
	s_and_saveexec_b64 s[6:7], s[14:15]
	s_cbranch_execz .LBB8_74
; %bb.73:
	v_ashrrev_i32_e32 v17, 31, v16
	v_lshlrev_b64 v[18:19], 2, v[16:17]
	v_add_co_u32_e32 v18, vcc, v12, v18
	v_addc_co_u32_e32 v19, vcc, v13, v19, vcc
	flat_load_dword v17, v[18:19]
	flat_load_dword v22, v[12:13] offset:16
	s_waitcnt vmcnt(0) lgkmcnt(0)
	flat_store_dword v[12:13], v17 offset:16
	flat_store_dword v[18:19], v22
.LBB8_74:
	s_or_b64 exec, exec, s[6:7]
	v_mov_b32_e32 v17, v16
	v_mov_b32_e32 v22, v16
.LBB8_75:
	s_or_b64 exec, exec, s[2:3]
	v_mov_b32_e32 v18, v22
.LBB8_76:
	s_or_b64 exec, exec, s[0:1]
	s_load_dwordx8 s[0:7], s[4:5], 0x28
	v_cmp_gt_i32_e32 vcc, 5, v18
	v_ashrrev_i32_e32 v19, 31, v18
	s_waitcnt lgkmcnt(0)
	s_barrier
	s_barrier
	s_and_saveexec_b64 s[14:15], vcc
	s_cbranch_execz .LBB8_78
; %bb.77:
	v_mul_lo_u32 v16, v3, s4
	v_mul_lo_u32 v22, v2, s5
	v_mad_u64_u32 v[12:13], s[4:5], v2, s4, 0
	s_lshl_b64 s[2:3], s[2:3], 2
	v_add3_u32 v13, v13, v22, v16
	s_add_u32 s0, s2, s0
	v_lshlrev_b64 v[12:13], 2, v[12:13]
	s_addc_u32 s1, s3, s1
	v_mov_b32_e32 v16, s1
	v_add_co_u32_e32 v22, vcc, s0, v12
	v_addc_co_u32_e32 v16, vcc, v16, v13, vcc
	v_lshlrev_b64 v[12:13], 2, v[18:19]
	v_add_co_u32_e32 v12, vcc, v22, v12
	v_addc_co_u32_e32 v13, vcc, v16, v13, vcc
	v_add3_u32 v16, v17, s13, 1
	global_store_dword v[12:13], v16, off
.LBB8_78:
	s_or_b64 exec, exec, s[14:15]
	v_cmp_eq_u32_e32 vcc, 0, v18
	s_and_saveexec_b64 s[2:3], vcc
	s_cbranch_execz .LBB8_81
; %bb.79:
	v_lshlrev_b64 v[2:3], 2, v[2:3]
	v_mov_b32_e32 v12, s7
	v_add_co_u32_e32 v2, vcc, s6, v2
	v_addc_co_u32_e32 v3, vcc, v12, v3, vcc
	global_load_dword v12, v[2:3], off
	v_cmp_lt_i32_e64 s[0:1], 0, v23
	s_waitcnt vmcnt(0)
	v_cmp_eq_u32_e32 vcc, 0, v12
	s_and_b64 s[0:1], vcc, s[0:1]
	s_and_b64 exec, exec, s[0:1]
	s_cbranch_execz .LBB8_81
; %bb.80:
	v_add_u32_e32 v12, s13, v23
	global_store_dword v[2:3], v12, off
.LBB8_81:
	s_or_b64 exec, exec, s[2:3]
	v_mul_f64 v[2:3], v[10:11], v[14:15]
	v_cmp_lt_i32_e32 vcc, 4, v18
	v_cndmask_b32_e32 v3, v11, v3, vcc
	v_cndmask_b32_e32 v2, v10, v2, vcc
	v_lshlrev_b64 v[10:11], 3, v[18:19]
	v_add_co_u32_e32 v10, vcc, v20, v10
	v_addc_co_u32_e32 v11, vcc, v21, v11, vcc
	global_store_dwordx2 v[10:11], v[8:9], off
	v_mov_b32_e32 v9, s11
	v_add_co_u32_e32 v8, vcc, s10, v10
	v_addc_co_u32_e32 v9, vcc, v11, v9, vcc
	global_store_dwordx2 v[8:9], v[6:7], off
	v_add_u32_e32 v6, s9, v18
	v_ashrrev_i32_e32 v7, 31, v6
	v_lshlrev_b64 v[8:9], 3, v[6:7]
	v_add_co_u32_e32 v8, vcc, v20, v8
	v_addc_co_u32_e32 v9, vcc, v21, v9, vcc
	global_store_dwordx2 v[8:9], v[4:5], off
	v_add_u32_e32 v4, s8, v6
	v_ashrrev_i32_e32 v5, 31, v4
	v_lshlrev_b64 v[6:7], 3, v[4:5]
	;; [unrolled: 6-line block ×3, first 2 shown]
	v_add_co_u32_e32 v0, vcc, v20, v0
	v_addc_co_u32_e32 v1, vcc, v21, v1, vcc
	global_store_dwordx2 v[0:1], v[2:3], off
.LBB8_82:
	s_endpgm
	.section	.rodata,"a",@progbits
	.p2align	6, 0x0
	.amdhsa_kernel _ZN9rocsolver6v33100L18getf2_small_kernelILi5EdiiPKPdEEvT1_T3_lS5_lPS5_llPT2_S5_S5_S7_l
		.amdhsa_group_segment_fixed_size 0
		.amdhsa_private_segment_fixed_size 0
		.amdhsa_kernarg_size 352
		.amdhsa_user_sgpr_count 6
		.amdhsa_user_sgpr_private_segment_buffer 1
		.amdhsa_user_sgpr_dispatch_ptr 0
		.amdhsa_user_sgpr_queue_ptr 0
		.amdhsa_user_sgpr_kernarg_segment_ptr 1
		.amdhsa_user_sgpr_dispatch_id 0
		.amdhsa_user_sgpr_flat_scratch_init 0
		.amdhsa_user_sgpr_kernarg_preload_length 0
		.amdhsa_user_sgpr_kernarg_preload_offset 0
		.amdhsa_user_sgpr_private_segment_size 0
		.amdhsa_uses_dynamic_stack 0
		.amdhsa_system_sgpr_private_segment_wavefront_offset 0
		.amdhsa_system_sgpr_workgroup_id_x 1
		.amdhsa_system_sgpr_workgroup_id_y 1
		.amdhsa_system_sgpr_workgroup_id_z 0
		.amdhsa_system_sgpr_workgroup_info 0
		.amdhsa_system_vgpr_workitem_id 1
		.amdhsa_next_free_vgpr 34
		.amdhsa_next_free_sgpr 20
		.amdhsa_accum_offset 36
		.amdhsa_reserve_vcc 1
		.amdhsa_reserve_flat_scratch 0
		.amdhsa_float_round_mode_32 0
		.amdhsa_float_round_mode_16_64 0
		.amdhsa_float_denorm_mode_32 3
		.amdhsa_float_denorm_mode_16_64 3
		.amdhsa_dx10_clamp 1
		.amdhsa_ieee_mode 1
		.amdhsa_fp16_overflow 0
		.amdhsa_tg_split 0
		.amdhsa_exception_fp_ieee_invalid_op 0
		.amdhsa_exception_fp_denorm_src 0
		.amdhsa_exception_fp_ieee_div_zero 0
		.amdhsa_exception_fp_ieee_overflow 0
		.amdhsa_exception_fp_ieee_underflow 0
		.amdhsa_exception_fp_ieee_inexact 0
		.amdhsa_exception_int_div_zero 0
	.end_amdhsa_kernel
	.section	.text._ZN9rocsolver6v33100L18getf2_small_kernelILi5EdiiPKPdEEvT1_T3_lS5_lPS5_llPT2_S5_S5_S7_l,"axG",@progbits,_ZN9rocsolver6v33100L18getf2_small_kernelILi5EdiiPKPdEEvT1_T3_lS5_lPS5_llPT2_S5_S5_S7_l,comdat
.Lfunc_end8:
	.size	_ZN9rocsolver6v33100L18getf2_small_kernelILi5EdiiPKPdEEvT1_T3_lS5_lPS5_llPT2_S5_S5_S7_l, .Lfunc_end8-_ZN9rocsolver6v33100L18getf2_small_kernelILi5EdiiPKPdEEvT1_T3_lS5_lPS5_llPT2_S5_S5_S7_l
                                        ; -- End function
	.section	.AMDGPU.csdata,"",@progbits
; Kernel info:
; codeLenInByte = 2920
; NumSgprs: 24
; NumVgprs: 34
; NumAgprs: 0
; TotalNumVgprs: 34
; ScratchSize: 0
; MemoryBound: 0
; FloatMode: 240
; IeeeMode: 1
; LDSByteSize: 0 bytes/workgroup (compile time only)
; SGPRBlocks: 2
; VGPRBlocks: 4
; NumSGPRsForWavesPerEU: 24
; NumVGPRsForWavesPerEU: 34
; AccumOffset: 36
; Occupancy: 8
; WaveLimiterHint : 1
; COMPUTE_PGM_RSRC2:SCRATCH_EN: 0
; COMPUTE_PGM_RSRC2:USER_SGPR: 6
; COMPUTE_PGM_RSRC2:TRAP_HANDLER: 0
; COMPUTE_PGM_RSRC2:TGID_X_EN: 1
; COMPUTE_PGM_RSRC2:TGID_Y_EN: 1
; COMPUTE_PGM_RSRC2:TGID_Z_EN: 0
; COMPUTE_PGM_RSRC2:TIDIG_COMP_CNT: 1
; COMPUTE_PGM_RSRC3_GFX90A:ACCUM_OFFSET: 8
; COMPUTE_PGM_RSRC3_GFX90A:TG_SPLIT: 0
	.section	.text._ZN9rocsolver6v33100L23getf2_npvt_small_kernelILi5EdiiPKPdEEvT1_T3_lS5_lPT2_S5_S5_,"axG",@progbits,_ZN9rocsolver6v33100L23getf2_npvt_small_kernelILi5EdiiPKPdEEvT1_T3_lS5_lPT2_S5_S5_,comdat
	.globl	_ZN9rocsolver6v33100L23getf2_npvt_small_kernelILi5EdiiPKPdEEvT1_T3_lS5_lPT2_S5_S5_ ; -- Begin function _ZN9rocsolver6v33100L23getf2_npvt_small_kernelILi5EdiiPKPdEEvT1_T3_lS5_lPT2_S5_S5_
	.p2align	8
	.type	_ZN9rocsolver6v33100L23getf2_npvt_small_kernelILi5EdiiPKPdEEvT1_T3_lS5_lPT2_S5_S5_,@function
_ZN9rocsolver6v33100L23getf2_npvt_small_kernelILi5EdiiPKPdEEvT1_T3_lS5_lPT2_S5_S5_: ; @_ZN9rocsolver6v33100L23getf2_npvt_small_kernelILi5EdiiPKPdEEvT1_T3_lS5_lPT2_S5_S5_
; %bb.0:
	s_load_dword s0, s[4:5], 0x44
	s_load_dwordx2 s[8:9], s[4:5], 0x30
	v_bfe_u32 v22, v0, 10, 10
	s_waitcnt lgkmcnt(0)
	s_lshr_b32 s0, s0, 16
	s_mul_i32 s7, s7, s0
	v_add_u32_e32 v2, s7, v22
	v_cmp_gt_i32_e32 vcc, s8, v2
	s_and_saveexec_b64 s[2:3], vcc
	s_cbranch_execz .LBB9_29
; %bb.1:
	s_load_dwordx4 s[12:15], s[4:5], 0x8
	s_load_dword s2, s[4:5], 0x18
	v_ashrrev_i32_e32 v3, 31, v2
	v_lshlrev_b64 v[4:5], 3, v[2:3]
	v_and_b32_e32 v32, 0x3ff, v0
	s_waitcnt lgkmcnt(0)
	v_mov_b32_e32 v1, s13
	v_add_co_u32_e32 v4, vcc, s12, v4
	v_addc_co_u32_e32 v5, vcc, v1, v5, vcc
	global_load_dwordx2 v[4:5], v[4:5], off
	s_add_i32 s1, s2, s2
	v_add_u32_e32 v0, s1, v32
	s_lshl_b64 s[6:7], s[14:15], 3
	v_ashrrev_i32_e32 v1, 31, v0
	v_add_u32_e32 v6, s2, v0
	v_mov_b32_e32 v13, s7
	v_lshlrev_b64 v[8:9], 3, v[0:1]
	v_add_u32_e32 v0, s2, v6
	v_lshlrev_b32_e32 v12, 3, v32
	v_ashrrev_i32_e32 v1, 31, v0
	v_lshlrev_b64 v[10:11], 3, v[0:1]
	v_ashrrev_i32_e32 v7, 31, v6
	v_lshlrev_b64 v[6:7], 3, v[6:7]
	s_ashr_i32 s3, s2, 31
	s_lshl_b64 s[10:11], s[2:3], 3
	v_mov_b32_e32 v14, s11
	s_mul_i32 s0, s0, 40
	v_mul_u32_u24_e32 v23, 40, v22
	s_add_i32 s0, s0, 0
	v_lshl_add_u32 v30, v22, 3, s0
	v_cmp_ne_u32_e64 s[2:3], 0, v32
	v_cmp_eq_u32_e64 s[0:1], 0, v32
	v_add_u32_e32 v31, 0, v23
	s_waitcnt vmcnt(0)
	v_add_co_u32_e32 v15, vcc, s6, v4
	v_addc_co_u32_e32 v13, vcc, v5, v13, vcc
	v_add_co_u32_e32 v0, vcc, v15, v12
	v_addc_co_u32_e32 v1, vcc, 0, v13, vcc
	v_add_co_u32_e32 v4, vcc, v15, v8
	v_addc_co_u32_e32 v5, vcc, v13, v9, vcc
	v_add_co_u32_e32 v6, vcc, v15, v6
	v_addc_co_u32_e32 v7, vcc, v13, v7, vcc
	v_add_co_u32_e32 v8, vcc, v15, v10
	v_addc_co_u32_e32 v9, vcc, v13, v11, vcc
	v_add_co_u32_e32 v10, vcc, s10, v0
	v_addc_co_u32_e32 v11, vcc, v1, v14, vcc
	global_load_dwordx2 v[12:13], v[0:1], off
	global_load_dwordx2 v[14:15], v[10:11], off
	;; [unrolled: 1-line block ×5, first 2 shown]
	s_and_saveexec_b64 s[6:7], s[0:1]
	s_cbranch_execz .LBB9_4
; %bb.2:
	s_waitcnt vmcnt(4)
	ds_write_b64 v30, v[12:13]
	s_waitcnt vmcnt(2)
	ds_write2_b64 v31, v[14:15], v[16:17] offset0:1 offset1:2
	s_waitcnt vmcnt(0)
	ds_write2_b64 v31, v[18:19], v[20:21] offset0:3 offset1:4
	ds_read_b64 v[22:23], v30
	s_waitcnt lgkmcnt(0)
	v_cmp_neq_f64_e32 vcc, 0, v[22:23]
	s_and_b64 exec, exec, vcc
	s_cbranch_execz .LBB9_4
; %bb.3:
	v_div_scale_f64 v[24:25], s[10:11], v[22:23], v[22:23], 1.0
	v_rcp_f64_e32 v[26:27], v[24:25]
	v_div_scale_f64 v[28:29], vcc, 1.0, v[22:23], 1.0
	v_fma_f64 v[34:35], -v[24:25], v[26:27], 1.0
	v_fmac_f64_e32 v[26:27], v[26:27], v[34:35]
	v_fma_f64 v[34:35], -v[24:25], v[26:27], 1.0
	v_fmac_f64_e32 v[26:27], v[26:27], v[34:35]
	v_mul_f64 v[34:35], v[28:29], v[26:27]
	v_fma_f64 v[24:25], -v[24:25], v[34:35], v[28:29]
	v_div_fmas_f64 v[24:25], v[24:25], v[26:27], v[34:35]
	v_div_fixup_f64 v[22:23], v[24:25], v[22:23], 1.0
	ds_write_b64 v30, v[22:23]
.LBB9_4:
	s_or_b64 exec, exec, s[6:7]
	s_waitcnt lgkmcnt(0)
	s_barrier
	ds_read_b64 v[22:23], v30
	s_and_saveexec_b64 s[6:7], s[2:3]
	s_cbranch_execz .LBB9_6
; %bb.5:
	ds_read2_b64 v[24:27], v31 offset0:1 offset1:2
	ds_read2_b64 v[34:37], v31 offset0:3 offset1:4
	s_waitcnt vmcnt(4) lgkmcnt(2)
	v_mul_f64 v[12:13], v[12:13], v[22:23]
	s_waitcnt vmcnt(3) lgkmcnt(1)
	v_fma_f64 v[14:15], -v[12:13], v[24:25], v[14:15]
	s_waitcnt vmcnt(2)
	v_fma_f64 v[16:17], -v[12:13], v[26:27], v[16:17]
	s_waitcnt vmcnt(1) lgkmcnt(0)
	v_fma_f64 v[18:19], -v[12:13], v[34:35], v[18:19]
	s_waitcnt vmcnt(0)
	v_fma_f64 v[20:21], -v[12:13], v[36:37], v[20:21]
.LBB9_6:
	s_or_b64 exec, exec, s[6:7]
	v_cmp_eq_u32_e32 vcc, 1, v32
	s_waitcnt lgkmcnt(0)
	s_barrier
	s_and_saveexec_b64 s[2:3], vcc
	s_cbranch_execz .LBB9_9
; %bb.7:
	s_waitcnt vmcnt(3)
	ds_write_b64 v30, v[14:15]
	s_waitcnt vmcnt(1)
	ds_write2_b64 v31, v[16:17], v[18:19] offset0:2 offset1:3
	s_waitcnt vmcnt(0)
	ds_write_b64 v31, v[20:21] offset:32
	ds_read_b64 v[24:25], v30
	s_waitcnt lgkmcnt(0)
	v_cmp_neq_f64_e32 vcc, 0, v[24:25]
	s_and_b64 exec, exec, vcc
	s_cbranch_execz .LBB9_9
; %bb.8:
	v_div_scale_f64 v[26:27], s[6:7], v[24:25], v[24:25], 1.0
	v_rcp_f64_e32 v[28:29], v[26:27]
	v_div_scale_f64 v[34:35], vcc, 1.0, v[24:25], 1.0
	v_fma_f64 v[36:37], -v[26:27], v[28:29], 1.0
	v_fmac_f64_e32 v[28:29], v[28:29], v[36:37]
	v_fma_f64 v[36:37], -v[26:27], v[28:29], 1.0
	v_fmac_f64_e32 v[28:29], v[28:29], v[36:37]
	v_mul_f64 v[36:37], v[34:35], v[28:29]
	v_fma_f64 v[26:27], -v[26:27], v[36:37], v[34:35]
	v_div_fmas_f64 v[26:27], v[26:27], v[28:29], v[36:37]
	v_div_fixup_f64 v[24:25], v[26:27], v[24:25], 1.0
	ds_write_b64 v30, v[24:25]
.LBB9_9:
	s_or_b64 exec, exec, s[2:3]
	s_waitcnt lgkmcnt(0)
	s_barrier
	ds_read_b64 v[24:25], v30
	v_cmp_lt_u32_e32 vcc, 1, v32
	s_and_saveexec_b64 s[2:3], vcc
	s_cbranch_execz .LBB9_11
; %bb.10:
	ds_read2_b64 v[26:29], v31 offset0:2 offset1:3
	ds_read_b64 v[34:35], v31 offset:32
	s_waitcnt vmcnt(3) lgkmcnt(2)
	v_mul_f64 v[14:15], v[14:15], v[24:25]
	s_waitcnt vmcnt(2) lgkmcnt(1)
	v_fma_f64 v[16:17], -v[14:15], v[26:27], v[16:17]
	s_waitcnt vmcnt(1)
	v_fma_f64 v[18:19], -v[14:15], v[28:29], v[18:19]
	s_waitcnt vmcnt(0) lgkmcnt(0)
	v_fma_f64 v[20:21], -v[14:15], v[34:35], v[20:21]
.LBB9_11:
	s_or_b64 exec, exec, s[2:3]
	v_cmp_eq_u32_e32 vcc, 2, v32
	s_waitcnt lgkmcnt(0)
	s_barrier
	s_and_saveexec_b64 s[2:3], vcc
	s_cbranch_execz .LBB9_14
; %bb.12:
	s_waitcnt vmcnt(2)
	ds_write_b64 v30, v[16:17]
	s_waitcnt vmcnt(0)
	ds_write2_b64 v31, v[18:19], v[20:21] offset0:3 offset1:4
	ds_read_b64 v[26:27], v30
	s_waitcnt lgkmcnt(0)
	v_cmp_neq_f64_e32 vcc, 0, v[26:27]
	s_and_b64 exec, exec, vcc
	s_cbranch_execz .LBB9_14
; %bb.13:
	v_div_scale_f64 v[28:29], s[6:7], v[26:27], v[26:27], 1.0
	v_rcp_f64_e32 v[34:35], v[28:29]
	v_div_scale_f64 v[36:37], vcc, 1.0, v[26:27], 1.0
	v_fma_f64 v[38:39], -v[28:29], v[34:35], 1.0
	v_fmac_f64_e32 v[34:35], v[34:35], v[38:39]
	v_fma_f64 v[38:39], -v[28:29], v[34:35], 1.0
	v_fmac_f64_e32 v[34:35], v[34:35], v[38:39]
	v_mul_f64 v[38:39], v[36:37], v[34:35]
	v_fma_f64 v[28:29], -v[28:29], v[38:39], v[36:37]
	v_div_fmas_f64 v[28:29], v[28:29], v[34:35], v[38:39]
	v_div_fixup_f64 v[26:27], v[28:29], v[26:27], 1.0
	ds_write_b64 v30, v[26:27]
.LBB9_14:
	s_or_b64 exec, exec, s[2:3]
	s_waitcnt lgkmcnt(0)
	s_barrier
	ds_read_b64 v[26:27], v30
	v_cmp_lt_u32_e32 vcc, 2, v32
	s_and_saveexec_b64 s[2:3], vcc
	s_cbranch_execz .LBB9_16
; %bb.15:
	ds_read2_b64 v[34:37], v31 offset0:3 offset1:4
	s_waitcnt vmcnt(2) lgkmcnt(1)
	v_mul_f64 v[16:17], v[16:17], v[26:27]
	s_waitcnt vmcnt(1) lgkmcnt(0)
	v_fma_f64 v[18:19], -v[16:17], v[34:35], v[18:19]
	s_waitcnt vmcnt(0)
	v_fma_f64 v[20:21], -v[16:17], v[36:37], v[20:21]
.LBB9_16:
	s_or_b64 exec, exec, s[2:3]
	v_cmp_eq_u32_e32 vcc, 3, v32
	s_waitcnt lgkmcnt(0)
	s_barrier
	s_and_saveexec_b64 s[2:3], vcc
	s_cbranch_execz .LBB9_19
; %bb.17:
	s_waitcnt vmcnt(1)
	ds_write_b64 v30, v[18:19]
	s_waitcnt vmcnt(0)
	ds_write_b64 v31, v[20:21] offset:32
	ds_read_b64 v[28:29], v30
	s_waitcnt lgkmcnt(0)
	v_cmp_neq_f64_e32 vcc, 0, v[28:29]
	s_and_b64 exec, exec, vcc
	s_cbranch_execz .LBB9_19
; %bb.18:
	v_div_scale_f64 v[34:35], s[6:7], v[28:29], v[28:29], 1.0
	v_rcp_f64_e32 v[36:37], v[34:35]
	v_div_scale_f64 v[38:39], vcc, 1.0, v[28:29], 1.0
	v_fma_f64 v[40:41], -v[34:35], v[36:37], 1.0
	v_fmac_f64_e32 v[36:37], v[36:37], v[40:41]
	v_fma_f64 v[40:41], -v[34:35], v[36:37], 1.0
	v_fmac_f64_e32 v[36:37], v[36:37], v[40:41]
	v_mul_f64 v[40:41], v[38:39], v[36:37]
	v_fma_f64 v[34:35], -v[34:35], v[40:41], v[38:39]
	v_div_fmas_f64 v[34:35], v[34:35], v[36:37], v[40:41]
	v_div_fixup_f64 v[28:29], v[34:35], v[28:29], 1.0
	ds_write_b64 v30, v[28:29]
.LBB9_19:
	s_or_b64 exec, exec, s[2:3]
	s_waitcnt lgkmcnt(0)
	s_barrier
	ds_read_b64 v[28:29], v30
	v_cmp_lt_u32_e32 vcc, 3, v32
	s_and_saveexec_b64 s[2:3], vcc
	s_cbranch_execz .LBB9_21
; %bb.20:
	ds_read_b64 v[34:35], v31 offset:32
	s_waitcnt vmcnt(1) lgkmcnt(1)
	v_mul_f64 v[18:19], v[18:19], v[28:29]
	s_waitcnt vmcnt(0) lgkmcnt(0)
	v_fma_f64 v[20:21], -v[18:19], v[34:35], v[20:21]
.LBB9_21:
	s_or_b64 exec, exec, s[2:3]
	v_cmp_ne_u32_e32 vcc, 4, v32
	s_waitcnt lgkmcnt(0)
	s_barrier
	s_and_saveexec_b64 s[2:3], vcc
	s_xor_b64 s[2:3], exec, s[2:3]
	s_andn2_saveexec_b64 s[2:3], s[2:3]
	s_cbranch_execz .LBB9_25
; %bb.22:
	s_waitcnt vmcnt(0)
	v_cmp_neq_f64_e32 vcc, 0, v[20:21]
	ds_write_b64 v30, v[20:21]
	s_and_saveexec_b64 s[6:7], vcc
	s_cbranch_execz .LBB9_24
; %bb.23:
	v_div_scale_f64 v[34:35], s[10:11], v[20:21], v[20:21], 1.0
	v_rcp_f64_e32 v[36:37], v[34:35]
	v_div_scale_f64 v[38:39], vcc, 1.0, v[20:21], 1.0
	v_fma_f64 v[40:41], -v[34:35], v[36:37], 1.0
	v_fmac_f64_e32 v[36:37], v[36:37], v[40:41]
	v_fma_f64 v[40:41], -v[34:35], v[36:37], 1.0
	v_fmac_f64_e32 v[36:37], v[36:37], v[40:41]
	v_mul_f64 v[40:41], v[38:39], v[36:37]
	v_fma_f64 v[34:35], -v[34:35], v[40:41], v[38:39]
	v_div_fmas_f64 v[34:35], v[34:35], v[36:37], v[40:41]
	v_div_fixup_f64 v[34:35], v[34:35], v[20:21], 1.0
	ds_write_b64 v30, v[34:35]
.LBB9_24:
	s_or_b64 exec, exec, s[6:7]
.LBB9_25:
	s_or_b64 exec, exec, s[2:3]
	s_waitcnt lgkmcnt(0)
	s_barrier
	ds_read_b64 v[30:31], v30
	s_waitcnt lgkmcnt(0)
	s_barrier
	s_and_saveexec_b64 s[10:11], s[0:1]
	s_cbranch_execz .LBB9_28
; %bb.26:
	s_load_dwordx2 s[0:1], s[4:5], 0x28
	v_lshlrev_b64 v[2:3], 2, v[2:3]
	v_cmp_eq_f64_e64 s[2:3], 0, v[26:27]
	v_cmp_eq_f64_e64 s[4:5], 0, v[28:29]
	;; [unrolled: 1-line block ×3, first 2 shown]
	s_waitcnt lgkmcnt(0)
	v_mov_b32_e32 v33, s1
	v_add_co_u32_e32 v2, vcc, s0, v2
	v_addc_co_u32_e32 v3, vcc, v33, v3, vcc
	global_load_dword v33, v[2:3], off
	v_cmp_eq_f64_e32 vcc, 0, v[22:23]
	v_cmp_neq_f64_e64 s[0:1], 0, v[24:25]
	v_cndmask_b32_e64 v22, 0, 1, vcc
	s_or_b64 vcc, s[0:1], vcc
	v_cndmask_b32_e32 v22, 2, v22, vcc
	v_cmp_eq_u32_e32 vcc, 0, v22
	s_and_b64 s[0:1], s[2:3], vcc
	v_cndmask_b32_e64 v22, v22, 3, s[0:1]
	v_cmp_eq_u32_e32 vcc, 0, v22
	s_and_b64 s[0:1], s[4:5], vcc
	v_cndmask_b32_e64 v22, v22, 4, s[0:1]
	v_cmp_eq_u32_e32 vcc, 0, v22
	s_and_b64 s[0:1], s[6:7], vcc
	v_cndmask_b32_e64 v22, v22, 5, s[0:1]
	v_cmp_ne_u32_e64 s[0:1], 0, v22
	s_waitcnt vmcnt(0)
	v_cmp_eq_u32_e32 vcc, 0, v33
	s_and_b64 s[0:1], vcc, s[0:1]
	s_and_b64 exec, exec, s[0:1]
	s_cbranch_execz .LBB9_28
; %bb.27:
	v_add_u32_e32 v22, s9, v22
	global_store_dword v[2:3], v22, off
.LBB9_28:
	s_or_b64 exec, exec, s[10:11]
	s_waitcnt vmcnt(0)
	v_mul_f64 v[2:3], v[20:21], v[30:31]
	v_cmp_lt_u32_e32 vcc, 4, v32
	v_cndmask_b32_e32 v3, v21, v3, vcc
	v_cndmask_b32_e32 v2, v20, v2, vcc
	global_store_dwordx2 v[0:1], v[12:13], off
	global_store_dwordx2 v[10:11], v[14:15], off
	;; [unrolled: 1-line block ×5, first 2 shown]
.LBB9_29:
	s_endpgm
	.section	.rodata,"a",@progbits
	.p2align	6, 0x0
	.amdhsa_kernel _ZN9rocsolver6v33100L23getf2_npvt_small_kernelILi5EdiiPKPdEEvT1_T3_lS5_lPT2_S5_S5_
		.amdhsa_group_segment_fixed_size 0
		.amdhsa_private_segment_fixed_size 0
		.amdhsa_kernarg_size 312
		.amdhsa_user_sgpr_count 6
		.amdhsa_user_sgpr_private_segment_buffer 1
		.amdhsa_user_sgpr_dispatch_ptr 0
		.amdhsa_user_sgpr_queue_ptr 0
		.amdhsa_user_sgpr_kernarg_segment_ptr 1
		.amdhsa_user_sgpr_dispatch_id 0
		.amdhsa_user_sgpr_flat_scratch_init 0
		.amdhsa_user_sgpr_kernarg_preload_length 0
		.amdhsa_user_sgpr_kernarg_preload_offset 0
		.amdhsa_user_sgpr_private_segment_size 0
		.amdhsa_uses_dynamic_stack 0
		.amdhsa_system_sgpr_private_segment_wavefront_offset 0
		.amdhsa_system_sgpr_workgroup_id_x 1
		.amdhsa_system_sgpr_workgroup_id_y 1
		.amdhsa_system_sgpr_workgroup_id_z 0
		.amdhsa_system_sgpr_workgroup_info 0
		.amdhsa_system_vgpr_workitem_id 1
		.amdhsa_next_free_vgpr 42
		.amdhsa_next_free_sgpr 16
		.amdhsa_accum_offset 44
		.amdhsa_reserve_vcc 1
		.amdhsa_reserve_flat_scratch 0
		.amdhsa_float_round_mode_32 0
		.amdhsa_float_round_mode_16_64 0
		.amdhsa_float_denorm_mode_32 3
		.amdhsa_float_denorm_mode_16_64 3
		.amdhsa_dx10_clamp 1
		.amdhsa_ieee_mode 1
		.amdhsa_fp16_overflow 0
		.amdhsa_tg_split 0
		.amdhsa_exception_fp_ieee_invalid_op 0
		.amdhsa_exception_fp_denorm_src 0
		.amdhsa_exception_fp_ieee_div_zero 0
		.amdhsa_exception_fp_ieee_overflow 0
		.amdhsa_exception_fp_ieee_underflow 0
		.amdhsa_exception_fp_ieee_inexact 0
		.amdhsa_exception_int_div_zero 0
	.end_amdhsa_kernel
	.section	.text._ZN9rocsolver6v33100L23getf2_npvt_small_kernelILi5EdiiPKPdEEvT1_T3_lS5_lPT2_S5_S5_,"axG",@progbits,_ZN9rocsolver6v33100L23getf2_npvt_small_kernelILi5EdiiPKPdEEvT1_T3_lS5_lPT2_S5_S5_,comdat
.Lfunc_end9:
	.size	_ZN9rocsolver6v33100L23getf2_npvt_small_kernelILi5EdiiPKPdEEvT1_T3_lS5_lPT2_S5_S5_, .Lfunc_end9-_ZN9rocsolver6v33100L23getf2_npvt_small_kernelILi5EdiiPKPdEEvT1_T3_lS5_lPT2_S5_S5_
                                        ; -- End function
	.section	.AMDGPU.csdata,"",@progbits
; Kernel info:
; codeLenInByte = 1724
; NumSgprs: 20
; NumVgprs: 42
; NumAgprs: 0
; TotalNumVgprs: 42
; ScratchSize: 0
; MemoryBound: 0
; FloatMode: 240
; IeeeMode: 1
; LDSByteSize: 0 bytes/workgroup (compile time only)
; SGPRBlocks: 2
; VGPRBlocks: 5
; NumSGPRsForWavesPerEU: 20
; NumVGPRsForWavesPerEU: 42
; AccumOffset: 44
; Occupancy: 8
; WaveLimiterHint : 1
; COMPUTE_PGM_RSRC2:SCRATCH_EN: 0
; COMPUTE_PGM_RSRC2:USER_SGPR: 6
; COMPUTE_PGM_RSRC2:TRAP_HANDLER: 0
; COMPUTE_PGM_RSRC2:TGID_X_EN: 1
; COMPUTE_PGM_RSRC2:TGID_Y_EN: 1
; COMPUTE_PGM_RSRC2:TGID_Z_EN: 0
; COMPUTE_PGM_RSRC2:TIDIG_COMP_CNT: 1
; COMPUTE_PGM_RSRC3_GFX90A:ACCUM_OFFSET: 10
; COMPUTE_PGM_RSRC3_GFX90A:TG_SPLIT: 0
	.section	.text._ZN9rocsolver6v33100L18getf2_small_kernelILi6EdiiPKPdEEvT1_T3_lS5_lPS5_llPT2_S5_S5_S7_l,"axG",@progbits,_ZN9rocsolver6v33100L18getf2_small_kernelILi6EdiiPKPdEEvT1_T3_lS5_lPS5_llPT2_S5_S5_S7_l,comdat
	.globl	_ZN9rocsolver6v33100L18getf2_small_kernelILi6EdiiPKPdEEvT1_T3_lS5_lPS5_llPT2_S5_S5_S7_l ; -- Begin function _ZN9rocsolver6v33100L18getf2_small_kernelILi6EdiiPKPdEEvT1_T3_lS5_lPS5_llPT2_S5_S5_S7_l
	.p2align	8
	.type	_ZN9rocsolver6v33100L18getf2_small_kernelILi6EdiiPKPdEEvT1_T3_lS5_lPS5_llPT2_S5_S5_S7_l,@function
_ZN9rocsolver6v33100L18getf2_small_kernelILi6EdiiPKPdEEvT1_T3_lS5_lPS5_llPT2_S5_S5_S7_l: ; @_ZN9rocsolver6v33100L18getf2_small_kernelILi6EdiiPKPdEEvT1_T3_lS5_lPS5_llPT2_S5_S5_S7_l
; %bb.0:
	s_load_dword s0, s[4:5], 0x6c
	s_load_dwordx2 s[12:13], s[4:5], 0x48
	v_bfe_u32 v16, v0, 10, 10
	s_waitcnt lgkmcnt(0)
	s_lshr_b32 s0, s0, 16
	s_mul_i32 s7, s7, s0
	v_add_u32_e32 v2, s7, v16
	v_cmp_gt_i32_e32 vcc, s12, v2
	s_and_saveexec_b64 s[0:1], vcc
	s_cbranch_execz .LBB10_99
; %bb.1:
	s_load_dwordx4 s[0:3], s[4:5], 0x8
	s_load_dwordx4 s[8:11], s[4:5], 0x50
	v_ashrrev_i32_e32 v3, 31, v2
	v_lshlrev_b64 v[4:5], 3, v[2:3]
	v_pk_mov_b32 v[12:13], 0, 0
	s_waitcnt lgkmcnt(0)
	v_mov_b32_e32 v1, s1
	v_add_co_u32_e32 v4, vcc, s0, v4
	v_addc_co_u32_e32 v5, vcc, v1, v5, vcc
	global_load_dwordx2 v[4:5], v[4:5], off
	s_cmp_eq_u64 s[8:9], 0
	s_cselect_b64 s[6:7], -1, 0
	s_and_b64 vcc, exec, s[6:7]
	s_cbranch_vccnz .LBB10_3
; %bb.2:
	v_mul_lo_u32 v1, v3, s10
	v_mul_lo_u32 v8, v2, s11
	v_mad_u64_u32 v[6:7], s[0:1], v2, s10, 0
	v_add3_u32 v7, v7, v8, v1
	v_lshlrev_b64 v[6:7], 2, v[6:7]
	v_mov_b32_e32 v1, s9
	v_add_co_u32_e32 v12, vcc, s8, v6
	v_addc_co_u32_e32 v13, vcc, v1, v7, vcc
.LBB10_3:
	s_load_dword s8, s[4:5], 0x18
	s_load_dword s12, s[4:5], 0x0
	s_lshl_b64 s[0:1], s[2:3], 3
	v_mov_b32_e32 v1, s1
	s_waitcnt vmcnt(0)
	v_add_co_u32_e32 v22, vcc, s0, v4
	v_and_b32_e32 v25, 0x3ff, v0
	v_addc_co_u32_e32 v23, vcc, v5, v1, vcc
	v_lshlrev_b32_e32 v17, 3, v25
	v_add_co_u32_e32 v6, vcc, v22, v17
	s_waitcnt lgkmcnt(0)
	s_ashr_i32 s9, s8, 31
	v_addc_co_u32_e32 v7, vcc, 0, v23, vcc
	s_lshl_b64 s[10:11], s[8:9], 3
	v_mov_b32_e32 v0, s11
	v_add_co_u32_e32 v14, vcc, s10, v6
	s_add_i32 s9, s8, s8
	v_addc_co_u32_e32 v15, vcc, v7, v0, vcc
	v_add_u32_e32 v0, s9, v25
	v_ashrrev_i32_e32 v1, 31, v0
	v_lshlrev_b64 v[4:5], 3, v[0:1]
	v_add_u32_e32 v20, s8, v0
	v_add_co_u32_e32 v18, vcc, v22, v4
	v_ashrrev_i32_e32 v21, 31, v20
	v_addc_co_u32_e32 v19, vcc, v23, v5, vcc
	v_lshlrev_b64 v[0:1], 3, v[20:21]
	v_add_co_u32_e32 v26, vcc, v22, v0
	v_addc_co_u32_e32 v27, vcc, v23, v1, vcc
	global_load_dwordx2 v[10:11], v[6:7], off
	global_load_dwordx2 v[8:9], v[14:15], off
	;; [unrolled: 1-line block ×4, first 2 shown]
	v_add_u32_e32 v6, s8, v20
	v_ashrrev_i32_e32 v7, 31, v6
	v_lshlrev_b64 v[14:15], 3, v[6:7]
	v_add_u32_e32 v6, s8, v6
	v_add_co_u32_e32 v18, vcc, v22, v14
	v_ashrrev_i32_e32 v7, 31, v6
	v_addc_co_u32_e32 v19, vcc, v23, v15, vcc
	v_lshlrev_b64 v[6:7], 3, v[6:7]
	v_add_co_u32_e32 v20, vcc, v22, v6
	v_addc_co_u32_e32 v21, vcc, v23, v7, vcc
	global_load_dwordx2 v[6:7], v[18:19], off
	global_load_dwordx2 v[14:15], v[20:21], off
	s_max_i32 s0, s12, 6
	v_mul_lo_u32 v19, s0, v16
	v_lshl_add_u32 v20, v19, 3, 0
	v_add_u32_e32 v16, v20, v17
	v_mov_b32_e32 v18, 0
	s_cmp_lt_i32 s12, 2
	v_lshlrev_b32_e32 v21, 3, v19
	s_waitcnt vmcnt(5)
	ds_write_b64 v16, v[10:11]
	s_waitcnt lgkmcnt(0)
	s_barrier
	ds_read_b64 v[16:17], v20
	s_cbranch_scc1 .LBB10_6
; %bb.4:
	v_add3_u32 v19, v21, 0, 8
	s_mov_b32 s0, 1
	v_mov_b32_e32 v18, 0
.LBB10_5:                               ; =>This Inner Loop Header: Depth=1
	ds_read_b64 v[26:27], v19
	v_mov_b32_e32 v24, s0
	s_add_i32 s0, s0, 1
	v_add_u32_e32 v19, 8, v19
	s_cmp_eq_u32 s12, s0
	s_waitcnt lgkmcnt(0)
	v_cmp_lt_f64_e64 vcc, |v[16:17]|, |v[26:27]|
	v_cndmask_b32_e32 v17, v17, v27, vcc
	v_cndmask_b32_e32 v16, v16, v26, vcc
	;; [unrolled: 1-line block ×3, first 2 shown]
	s_cbranch_scc0 .LBB10_5
.LBB10_6:
	v_cmp_ne_u32_e32 vcc, v25, v18
                                        ; implicit-def: $vgpr24
	s_and_saveexec_b64 s[0:1], vcc
	s_xor_b64 s[0:1], exec, s[0:1]
	s_cbranch_execz .LBB10_12
; %bb.7:
	v_cmp_eq_u32_e32 vcc, 0, v25
	s_and_saveexec_b64 s[2:3], vcc
	s_cbranch_execz .LBB10_11
; %bb.8:
	v_cmp_ne_u32_e32 vcc, 0, v18
	s_xor_b64 s[14:15], s[6:7], -1
	s_and_b64 s[16:17], s[14:15], vcc
	s_and_saveexec_b64 s[14:15], s[16:17]
	s_cbranch_execz .LBB10_10
; %bb.9:
	v_ashrrev_i32_e32 v19, 31, v18
	v_lshlrev_b64 v[24:25], 2, v[18:19]
	v_add_co_u32_e32 v24, vcc, v12, v24
	v_addc_co_u32_e32 v25, vcc, v13, v25, vcc
	flat_load_dword v19, v[24:25]
	flat_load_dword v26, v[12:13]
	s_waitcnt vmcnt(0) lgkmcnt(0)
	flat_store_dword v[12:13], v19
	flat_store_dword v[24:25], v26
.LBB10_10:
	s_or_b64 exec, exec, s[14:15]
	v_mov_b32_e32 v25, v18
.LBB10_11:
	s_or_b64 exec, exec, s[2:3]
	v_mov_b32_e32 v24, v25
                                        ; implicit-def: $vgpr25
.LBB10_12:
	s_or_saveexec_b64 s[0:1], s[0:1]
	v_mov_b32_e32 v19, v24
	s_xor_b64 exec, exec, s[0:1]
	s_cbranch_execz .LBB10_14
; %bb.13:
	v_mov_b32_e32 v24, 0
	v_mov_b32_e32 v19, v25
	s_waitcnt vmcnt(0)
	ds_write2_b64 v20, v[8:9], v[4:5] offset0:1 offset1:2
	ds_write2_b64 v20, v[0:1], v[6:7] offset0:3 offset1:4
	ds_write_b64 v20, v[14:15] offset:40
.LBB10_14:
	s_or_b64 exec, exec, s[0:1]
	s_waitcnt lgkmcnt(0)
	v_cmp_eq_f64_e64 s[0:1], 0, v[16:17]
	v_cmp_lt_i32_e32 vcc, 0, v24
	s_barrier
	s_and_saveexec_b64 s[2:3], vcc
	s_cbranch_execz .LBB10_16
; %bb.15:
	v_div_scale_f64 v[26:27], s[14:15], v[16:17], v[16:17], 1.0
	v_rcp_f64_e32 v[28:29], v[26:27]
	v_div_scale_f64 v[30:31], vcc, 1.0, v[16:17], 1.0
	v_fma_f64 v[32:33], -v[26:27], v[28:29], 1.0
	v_fmac_f64_e32 v[28:29], v[28:29], v[32:33]
	v_fma_f64 v[32:33], -v[26:27], v[28:29], 1.0
	v_fmac_f64_e32 v[28:29], v[28:29], v[32:33]
	v_mul_f64 v[32:33], v[30:31], v[28:29]
	v_fma_f64 v[26:27], -v[26:27], v[32:33], v[30:31]
	v_div_fmas_f64 v[26:27], v[26:27], v[28:29], v[32:33]
	v_div_fixup_f64 v[30:31], v[26:27], v[16:17], 1.0
	v_cndmask_b32_e64 v17, v31, v17, s[0:1]
	v_cndmask_b32_e64 v16, v30, v16, s[0:1]
	ds_read2_b64 v[26:29], v20 offset0:1 offset1:2
	ds_read2_b64 v[30:33], v20 offset0:3 offset1:4
	v_mul_f64 v[10:11], v[10:11], v[16:17]
	ds_read_b64 v[16:17], v20 offset:40
	s_waitcnt vmcnt(0) lgkmcnt(0)
	v_fma_f64 v[8:9], -v[10:11], v[26:27], v[8:9]
	v_fma_f64 v[4:5], -v[10:11], v[28:29], v[4:5]
	;; [unrolled: 1-line block ×5, first 2 shown]
.LBB10_16:
	s_or_b64 exec, exec, s[2:3]
	v_lshl_add_u32 v16, v24, 3, v20
	s_barrier
	s_waitcnt vmcnt(0)
	ds_write_b64 v16, v[8:9]
	s_waitcnt lgkmcnt(0)
	s_barrier
	ds_read_b64 v[16:17], v20 offset:8
	s_cmp_lt_i32 s12, 3
	v_mov_b32_e32 v18, 1
	s_cbranch_scc1 .LBB10_19
; %bb.17:
	v_add3_u32 v25, v21, 0, 16
	s_mov_b32 s2, 2
	v_mov_b32_e32 v18, 1
.LBB10_18:                              ; =>This Inner Loop Header: Depth=1
	ds_read_b64 v[26:27], v25
	v_mov_b32_e32 v28, s2
	s_add_i32 s2, s2, 1
	v_add_u32_e32 v25, 8, v25
	s_cmp_lg_u32 s12, s2
	s_waitcnt lgkmcnt(0)
	v_cmp_lt_f64_e64 vcc, |v[16:17]|, |v[26:27]|
	v_cndmask_b32_e32 v17, v17, v27, vcc
	v_cndmask_b32_e32 v16, v16, v26, vcc
	;; [unrolled: 1-line block ×3, first 2 shown]
	s_cbranch_scc1 .LBB10_18
.LBB10_19:
	v_cmp_ne_u32_e32 vcc, v24, v18
	s_and_saveexec_b64 s[2:3], vcc
	s_xor_b64 s[2:3], exec, s[2:3]
	s_cbranch_execz .LBB10_25
; %bb.20:
	v_cmp_eq_u32_e32 vcc, 1, v24
	s_and_saveexec_b64 s[14:15], vcc
	s_cbranch_execz .LBB10_24
; %bb.21:
	v_cmp_ne_u32_e32 vcc, 1, v18
	s_xor_b64 s[16:17], s[6:7], -1
	s_and_b64 s[18:19], s[16:17], vcc
	s_and_saveexec_b64 s[16:17], s[18:19]
	s_cbranch_execz .LBB10_23
; %bb.22:
	v_ashrrev_i32_e32 v19, 31, v18
	v_lshlrev_b64 v[24:25], 2, v[18:19]
	v_add_co_u32_e32 v24, vcc, v12, v24
	v_addc_co_u32_e32 v25, vcc, v13, v25, vcc
	flat_load_dword v19, v[24:25]
	flat_load_dword v26, v[12:13] offset:4
	s_waitcnt vmcnt(0) lgkmcnt(0)
	flat_store_dword v[12:13], v19 offset:4
	flat_store_dword v[24:25], v26
.LBB10_23:
	s_or_b64 exec, exec, s[16:17]
	v_mov_b32_e32 v19, v18
	v_mov_b32_e32 v24, v18
.LBB10_24:
	s_or_b64 exec, exec, s[14:15]
.LBB10_25:
	s_andn2_saveexec_b64 s[2:3], s[2:3]
	s_cbranch_execz .LBB10_27
; %bb.26:
	v_mov_b32_e32 v24, 1
	ds_write2_b64 v20, v[4:5], v[0:1] offset0:2 offset1:3
	ds_write2_b64 v20, v[6:7], v[14:15] offset0:4 offset1:5
.LBB10_27:
	s_or_b64 exec, exec, s[2:3]
	s_waitcnt lgkmcnt(0)
	v_cmp_neq_f64_e64 s[2:3], 0, v[16:17]
	v_cmp_lt_i32_e32 vcc, 1, v24
	s_barrier
	s_and_saveexec_b64 s[14:15], vcc
	s_cbranch_execz .LBB10_29
; %bb.28:
	v_div_scale_f64 v[26:27], s[16:17], v[16:17], v[16:17], 1.0
	v_rcp_f64_e32 v[28:29], v[26:27]
	v_div_scale_f64 v[30:31], vcc, 1.0, v[16:17], 1.0
	v_fma_f64 v[32:33], -v[26:27], v[28:29], 1.0
	v_fmac_f64_e32 v[28:29], v[28:29], v[32:33]
	v_fma_f64 v[32:33], -v[26:27], v[28:29], 1.0
	v_fmac_f64_e32 v[28:29], v[28:29], v[32:33]
	v_mul_f64 v[32:33], v[30:31], v[28:29]
	v_fma_f64 v[26:27], -v[26:27], v[32:33], v[30:31]
	v_div_fmas_f64 v[26:27], v[26:27], v[28:29], v[32:33]
	v_div_fixup_f64 v[34:35], v[26:27], v[16:17], 1.0
	ds_read2_b64 v[26:29], v20 offset0:2 offset1:3
	ds_read2_b64 v[30:33], v20 offset0:4 offset1:5
	v_cndmask_b32_e64 v17, v17, v35, s[2:3]
	v_cndmask_b32_e64 v16, v16, v34, s[2:3]
	v_mul_f64 v[8:9], v[8:9], v[16:17]
	s_waitcnt lgkmcnt(0)
	v_fma_f64 v[4:5], -v[8:9], v[26:27], v[4:5]
	v_fma_f64 v[0:1], -v[8:9], v[28:29], v[0:1]
	v_fma_f64 v[6:7], -v[8:9], v[30:31], v[6:7]
	v_fma_f64 v[14:15], -v[8:9], v[32:33], v[14:15]
.LBB10_29:
	s_or_b64 exec, exec, s[14:15]
	v_lshl_add_u32 v16, v24, 3, v20
	s_barrier
	ds_write_b64 v16, v[4:5]
	s_waitcnt lgkmcnt(0)
	s_barrier
	ds_read_b64 v[16:17], v20 offset:16
	s_mov_b32 s14, 3
	s_cmp_lt_i32 s12, 4
	v_mov_b32_e32 v18, 2
	s_cbranch_scc1 .LBB10_32
; %bb.30:
	v_add3_u32 v25, v21, 0, 24
	v_mov_b32_e32 v18, 2
.LBB10_31:                              ; =>This Inner Loop Header: Depth=1
	ds_read_b64 v[26:27], v25
	v_mov_b32_e32 v28, s14
	s_add_i32 s14, s14, 1
	v_add_u32_e32 v25, 8, v25
	s_cmp_lg_u32 s12, s14
	s_waitcnt lgkmcnt(0)
	v_cmp_lt_f64_e64 vcc, |v[16:17]|, |v[26:27]|
	v_cndmask_b32_e32 v17, v17, v27, vcc
	v_cndmask_b32_e32 v16, v16, v26, vcc
	;; [unrolled: 1-line block ×3, first 2 shown]
	s_cbranch_scc1 .LBB10_31
.LBB10_32:
	v_cndmask_b32_e64 v25, 2, 1, s[0:1]
	v_cndmask_b32_e64 v26, 0, 1, s[0:1]
	;; [unrolled: 1-line block ×3, first 2 shown]
	s_waitcnt lgkmcnt(0)
	v_cmp_eq_f64_e32 vcc, 0, v[16:17]
	s_and_saveexec_b64 s[0:1], vcc
	s_xor_b64 s[0:1], exec, s[0:1]
; %bb.33:
	v_cmp_ne_u32_e32 vcc, 0, v25
	v_cndmask_b32_e32 v25, 3, v25, vcc
; %bb.34:
	s_andn2_saveexec_b64 s[0:1], s[0:1]
; %bb.35:
	v_div_scale_f64 v[26:27], s[2:3], v[16:17], v[16:17], 1.0
	v_rcp_f64_e32 v[28:29], v[26:27]
	v_div_scale_f64 v[30:31], vcc, 1.0, v[16:17], 1.0
	v_fma_f64 v[32:33], -v[26:27], v[28:29], 1.0
	v_fmac_f64_e32 v[28:29], v[28:29], v[32:33]
	v_fma_f64 v[32:33], -v[26:27], v[28:29], 1.0
	v_fmac_f64_e32 v[28:29], v[28:29], v[32:33]
	v_mul_f64 v[32:33], v[30:31], v[28:29]
	v_fma_f64 v[26:27], -v[26:27], v[32:33], v[30:31]
	v_div_fmas_f64 v[26:27], v[26:27], v[28:29], v[32:33]
	v_div_fixup_f64 v[16:17], v[26:27], v[16:17], 1.0
; %bb.36:
	s_or_b64 exec, exec, s[0:1]
	v_cmp_ne_u32_e32 vcc, v24, v18
	s_and_saveexec_b64 s[0:1], vcc
	s_xor_b64 s[0:1], exec, s[0:1]
	s_cbranch_execz .LBB10_42
; %bb.37:
	v_cmp_eq_u32_e32 vcc, 2, v24
	s_and_saveexec_b64 s[2:3], vcc
	s_cbranch_execz .LBB10_41
; %bb.38:
	v_cmp_ne_u32_e32 vcc, 2, v18
	s_xor_b64 s[14:15], s[6:7], -1
	s_and_b64 s[16:17], s[14:15], vcc
	s_and_saveexec_b64 s[14:15], s[16:17]
	s_cbranch_execz .LBB10_40
; %bb.39:
	v_ashrrev_i32_e32 v19, 31, v18
	v_lshlrev_b64 v[26:27], 2, v[18:19]
	v_add_co_u32_e32 v26, vcc, v12, v26
	v_addc_co_u32_e32 v27, vcc, v13, v27, vcc
	flat_load_dword v19, v[26:27]
	flat_load_dword v24, v[12:13] offset:8
	s_waitcnt vmcnt(0) lgkmcnt(0)
	flat_store_dword v[12:13], v19 offset:8
	flat_store_dword v[26:27], v24
.LBB10_40:
	s_or_b64 exec, exec, s[14:15]
	v_mov_b32_e32 v19, v18
	v_mov_b32_e32 v24, v18
.LBB10_41:
	s_or_b64 exec, exec, s[2:3]
.LBB10_42:
	s_andn2_saveexec_b64 s[0:1], s[0:1]
	s_cbranch_execz .LBB10_44
; %bb.43:
	v_mov_b32_e32 v24, 2
	ds_write2_b64 v20, v[0:1], v[6:7] offset0:3 offset1:4
	ds_write_b64 v20, v[14:15] offset:40
.LBB10_44:
	s_or_b64 exec, exec, s[0:1]
	v_cmp_lt_i32_e32 vcc, 2, v24
	s_waitcnt lgkmcnt(0)
	s_barrier
	s_and_saveexec_b64 s[0:1], vcc
	s_cbranch_execz .LBB10_46
; %bb.45:
	ds_read2_b64 v[26:29], v20 offset0:3 offset1:4
	ds_read_b64 v[30:31], v20 offset:40
	v_mul_f64 v[4:5], v[4:5], v[16:17]
	s_waitcnt lgkmcnt(0)
	v_fma_f64 v[0:1], -v[4:5], v[26:27], v[0:1]
	v_fma_f64 v[6:7], -v[4:5], v[28:29], v[6:7]
	;; [unrolled: 1-line block ×3, first 2 shown]
.LBB10_46:
	s_or_b64 exec, exec, s[0:1]
	v_lshl_add_u32 v16, v24, 3, v20
	s_barrier
	ds_write_b64 v16, v[0:1]
	s_waitcnt lgkmcnt(0)
	s_barrier
	ds_read_b64 v[16:17], v20 offset:24
	s_cmp_lt_i32 s12, 5
	v_mov_b32_e32 v18, 3
	s_cbranch_scc1 .LBB10_49
; %bb.47:
	v_add3_u32 v26, v21, 0, 32
	s_mov_b32 s0, 4
	v_mov_b32_e32 v18, 3
.LBB10_48:                              ; =>This Inner Loop Header: Depth=1
	ds_read_b64 v[28:29], v26
	v_mov_b32_e32 v27, s0
	s_add_i32 s0, s0, 1
	v_add_u32_e32 v26, 8, v26
	s_cmp_lg_u32 s12, s0
	s_waitcnt lgkmcnt(0)
	v_cmp_lt_f64_e64 vcc, |v[16:17]|, |v[28:29]|
	v_cndmask_b32_e32 v17, v17, v29, vcc
	v_cndmask_b32_e32 v16, v16, v28, vcc
	;; [unrolled: 1-line block ×3, first 2 shown]
	s_cbranch_scc1 .LBB10_48
.LBB10_49:
	s_waitcnt lgkmcnt(0)
	v_cmp_eq_f64_e32 vcc, 0, v[16:17]
	s_and_saveexec_b64 s[0:1], vcc
	s_xor_b64 s[0:1], exec, s[0:1]
; %bb.50:
	v_cmp_ne_u32_e32 vcc, 0, v25
	v_cndmask_b32_e32 v25, 4, v25, vcc
; %bb.51:
	s_andn2_saveexec_b64 s[0:1], s[0:1]
; %bb.52:
	v_div_scale_f64 v[26:27], s[2:3], v[16:17], v[16:17], 1.0
	v_rcp_f64_e32 v[28:29], v[26:27]
	v_div_scale_f64 v[30:31], vcc, 1.0, v[16:17], 1.0
	v_fma_f64 v[32:33], -v[26:27], v[28:29], 1.0
	v_fmac_f64_e32 v[28:29], v[28:29], v[32:33]
	v_fma_f64 v[32:33], -v[26:27], v[28:29], 1.0
	v_fmac_f64_e32 v[28:29], v[28:29], v[32:33]
	v_mul_f64 v[32:33], v[30:31], v[28:29]
	v_fma_f64 v[26:27], -v[26:27], v[32:33], v[30:31]
	v_div_fmas_f64 v[26:27], v[26:27], v[28:29], v[32:33]
	v_div_fixup_f64 v[16:17], v[26:27], v[16:17], 1.0
; %bb.53:
	s_or_b64 exec, exec, s[0:1]
	v_cmp_ne_u32_e32 vcc, v24, v18
	s_and_saveexec_b64 s[0:1], vcc
	s_xor_b64 s[0:1], exec, s[0:1]
	s_cbranch_execz .LBB10_59
; %bb.54:
	v_cmp_eq_u32_e32 vcc, 3, v24
	s_and_saveexec_b64 s[2:3], vcc
	s_cbranch_execz .LBB10_58
; %bb.55:
	v_cmp_ne_u32_e32 vcc, 3, v18
	s_xor_b64 s[14:15], s[6:7], -1
	s_and_b64 s[16:17], s[14:15], vcc
	s_and_saveexec_b64 s[14:15], s[16:17]
	s_cbranch_execz .LBB10_57
; %bb.56:
	v_ashrrev_i32_e32 v19, 31, v18
	v_lshlrev_b64 v[26:27], 2, v[18:19]
	v_add_co_u32_e32 v26, vcc, v12, v26
	v_addc_co_u32_e32 v27, vcc, v13, v27, vcc
	flat_load_dword v19, v[26:27]
	flat_load_dword v24, v[12:13] offset:12
	s_waitcnt vmcnt(0) lgkmcnt(0)
	flat_store_dword v[12:13], v19 offset:12
	flat_store_dword v[26:27], v24
.LBB10_57:
	s_or_b64 exec, exec, s[14:15]
	v_mov_b32_e32 v19, v18
	v_mov_b32_e32 v24, v18
.LBB10_58:
	s_or_b64 exec, exec, s[2:3]
.LBB10_59:
	s_andn2_saveexec_b64 s[0:1], s[0:1]
	s_cbranch_execz .LBB10_61
; %bb.60:
	v_mov_b32_e32 v24, 3
	ds_write2_b64 v20, v[6:7], v[14:15] offset0:4 offset1:5
.LBB10_61:
	s_or_b64 exec, exec, s[0:1]
	v_cmp_lt_i32_e32 vcc, 3, v24
	s_waitcnt lgkmcnt(0)
	s_barrier
	s_and_saveexec_b64 s[0:1], vcc
	s_cbranch_execz .LBB10_63
; %bb.62:
	ds_read2_b64 v[26:29], v20 offset0:4 offset1:5
	v_mul_f64 v[0:1], v[0:1], v[16:17]
	s_waitcnt lgkmcnt(0)
	v_fma_f64 v[6:7], -v[0:1], v[26:27], v[6:7]
	v_fma_f64 v[14:15], -v[0:1], v[28:29], v[14:15]
.LBB10_63:
	s_or_b64 exec, exec, s[0:1]
	v_lshl_add_u32 v16, v24, 3, v20
	s_barrier
	ds_write_b64 v16, v[6:7]
	s_waitcnt lgkmcnt(0)
	s_barrier
	ds_read_b64 v[16:17], v20 offset:32
	s_cmp_lt_i32 s12, 6
	v_mov_b32_e32 v18, 4
	s_cbranch_scc1 .LBB10_66
; %bb.64:
	v_add3_u32 v26, v21, 0, 40
	s_mov_b32 s0, 5
	v_mov_b32_e32 v18, 4
.LBB10_65:                              ; =>This Inner Loop Header: Depth=1
	ds_read_b64 v[28:29], v26
	v_mov_b32_e32 v27, s0
	s_add_i32 s0, s0, 1
	v_add_u32_e32 v26, 8, v26
	s_cmp_lg_u32 s12, s0
	s_waitcnt lgkmcnt(0)
	v_cmp_lt_f64_e64 vcc, |v[16:17]|, |v[28:29]|
	v_cndmask_b32_e32 v17, v17, v29, vcc
	v_cndmask_b32_e32 v16, v16, v28, vcc
	;; [unrolled: 1-line block ×3, first 2 shown]
	s_cbranch_scc1 .LBB10_65
.LBB10_66:
	s_waitcnt lgkmcnt(0)
	v_cmp_eq_f64_e32 vcc, 0, v[16:17]
	s_and_saveexec_b64 s[0:1], vcc
	s_xor_b64 s[0:1], exec, s[0:1]
; %bb.67:
	v_cmp_ne_u32_e32 vcc, 0, v25
	v_cndmask_b32_e32 v25, 5, v25, vcc
; %bb.68:
	s_andn2_saveexec_b64 s[0:1], s[0:1]
; %bb.69:
	v_div_scale_f64 v[26:27], s[2:3], v[16:17], v[16:17], 1.0
	v_rcp_f64_e32 v[28:29], v[26:27]
	v_div_scale_f64 v[30:31], vcc, 1.0, v[16:17], 1.0
	v_fma_f64 v[32:33], -v[26:27], v[28:29], 1.0
	v_fmac_f64_e32 v[28:29], v[28:29], v[32:33]
	v_fma_f64 v[32:33], -v[26:27], v[28:29], 1.0
	v_fmac_f64_e32 v[28:29], v[28:29], v[32:33]
	v_mul_f64 v[32:33], v[30:31], v[28:29]
	v_fma_f64 v[26:27], -v[26:27], v[32:33], v[30:31]
	v_div_fmas_f64 v[26:27], v[26:27], v[28:29], v[32:33]
	v_div_fixup_f64 v[16:17], v[26:27], v[16:17], 1.0
; %bb.70:
	s_or_b64 exec, exec, s[0:1]
	v_cmp_ne_u32_e32 vcc, v24, v18
	s_and_saveexec_b64 s[0:1], vcc
	s_xor_b64 s[0:1], exec, s[0:1]
	s_cbranch_execz .LBB10_76
; %bb.71:
	v_cmp_eq_u32_e32 vcc, 4, v24
	s_and_saveexec_b64 s[2:3], vcc
	s_cbranch_execz .LBB10_75
; %bb.72:
	v_cmp_ne_u32_e32 vcc, 4, v18
	s_xor_b64 s[14:15], s[6:7], -1
	s_and_b64 s[16:17], s[14:15], vcc
	s_and_saveexec_b64 s[14:15], s[16:17]
	s_cbranch_execz .LBB10_74
; %bb.73:
	v_ashrrev_i32_e32 v19, 31, v18
	v_lshlrev_b64 v[26:27], 2, v[18:19]
	v_add_co_u32_e32 v26, vcc, v12, v26
	v_addc_co_u32_e32 v27, vcc, v13, v27, vcc
	flat_load_dword v19, v[26:27]
	flat_load_dword v24, v[12:13] offset:16
	s_waitcnt vmcnt(0) lgkmcnt(0)
	flat_store_dword v[12:13], v19 offset:16
	flat_store_dword v[26:27], v24
.LBB10_74:
	s_or_b64 exec, exec, s[14:15]
	v_mov_b32_e32 v19, v18
	v_mov_b32_e32 v24, v18
.LBB10_75:
	s_or_b64 exec, exec, s[2:3]
.LBB10_76:
	s_andn2_saveexec_b64 s[0:1], s[0:1]
	s_cbranch_execz .LBB10_78
; %bb.77:
	v_mov_b32_e32 v24, 4
	ds_write_b64 v20, v[14:15] offset:40
.LBB10_78:
	s_or_b64 exec, exec, s[0:1]
	v_cmp_lt_i32_e32 vcc, 4, v24
	s_waitcnt lgkmcnt(0)
	s_barrier
	s_and_saveexec_b64 s[0:1], vcc
	s_cbranch_execz .LBB10_80
; %bb.79:
	ds_read_b64 v[26:27], v20 offset:40
	v_mul_f64 v[6:7], v[6:7], v[16:17]
	s_waitcnt lgkmcnt(0)
	v_fma_f64 v[14:15], -v[6:7], v[26:27], v[14:15]
.LBB10_80:
	s_or_b64 exec, exec, s[0:1]
	v_lshl_add_u32 v16, v24, 3, v20
	s_barrier
	ds_write_b64 v16, v[14:15]
	s_waitcnt lgkmcnt(0)
	s_barrier
	ds_read_b64 v[16:17], v20 offset:40
	s_cmp_lt_i32 s12, 7
	v_mov_b32_e32 v18, 5
	s_cbranch_scc1 .LBB10_83
; %bb.81:
	v_add3_u32 v20, v21, 0, 48
	s_mov_b32 s0, 6
	v_mov_b32_e32 v18, 5
.LBB10_82:                              ; =>This Inner Loop Header: Depth=1
	ds_read_b64 v[26:27], v20
	v_mov_b32_e32 v21, s0
	s_add_i32 s0, s0, 1
	v_add_u32_e32 v20, 8, v20
	s_cmp_lg_u32 s12, s0
	s_waitcnt lgkmcnt(0)
	v_cmp_lt_f64_e64 vcc, |v[16:17]|, |v[26:27]|
	v_cndmask_b32_e32 v17, v17, v27, vcc
	v_cndmask_b32_e32 v16, v16, v26, vcc
	;; [unrolled: 1-line block ×3, first 2 shown]
	s_cbranch_scc1 .LBB10_82
.LBB10_83:
	s_waitcnt lgkmcnt(0)
	v_cmp_eq_f64_e32 vcc, 0, v[16:17]
	s_and_saveexec_b64 s[0:1], vcc
	s_xor_b64 s[0:1], exec, s[0:1]
; %bb.84:
	v_cmp_ne_u32_e32 vcc, 0, v25
	v_cndmask_b32_e32 v25, 6, v25, vcc
; %bb.85:
	s_andn2_saveexec_b64 s[0:1], s[0:1]
; %bb.86:
	v_div_scale_f64 v[20:21], s[2:3], v[16:17], v[16:17], 1.0
	v_rcp_f64_e32 v[26:27], v[20:21]
	v_div_scale_f64 v[28:29], vcc, 1.0, v[16:17], 1.0
	v_fma_f64 v[30:31], -v[20:21], v[26:27], 1.0
	v_fmac_f64_e32 v[26:27], v[26:27], v[30:31]
	v_fma_f64 v[30:31], -v[20:21], v[26:27], 1.0
	v_fmac_f64_e32 v[26:27], v[26:27], v[30:31]
	v_mul_f64 v[30:31], v[28:29], v[26:27]
	v_fma_f64 v[20:21], -v[20:21], v[30:31], v[28:29]
	v_div_fmas_f64 v[20:21], v[20:21], v[26:27], v[30:31]
	v_div_fixup_f64 v[16:17], v[20:21], v[16:17], 1.0
; %bb.87:
	s_or_b64 exec, exec, s[0:1]
	v_cmp_ne_u32_e32 vcc, v24, v18
	v_mov_b32_e32 v20, 5
	s_and_saveexec_b64 s[0:1], vcc
	s_cbranch_execz .LBB10_93
; %bb.88:
	v_cmp_eq_u32_e32 vcc, 5, v24
	s_and_saveexec_b64 s[2:3], vcc
	s_cbranch_execz .LBB10_92
; %bb.89:
	v_cmp_ne_u32_e32 vcc, 5, v18
	s_xor_b64 s[6:7], s[6:7], -1
	s_and_b64 s[14:15], s[6:7], vcc
	s_and_saveexec_b64 s[6:7], s[14:15]
	s_cbranch_execz .LBB10_91
; %bb.90:
	v_ashrrev_i32_e32 v19, 31, v18
	v_lshlrev_b64 v[20:21], 2, v[18:19]
	v_add_co_u32_e32 v20, vcc, v12, v20
	v_addc_co_u32_e32 v21, vcc, v13, v21, vcc
	flat_load_dword v19, v[20:21]
	flat_load_dword v24, v[12:13] offset:20
	s_waitcnt vmcnt(0) lgkmcnt(0)
	flat_store_dword v[12:13], v19 offset:20
	flat_store_dword v[20:21], v24
.LBB10_91:
	s_or_b64 exec, exec, s[6:7]
	v_mov_b32_e32 v19, v18
	v_mov_b32_e32 v24, v18
.LBB10_92:
	s_or_b64 exec, exec, s[2:3]
	v_mov_b32_e32 v20, v24
.LBB10_93:
	s_or_b64 exec, exec, s[0:1]
	s_load_dwordx8 s[0:7], s[4:5], 0x28
	v_cmp_gt_i32_e32 vcc, 6, v20
	v_ashrrev_i32_e32 v21, 31, v20
	s_waitcnt lgkmcnt(0)
	s_barrier
	s_barrier
	s_and_saveexec_b64 s[14:15], vcc
	s_cbranch_execz .LBB10_95
; %bb.94:
	v_mul_lo_u32 v18, v3, s4
	v_mul_lo_u32 v24, v2, s5
	v_mad_u64_u32 v[12:13], s[4:5], v2, s4, 0
	s_lshl_b64 s[2:3], s[2:3], 2
	v_add3_u32 v13, v13, v24, v18
	s_add_u32 s0, s2, s0
	v_lshlrev_b64 v[12:13], 2, v[12:13]
	s_addc_u32 s1, s3, s1
	v_mov_b32_e32 v18, s1
	v_add_co_u32_e32 v24, vcc, s0, v12
	v_addc_co_u32_e32 v18, vcc, v18, v13, vcc
	v_lshlrev_b64 v[12:13], 2, v[20:21]
	v_add_co_u32_e32 v12, vcc, v24, v12
	v_addc_co_u32_e32 v13, vcc, v18, v13, vcc
	v_add3_u32 v18, v19, s13, 1
	global_store_dword v[12:13], v18, off
.LBB10_95:
	s_or_b64 exec, exec, s[14:15]
	v_cmp_eq_u32_e32 vcc, 0, v20
	s_and_saveexec_b64 s[2:3], vcc
	s_cbranch_execz .LBB10_98
; %bb.96:
	v_lshlrev_b64 v[2:3], 2, v[2:3]
	v_mov_b32_e32 v12, s7
	v_add_co_u32_e32 v2, vcc, s6, v2
	v_addc_co_u32_e32 v3, vcc, v12, v3, vcc
	global_load_dword v12, v[2:3], off
	v_cmp_lt_i32_e64 s[0:1], 0, v25
	s_waitcnt vmcnt(0)
	v_cmp_eq_u32_e32 vcc, 0, v12
	s_and_b64 s[0:1], vcc, s[0:1]
	s_and_b64 exec, exec, s[0:1]
	s_cbranch_execz .LBB10_98
; %bb.97:
	v_add_u32_e32 v12, s13, v25
	global_store_dword v[2:3], v12, off
.LBB10_98:
	s_or_b64 exec, exec, s[2:3]
	v_mul_f64 v[2:3], v[14:15], v[16:17]
	v_cmp_lt_i32_e32 vcc, 5, v20
	v_lshlrev_b64 v[12:13], 3, v[20:21]
	v_cndmask_b32_e32 v3, v15, v3, vcc
	v_cndmask_b32_e32 v2, v14, v2, vcc
	v_add_co_u32_e32 v12, vcc, v22, v12
	v_addc_co_u32_e32 v13, vcc, v23, v13, vcc
	global_store_dwordx2 v[12:13], v[10:11], off
	v_mov_b32_e32 v11, s11
	v_add_co_u32_e32 v10, vcc, s10, v12
	v_addc_co_u32_e32 v11, vcc, v13, v11, vcc
	global_store_dwordx2 v[10:11], v[8:9], off
	v_add_u32_e32 v8, s9, v20
	v_ashrrev_i32_e32 v9, 31, v8
	v_lshlrev_b64 v[10:11], 3, v[8:9]
	v_add_co_u32_e32 v10, vcc, v22, v10
	v_addc_co_u32_e32 v11, vcc, v23, v11, vcc
	global_store_dwordx2 v[10:11], v[4:5], off
	v_add_u32_e32 v4, s8, v8
	v_ashrrev_i32_e32 v5, 31, v4
	v_lshlrev_b64 v[8:9], 3, v[4:5]
	v_add_co_u32_e32 v8, vcc, v22, v8
	v_addc_co_u32_e32 v9, vcc, v23, v9, vcc
	global_store_dwordx2 v[8:9], v[0:1], off
	v_add_u32_e32 v0, s8, v4
	v_ashrrev_i32_e32 v1, 31, v0
	v_lshlrev_b64 v[4:5], 3, v[0:1]
	v_add_u32_e32 v0, s8, v0
	v_add_co_u32_e32 v4, vcc, v22, v4
	v_ashrrev_i32_e32 v1, 31, v0
	v_addc_co_u32_e32 v5, vcc, v23, v5, vcc
	v_lshlrev_b64 v[0:1], 3, v[0:1]
	v_add_co_u32_e32 v0, vcc, v22, v0
	v_addc_co_u32_e32 v1, vcc, v23, v1, vcc
	global_store_dwordx2 v[4:5], v[6:7], off
	global_store_dwordx2 v[0:1], v[2:3], off
.LBB10_99:
	s_endpgm
	.section	.rodata,"a",@progbits
	.p2align	6, 0x0
	.amdhsa_kernel _ZN9rocsolver6v33100L18getf2_small_kernelILi6EdiiPKPdEEvT1_T3_lS5_lPS5_llPT2_S5_S5_S7_l
		.amdhsa_group_segment_fixed_size 0
		.amdhsa_private_segment_fixed_size 0
		.amdhsa_kernarg_size 352
		.amdhsa_user_sgpr_count 6
		.amdhsa_user_sgpr_private_segment_buffer 1
		.amdhsa_user_sgpr_dispatch_ptr 0
		.amdhsa_user_sgpr_queue_ptr 0
		.amdhsa_user_sgpr_kernarg_segment_ptr 1
		.amdhsa_user_sgpr_dispatch_id 0
		.amdhsa_user_sgpr_flat_scratch_init 0
		.amdhsa_user_sgpr_kernarg_preload_length 0
		.amdhsa_user_sgpr_kernarg_preload_offset 0
		.amdhsa_user_sgpr_private_segment_size 0
		.amdhsa_uses_dynamic_stack 0
		.amdhsa_system_sgpr_private_segment_wavefront_offset 0
		.amdhsa_system_sgpr_workgroup_id_x 1
		.amdhsa_system_sgpr_workgroup_id_y 1
		.amdhsa_system_sgpr_workgroup_id_z 0
		.amdhsa_system_sgpr_workgroup_info 0
		.amdhsa_system_vgpr_workitem_id 1
		.amdhsa_next_free_vgpr 36
		.amdhsa_next_free_sgpr 20
		.amdhsa_accum_offset 36
		.amdhsa_reserve_vcc 1
		.amdhsa_reserve_flat_scratch 0
		.amdhsa_float_round_mode_32 0
		.amdhsa_float_round_mode_16_64 0
		.amdhsa_float_denorm_mode_32 3
		.amdhsa_float_denorm_mode_16_64 3
		.amdhsa_dx10_clamp 1
		.amdhsa_ieee_mode 1
		.amdhsa_fp16_overflow 0
		.amdhsa_tg_split 0
		.amdhsa_exception_fp_ieee_invalid_op 0
		.amdhsa_exception_fp_denorm_src 0
		.amdhsa_exception_fp_ieee_div_zero 0
		.amdhsa_exception_fp_ieee_overflow 0
		.amdhsa_exception_fp_ieee_underflow 0
		.amdhsa_exception_fp_ieee_inexact 0
		.amdhsa_exception_int_div_zero 0
	.end_amdhsa_kernel
	.section	.text._ZN9rocsolver6v33100L18getf2_small_kernelILi6EdiiPKPdEEvT1_T3_lS5_lPS5_llPT2_S5_S5_S7_l,"axG",@progbits,_ZN9rocsolver6v33100L18getf2_small_kernelILi6EdiiPKPdEEvT1_T3_lS5_lPS5_llPT2_S5_S5_S7_l,comdat
.Lfunc_end10:
	.size	_ZN9rocsolver6v33100L18getf2_small_kernelILi6EdiiPKPdEEvT1_T3_lS5_lPS5_llPT2_S5_S5_S7_l, .Lfunc_end10-_ZN9rocsolver6v33100L18getf2_small_kernelILi6EdiiPKPdEEvT1_T3_lS5_lPS5_llPT2_S5_S5_S7_l
                                        ; -- End function
	.section	.AMDGPU.csdata,"",@progbits
; Kernel info:
; codeLenInByte = 3468
; NumSgprs: 24
; NumVgprs: 36
; NumAgprs: 0
; TotalNumVgprs: 36
; ScratchSize: 0
; MemoryBound: 0
; FloatMode: 240
; IeeeMode: 1
; LDSByteSize: 0 bytes/workgroup (compile time only)
; SGPRBlocks: 2
; VGPRBlocks: 4
; NumSGPRsForWavesPerEU: 24
; NumVGPRsForWavesPerEU: 36
; AccumOffset: 36
; Occupancy: 8
; WaveLimiterHint : 1
; COMPUTE_PGM_RSRC2:SCRATCH_EN: 0
; COMPUTE_PGM_RSRC2:USER_SGPR: 6
; COMPUTE_PGM_RSRC2:TRAP_HANDLER: 0
; COMPUTE_PGM_RSRC2:TGID_X_EN: 1
; COMPUTE_PGM_RSRC2:TGID_Y_EN: 1
; COMPUTE_PGM_RSRC2:TGID_Z_EN: 0
; COMPUTE_PGM_RSRC2:TIDIG_COMP_CNT: 1
; COMPUTE_PGM_RSRC3_GFX90A:ACCUM_OFFSET: 8
; COMPUTE_PGM_RSRC3_GFX90A:TG_SPLIT: 0
	.section	.text._ZN9rocsolver6v33100L23getf2_npvt_small_kernelILi6EdiiPKPdEEvT1_T3_lS5_lPT2_S5_S5_,"axG",@progbits,_ZN9rocsolver6v33100L23getf2_npvt_small_kernelILi6EdiiPKPdEEvT1_T3_lS5_lPT2_S5_S5_,comdat
	.globl	_ZN9rocsolver6v33100L23getf2_npvt_small_kernelILi6EdiiPKPdEEvT1_T3_lS5_lPT2_S5_S5_ ; -- Begin function _ZN9rocsolver6v33100L23getf2_npvt_small_kernelILi6EdiiPKPdEEvT1_T3_lS5_lPT2_S5_S5_
	.p2align	8
	.type	_ZN9rocsolver6v33100L23getf2_npvt_small_kernelILi6EdiiPKPdEEvT1_T3_lS5_lPT2_S5_S5_,@function
_ZN9rocsolver6v33100L23getf2_npvt_small_kernelILi6EdiiPKPdEEvT1_T3_lS5_lPT2_S5_S5_: ; @_ZN9rocsolver6v33100L23getf2_npvt_small_kernelILi6EdiiPKPdEEvT1_T3_lS5_lPT2_S5_S5_
; %bb.0:
	s_load_dword s0, s[4:5], 0x44
	s_load_dwordx2 s[10:11], s[4:5], 0x30
	v_bfe_u32 v26, v0, 10, 10
	s_waitcnt lgkmcnt(0)
	s_lshr_b32 s0, s0, 16
	s_mul_i32 s7, s7, s0
	v_add_u32_e32 v2, s7, v26
	v_cmp_gt_i32_e32 vcc, s10, v2
	s_and_saveexec_b64 s[2:3], vcc
	s_cbranch_execz .LBB11_34
; %bb.1:
	s_load_dwordx4 s[12:15], s[4:5], 0x8
	s_load_dword s2, s[4:5], 0x18
	v_ashrrev_i32_e32 v3, 31, v2
	v_lshlrev_b64 v[4:5], 3, v[2:3]
	v_and_b32_e32 v38, 0x3ff, v0
	s_waitcnt lgkmcnt(0)
	v_mov_b32_e32 v1, s13
	v_add_co_u32_e32 v4, vcc, s12, v4
	v_addc_co_u32_e32 v5, vcc, v1, v5, vcc
	global_load_dwordx2 v[4:5], v[4:5], off
	s_add_i32 s1, s2, s2
	v_add_u32_e32 v0, s1, v38
	s_lshl_b64 s[6:7], s[14:15], 3
	v_ashrrev_i32_e32 v1, 31, v0
	v_add_u32_e32 v6, s2, v0
	v_mov_b32_e32 v15, s7
	v_lshlrev_b64 v[8:9], 3, v[0:1]
	v_add_u32_e32 v0, s2, v6
	v_lshlrev_b32_e32 v14, 3, v38
	v_ashrrev_i32_e32 v1, 31, v0
	v_add_u32_e32 v10, s2, v0
	v_lshlrev_b64 v[12:13], 3, v[0:1]
	v_ashrrev_i32_e32 v7, 31, v6
	v_lshlrev_b64 v[6:7], 3, v[6:7]
	v_ashrrev_i32_e32 v11, 31, v10
	v_lshlrev_b64 v[10:11], 3, v[10:11]
	s_ashr_i32 s3, s2, 31
	s_lshl_b64 s[8:9], s[2:3], 3
	v_mov_b32_e32 v16, s9
	s_mul_i32 s0, s0, 48
	v_mul_u32_u24_e32 v27, 48, v26
	s_add_i32 s0, s0, 0
	v_lshl_add_u32 v36, v26, 3, s0
	v_cmp_ne_u32_e64 s[2:3], 0, v38
	v_cmp_eq_u32_e64 s[0:1], 0, v38
	v_add_u32_e32 v37, 0, v27
	s_waitcnt vmcnt(0)
	v_add_co_u32_e32 v17, vcc, s6, v4
	v_addc_co_u32_e32 v15, vcc, v5, v15, vcc
	v_add_co_u32_e32 v0, vcc, v17, v14
	v_addc_co_u32_e32 v1, vcc, 0, v15, vcc
	v_add_co_u32_e32 v4, vcc, v17, v8
	v_addc_co_u32_e32 v5, vcc, v15, v9, vcc
	v_add_co_u32_e32 v6, vcc, v17, v6
	v_addc_co_u32_e32 v7, vcc, v15, v7, vcc
	v_add_co_u32_e32 v8, vcc, v17, v12
	v_addc_co_u32_e32 v9, vcc, v15, v13, vcc
	v_add_co_u32_e32 v10, vcc, v17, v10
	v_addc_co_u32_e32 v11, vcc, v15, v11, vcc
	v_add_co_u32_e32 v12, vcc, s8, v0
	v_addc_co_u32_e32 v13, vcc, v1, v16, vcc
	global_load_dwordx2 v[14:15], v[0:1], off
	global_load_dwordx2 v[16:17], v[12:13], off
	;; [unrolled: 1-line block ×6, first 2 shown]
	s_and_saveexec_b64 s[6:7], s[0:1]
	s_cbranch_execz .LBB11_4
; %bb.2:
	s_waitcnt vmcnt(5)
	ds_write_b64 v36, v[14:15]
	s_waitcnt vmcnt(3)
	ds_write2_b64 v37, v[16:17], v[18:19] offset0:1 offset1:2
	s_waitcnt vmcnt(1)
	ds_write2_b64 v37, v[20:21], v[22:23] offset0:3 offset1:4
	s_waitcnt vmcnt(0)
	ds_write_b64 v37, v[24:25] offset:40
	ds_read_b64 v[26:27], v36
	s_waitcnt lgkmcnt(0)
	v_cmp_neq_f64_e32 vcc, 0, v[26:27]
	s_and_b64 exec, exec, vcc
	s_cbranch_execz .LBB11_4
; %bb.3:
	v_div_scale_f64 v[28:29], s[8:9], v[26:27], v[26:27], 1.0
	v_rcp_f64_e32 v[30:31], v[28:29]
	v_div_scale_f64 v[32:33], vcc, 1.0, v[26:27], 1.0
	v_fma_f64 v[34:35], -v[28:29], v[30:31], 1.0
	v_fmac_f64_e32 v[30:31], v[30:31], v[34:35]
	v_fma_f64 v[34:35], -v[28:29], v[30:31], 1.0
	v_fmac_f64_e32 v[30:31], v[30:31], v[34:35]
	v_mul_f64 v[34:35], v[32:33], v[30:31]
	v_fma_f64 v[28:29], -v[28:29], v[34:35], v[32:33]
	v_div_fmas_f64 v[28:29], v[28:29], v[30:31], v[34:35]
	v_div_fixup_f64 v[26:27], v[28:29], v[26:27], 1.0
	ds_write_b64 v36, v[26:27]
.LBB11_4:
	s_or_b64 exec, exec, s[6:7]
	s_waitcnt lgkmcnt(0)
	s_barrier
	ds_read_b64 v[26:27], v36
	s_and_saveexec_b64 s[6:7], s[2:3]
	s_cbranch_execz .LBB11_6
; %bb.5:
	ds_read2_b64 v[28:31], v37 offset0:1 offset1:2
	ds_read2_b64 v[32:35], v37 offset0:3 offset1:4
	ds_read_b64 v[40:41], v37 offset:40
	s_waitcnt vmcnt(5) lgkmcnt(3)
	v_mul_f64 v[14:15], v[14:15], v[26:27]
	s_waitcnt vmcnt(4) lgkmcnt(2)
	v_fma_f64 v[16:17], -v[14:15], v[28:29], v[16:17]
	s_waitcnt vmcnt(3)
	v_fma_f64 v[18:19], -v[14:15], v[30:31], v[18:19]
	s_waitcnt vmcnt(2) lgkmcnt(1)
	v_fma_f64 v[20:21], -v[14:15], v[32:33], v[20:21]
	s_waitcnt vmcnt(1)
	v_fma_f64 v[22:23], -v[14:15], v[34:35], v[22:23]
	s_waitcnt vmcnt(0) lgkmcnt(0)
	v_fma_f64 v[24:25], -v[14:15], v[40:41], v[24:25]
.LBB11_6:
	s_or_b64 exec, exec, s[6:7]
	v_cmp_eq_u32_e32 vcc, 1, v38
	s_waitcnt lgkmcnt(0)
	s_barrier
	s_and_saveexec_b64 s[2:3], vcc
	s_cbranch_execz .LBB11_9
; %bb.7:
	s_waitcnt vmcnt(4)
	ds_write_b64 v36, v[16:17]
	s_waitcnt vmcnt(2)
	ds_write2_b64 v37, v[18:19], v[20:21] offset0:2 offset1:3
	s_waitcnt vmcnt(0)
	ds_write2_b64 v37, v[22:23], v[24:25] offset0:4 offset1:5
	ds_read_b64 v[28:29], v36
	s_waitcnt lgkmcnt(0)
	v_cmp_neq_f64_e32 vcc, 0, v[28:29]
	s_and_b64 exec, exec, vcc
	s_cbranch_execz .LBB11_9
; %bb.8:
	v_div_scale_f64 v[30:31], s[6:7], v[28:29], v[28:29], 1.0
	v_rcp_f64_e32 v[32:33], v[30:31]
	v_div_scale_f64 v[34:35], vcc, 1.0, v[28:29], 1.0
	v_fma_f64 v[40:41], -v[30:31], v[32:33], 1.0
	v_fmac_f64_e32 v[32:33], v[32:33], v[40:41]
	v_fma_f64 v[40:41], -v[30:31], v[32:33], 1.0
	v_fmac_f64_e32 v[32:33], v[32:33], v[40:41]
	v_mul_f64 v[40:41], v[34:35], v[32:33]
	v_fma_f64 v[30:31], -v[30:31], v[40:41], v[34:35]
	v_div_fmas_f64 v[30:31], v[30:31], v[32:33], v[40:41]
	v_div_fixup_f64 v[28:29], v[30:31], v[28:29], 1.0
	ds_write_b64 v36, v[28:29]
.LBB11_9:
	s_or_b64 exec, exec, s[2:3]
	s_waitcnt lgkmcnt(0)
	s_barrier
	ds_read_b64 v[28:29], v36
	v_cmp_lt_u32_e32 vcc, 1, v38
	s_and_saveexec_b64 s[2:3], vcc
	s_cbranch_execz .LBB11_11
; %bb.10:
	ds_read2_b64 v[30:33], v37 offset0:2 offset1:3
	ds_read2_b64 v[40:43], v37 offset0:4 offset1:5
	s_waitcnt vmcnt(4) lgkmcnt(2)
	v_mul_f64 v[16:17], v[16:17], v[28:29]
	s_waitcnt vmcnt(3) lgkmcnt(1)
	v_fma_f64 v[18:19], -v[16:17], v[30:31], v[18:19]
	s_waitcnt vmcnt(2)
	v_fma_f64 v[20:21], -v[16:17], v[32:33], v[20:21]
	s_waitcnt vmcnt(1) lgkmcnt(0)
	v_fma_f64 v[22:23], -v[16:17], v[40:41], v[22:23]
	s_waitcnt vmcnt(0)
	v_fma_f64 v[24:25], -v[16:17], v[42:43], v[24:25]
.LBB11_11:
	s_or_b64 exec, exec, s[2:3]
	v_cmp_eq_u32_e32 vcc, 2, v38
	s_waitcnt lgkmcnt(0)
	s_barrier
	s_and_saveexec_b64 s[2:3], vcc
	s_cbranch_execz .LBB11_14
; %bb.12:
	s_waitcnt vmcnt(3)
	ds_write_b64 v36, v[18:19]
	s_waitcnt vmcnt(1)
	ds_write2_b64 v37, v[20:21], v[22:23] offset0:3 offset1:4
	s_waitcnt vmcnt(0)
	ds_write_b64 v37, v[24:25] offset:40
	ds_read_b64 v[30:31], v36
	s_waitcnt lgkmcnt(0)
	v_cmp_neq_f64_e32 vcc, 0, v[30:31]
	s_and_b64 exec, exec, vcc
	s_cbranch_execz .LBB11_14
; %bb.13:
	v_div_scale_f64 v[32:33], s[6:7], v[30:31], v[30:31], 1.0
	v_rcp_f64_e32 v[34:35], v[32:33]
	v_div_scale_f64 v[40:41], vcc, 1.0, v[30:31], 1.0
	v_fma_f64 v[42:43], -v[32:33], v[34:35], 1.0
	v_fmac_f64_e32 v[34:35], v[34:35], v[42:43]
	v_fma_f64 v[42:43], -v[32:33], v[34:35], 1.0
	v_fmac_f64_e32 v[34:35], v[34:35], v[42:43]
	v_mul_f64 v[42:43], v[40:41], v[34:35]
	v_fma_f64 v[32:33], -v[32:33], v[42:43], v[40:41]
	v_div_fmas_f64 v[32:33], v[32:33], v[34:35], v[42:43]
	v_div_fixup_f64 v[30:31], v[32:33], v[30:31], 1.0
	ds_write_b64 v36, v[30:31]
.LBB11_14:
	s_or_b64 exec, exec, s[2:3]
	s_waitcnt lgkmcnt(0)
	s_barrier
	ds_read_b64 v[30:31], v36
	v_cmp_lt_u32_e32 vcc, 2, v38
	s_and_saveexec_b64 s[2:3], vcc
	s_cbranch_execz .LBB11_16
; %bb.15:
	ds_read2_b64 v[32:35], v37 offset0:3 offset1:4
	ds_read_b64 v[40:41], v37 offset:40
	s_waitcnt vmcnt(3) lgkmcnt(2)
	v_mul_f64 v[18:19], v[18:19], v[30:31]
	s_waitcnt vmcnt(2) lgkmcnt(1)
	v_fma_f64 v[20:21], -v[18:19], v[32:33], v[20:21]
	s_waitcnt vmcnt(1)
	v_fma_f64 v[22:23], -v[18:19], v[34:35], v[22:23]
	s_waitcnt vmcnt(0) lgkmcnt(0)
	v_fma_f64 v[24:25], -v[18:19], v[40:41], v[24:25]
.LBB11_16:
	s_or_b64 exec, exec, s[2:3]
	v_cmp_eq_u32_e32 vcc, 3, v38
	s_waitcnt lgkmcnt(0)
	s_barrier
	s_and_saveexec_b64 s[2:3], vcc
	s_cbranch_execz .LBB11_19
; %bb.17:
	s_waitcnt vmcnt(2)
	ds_write_b64 v36, v[20:21]
	s_waitcnt vmcnt(0)
	ds_write2_b64 v37, v[22:23], v[24:25] offset0:4 offset1:5
	ds_read_b64 v[32:33], v36
	s_waitcnt lgkmcnt(0)
	v_cmp_neq_f64_e32 vcc, 0, v[32:33]
	s_and_b64 exec, exec, vcc
	s_cbranch_execz .LBB11_19
; %bb.18:
	v_div_scale_f64 v[34:35], s[6:7], v[32:33], v[32:33], 1.0
	v_rcp_f64_e32 v[40:41], v[34:35]
	v_div_scale_f64 v[42:43], vcc, 1.0, v[32:33], 1.0
	v_fma_f64 v[44:45], -v[34:35], v[40:41], 1.0
	v_fmac_f64_e32 v[40:41], v[40:41], v[44:45]
	v_fma_f64 v[44:45], -v[34:35], v[40:41], 1.0
	v_fmac_f64_e32 v[40:41], v[40:41], v[44:45]
	v_mul_f64 v[44:45], v[42:43], v[40:41]
	v_fma_f64 v[34:35], -v[34:35], v[44:45], v[42:43]
	v_div_fmas_f64 v[34:35], v[34:35], v[40:41], v[44:45]
	v_div_fixup_f64 v[32:33], v[34:35], v[32:33], 1.0
	ds_write_b64 v36, v[32:33]
.LBB11_19:
	s_or_b64 exec, exec, s[2:3]
	s_waitcnt lgkmcnt(0)
	s_barrier
	ds_read_b64 v[32:33], v36
	v_cmp_lt_u32_e32 vcc, 3, v38
	s_and_saveexec_b64 s[2:3], vcc
	s_cbranch_execz .LBB11_21
; %bb.20:
	ds_read2_b64 v[40:43], v37 offset0:4 offset1:5
	s_waitcnt vmcnt(2) lgkmcnt(1)
	v_mul_f64 v[20:21], v[20:21], v[32:33]
	s_waitcnt vmcnt(1) lgkmcnt(0)
	v_fma_f64 v[22:23], -v[20:21], v[40:41], v[22:23]
	s_waitcnt vmcnt(0)
	v_fma_f64 v[24:25], -v[20:21], v[42:43], v[24:25]
.LBB11_21:
	s_or_b64 exec, exec, s[2:3]
	v_cmp_eq_u32_e32 vcc, 4, v38
	s_waitcnt lgkmcnt(0)
	s_barrier
	s_and_saveexec_b64 s[2:3], vcc
	s_cbranch_execz .LBB11_24
; %bb.22:
	s_waitcnt vmcnt(1)
	ds_write_b64 v36, v[22:23]
	s_waitcnt vmcnt(0)
	ds_write_b64 v37, v[24:25] offset:40
	ds_read_b64 v[34:35], v36
	s_waitcnt lgkmcnt(0)
	v_cmp_neq_f64_e32 vcc, 0, v[34:35]
	s_and_b64 exec, exec, vcc
	s_cbranch_execz .LBB11_24
; %bb.23:
	v_div_scale_f64 v[40:41], s[6:7], v[34:35], v[34:35], 1.0
	v_rcp_f64_e32 v[42:43], v[40:41]
	v_div_scale_f64 v[44:45], vcc, 1.0, v[34:35], 1.0
	v_fma_f64 v[46:47], -v[40:41], v[42:43], 1.0
	v_fmac_f64_e32 v[42:43], v[42:43], v[46:47]
	v_fma_f64 v[46:47], -v[40:41], v[42:43], 1.0
	v_fmac_f64_e32 v[42:43], v[42:43], v[46:47]
	v_mul_f64 v[46:47], v[44:45], v[42:43]
	v_fma_f64 v[40:41], -v[40:41], v[46:47], v[44:45]
	v_div_fmas_f64 v[40:41], v[40:41], v[42:43], v[46:47]
	v_div_fixup_f64 v[34:35], v[40:41], v[34:35], 1.0
	ds_write_b64 v36, v[34:35]
.LBB11_24:
	s_or_b64 exec, exec, s[2:3]
	s_waitcnt lgkmcnt(0)
	s_barrier
	ds_read_b64 v[34:35], v36
	v_cmp_lt_u32_e32 vcc, 4, v38
	s_and_saveexec_b64 s[2:3], vcc
	s_cbranch_execz .LBB11_26
; %bb.25:
	ds_read_b64 v[40:41], v37 offset:40
	s_waitcnt vmcnt(1) lgkmcnt(1)
	v_mul_f64 v[22:23], v[22:23], v[34:35]
	s_waitcnt vmcnt(0) lgkmcnt(0)
	v_fma_f64 v[24:25], -v[22:23], v[40:41], v[24:25]
.LBB11_26:
	s_or_b64 exec, exec, s[2:3]
	v_cmp_ne_u32_e32 vcc, 5, v38
	s_waitcnt lgkmcnt(0)
	s_barrier
	s_and_saveexec_b64 s[2:3], vcc
	s_xor_b64 s[2:3], exec, s[2:3]
	s_andn2_saveexec_b64 s[2:3], s[2:3]
	s_cbranch_execz .LBB11_30
; %bb.27:
	s_waitcnt vmcnt(0)
	v_cmp_neq_f64_e32 vcc, 0, v[24:25]
	ds_write_b64 v36, v[24:25]
	s_and_saveexec_b64 s[6:7], vcc
	s_cbranch_execz .LBB11_29
; %bb.28:
	v_div_scale_f64 v[40:41], s[8:9], v[24:25], v[24:25], 1.0
	v_rcp_f64_e32 v[42:43], v[40:41]
	v_div_scale_f64 v[44:45], vcc, 1.0, v[24:25], 1.0
	v_fma_f64 v[46:47], -v[40:41], v[42:43], 1.0
	v_fmac_f64_e32 v[42:43], v[42:43], v[46:47]
	v_fma_f64 v[46:47], -v[40:41], v[42:43], 1.0
	v_fmac_f64_e32 v[42:43], v[42:43], v[46:47]
	v_mul_f64 v[46:47], v[44:45], v[42:43]
	v_fma_f64 v[40:41], -v[40:41], v[46:47], v[44:45]
	v_div_fmas_f64 v[40:41], v[40:41], v[42:43], v[46:47]
	v_div_fixup_f64 v[40:41], v[40:41], v[24:25], 1.0
	ds_write_b64 v36, v[40:41]
.LBB11_29:
	s_or_b64 exec, exec, s[6:7]
.LBB11_30:
	s_or_b64 exec, exec, s[2:3]
	s_waitcnt lgkmcnt(0)
	s_barrier
	ds_read_b64 v[36:37], v36
	s_waitcnt lgkmcnt(0)
	s_barrier
	s_and_saveexec_b64 s[12:13], s[0:1]
	s_cbranch_execz .LBB11_33
; %bb.31:
	s_load_dwordx2 s[0:1], s[4:5], 0x28
	v_lshlrev_b64 v[2:3], 2, v[2:3]
	v_cmp_eq_f64_e64 s[2:3], 0, v[30:31]
	v_cmp_eq_f64_e64 s[4:5], 0, v[32:33]
	;; [unrolled: 1-line block ×3, first 2 shown]
	s_waitcnt lgkmcnt(0)
	v_mov_b32_e32 v39, s1
	v_add_co_u32_e32 v2, vcc, s0, v2
	v_addc_co_u32_e32 v3, vcc, v39, v3, vcc
	global_load_dword v39, v[2:3], off
	v_cmp_eq_f64_e32 vcc, 0, v[26:27]
	v_cmp_neq_f64_e64 s[0:1], 0, v[28:29]
	v_cndmask_b32_e64 v26, 0, 1, vcc
	s_or_b64 vcc, s[0:1], vcc
	v_cndmask_b32_e32 v26, 2, v26, vcc
	v_cmp_eq_u32_e32 vcc, 0, v26
	s_and_b64 s[0:1], s[2:3], vcc
	v_cndmask_b32_e64 v26, v26, 3, s[0:1]
	v_cmp_eq_u32_e32 vcc, 0, v26
	s_and_b64 s[0:1], s[4:5], vcc
	v_cndmask_b32_e64 v26, v26, 4, s[0:1]
	v_cmp_eq_u32_e32 vcc, 0, v26
	s_and_b64 s[0:1], s[6:7], vcc
	v_cndmask_b32_e64 v26, v26, 5, s[0:1]
	v_cmp_eq_f64_e64 s[8:9], 0, v[36:37]
	v_cmp_eq_u32_e32 vcc, 0, v26
	s_and_b64 s[0:1], s[8:9], vcc
	v_cndmask_b32_e64 v26, v26, 6, s[0:1]
	v_cmp_ne_u32_e64 s[0:1], 0, v26
	s_waitcnt vmcnt(0)
	v_cmp_eq_u32_e32 vcc, 0, v39
	s_and_b64 s[0:1], vcc, s[0:1]
	s_and_b64 exec, exec, s[0:1]
	s_cbranch_execz .LBB11_33
; %bb.32:
	v_add_u32_e32 v26, s11, v26
	global_store_dword v[2:3], v26, off
.LBB11_33:
	s_or_b64 exec, exec, s[12:13]
	s_waitcnt vmcnt(0)
	v_mul_f64 v[2:3], v[24:25], v[36:37]
	v_cmp_lt_u32_e32 vcc, 5, v38
	v_cndmask_b32_e32 v3, v25, v3, vcc
	v_cndmask_b32_e32 v2, v24, v2, vcc
	global_store_dwordx2 v[0:1], v[14:15], off
	global_store_dwordx2 v[12:13], v[16:17], off
	;; [unrolled: 1-line block ×6, first 2 shown]
.LBB11_34:
	s_endpgm
	.section	.rodata,"a",@progbits
	.p2align	6, 0x0
	.amdhsa_kernel _ZN9rocsolver6v33100L23getf2_npvt_small_kernelILi6EdiiPKPdEEvT1_T3_lS5_lPT2_S5_S5_
		.amdhsa_group_segment_fixed_size 0
		.amdhsa_private_segment_fixed_size 0
		.amdhsa_kernarg_size 312
		.amdhsa_user_sgpr_count 6
		.amdhsa_user_sgpr_private_segment_buffer 1
		.amdhsa_user_sgpr_dispatch_ptr 0
		.amdhsa_user_sgpr_queue_ptr 0
		.amdhsa_user_sgpr_kernarg_segment_ptr 1
		.amdhsa_user_sgpr_dispatch_id 0
		.amdhsa_user_sgpr_flat_scratch_init 0
		.amdhsa_user_sgpr_kernarg_preload_length 0
		.amdhsa_user_sgpr_kernarg_preload_offset 0
		.amdhsa_user_sgpr_private_segment_size 0
		.amdhsa_uses_dynamic_stack 0
		.amdhsa_system_sgpr_private_segment_wavefront_offset 0
		.amdhsa_system_sgpr_workgroup_id_x 1
		.amdhsa_system_sgpr_workgroup_id_y 1
		.amdhsa_system_sgpr_workgroup_id_z 0
		.amdhsa_system_sgpr_workgroup_info 0
		.amdhsa_system_vgpr_workitem_id 1
		.amdhsa_next_free_vgpr 48
		.amdhsa_next_free_sgpr 16
		.amdhsa_accum_offset 48
		.amdhsa_reserve_vcc 1
		.amdhsa_reserve_flat_scratch 0
		.amdhsa_float_round_mode_32 0
		.amdhsa_float_round_mode_16_64 0
		.amdhsa_float_denorm_mode_32 3
		.amdhsa_float_denorm_mode_16_64 3
		.amdhsa_dx10_clamp 1
		.amdhsa_ieee_mode 1
		.amdhsa_fp16_overflow 0
		.amdhsa_tg_split 0
		.amdhsa_exception_fp_ieee_invalid_op 0
		.amdhsa_exception_fp_denorm_src 0
		.amdhsa_exception_fp_ieee_div_zero 0
		.amdhsa_exception_fp_ieee_overflow 0
		.amdhsa_exception_fp_ieee_underflow 0
		.amdhsa_exception_fp_ieee_inexact 0
		.amdhsa_exception_int_div_zero 0
	.end_amdhsa_kernel
	.section	.text._ZN9rocsolver6v33100L23getf2_npvt_small_kernelILi6EdiiPKPdEEvT1_T3_lS5_lPT2_S5_S5_,"axG",@progbits,_ZN9rocsolver6v33100L23getf2_npvt_small_kernelILi6EdiiPKPdEEvT1_T3_lS5_lPT2_S5_S5_,comdat
.Lfunc_end11:
	.size	_ZN9rocsolver6v33100L23getf2_npvt_small_kernelILi6EdiiPKPdEEvT1_T3_lS5_lPT2_S5_S5_, .Lfunc_end11-_ZN9rocsolver6v33100L23getf2_npvt_small_kernelILi6EdiiPKPdEEvT1_T3_lS5_lPT2_S5_S5_
                                        ; -- End function
	.section	.AMDGPU.csdata,"",@progbits
; Kernel info:
; codeLenInByte = 2096
; NumSgprs: 20
; NumVgprs: 48
; NumAgprs: 0
; TotalNumVgprs: 48
; ScratchSize: 0
; MemoryBound: 0
; FloatMode: 240
; IeeeMode: 1
; LDSByteSize: 0 bytes/workgroup (compile time only)
; SGPRBlocks: 2
; VGPRBlocks: 5
; NumSGPRsForWavesPerEU: 20
; NumVGPRsForWavesPerEU: 48
; AccumOffset: 48
; Occupancy: 8
; WaveLimiterHint : 1
; COMPUTE_PGM_RSRC2:SCRATCH_EN: 0
; COMPUTE_PGM_RSRC2:USER_SGPR: 6
; COMPUTE_PGM_RSRC2:TRAP_HANDLER: 0
; COMPUTE_PGM_RSRC2:TGID_X_EN: 1
; COMPUTE_PGM_RSRC2:TGID_Y_EN: 1
; COMPUTE_PGM_RSRC2:TGID_Z_EN: 0
; COMPUTE_PGM_RSRC2:TIDIG_COMP_CNT: 1
; COMPUTE_PGM_RSRC3_GFX90A:ACCUM_OFFSET: 11
; COMPUTE_PGM_RSRC3_GFX90A:TG_SPLIT: 0
	.section	.text._ZN9rocsolver6v33100L18getf2_small_kernelILi7EdiiPKPdEEvT1_T3_lS5_lPS5_llPT2_S5_S5_S7_l,"axG",@progbits,_ZN9rocsolver6v33100L18getf2_small_kernelILi7EdiiPKPdEEvT1_T3_lS5_lPS5_llPT2_S5_S5_S7_l,comdat
	.globl	_ZN9rocsolver6v33100L18getf2_small_kernelILi7EdiiPKPdEEvT1_T3_lS5_lPS5_llPT2_S5_S5_S7_l ; -- Begin function _ZN9rocsolver6v33100L18getf2_small_kernelILi7EdiiPKPdEEvT1_T3_lS5_lPS5_llPT2_S5_S5_S7_l
	.p2align	8
	.type	_ZN9rocsolver6v33100L18getf2_small_kernelILi7EdiiPKPdEEvT1_T3_lS5_lPS5_llPT2_S5_S5_S7_l,@function
_ZN9rocsolver6v33100L18getf2_small_kernelILi7EdiiPKPdEEvT1_T3_lS5_lPS5_llPT2_S5_S5_S7_l: ; @_ZN9rocsolver6v33100L18getf2_small_kernelILi7EdiiPKPdEEvT1_T3_lS5_lPS5_llPT2_S5_S5_S7_l
; %bb.0:
	s_load_dword s0, s[4:5], 0x6c
	s_load_dwordx2 s[12:13], s[4:5], 0x48
	v_bfe_u32 v18, v0, 10, 10
	s_waitcnt lgkmcnt(0)
	s_lshr_b32 s0, s0, 16
	s_mul_i32 s7, s7, s0
	v_add_u32_e32 v2, s7, v18
	v_cmp_gt_i32_e32 vcc, s12, v2
	s_and_saveexec_b64 s[0:1], vcc
	s_cbranch_execz .LBB12_116
; %bb.1:
	s_load_dwordx4 s[0:3], s[4:5], 0x8
	s_load_dwordx4 s[8:11], s[4:5], 0x50
	v_ashrrev_i32_e32 v3, 31, v2
	v_lshlrev_b64 v[4:5], 3, v[2:3]
	v_pk_mov_b32 v[14:15], 0, 0
	s_waitcnt lgkmcnt(0)
	v_mov_b32_e32 v1, s1
	v_add_co_u32_e32 v4, vcc, s0, v4
	v_addc_co_u32_e32 v5, vcc, v1, v5, vcc
	global_load_dwordx2 v[4:5], v[4:5], off
	s_cmp_eq_u64 s[8:9], 0
	s_cselect_b64 s[6:7], -1, 0
	s_and_b64 vcc, exec, s[6:7]
	s_cbranch_vccnz .LBB12_3
; %bb.2:
	v_mul_lo_u32 v1, v3, s10
	v_mul_lo_u32 v8, v2, s11
	v_mad_u64_u32 v[6:7], s[0:1], v2, s10, 0
	v_add3_u32 v7, v7, v8, v1
	v_lshlrev_b64 v[6:7], 2, v[6:7]
	v_mov_b32_e32 v1, s9
	v_add_co_u32_e32 v14, vcc, s8, v6
	v_addc_co_u32_e32 v15, vcc, v1, v7, vcc
.LBB12_3:
	s_load_dword s8, s[4:5], 0x18
	s_load_dword s12, s[4:5], 0x0
	s_lshl_b64 s[0:1], s[2:3], 3
	v_mov_b32_e32 v1, s1
	s_waitcnt vmcnt(0)
	v_add_co_u32_e32 v24, vcc, s0, v4
	v_and_b32_e32 v27, 0x3ff, v0
	v_addc_co_u32_e32 v25, vcc, v5, v1, vcc
	v_lshlrev_b32_e32 v19, 3, v27
	v_add_co_u32_e32 v6, vcc, v24, v19
	s_waitcnt lgkmcnt(0)
	s_ashr_i32 s9, s8, 31
	v_addc_co_u32_e32 v7, vcc, 0, v25, vcc
	s_lshl_b64 s[10:11], s[8:9], 3
	v_mov_b32_e32 v0, s11
	v_add_co_u32_e32 v12, vcc, s10, v6
	s_add_i32 s9, s8, s8
	v_addc_co_u32_e32 v13, vcc, v7, v0, vcc
	v_add_u32_e32 v0, s9, v27
	v_ashrrev_i32_e32 v1, 31, v0
	v_lshlrev_b64 v[4:5], 3, v[0:1]
	v_add_u32_e32 v20, s8, v0
	v_add_co_u32_e32 v16, vcc, v24, v4
	v_ashrrev_i32_e32 v21, 31, v20
	v_addc_co_u32_e32 v17, vcc, v25, v5, vcc
	v_lshlrev_b64 v[0:1], 3, v[20:21]
	v_add_co_u32_e32 v22, vcc, v24, v0
	v_addc_co_u32_e32 v23, vcc, v25, v1, vcc
	global_load_dwordx2 v[10:11], v[6:7], off
	global_load_dwordx2 v[8:9], v[12:13], off
	;; [unrolled: 1-line block ×4, first 2 shown]
	v_add_u32_e32 v6, s8, v20
	v_ashrrev_i32_e32 v7, 31, v6
	v_lshlrev_b64 v[12:13], 3, v[6:7]
	v_add_u32_e32 v6, s8, v6
	v_add_co_u32_e32 v20, vcc, v24, v12
	v_ashrrev_i32_e32 v7, 31, v6
	v_addc_co_u32_e32 v21, vcc, v25, v13, vcc
	v_lshlrev_b64 v[12:13], 3, v[6:7]
	v_add_u32_e32 v6, s8, v6
	v_add_co_u32_e32 v22, vcc, v24, v12
	v_ashrrev_i32_e32 v7, 31, v6
	v_addc_co_u32_e32 v23, vcc, v25, v13, vcc
	v_lshlrev_b64 v[6:7], 3, v[6:7]
	v_add_co_u32_e32 v28, vcc, v24, v6
	v_addc_co_u32_e32 v29, vcc, v25, v7, vcc
	global_load_dwordx2 v[12:13], v[20:21], off
	global_load_dwordx2 v[6:7], v[22:23], off
	;; [unrolled: 1-line block ×3, first 2 shown]
	s_max_i32 s0, s12, 7
	v_mul_lo_u32 v21, s0, v18
	v_lshl_add_u32 v22, v21, 3, 0
	v_add_u32_e32 v18, v22, v19
	v_mov_b32_e32 v20, 0
	s_cmp_lt_i32 s12, 2
	v_lshlrev_b32_e32 v23, 3, v21
	s_waitcnt vmcnt(6)
	ds_write_b64 v18, v[10:11]
	s_waitcnt lgkmcnt(0)
	s_barrier
	ds_read_b64 v[18:19], v22
	s_cbranch_scc1 .LBB12_6
; %bb.4:
	v_add3_u32 v21, v23, 0, 8
	s_mov_b32 s0, 1
	v_mov_b32_e32 v20, 0
.LBB12_5:                               ; =>This Inner Loop Header: Depth=1
	ds_read_b64 v[28:29], v21
	v_mov_b32_e32 v26, s0
	s_add_i32 s0, s0, 1
	v_add_u32_e32 v21, 8, v21
	s_cmp_eq_u32 s12, s0
	s_waitcnt lgkmcnt(0)
	v_cmp_lt_f64_e64 vcc, |v[18:19]|, |v[28:29]|
	v_cndmask_b32_e32 v19, v19, v29, vcc
	v_cndmask_b32_e32 v18, v18, v28, vcc
	;; [unrolled: 1-line block ×3, first 2 shown]
	s_cbranch_scc0 .LBB12_5
.LBB12_6:
	v_cmp_ne_u32_e32 vcc, v27, v20
                                        ; implicit-def: $vgpr26
	s_and_saveexec_b64 s[0:1], vcc
	s_xor_b64 s[0:1], exec, s[0:1]
	s_cbranch_execz .LBB12_12
; %bb.7:
	v_cmp_eq_u32_e32 vcc, 0, v27
	s_and_saveexec_b64 s[2:3], vcc
	s_cbranch_execz .LBB12_11
; %bb.8:
	v_cmp_ne_u32_e32 vcc, 0, v20
	s_xor_b64 s[14:15], s[6:7], -1
	s_and_b64 s[16:17], s[14:15], vcc
	s_and_saveexec_b64 s[14:15], s[16:17]
	s_cbranch_execz .LBB12_10
; %bb.9:
	v_ashrrev_i32_e32 v21, 31, v20
	v_lshlrev_b64 v[26:27], 2, v[20:21]
	v_add_co_u32_e32 v26, vcc, v14, v26
	v_addc_co_u32_e32 v27, vcc, v15, v27, vcc
	flat_load_dword v21, v[26:27]
	flat_load_dword v28, v[14:15]
	s_waitcnt vmcnt(0) lgkmcnt(0)
	flat_store_dword v[14:15], v21
	flat_store_dword v[26:27], v28
.LBB12_10:
	s_or_b64 exec, exec, s[14:15]
	v_mov_b32_e32 v27, v20
.LBB12_11:
	s_or_b64 exec, exec, s[2:3]
	v_mov_b32_e32 v26, v27
                                        ; implicit-def: $vgpr27
.LBB12_12:
	s_or_saveexec_b64 s[0:1], s[0:1]
	v_mov_b32_e32 v21, v26
	s_xor_b64 exec, exec, s[0:1]
	s_cbranch_execz .LBB12_14
; %bb.13:
	v_mov_b32_e32 v26, 0
	v_mov_b32_e32 v21, v27
	s_waitcnt vmcnt(0)
	ds_write2_b64 v22, v[8:9], v[4:5] offset0:1 offset1:2
	ds_write2_b64 v22, v[0:1], v[12:13] offset0:3 offset1:4
	;; [unrolled: 1-line block ×3, first 2 shown]
.LBB12_14:
	s_or_b64 exec, exec, s[0:1]
	s_waitcnt lgkmcnt(0)
	v_cmp_eq_f64_e64 s[0:1], 0, v[18:19]
	v_cmp_lt_i32_e32 vcc, 0, v26
	s_barrier
	s_and_saveexec_b64 s[2:3], vcc
	s_cbranch_execz .LBB12_16
; %bb.15:
	v_div_scale_f64 v[28:29], s[14:15], v[18:19], v[18:19], 1.0
	v_rcp_f64_e32 v[30:31], v[28:29]
	v_div_scale_f64 v[32:33], vcc, 1.0, v[18:19], 1.0
	ds_read2_b64 v[36:39], v22 offset0:5 offset1:6
	v_fma_f64 v[34:35], -v[28:29], v[30:31], 1.0
	v_fmac_f64_e32 v[30:31], v[30:31], v[34:35]
	v_fma_f64 v[34:35], -v[28:29], v[30:31], 1.0
	v_fmac_f64_e32 v[30:31], v[30:31], v[34:35]
	v_mul_f64 v[34:35], v[32:33], v[30:31]
	v_fma_f64 v[28:29], -v[28:29], v[34:35], v[32:33]
	v_div_fmas_f64 v[28:29], v[28:29], v[30:31], v[34:35]
	v_div_fixup_f64 v[32:33], v[28:29], v[18:19], 1.0
	v_cndmask_b32_e64 v19, v33, v19, s[0:1]
	ds_read2_b64 v[28:31], v22 offset0:1 offset1:2
	v_cndmask_b32_e64 v18, v32, v18, s[0:1]
	ds_read2_b64 v[32:35], v22 offset0:3 offset1:4
	v_mul_f64 v[10:11], v[10:11], v[18:19]
	s_waitcnt vmcnt(0) lgkmcnt(0)
	v_fma_f64 v[6:7], -v[10:11], v[36:37], v[6:7]
	v_fma_f64 v[8:9], -v[10:11], v[28:29], v[8:9]
	;; [unrolled: 1-line block ×6, first 2 shown]
.LBB12_16:
	s_or_b64 exec, exec, s[2:3]
	v_lshl_add_u32 v18, v26, 3, v22
	s_barrier
	s_waitcnt vmcnt(0)
	ds_write_b64 v18, v[8:9]
	s_waitcnt lgkmcnt(0)
	s_barrier
	ds_read_b64 v[18:19], v22 offset:8
	s_cmp_lt_i32 s12, 3
	v_mov_b32_e32 v20, 1
	s_cbranch_scc1 .LBB12_19
; %bb.17:
	v_add3_u32 v27, v23, 0, 16
	s_mov_b32 s2, 2
	v_mov_b32_e32 v20, 1
.LBB12_18:                              ; =>This Inner Loop Header: Depth=1
	ds_read_b64 v[28:29], v27
	v_mov_b32_e32 v30, s2
	s_add_i32 s2, s2, 1
	v_add_u32_e32 v27, 8, v27
	s_cmp_lg_u32 s12, s2
	s_waitcnt lgkmcnt(0)
	v_cmp_lt_f64_e64 vcc, |v[18:19]|, |v[28:29]|
	v_cndmask_b32_e32 v19, v19, v29, vcc
	v_cndmask_b32_e32 v18, v18, v28, vcc
	;; [unrolled: 1-line block ×3, first 2 shown]
	s_cbranch_scc1 .LBB12_18
.LBB12_19:
	v_cmp_ne_u32_e32 vcc, v26, v20
	s_and_saveexec_b64 s[2:3], vcc
	s_xor_b64 s[2:3], exec, s[2:3]
	s_cbranch_execz .LBB12_25
; %bb.20:
	v_cmp_eq_u32_e32 vcc, 1, v26
	s_and_saveexec_b64 s[14:15], vcc
	s_cbranch_execz .LBB12_24
; %bb.21:
	v_cmp_ne_u32_e32 vcc, 1, v20
	s_xor_b64 s[16:17], s[6:7], -1
	s_and_b64 s[18:19], s[16:17], vcc
	s_and_saveexec_b64 s[16:17], s[18:19]
	s_cbranch_execz .LBB12_23
; %bb.22:
	v_ashrrev_i32_e32 v21, 31, v20
	v_lshlrev_b64 v[26:27], 2, v[20:21]
	v_add_co_u32_e32 v26, vcc, v14, v26
	v_addc_co_u32_e32 v27, vcc, v15, v27, vcc
	flat_load_dword v21, v[26:27]
	flat_load_dword v28, v[14:15] offset:4
	s_waitcnt vmcnt(0) lgkmcnt(0)
	flat_store_dword v[14:15], v21 offset:4
	flat_store_dword v[26:27], v28
.LBB12_23:
	s_or_b64 exec, exec, s[16:17]
	v_mov_b32_e32 v21, v20
	v_mov_b32_e32 v26, v20
.LBB12_24:
	s_or_b64 exec, exec, s[14:15]
.LBB12_25:
	s_andn2_saveexec_b64 s[2:3], s[2:3]
	s_cbranch_execz .LBB12_27
; %bb.26:
	v_mov_b32_e32 v26, 1
	ds_write2_b64 v22, v[4:5], v[0:1] offset0:2 offset1:3
	ds_write2_b64 v22, v[12:13], v[6:7] offset0:4 offset1:5
	ds_write_b64 v22, v[16:17] offset:48
.LBB12_27:
	s_or_b64 exec, exec, s[2:3]
	s_waitcnt lgkmcnt(0)
	v_cmp_neq_f64_e64 s[2:3], 0, v[18:19]
	v_cmp_lt_i32_e32 vcc, 1, v26
	s_barrier
	s_and_saveexec_b64 s[14:15], vcc
	s_cbranch_execz .LBB12_29
; %bb.28:
	v_div_scale_f64 v[28:29], s[16:17], v[18:19], v[18:19], 1.0
	v_rcp_f64_e32 v[30:31], v[28:29]
	v_div_scale_f64 v[32:33], vcc, 1.0, v[18:19], 1.0
	v_fma_f64 v[34:35], -v[28:29], v[30:31], 1.0
	v_fmac_f64_e32 v[30:31], v[30:31], v[34:35]
	v_fma_f64 v[34:35], -v[28:29], v[30:31], 1.0
	v_fmac_f64_e32 v[30:31], v[30:31], v[34:35]
	v_mul_f64 v[34:35], v[32:33], v[30:31]
	v_fma_f64 v[28:29], -v[28:29], v[34:35], v[32:33]
	v_div_fmas_f64 v[28:29], v[28:29], v[30:31], v[34:35]
	v_div_fixup_f64 v[32:33], v[28:29], v[18:19], 1.0
	v_cndmask_b32_e64 v19, v19, v33, s[2:3]
	v_cndmask_b32_e64 v18, v18, v32, s[2:3]
	ds_read2_b64 v[28:31], v22 offset0:2 offset1:3
	ds_read2_b64 v[32:35], v22 offset0:4 offset1:5
	v_mul_f64 v[8:9], v[8:9], v[18:19]
	ds_read_b64 v[18:19], v22 offset:48
	s_waitcnt lgkmcnt(0)
	v_fma_f64 v[4:5], -v[8:9], v[28:29], v[4:5]
	v_fma_f64 v[0:1], -v[8:9], v[30:31], v[0:1]
	;; [unrolled: 1-line block ×5, first 2 shown]
.LBB12_29:
	s_or_b64 exec, exec, s[14:15]
	v_lshl_add_u32 v18, v26, 3, v22
	s_barrier
	ds_write_b64 v18, v[4:5]
	s_waitcnt lgkmcnt(0)
	s_barrier
	ds_read_b64 v[18:19], v22 offset:16
	s_mov_b32 s14, 3
	s_cmp_lt_i32 s12, 4
	v_mov_b32_e32 v20, 2
	s_cbranch_scc1 .LBB12_32
; %bb.30:
	v_add3_u32 v27, v23, 0, 24
	v_mov_b32_e32 v20, 2
.LBB12_31:                              ; =>This Inner Loop Header: Depth=1
	ds_read_b64 v[28:29], v27
	v_mov_b32_e32 v30, s14
	s_add_i32 s14, s14, 1
	v_add_u32_e32 v27, 8, v27
	s_cmp_lg_u32 s12, s14
	s_waitcnt lgkmcnt(0)
	v_cmp_lt_f64_e64 vcc, |v[18:19]|, |v[28:29]|
	v_cndmask_b32_e32 v19, v19, v29, vcc
	v_cndmask_b32_e32 v18, v18, v28, vcc
	;; [unrolled: 1-line block ×3, first 2 shown]
	s_cbranch_scc1 .LBB12_31
.LBB12_32:
	v_cndmask_b32_e64 v27, 2, 1, s[0:1]
	v_cndmask_b32_e64 v28, 0, 1, s[0:1]
	;; [unrolled: 1-line block ×3, first 2 shown]
	s_waitcnt lgkmcnt(0)
	v_cmp_eq_f64_e32 vcc, 0, v[18:19]
	s_and_saveexec_b64 s[0:1], vcc
	s_xor_b64 s[0:1], exec, s[0:1]
; %bb.33:
	v_cmp_ne_u32_e32 vcc, 0, v27
	v_cndmask_b32_e32 v27, 3, v27, vcc
; %bb.34:
	s_andn2_saveexec_b64 s[0:1], s[0:1]
; %bb.35:
	v_div_scale_f64 v[28:29], s[2:3], v[18:19], v[18:19], 1.0
	v_rcp_f64_e32 v[30:31], v[28:29]
	v_div_scale_f64 v[32:33], vcc, 1.0, v[18:19], 1.0
	v_fma_f64 v[34:35], -v[28:29], v[30:31], 1.0
	v_fmac_f64_e32 v[30:31], v[30:31], v[34:35]
	v_fma_f64 v[34:35], -v[28:29], v[30:31], 1.0
	v_fmac_f64_e32 v[30:31], v[30:31], v[34:35]
	v_mul_f64 v[34:35], v[32:33], v[30:31]
	v_fma_f64 v[28:29], -v[28:29], v[34:35], v[32:33]
	v_div_fmas_f64 v[28:29], v[28:29], v[30:31], v[34:35]
	v_div_fixup_f64 v[18:19], v[28:29], v[18:19], 1.0
; %bb.36:
	s_or_b64 exec, exec, s[0:1]
	v_cmp_ne_u32_e32 vcc, v26, v20
	s_and_saveexec_b64 s[0:1], vcc
	s_xor_b64 s[0:1], exec, s[0:1]
	s_cbranch_execz .LBB12_42
; %bb.37:
	v_cmp_eq_u32_e32 vcc, 2, v26
	s_and_saveexec_b64 s[2:3], vcc
	s_cbranch_execz .LBB12_41
; %bb.38:
	v_cmp_ne_u32_e32 vcc, 2, v20
	s_xor_b64 s[14:15], s[6:7], -1
	s_and_b64 s[16:17], s[14:15], vcc
	s_and_saveexec_b64 s[14:15], s[16:17]
	s_cbranch_execz .LBB12_40
; %bb.39:
	v_ashrrev_i32_e32 v21, 31, v20
	v_lshlrev_b64 v[28:29], 2, v[20:21]
	v_add_co_u32_e32 v28, vcc, v14, v28
	v_addc_co_u32_e32 v29, vcc, v15, v29, vcc
	flat_load_dword v21, v[28:29]
	flat_load_dword v26, v[14:15] offset:8
	s_waitcnt vmcnt(0) lgkmcnt(0)
	flat_store_dword v[14:15], v21 offset:8
	flat_store_dword v[28:29], v26
.LBB12_40:
	s_or_b64 exec, exec, s[14:15]
	v_mov_b32_e32 v21, v20
	v_mov_b32_e32 v26, v20
.LBB12_41:
	s_or_b64 exec, exec, s[2:3]
.LBB12_42:
	s_andn2_saveexec_b64 s[0:1], s[0:1]
	s_cbranch_execz .LBB12_44
; %bb.43:
	v_mov_b32_e32 v26, 2
	ds_write2_b64 v22, v[0:1], v[12:13] offset0:3 offset1:4
	ds_write2_b64 v22, v[6:7], v[16:17] offset0:5 offset1:6
.LBB12_44:
	s_or_b64 exec, exec, s[0:1]
	v_cmp_lt_i32_e32 vcc, 2, v26
	s_waitcnt lgkmcnt(0)
	s_barrier
	s_and_saveexec_b64 s[0:1], vcc
	s_cbranch_execz .LBB12_46
; %bb.45:
	ds_read2_b64 v[28:31], v22 offset0:3 offset1:4
	ds_read2_b64 v[32:35], v22 offset0:5 offset1:6
	v_mul_f64 v[4:5], v[4:5], v[18:19]
	s_waitcnt lgkmcnt(0)
	v_fma_f64 v[0:1], -v[4:5], v[28:29], v[0:1]
	v_fma_f64 v[12:13], -v[4:5], v[30:31], v[12:13]
	;; [unrolled: 1-line block ×4, first 2 shown]
.LBB12_46:
	s_or_b64 exec, exec, s[0:1]
	v_lshl_add_u32 v18, v26, 3, v22
	s_barrier
	ds_write_b64 v18, v[0:1]
	s_waitcnt lgkmcnt(0)
	s_barrier
	ds_read_b64 v[18:19], v22 offset:24
	s_cmp_lt_i32 s12, 5
	v_mov_b32_e32 v20, 3
	s_cbranch_scc1 .LBB12_49
; %bb.47:
	v_add3_u32 v28, v23, 0, 32
	s_mov_b32 s0, 4
	v_mov_b32_e32 v20, 3
.LBB12_48:                              ; =>This Inner Loop Header: Depth=1
	ds_read_b64 v[30:31], v28
	v_mov_b32_e32 v29, s0
	s_add_i32 s0, s0, 1
	v_add_u32_e32 v28, 8, v28
	s_cmp_lg_u32 s12, s0
	s_waitcnt lgkmcnt(0)
	v_cmp_lt_f64_e64 vcc, |v[18:19]|, |v[30:31]|
	v_cndmask_b32_e32 v19, v19, v31, vcc
	v_cndmask_b32_e32 v18, v18, v30, vcc
	v_cndmask_b32_e32 v20, v20, v29, vcc
	s_cbranch_scc1 .LBB12_48
.LBB12_49:
	s_waitcnt lgkmcnt(0)
	v_cmp_eq_f64_e32 vcc, 0, v[18:19]
	s_and_saveexec_b64 s[0:1], vcc
	s_xor_b64 s[0:1], exec, s[0:1]
; %bb.50:
	v_cmp_ne_u32_e32 vcc, 0, v27
	v_cndmask_b32_e32 v27, 4, v27, vcc
; %bb.51:
	s_andn2_saveexec_b64 s[0:1], s[0:1]
; %bb.52:
	v_div_scale_f64 v[28:29], s[2:3], v[18:19], v[18:19], 1.0
	v_rcp_f64_e32 v[30:31], v[28:29]
	v_div_scale_f64 v[32:33], vcc, 1.0, v[18:19], 1.0
	v_fma_f64 v[34:35], -v[28:29], v[30:31], 1.0
	v_fmac_f64_e32 v[30:31], v[30:31], v[34:35]
	v_fma_f64 v[34:35], -v[28:29], v[30:31], 1.0
	v_fmac_f64_e32 v[30:31], v[30:31], v[34:35]
	v_mul_f64 v[34:35], v[32:33], v[30:31]
	v_fma_f64 v[28:29], -v[28:29], v[34:35], v[32:33]
	v_div_fmas_f64 v[28:29], v[28:29], v[30:31], v[34:35]
	v_div_fixup_f64 v[18:19], v[28:29], v[18:19], 1.0
; %bb.53:
	s_or_b64 exec, exec, s[0:1]
	v_cmp_ne_u32_e32 vcc, v26, v20
	s_and_saveexec_b64 s[0:1], vcc
	s_xor_b64 s[0:1], exec, s[0:1]
	s_cbranch_execz .LBB12_59
; %bb.54:
	v_cmp_eq_u32_e32 vcc, 3, v26
	s_and_saveexec_b64 s[2:3], vcc
	s_cbranch_execz .LBB12_58
; %bb.55:
	v_cmp_ne_u32_e32 vcc, 3, v20
	s_xor_b64 s[14:15], s[6:7], -1
	s_and_b64 s[16:17], s[14:15], vcc
	s_and_saveexec_b64 s[14:15], s[16:17]
	s_cbranch_execz .LBB12_57
; %bb.56:
	v_ashrrev_i32_e32 v21, 31, v20
	v_lshlrev_b64 v[28:29], 2, v[20:21]
	v_add_co_u32_e32 v28, vcc, v14, v28
	v_addc_co_u32_e32 v29, vcc, v15, v29, vcc
	flat_load_dword v21, v[28:29]
	flat_load_dword v26, v[14:15] offset:12
	s_waitcnt vmcnt(0) lgkmcnt(0)
	flat_store_dword v[14:15], v21 offset:12
	flat_store_dword v[28:29], v26
.LBB12_57:
	s_or_b64 exec, exec, s[14:15]
	v_mov_b32_e32 v21, v20
	v_mov_b32_e32 v26, v20
.LBB12_58:
	s_or_b64 exec, exec, s[2:3]
.LBB12_59:
	s_andn2_saveexec_b64 s[0:1], s[0:1]
	s_cbranch_execz .LBB12_61
; %bb.60:
	v_mov_b32_e32 v26, 3
	ds_write2_b64 v22, v[12:13], v[6:7] offset0:4 offset1:5
	ds_write_b64 v22, v[16:17] offset:48
.LBB12_61:
	s_or_b64 exec, exec, s[0:1]
	v_cmp_lt_i32_e32 vcc, 3, v26
	s_waitcnt lgkmcnt(0)
	s_barrier
	s_and_saveexec_b64 s[0:1], vcc
	s_cbranch_execz .LBB12_63
; %bb.62:
	ds_read2_b64 v[28:31], v22 offset0:4 offset1:5
	ds_read_b64 v[32:33], v22 offset:48
	v_mul_f64 v[0:1], v[0:1], v[18:19]
	s_waitcnt lgkmcnt(0)
	v_fma_f64 v[12:13], -v[0:1], v[28:29], v[12:13]
	v_fma_f64 v[6:7], -v[0:1], v[30:31], v[6:7]
	;; [unrolled: 1-line block ×3, first 2 shown]
.LBB12_63:
	s_or_b64 exec, exec, s[0:1]
	v_lshl_add_u32 v18, v26, 3, v22
	s_barrier
	ds_write_b64 v18, v[12:13]
	s_waitcnt lgkmcnt(0)
	s_barrier
	ds_read_b64 v[18:19], v22 offset:32
	s_cmp_lt_i32 s12, 6
	v_mov_b32_e32 v20, 4
	s_cbranch_scc1 .LBB12_66
; %bb.64:
	v_add3_u32 v28, v23, 0, 40
	s_mov_b32 s0, 5
	v_mov_b32_e32 v20, 4
.LBB12_65:                              ; =>This Inner Loop Header: Depth=1
	ds_read_b64 v[30:31], v28
	v_mov_b32_e32 v29, s0
	s_add_i32 s0, s0, 1
	v_add_u32_e32 v28, 8, v28
	s_cmp_lg_u32 s12, s0
	s_waitcnt lgkmcnt(0)
	v_cmp_lt_f64_e64 vcc, |v[18:19]|, |v[30:31]|
	v_cndmask_b32_e32 v19, v19, v31, vcc
	v_cndmask_b32_e32 v18, v18, v30, vcc
	;; [unrolled: 1-line block ×3, first 2 shown]
	s_cbranch_scc1 .LBB12_65
.LBB12_66:
	s_waitcnt lgkmcnt(0)
	v_cmp_eq_f64_e32 vcc, 0, v[18:19]
	s_and_saveexec_b64 s[0:1], vcc
	s_xor_b64 s[0:1], exec, s[0:1]
; %bb.67:
	v_cmp_ne_u32_e32 vcc, 0, v27
	v_cndmask_b32_e32 v27, 5, v27, vcc
; %bb.68:
	s_andn2_saveexec_b64 s[0:1], s[0:1]
; %bb.69:
	v_div_scale_f64 v[28:29], s[2:3], v[18:19], v[18:19], 1.0
	v_rcp_f64_e32 v[30:31], v[28:29]
	v_div_scale_f64 v[32:33], vcc, 1.0, v[18:19], 1.0
	v_fma_f64 v[34:35], -v[28:29], v[30:31], 1.0
	v_fmac_f64_e32 v[30:31], v[30:31], v[34:35]
	v_fma_f64 v[34:35], -v[28:29], v[30:31], 1.0
	v_fmac_f64_e32 v[30:31], v[30:31], v[34:35]
	v_mul_f64 v[34:35], v[32:33], v[30:31]
	v_fma_f64 v[28:29], -v[28:29], v[34:35], v[32:33]
	v_div_fmas_f64 v[28:29], v[28:29], v[30:31], v[34:35]
	v_div_fixup_f64 v[18:19], v[28:29], v[18:19], 1.0
; %bb.70:
	s_or_b64 exec, exec, s[0:1]
	v_cmp_ne_u32_e32 vcc, v26, v20
	s_and_saveexec_b64 s[0:1], vcc
	s_xor_b64 s[0:1], exec, s[0:1]
	s_cbranch_execz .LBB12_76
; %bb.71:
	v_cmp_eq_u32_e32 vcc, 4, v26
	s_and_saveexec_b64 s[2:3], vcc
	s_cbranch_execz .LBB12_75
; %bb.72:
	v_cmp_ne_u32_e32 vcc, 4, v20
	s_xor_b64 s[14:15], s[6:7], -1
	s_and_b64 s[16:17], s[14:15], vcc
	s_and_saveexec_b64 s[14:15], s[16:17]
	s_cbranch_execz .LBB12_74
; %bb.73:
	v_ashrrev_i32_e32 v21, 31, v20
	v_lshlrev_b64 v[28:29], 2, v[20:21]
	v_add_co_u32_e32 v28, vcc, v14, v28
	v_addc_co_u32_e32 v29, vcc, v15, v29, vcc
	flat_load_dword v21, v[28:29]
	flat_load_dword v26, v[14:15] offset:16
	s_waitcnt vmcnt(0) lgkmcnt(0)
	flat_store_dword v[14:15], v21 offset:16
	flat_store_dword v[28:29], v26
.LBB12_74:
	s_or_b64 exec, exec, s[14:15]
	v_mov_b32_e32 v21, v20
	v_mov_b32_e32 v26, v20
.LBB12_75:
	s_or_b64 exec, exec, s[2:3]
.LBB12_76:
	s_andn2_saveexec_b64 s[0:1], s[0:1]
	s_cbranch_execz .LBB12_78
; %bb.77:
	v_mov_b32_e32 v26, 4
	ds_write2_b64 v22, v[6:7], v[16:17] offset0:5 offset1:6
.LBB12_78:
	s_or_b64 exec, exec, s[0:1]
	v_cmp_lt_i32_e32 vcc, 4, v26
	s_waitcnt lgkmcnt(0)
	s_barrier
	s_and_saveexec_b64 s[0:1], vcc
	s_cbranch_execz .LBB12_80
; %bb.79:
	ds_read2_b64 v[28:31], v22 offset0:5 offset1:6
	v_mul_f64 v[12:13], v[12:13], v[18:19]
	s_waitcnt lgkmcnt(0)
	v_fma_f64 v[6:7], -v[12:13], v[28:29], v[6:7]
	v_fma_f64 v[16:17], -v[12:13], v[30:31], v[16:17]
.LBB12_80:
	s_or_b64 exec, exec, s[0:1]
	v_lshl_add_u32 v18, v26, 3, v22
	s_barrier
	ds_write_b64 v18, v[6:7]
	s_waitcnt lgkmcnt(0)
	s_barrier
	ds_read_b64 v[18:19], v22 offset:40
	s_cmp_lt_i32 s12, 7
	v_mov_b32_e32 v20, 5
	s_cbranch_scc1 .LBB12_83
; %bb.81:
	v_add3_u32 v28, v23, 0, 48
	s_mov_b32 s0, 6
	v_mov_b32_e32 v20, 5
.LBB12_82:                              ; =>This Inner Loop Header: Depth=1
	ds_read_b64 v[30:31], v28
	v_mov_b32_e32 v29, s0
	s_add_i32 s0, s0, 1
	v_add_u32_e32 v28, 8, v28
	s_cmp_lg_u32 s12, s0
	s_waitcnt lgkmcnt(0)
	v_cmp_lt_f64_e64 vcc, |v[18:19]|, |v[30:31]|
	v_cndmask_b32_e32 v19, v19, v31, vcc
	v_cndmask_b32_e32 v18, v18, v30, vcc
	;; [unrolled: 1-line block ×3, first 2 shown]
	s_cbranch_scc1 .LBB12_82
.LBB12_83:
	s_waitcnt lgkmcnt(0)
	v_cmp_eq_f64_e32 vcc, 0, v[18:19]
	s_and_saveexec_b64 s[0:1], vcc
	s_xor_b64 s[0:1], exec, s[0:1]
; %bb.84:
	v_cmp_ne_u32_e32 vcc, 0, v27
	v_cndmask_b32_e32 v27, 6, v27, vcc
; %bb.85:
	s_andn2_saveexec_b64 s[0:1], s[0:1]
; %bb.86:
	v_div_scale_f64 v[28:29], s[2:3], v[18:19], v[18:19], 1.0
	v_rcp_f64_e32 v[30:31], v[28:29]
	v_div_scale_f64 v[32:33], vcc, 1.0, v[18:19], 1.0
	v_fma_f64 v[34:35], -v[28:29], v[30:31], 1.0
	v_fmac_f64_e32 v[30:31], v[30:31], v[34:35]
	v_fma_f64 v[34:35], -v[28:29], v[30:31], 1.0
	v_fmac_f64_e32 v[30:31], v[30:31], v[34:35]
	v_mul_f64 v[34:35], v[32:33], v[30:31]
	v_fma_f64 v[28:29], -v[28:29], v[34:35], v[32:33]
	v_div_fmas_f64 v[28:29], v[28:29], v[30:31], v[34:35]
	v_div_fixup_f64 v[18:19], v[28:29], v[18:19], 1.0
; %bb.87:
	s_or_b64 exec, exec, s[0:1]
	v_cmp_ne_u32_e32 vcc, v26, v20
	s_and_saveexec_b64 s[0:1], vcc
	s_xor_b64 s[0:1], exec, s[0:1]
	s_cbranch_execz .LBB12_93
; %bb.88:
	v_cmp_eq_u32_e32 vcc, 5, v26
	s_and_saveexec_b64 s[2:3], vcc
	s_cbranch_execz .LBB12_92
; %bb.89:
	v_cmp_ne_u32_e32 vcc, 5, v20
	s_xor_b64 s[14:15], s[6:7], -1
	s_and_b64 s[16:17], s[14:15], vcc
	s_and_saveexec_b64 s[14:15], s[16:17]
	s_cbranch_execz .LBB12_91
; %bb.90:
	v_ashrrev_i32_e32 v21, 31, v20
	v_lshlrev_b64 v[28:29], 2, v[20:21]
	v_add_co_u32_e32 v28, vcc, v14, v28
	v_addc_co_u32_e32 v29, vcc, v15, v29, vcc
	flat_load_dword v21, v[28:29]
	flat_load_dword v26, v[14:15] offset:20
	s_waitcnt vmcnt(0) lgkmcnt(0)
	flat_store_dword v[14:15], v21 offset:20
	flat_store_dword v[28:29], v26
.LBB12_91:
	s_or_b64 exec, exec, s[14:15]
	v_mov_b32_e32 v21, v20
	v_mov_b32_e32 v26, v20
.LBB12_92:
	s_or_b64 exec, exec, s[2:3]
.LBB12_93:
	s_andn2_saveexec_b64 s[0:1], s[0:1]
	s_cbranch_execz .LBB12_95
; %bb.94:
	v_mov_b32_e32 v26, 5
	ds_write_b64 v22, v[16:17] offset:48
.LBB12_95:
	s_or_b64 exec, exec, s[0:1]
	v_cmp_lt_i32_e32 vcc, 5, v26
	s_waitcnt lgkmcnt(0)
	s_barrier
	s_and_saveexec_b64 s[0:1], vcc
	s_cbranch_execz .LBB12_97
; %bb.96:
	ds_read_b64 v[28:29], v22 offset:48
	v_mul_f64 v[6:7], v[6:7], v[18:19]
	s_waitcnt lgkmcnt(0)
	v_fma_f64 v[16:17], -v[6:7], v[28:29], v[16:17]
.LBB12_97:
	s_or_b64 exec, exec, s[0:1]
	v_lshl_add_u32 v18, v26, 3, v22
	s_barrier
	ds_write_b64 v18, v[16:17]
	s_waitcnt lgkmcnt(0)
	s_barrier
	ds_read_b64 v[18:19], v22 offset:48
	s_cmp_lt_i32 s12, 8
	v_mov_b32_e32 v20, 6
	s_cbranch_scc1 .LBB12_100
; %bb.98:
	v_add3_u32 v22, v23, 0, 56
	s_mov_b32 s0, 7
	v_mov_b32_e32 v20, 6
.LBB12_99:                              ; =>This Inner Loop Header: Depth=1
	ds_read_b64 v[28:29], v22
	v_mov_b32_e32 v23, s0
	s_add_i32 s0, s0, 1
	v_add_u32_e32 v22, 8, v22
	s_cmp_lg_u32 s12, s0
	s_waitcnt lgkmcnt(0)
	v_cmp_lt_f64_e64 vcc, |v[18:19]|, |v[28:29]|
	v_cndmask_b32_e32 v19, v19, v29, vcc
	v_cndmask_b32_e32 v18, v18, v28, vcc
	;; [unrolled: 1-line block ×3, first 2 shown]
	s_cbranch_scc1 .LBB12_99
.LBB12_100:
	s_waitcnt lgkmcnt(0)
	v_cmp_eq_f64_e32 vcc, 0, v[18:19]
	s_and_saveexec_b64 s[0:1], vcc
	s_xor_b64 s[0:1], exec, s[0:1]
; %bb.101:
	v_cmp_ne_u32_e32 vcc, 0, v27
	v_cndmask_b32_e32 v27, 7, v27, vcc
; %bb.102:
	s_andn2_saveexec_b64 s[0:1], s[0:1]
; %bb.103:
	v_div_scale_f64 v[22:23], s[2:3], v[18:19], v[18:19], 1.0
	v_rcp_f64_e32 v[28:29], v[22:23]
	v_div_scale_f64 v[30:31], vcc, 1.0, v[18:19], 1.0
	v_fma_f64 v[32:33], -v[22:23], v[28:29], 1.0
	v_fmac_f64_e32 v[28:29], v[28:29], v[32:33]
	v_fma_f64 v[32:33], -v[22:23], v[28:29], 1.0
	v_fmac_f64_e32 v[28:29], v[28:29], v[32:33]
	v_mul_f64 v[32:33], v[30:31], v[28:29]
	v_fma_f64 v[22:23], -v[22:23], v[32:33], v[30:31]
	v_div_fmas_f64 v[22:23], v[22:23], v[28:29], v[32:33]
	v_div_fixup_f64 v[18:19], v[22:23], v[18:19], 1.0
; %bb.104:
	s_or_b64 exec, exec, s[0:1]
	v_cmp_ne_u32_e32 vcc, v26, v20
	v_mov_b32_e32 v22, 6
	s_and_saveexec_b64 s[0:1], vcc
	s_cbranch_execz .LBB12_110
; %bb.105:
	v_cmp_eq_u32_e32 vcc, 6, v26
	s_and_saveexec_b64 s[2:3], vcc
	s_cbranch_execz .LBB12_109
; %bb.106:
	v_cmp_ne_u32_e32 vcc, 6, v20
	s_xor_b64 s[6:7], s[6:7], -1
	s_and_b64 s[14:15], s[6:7], vcc
	s_and_saveexec_b64 s[6:7], s[14:15]
	s_cbranch_execz .LBB12_108
; %bb.107:
	v_ashrrev_i32_e32 v21, 31, v20
	v_lshlrev_b64 v[22:23], 2, v[20:21]
	v_add_co_u32_e32 v22, vcc, v14, v22
	v_addc_co_u32_e32 v23, vcc, v15, v23, vcc
	flat_load_dword v21, v[22:23]
	flat_load_dword v26, v[14:15] offset:24
	s_waitcnt vmcnt(0) lgkmcnt(0)
	flat_store_dword v[14:15], v21 offset:24
	flat_store_dword v[22:23], v26
.LBB12_108:
	s_or_b64 exec, exec, s[6:7]
	v_mov_b32_e32 v21, v20
	v_mov_b32_e32 v26, v20
.LBB12_109:
	s_or_b64 exec, exec, s[2:3]
	v_mov_b32_e32 v22, v26
.LBB12_110:
	s_or_b64 exec, exec, s[0:1]
	s_load_dwordx8 s[0:7], s[4:5], 0x28
	v_cmp_gt_i32_e32 vcc, 7, v22
	v_ashrrev_i32_e32 v23, 31, v22
	s_waitcnt lgkmcnt(0)
	s_barrier
	s_barrier
	s_and_saveexec_b64 s[14:15], vcc
	s_cbranch_execz .LBB12_112
; %bb.111:
	v_mul_lo_u32 v20, v3, s4
	v_mul_lo_u32 v26, v2, s5
	v_mad_u64_u32 v[14:15], s[4:5], v2, s4, 0
	s_lshl_b64 s[2:3], s[2:3], 2
	v_add3_u32 v15, v15, v26, v20
	s_add_u32 s0, s2, s0
	v_lshlrev_b64 v[14:15], 2, v[14:15]
	s_addc_u32 s1, s3, s1
	v_mov_b32_e32 v20, s1
	v_add_co_u32_e32 v26, vcc, s0, v14
	v_addc_co_u32_e32 v20, vcc, v20, v15, vcc
	v_lshlrev_b64 v[14:15], 2, v[22:23]
	v_add_co_u32_e32 v14, vcc, v26, v14
	v_addc_co_u32_e32 v15, vcc, v20, v15, vcc
	v_add3_u32 v20, v21, s13, 1
	global_store_dword v[14:15], v20, off
.LBB12_112:
	s_or_b64 exec, exec, s[14:15]
	v_cmp_eq_u32_e32 vcc, 0, v22
	s_and_saveexec_b64 s[2:3], vcc
	s_cbranch_execz .LBB12_115
; %bb.113:
	v_lshlrev_b64 v[2:3], 2, v[2:3]
	v_mov_b32_e32 v14, s7
	v_add_co_u32_e32 v2, vcc, s6, v2
	v_addc_co_u32_e32 v3, vcc, v14, v3, vcc
	global_load_dword v14, v[2:3], off
	v_cmp_lt_i32_e64 s[0:1], 0, v27
	s_waitcnt vmcnt(0)
	v_cmp_eq_u32_e32 vcc, 0, v14
	s_and_b64 s[0:1], vcc, s[0:1]
	s_and_b64 exec, exec, s[0:1]
	s_cbranch_execz .LBB12_115
; %bb.114:
	v_add_u32_e32 v14, s13, v27
	global_store_dword v[2:3], v14, off
.LBB12_115:
	s_or_b64 exec, exec, s[2:3]
	v_mul_f64 v[2:3], v[16:17], v[18:19]
	v_cmp_lt_i32_e32 vcc, 6, v22
	v_lshlrev_b64 v[14:15], 3, v[22:23]
	v_cndmask_b32_e32 v3, v17, v3, vcc
	v_cndmask_b32_e32 v2, v16, v2, vcc
	v_add_co_u32_e32 v14, vcc, v24, v14
	v_addc_co_u32_e32 v15, vcc, v25, v15, vcc
	global_store_dwordx2 v[14:15], v[10:11], off
	v_mov_b32_e32 v11, s11
	v_add_co_u32_e32 v10, vcc, s10, v14
	v_addc_co_u32_e32 v11, vcc, v15, v11, vcc
	global_store_dwordx2 v[10:11], v[8:9], off
	v_add_u32_e32 v8, s9, v22
	v_ashrrev_i32_e32 v9, 31, v8
	v_lshlrev_b64 v[10:11], 3, v[8:9]
	v_add_co_u32_e32 v10, vcc, v24, v10
	v_addc_co_u32_e32 v11, vcc, v25, v11, vcc
	global_store_dwordx2 v[10:11], v[4:5], off
	v_add_u32_e32 v4, s8, v8
	v_ashrrev_i32_e32 v5, 31, v4
	v_lshlrev_b64 v[8:9], 3, v[4:5]
	;; [unrolled: 6-line block ×3, first 2 shown]
	v_add_co_u32_e32 v4, vcc, v24, v4
	v_add_u32_e32 v0, s8, v0
	v_addc_co_u32_e32 v5, vcc, v25, v5, vcc
	v_ashrrev_i32_e32 v1, 31, v0
	global_store_dwordx2 v[4:5], v[12:13], off
	v_lshlrev_b64 v[4:5], 3, v[0:1]
	v_add_u32_e32 v0, s8, v0
	v_add_co_u32_e32 v4, vcc, v24, v4
	v_ashrrev_i32_e32 v1, 31, v0
	v_addc_co_u32_e32 v5, vcc, v25, v5, vcc
	v_lshlrev_b64 v[0:1], 3, v[0:1]
	v_add_co_u32_e32 v0, vcc, v24, v0
	v_addc_co_u32_e32 v1, vcc, v25, v1, vcc
	global_store_dwordx2 v[4:5], v[6:7], off
	global_store_dwordx2 v[0:1], v[2:3], off
.LBB12_116:
	s_endpgm
	.section	.rodata,"a",@progbits
	.p2align	6, 0x0
	.amdhsa_kernel _ZN9rocsolver6v33100L18getf2_small_kernelILi7EdiiPKPdEEvT1_T3_lS5_lPS5_llPT2_S5_S5_S7_l
		.amdhsa_group_segment_fixed_size 0
		.amdhsa_private_segment_fixed_size 0
		.amdhsa_kernarg_size 352
		.amdhsa_user_sgpr_count 6
		.amdhsa_user_sgpr_private_segment_buffer 1
		.amdhsa_user_sgpr_dispatch_ptr 0
		.amdhsa_user_sgpr_queue_ptr 0
		.amdhsa_user_sgpr_kernarg_segment_ptr 1
		.amdhsa_user_sgpr_dispatch_id 0
		.amdhsa_user_sgpr_flat_scratch_init 0
		.amdhsa_user_sgpr_kernarg_preload_length 0
		.amdhsa_user_sgpr_kernarg_preload_offset 0
		.amdhsa_user_sgpr_private_segment_size 0
		.amdhsa_uses_dynamic_stack 0
		.amdhsa_system_sgpr_private_segment_wavefront_offset 0
		.amdhsa_system_sgpr_workgroup_id_x 1
		.amdhsa_system_sgpr_workgroup_id_y 1
		.amdhsa_system_sgpr_workgroup_id_z 0
		.amdhsa_system_sgpr_workgroup_info 0
		.amdhsa_system_vgpr_workitem_id 1
		.amdhsa_next_free_vgpr 40
		.amdhsa_next_free_sgpr 20
		.amdhsa_accum_offset 40
		.amdhsa_reserve_vcc 1
		.amdhsa_reserve_flat_scratch 0
		.amdhsa_float_round_mode_32 0
		.amdhsa_float_round_mode_16_64 0
		.amdhsa_float_denorm_mode_32 3
		.amdhsa_float_denorm_mode_16_64 3
		.amdhsa_dx10_clamp 1
		.amdhsa_ieee_mode 1
		.amdhsa_fp16_overflow 0
		.amdhsa_tg_split 0
		.amdhsa_exception_fp_ieee_invalid_op 0
		.amdhsa_exception_fp_denorm_src 0
		.amdhsa_exception_fp_ieee_div_zero 0
		.amdhsa_exception_fp_ieee_overflow 0
		.amdhsa_exception_fp_ieee_underflow 0
		.amdhsa_exception_fp_ieee_inexact 0
		.amdhsa_exception_int_div_zero 0
	.end_amdhsa_kernel
	.section	.text._ZN9rocsolver6v33100L18getf2_small_kernelILi7EdiiPKPdEEvT1_T3_lS5_lPS5_llPT2_S5_S5_S7_l,"axG",@progbits,_ZN9rocsolver6v33100L18getf2_small_kernelILi7EdiiPKPdEEvT1_T3_lS5_lPS5_llPT2_S5_S5_S7_l,comdat
.Lfunc_end12:
	.size	_ZN9rocsolver6v33100L18getf2_small_kernelILi7EdiiPKPdEEvT1_T3_lS5_lPS5_llPT2_S5_S5_S7_l, .Lfunc_end12-_ZN9rocsolver6v33100L18getf2_small_kernelILi7EdiiPKPdEEvT1_T3_lS5_lPS5_llPT2_S5_S5_S7_l
                                        ; -- End function
	.section	.AMDGPU.csdata,"",@progbits
; Kernel info:
; codeLenInByte = 4024
; NumSgprs: 24
; NumVgprs: 40
; NumAgprs: 0
; TotalNumVgprs: 40
; ScratchSize: 0
; MemoryBound: 0
; FloatMode: 240
; IeeeMode: 1
; LDSByteSize: 0 bytes/workgroup (compile time only)
; SGPRBlocks: 2
; VGPRBlocks: 4
; NumSGPRsForWavesPerEU: 24
; NumVGPRsForWavesPerEU: 40
; AccumOffset: 40
; Occupancy: 8
; WaveLimiterHint : 1
; COMPUTE_PGM_RSRC2:SCRATCH_EN: 0
; COMPUTE_PGM_RSRC2:USER_SGPR: 6
; COMPUTE_PGM_RSRC2:TRAP_HANDLER: 0
; COMPUTE_PGM_RSRC2:TGID_X_EN: 1
; COMPUTE_PGM_RSRC2:TGID_Y_EN: 1
; COMPUTE_PGM_RSRC2:TGID_Z_EN: 0
; COMPUTE_PGM_RSRC2:TIDIG_COMP_CNT: 1
; COMPUTE_PGM_RSRC3_GFX90A:ACCUM_OFFSET: 9
; COMPUTE_PGM_RSRC3_GFX90A:TG_SPLIT: 0
	.section	.text._ZN9rocsolver6v33100L23getf2_npvt_small_kernelILi7EdiiPKPdEEvT1_T3_lS5_lPT2_S5_S5_,"axG",@progbits,_ZN9rocsolver6v33100L23getf2_npvt_small_kernelILi7EdiiPKPdEEvT1_T3_lS5_lPT2_S5_S5_,comdat
	.globl	_ZN9rocsolver6v33100L23getf2_npvt_small_kernelILi7EdiiPKPdEEvT1_T3_lS5_lPT2_S5_S5_ ; -- Begin function _ZN9rocsolver6v33100L23getf2_npvt_small_kernelILi7EdiiPKPdEEvT1_T3_lS5_lPT2_S5_S5_
	.p2align	8
	.type	_ZN9rocsolver6v33100L23getf2_npvt_small_kernelILi7EdiiPKPdEEvT1_T3_lS5_lPT2_S5_S5_,@function
_ZN9rocsolver6v33100L23getf2_npvt_small_kernelILi7EdiiPKPdEEvT1_T3_lS5_lPT2_S5_S5_: ; @_ZN9rocsolver6v33100L23getf2_npvt_small_kernelILi7EdiiPKPdEEvT1_T3_lS5_lPT2_S5_S5_
; %bb.0:
	s_load_dword s0, s[4:5], 0x44
	s_load_dwordx2 s[12:13], s[4:5], 0x30
	v_bfe_u32 v30, v0, 10, 10
	s_waitcnt lgkmcnt(0)
	s_lshr_b32 s0, s0, 16
	s_mul_i32 s7, s7, s0
	v_add_u32_e32 v2, s7, v30
	v_cmp_gt_i32_e32 vcc, s12, v2
	s_and_saveexec_b64 s[2:3], vcc
	s_cbranch_execz .LBB13_39
; %bb.1:
	s_load_dwordx4 s[8:11], s[4:5], 0x8
	s_load_dword s2, s[4:5], 0x18
	v_ashrrev_i32_e32 v3, 31, v2
	v_lshlrev_b64 v[4:5], 3, v[2:3]
	v_and_b32_e32 v44, 0x3ff, v0
	s_waitcnt lgkmcnt(0)
	v_mov_b32_e32 v1, s9
	v_add_co_u32_e32 v4, vcc, s8, v4
	v_addc_co_u32_e32 v5, vcc, v1, v5, vcc
	global_load_dwordx2 v[4:5], v[4:5], off
	s_add_i32 s1, s2, s2
	v_add_u32_e32 v0, s1, v44
	v_ashrrev_i32_e32 v1, 31, v0
	v_add_u32_e32 v6, s2, v0
	v_lshlrev_b64 v[8:9], 3, v[0:1]
	v_add_u32_e32 v0, s2, v6
	s_lshl_b64 s[6:7], s[10:11], 3
	v_ashrrev_i32_e32 v1, 31, v0
	v_add_u32_e32 v10, s2, v0
	v_mov_b32_e32 v17, s7
	v_lshlrev_b64 v[12:13], 3, v[0:1]
	v_add_u32_e32 v0, s2, v10
	v_lshlrev_b32_e32 v16, 3, v44
	v_ashrrev_i32_e32 v1, 31, v0
	v_lshlrev_b64 v[14:15], 3, v[0:1]
	v_ashrrev_i32_e32 v7, 31, v6
	v_lshlrev_b64 v[6:7], 3, v[6:7]
	;; [unrolled: 2-line block ×3, first 2 shown]
	s_ashr_i32 s3, s2, 31
	s_lshl_b64 s[8:9], s[2:3], 3
	v_mov_b32_e32 v18, s9
	s_mul_i32 s0, s0, 56
	v_mul_u32_u24_e32 v31, 56, v30
	s_add_i32 s0, s0, 0
	v_lshl_add_u32 v42, v30, 3, s0
	v_cmp_ne_u32_e64 s[2:3], 0, v44
	v_cmp_eq_u32_e64 s[0:1], 0, v44
	v_add_u32_e32 v43, 0, v31
	s_waitcnt vmcnt(0)
	v_add_co_u32_e32 v19, vcc, s6, v4
	v_addc_co_u32_e32 v17, vcc, v5, v17, vcc
	v_add_co_u32_e32 v0, vcc, v19, v16
	v_addc_co_u32_e32 v1, vcc, 0, v17, vcc
	;; [unrolled: 2-line block ×8, first 2 shown]
	global_load_dwordx2 v[16:17], v[0:1], off
	global_load_dwordx2 v[18:19], v[14:15], off
	;; [unrolled: 1-line block ×7, first 2 shown]
	s_and_saveexec_b64 s[6:7], s[0:1]
	s_cbranch_execz .LBB13_4
; %bb.2:
	s_waitcnt vmcnt(6)
	ds_write_b64 v42, v[16:17]
	s_waitcnt vmcnt(4)
	ds_write2_b64 v43, v[18:19], v[20:21] offset0:1 offset1:2
	s_waitcnt vmcnt(2)
	ds_write2_b64 v43, v[22:23], v[24:25] offset0:3 offset1:4
	;; [unrolled: 2-line block ×3, first 2 shown]
	ds_read_b64 v[30:31], v42
	s_waitcnt lgkmcnt(0)
	v_cmp_neq_f64_e32 vcc, 0, v[30:31]
	s_and_b64 exec, exec, vcc
	s_cbranch_execz .LBB13_4
; %bb.3:
	v_div_scale_f64 v[32:33], s[8:9], v[30:31], v[30:31], 1.0
	v_rcp_f64_e32 v[34:35], v[32:33]
	v_div_scale_f64 v[36:37], vcc, 1.0, v[30:31], 1.0
	v_fma_f64 v[38:39], -v[32:33], v[34:35], 1.0
	v_fmac_f64_e32 v[34:35], v[34:35], v[38:39]
	v_fma_f64 v[38:39], -v[32:33], v[34:35], 1.0
	v_fmac_f64_e32 v[34:35], v[34:35], v[38:39]
	v_mul_f64 v[38:39], v[36:37], v[34:35]
	v_fma_f64 v[32:33], -v[32:33], v[38:39], v[36:37]
	v_div_fmas_f64 v[32:33], v[32:33], v[34:35], v[38:39]
	v_div_fixup_f64 v[30:31], v[32:33], v[30:31], 1.0
	ds_write_b64 v42, v[30:31]
.LBB13_4:
	s_or_b64 exec, exec, s[6:7]
	s_waitcnt lgkmcnt(0)
	s_barrier
	ds_read_b64 v[30:31], v42
	s_and_saveexec_b64 s[6:7], s[2:3]
	s_cbranch_execz .LBB13_6
; %bb.5:
	ds_read2_b64 v[32:35], v43 offset0:1 offset1:2
	ds_read2_b64 v[36:39], v43 offset0:3 offset1:4
	;; [unrolled: 1-line block ×3, first 2 shown]
	s_waitcnt vmcnt(6) lgkmcnt(3)
	v_mul_f64 v[16:17], v[16:17], v[30:31]
	s_waitcnt vmcnt(5) lgkmcnt(2)
	v_fma_f64 v[18:19], -v[16:17], v[32:33], v[18:19]
	s_waitcnt vmcnt(4)
	v_fma_f64 v[20:21], -v[16:17], v[34:35], v[20:21]
	s_waitcnt vmcnt(3) lgkmcnt(1)
	v_fma_f64 v[22:23], -v[16:17], v[36:37], v[22:23]
	s_waitcnt vmcnt(2)
	v_fma_f64 v[24:25], -v[16:17], v[38:39], v[24:25]
	;; [unrolled: 4-line block ×3, first 2 shown]
.LBB13_6:
	s_or_b64 exec, exec, s[6:7]
	v_cmp_eq_u32_e32 vcc, 1, v44
	s_waitcnt lgkmcnt(0)
	s_barrier
	s_and_saveexec_b64 s[2:3], vcc
	s_cbranch_execz .LBB13_9
; %bb.7:
	s_waitcnt vmcnt(5)
	ds_write_b64 v42, v[18:19]
	s_waitcnt vmcnt(3)
	ds_write2_b64 v43, v[20:21], v[22:23] offset0:2 offset1:3
	s_waitcnt vmcnt(1)
	ds_write2_b64 v43, v[24:25], v[26:27] offset0:4 offset1:5
	s_waitcnt vmcnt(0)
	ds_write_b64 v43, v[28:29] offset:48
	ds_read_b64 v[32:33], v42
	s_waitcnt lgkmcnt(0)
	v_cmp_neq_f64_e32 vcc, 0, v[32:33]
	s_and_b64 exec, exec, vcc
	s_cbranch_execz .LBB13_9
; %bb.8:
	v_div_scale_f64 v[34:35], s[6:7], v[32:33], v[32:33], 1.0
	v_rcp_f64_e32 v[36:37], v[34:35]
	v_div_scale_f64 v[38:39], vcc, 1.0, v[32:33], 1.0
	v_fma_f64 v[40:41], -v[34:35], v[36:37], 1.0
	v_fmac_f64_e32 v[36:37], v[36:37], v[40:41]
	v_fma_f64 v[40:41], -v[34:35], v[36:37], 1.0
	v_fmac_f64_e32 v[36:37], v[36:37], v[40:41]
	v_mul_f64 v[40:41], v[38:39], v[36:37]
	v_fma_f64 v[34:35], -v[34:35], v[40:41], v[38:39]
	v_div_fmas_f64 v[34:35], v[34:35], v[36:37], v[40:41]
	v_div_fixup_f64 v[32:33], v[34:35], v[32:33], 1.0
	ds_write_b64 v42, v[32:33]
.LBB13_9:
	s_or_b64 exec, exec, s[2:3]
	s_waitcnt lgkmcnt(0)
	s_barrier
	ds_read_b64 v[32:33], v42
	v_cmp_lt_u32_e32 vcc, 1, v44
	s_and_saveexec_b64 s[2:3], vcc
	s_cbranch_execz .LBB13_11
; %bb.10:
	ds_read2_b64 v[34:37], v43 offset0:2 offset1:3
	ds_read2_b64 v[38:41], v43 offset0:4 offset1:5
	ds_read_b64 v[46:47], v43 offset:48
	s_waitcnt vmcnt(5) lgkmcnt(3)
	v_mul_f64 v[18:19], v[18:19], v[32:33]
	s_waitcnt vmcnt(4) lgkmcnt(2)
	v_fma_f64 v[20:21], -v[18:19], v[34:35], v[20:21]
	s_waitcnt vmcnt(3)
	v_fma_f64 v[22:23], -v[18:19], v[36:37], v[22:23]
	s_waitcnt vmcnt(2) lgkmcnt(1)
	v_fma_f64 v[24:25], -v[18:19], v[38:39], v[24:25]
	s_waitcnt vmcnt(1)
	v_fma_f64 v[26:27], -v[18:19], v[40:41], v[26:27]
	s_waitcnt vmcnt(0) lgkmcnt(0)
	v_fma_f64 v[28:29], -v[18:19], v[46:47], v[28:29]
.LBB13_11:
	s_or_b64 exec, exec, s[2:3]
	v_cmp_eq_u32_e32 vcc, 2, v44
	s_waitcnt lgkmcnt(0)
	s_barrier
	s_and_saveexec_b64 s[2:3], vcc
	s_cbranch_execz .LBB13_14
; %bb.12:
	s_waitcnt vmcnt(4)
	ds_write_b64 v42, v[20:21]
	s_waitcnt vmcnt(2)
	ds_write2_b64 v43, v[22:23], v[24:25] offset0:3 offset1:4
	s_waitcnt vmcnt(0)
	ds_write2_b64 v43, v[26:27], v[28:29] offset0:5 offset1:6
	ds_read_b64 v[34:35], v42
	s_waitcnt lgkmcnt(0)
	v_cmp_neq_f64_e32 vcc, 0, v[34:35]
	s_and_b64 exec, exec, vcc
	s_cbranch_execz .LBB13_14
; %bb.13:
	v_div_scale_f64 v[36:37], s[6:7], v[34:35], v[34:35], 1.0
	v_rcp_f64_e32 v[38:39], v[36:37]
	v_div_scale_f64 v[40:41], vcc, 1.0, v[34:35], 1.0
	v_fma_f64 v[46:47], -v[36:37], v[38:39], 1.0
	v_fmac_f64_e32 v[38:39], v[38:39], v[46:47]
	v_fma_f64 v[46:47], -v[36:37], v[38:39], 1.0
	v_fmac_f64_e32 v[38:39], v[38:39], v[46:47]
	v_mul_f64 v[46:47], v[40:41], v[38:39]
	v_fma_f64 v[36:37], -v[36:37], v[46:47], v[40:41]
	v_div_fmas_f64 v[36:37], v[36:37], v[38:39], v[46:47]
	v_div_fixup_f64 v[34:35], v[36:37], v[34:35], 1.0
	ds_write_b64 v42, v[34:35]
.LBB13_14:
	s_or_b64 exec, exec, s[2:3]
	s_waitcnt lgkmcnt(0)
	s_barrier
	ds_read_b64 v[34:35], v42
	v_cmp_lt_u32_e32 vcc, 2, v44
	s_and_saveexec_b64 s[2:3], vcc
	s_cbranch_execz .LBB13_16
; %bb.15:
	ds_read2_b64 v[36:39], v43 offset0:3 offset1:4
	ds_read2_b64 v[46:49], v43 offset0:5 offset1:6
	s_waitcnt vmcnt(4) lgkmcnt(2)
	v_mul_f64 v[20:21], v[20:21], v[34:35]
	s_waitcnt vmcnt(3) lgkmcnt(1)
	v_fma_f64 v[22:23], -v[20:21], v[36:37], v[22:23]
	s_waitcnt vmcnt(2)
	v_fma_f64 v[24:25], -v[20:21], v[38:39], v[24:25]
	s_waitcnt vmcnt(1) lgkmcnt(0)
	v_fma_f64 v[26:27], -v[20:21], v[46:47], v[26:27]
	s_waitcnt vmcnt(0)
	v_fma_f64 v[28:29], -v[20:21], v[48:49], v[28:29]
.LBB13_16:
	s_or_b64 exec, exec, s[2:3]
	v_cmp_eq_u32_e32 vcc, 3, v44
	s_waitcnt lgkmcnt(0)
	s_barrier
	s_and_saveexec_b64 s[2:3], vcc
	s_cbranch_execz .LBB13_19
; %bb.17:
	s_waitcnt vmcnt(3)
	ds_write_b64 v42, v[22:23]
	s_waitcnt vmcnt(1)
	ds_write2_b64 v43, v[24:25], v[26:27] offset0:4 offset1:5
	s_waitcnt vmcnt(0)
	ds_write_b64 v43, v[28:29] offset:48
	ds_read_b64 v[36:37], v42
	s_waitcnt lgkmcnt(0)
	v_cmp_neq_f64_e32 vcc, 0, v[36:37]
	s_and_b64 exec, exec, vcc
	s_cbranch_execz .LBB13_19
; %bb.18:
	v_div_scale_f64 v[38:39], s[6:7], v[36:37], v[36:37], 1.0
	v_rcp_f64_e32 v[40:41], v[38:39]
	v_div_scale_f64 v[46:47], vcc, 1.0, v[36:37], 1.0
	v_fma_f64 v[48:49], -v[38:39], v[40:41], 1.0
	v_fmac_f64_e32 v[40:41], v[40:41], v[48:49]
	v_fma_f64 v[48:49], -v[38:39], v[40:41], 1.0
	v_fmac_f64_e32 v[40:41], v[40:41], v[48:49]
	v_mul_f64 v[48:49], v[46:47], v[40:41]
	v_fma_f64 v[38:39], -v[38:39], v[48:49], v[46:47]
	v_div_fmas_f64 v[38:39], v[38:39], v[40:41], v[48:49]
	v_div_fixup_f64 v[36:37], v[38:39], v[36:37], 1.0
	ds_write_b64 v42, v[36:37]
.LBB13_19:
	s_or_b64 exec, exec, s[2:3]
	s_waitcnt lgkmcnt(0)
	s_barrier
	ds_read_b64 v[36:37], v42
	v_cmp_lt_u32_e32 vcc, 3, v44
	s_and_saveexec_b64 s[2:3], vcc
	s_cbranch_execz .LBB13_21
; %bb.20:
	ds_read2_b64 v[38:41], v43 offset0:4 offset1:5
	ds_read_b64 v[46:47], v43 offset:48
	s_waitcnt vmcnt(3) lgkmcnt(2)
	v_mul_f64 v[22:23], v[22:23], v[36:37]
	s_waitcnt vmcnt(2) lgkmcnt(1)
	v_fma_f64 v[24:25], -v[22:23], v[38:39], v[24:25]
	s_waitcnt vmcnt(1)
	v_fma_f64 v[26:27], -v[22:23], v[40:41], v[26:27]
	s_waitcnt vmcnt(0) lgkmcnt(0)
	v_fma_f64 v[28:29], -v[22:23], v[46:47], v[28:29]
.LBB13_21:
	s_or_b64 exec, exec, s[2:3]
	v_cmp_eq_u32_e32 vcc, 4, v44
	s_waitcnt lgkmcnt(0)
	s_barrier
	s_and_saveexec_b64 s[2:3], vcc
	s_cbranch_execz .LBB13_24
; %bb.22:
	s_waitcnt vmcnt(2)
	ds_write_b64 v42, v[24:25]
	s_waitcnt vmcnt(0)
	ds_write2_b64 v43, v[26:27], v[28:29] offset0:5 offset1:6
	ds_read_b64 v[38:39], v42
	s_waitcnt lgkmcnt(0)
	v_cmp_neq_f64_e32 vcc, 0, v[38:39]
	s_and_b64 exec, exec, vcc
	s_cbranch_execz .LBB13_24
; %bb.23:
	v_div_scale_f64 v[40:41], s[6:7], v[38:39], v[38:39], 1.0
	v_rcp_f64_e32 v[46:47], v[40:41]
	v_div_scale_f64 v[48:49], vcc, 1.0, v[38:39], 1.0
	v_fma_f64 v[50:51], -v[40:41], v[46:47], 1.0
	v_fmac_f64_e32 v[46:47], v[46:47], v[50:51]
	v_fma_f64 v[50:51], -v[40:41], v[46:47], 1.0
	v_fmac_f64_e32 v[46:47], v[46:47], v[50:51]
	v_mul_f64 v[50:51], v[48:49], v[46:47]
	v_fma_f64 v[40:41], -v[40:41], v[50:51], v[48:49]
	v_div_fmas_f64 v[40:41], v[40:41], v[46:47], v[50:51]
	v_div_fixup_f64 v[38:39], v[40:41], v[38:39], 1.0
	ds_write_b64 v42, v[38:39]
.LBB13_24:
	s_or_b64 exec, exec, s[2:3]
	s_waitcnt lgkmcnt(0)
	s_barrier
	ds_read_b64 v[38:39], v42
	v_cmp_lt_u32_e32 vcc, 4, v44
	s_and_saveexec_b64 s[2:3], vcc
	s_cbranch_execz .LBB13_26
; %bb.25:
	ds_read2_b64 v[46:49], v43 offset0:5 offset1:6
	s_waitcnt vmcnt(2) lgkmcnt(1)
	v_mul_f64 v[24:25], v[24:25], v[38:39]
	s_waitcnt vmcnt(1) lgkmcnt(0)
	v_fma_f64 v[26:27], -v[24:25], v[46:47], v[26:27]
	s_waitcnt vmcnt(0)
	v_fma_f64 v[28:29], -v[24:25], v[48:49], v[28:29]
.LBB13_26:
	s_or_b64 exec, exec, s[2:3]
	v_cmp_eq_u32_e32 vcc, 5, v44
	s_waitcnt lgkmcnt(0)
	s_barrier
	s_and_saveexec_b64 s[2:3], vcc
	s_cbranch_execz .LBB13_29
; %bb.27:
	s_waitcnt vmcnt(1)
	ds_write_b64 v42, v[26:27]
	s_waitcnt vmcnt(0)
	ds_write_b64 v43, v[28:29] offset:48
	ds_read_b64 v[40:41], v42
	s_waitcnt lgkmcnt(0)
	v_cmp_neq_f64_e32 vcc, 0, v[40:41]
	s_and_b64 exec, exec, vcc
	s_cbranch_execz .LBB13_29
; %bb.28:
	v_div_scale_f64 v[46:47], s[6:7], v[40:41], v[40:41], 1.0
	v_rcp_f64_e32 v[48:49], v[46:47]
	v_div_scale_f64 v[50:51], vcc, 1.0, v[40:41], 1.0
	v_fma_f64 v[52:53], -v[46:47], v[48:49], 1.0
	v_fmac_f64_e32 v[48:49], v[48:49], v[52:53]
	v_fma_f64 v[52:53], -v[46:47], v[48:49], 1.0
	v_fmac_f64_e32 v[48:49], v[48:49], v[52:53]
	v_mul_f64 v[52:53], v[50:51], v[48:49]
	v_fma_f64 v[46:47], -v[46:47], v[52:53], v[50:51]
	v_div_fmas_f64 v[46:47], v[46:47], v[48:49], v[52:53]
	v_div_fixup_f64 v[40:41], v[46:47], v[40:41], 1.0
	ds_write_b64 v42, v[40:41]
.LBB13_29:
	s_or_b64 exec, exec, s[2:3]
	s_waitcnt lgkmcnt(0)
	s_barrier
	ds_read_b64 v[40:41], v42
	v_cmp_lt_u32_e32 vcc, 5, v44
	s_and_saveexec_b64 s[2:3], vcc
	s_cbranch_execz .LBB13_31
; %bb.30:
	ds_read_b64 v[46:47], v43 offset:48
	s_waitcnt vmcnt(1) lgkmcnt(1)
	v_mul_f64 v[26:27], v[26:27], v[40:41]
	s_waitcnt vmcnt(0) lgkmcnt(0)
	v_fma_f64 v[28:29], -v[26:27], v[46:47], v[28:29]
.LBB13_31:
	s_or_b64 exec, exec, s[2:3]
	v_cmp_ne_u32_e32 vcc, 6, v44
	s_waitcnt lgkmcnt(0)
	s_barrier
	s_and_saveexec_b64 s[2:3], vcc
	s_xor_b64 s[2:3], exec, s[2:3]
	s_andn2_saveexec_b64 s[2:3], s[2:3]
	s_cbranch_execz .LBB13_35
; %bb.32:
	s_waitcnt vmcnt(0)
	v_cmp_neq_f64_e32 vcc, 0, v[28:29]
	ds_write_b64 v42, v[28:29]
	s_and_saveexec_b64 s[6:7], vcc
	s_cbranch_execz .LBB13_34
; %bb.33:
	v_div_scale_f64 v[46:47], s[8:9], v[28:29], v[28:29], 1.0
	v_rcp_f64_e32 v[48:49], v[46:47]
	v_div_scale_f64 v[50:51], vcc, 1.0, v[28:29], 1.0
	v_fma_f64 v[52:53], -v[46:47], v[48:49], 1.0
	v_fmac_f64_e32 v[48:49], v[48:49], v[52:53]
	v_fma_f64 v[52:53], -v[46:47], v[48:49], 1.0
	v_fmac_f64_e32 v[48:49], v[48:49], v[52:53]
	v_mul_f64 v[52:53], v[50:51], v[48:49]
	v_fma_f64 v[46:47], -v[46:47], v[52:53], v[50:51]
	v_div_fmas_f64 v[46:47], v[46:47], v[48:49], v[52:53]
	v_div_fixup_f64 v[46:47], v[46:47], v[28:29], 1.0
	ds_write_b64 v42, v[46:47]
.LBB13_34:
	s_or_b64 exec, exec, s[6:7]
.LBB13_35:
	s_or_b64 exec, exec, s[2:3]
	s_waitcnt lgkmcnt(0)
	s_barrier
	ds_read_b64 v[42:43], v42
	s_waitcnt lgkmcnt(0)
	s_barrier
	s_and_saveexec_b64 s[14:15], s[0:1]
	s_cbranch_execz .LBB13_38
; %bb.36:
	s_load_dwordx2 s[0:1], s[4:5], 0x28
	v_lshlrev_b64 v[2:3], 2, v[2:3]
	v_cmp_eq_f64_e64 s[2:3], 0, v[34:35]
	v_cmp_eq_f64_e64 s[4:5], 0, v[36:37]
	;; [unrolled: 1-line block ×3, first 2 shown]
	s_waitcnt lgkmcnt(0)
	v_mov_b32_e32 v45, s1
	v_add_co_u32_e32 v2, vcc, s0, v2
	v_addc_co_u32_e32 v3, vcc, v45, v3, vcc
	global_load_dword v45, v[2:3], off
	v_cmp_eq_f64_e32 vcc, 0, v[30:31]
	v_cmp_neq_f64_e64 s[0:1], 0, v[32:33]
	v_cndmask_b32_e64 v30, 0, 1, vcc
	s_or_b64 vcc, s[0:1], vcc
	v_cndmask_b32_e32 v30, 2, v30, vcc
	v_cmp_eq_u32_e32 vcc, 0, v30
	s_and_b64 s[0:1], s[2:3], vcc
	v_cndmask_b32_e64 v30, v30, 3, s[0:1]
	v_cmp_eq_u32_e32 vcc, 0, v30
	s_and_b64 s[0:1], s[4:5], vcc
	v_cndmask_b32_e64 v30, v30, 4, s[0:1]
	;; [unrolled: 3-line block ×3, first 2 shown]
	v_cmp_eq_f64_e64 s[8:9], 0, v[40:41]
	v_cmp_eq_u32_e32 vcc, 0, v30
	s_and_b64 s[0:1], s[8:9], vcc
	v_cndmask_b32_e64 v30, v30, 6, s[0:1]
	v_cmp_eq_f64_e64 s[10:11], 0, v[42:43]
	v_cmp_eq_u32_e32 vcc, 0, v30
	s_and_b64 s[0:1], s[10:11], vcc
	v_cndmask_b32_e64 v30, v30, 7, s[0:1]
	v_cmp_ne_u32_e64 s[0:1], 0, v30
	s_waitcnt vmcnt(0)
	v_cmp_eq_u32_e32 vcc, 0, v45
	s_and_b64 s[0:1], vcc, s[0:1]
	s_and_b64 exec, exec, s[0:1]
	s_cbranch_execz .LBB13_38
; %bb.37:
	v_add_u32_e32 v30, s13, v30
	global_store_dword v[2:3], v30, off
.LBB13_38:
	s_or_b64 exec, exec, s[14:15]
	s_waitcnt vmcnt(0)
	v_mul_f64 v[2:3], v[28:29], v[42:43]
	v_cmp_lt_u32_e32 vcc, 6, v44
	v_cndmask_b32_e32 v3, v29, v3, vcc
	v_cndmask_b32_e32 v2, v28, v2, vcc
	global_store_dwordx2 v[0:1], v[16:17], off
	global_store_dwordx2 v[14:15], v[18:19], off
	;; [unrolled: 1-line block ×7, first 2 shown]
.LBB13_39:
	s_endpgm
	.section	.rodata,"a",@progbits
	.p2align	6, 0x0
	.amdhsa_kernel _ZN9rocsolver6v33100L23getf2_npvt_small_kernelILi7EdiiPKPdEEvT1_T3_lS5_lPT2_S5_S5_
		.amdhsa_group_segment_fixed_size 0
		.amdhsa_private_segment_fixed_size 0
		.amdhsa_kernarg_size 312
		.amdhsa_user_sgpr_count 6
		.amdhsa_user_sgpr_private_segment_buffer 1
		.amdhsa_user_sgpr_dispatch_ptr 0
		.amdhsa_user_sgpr_queue_ptr 0
		.amdhsa_user_sgpr_kernarg_segment_ptr 1
		.amdhsa_user_sgpr_dispatch_id 0
		.amdhsa_user_sgpr_flat_scratch_init 0
		.amdhsa_user_sgpr_kernarg_preload_length 0
		.amdhsa_user_sgpr_kernarg_preload_offset 0
		.amdhsa_user_sgpr_private_segment_size 0
		.amdhsa_uses_dynamic_stack 0
		.amdhsa_system_sgpr_private_segment_wavefront_offset 0
		.amdhsa_system_sgpr_workgroup_id_x 1
		.amdhsa_system_sgpr_workgroup_id_y 1
		.amdhsa_system_sgpr_workgroup_id_z 0
		.amdhsa_system_sgpr_workgroup_info 0
		.amdhsa_system_vgpr_workitem_id 1
		.amdhsa_next_free_vgpr 54
		.amdhsa_next_free_sgpr 16
		.amdhsa_accum_offset 56
		.amdhsa_reserve_vcc 1
		.amdhsa_reserve_flat_scratch 0
		.amdhsa_float_round_mode_32 0
		.amdhsa_float_round_mode_16_64 0
		.amdhsa_float_denorm_mode_32 3
		.amdhsa_float_denorm_mode_16_64 3
		.amdhsa_dx10_clamp 1
		.amdhsa_ieee_mode 1
		.amdhsa_fp16_overflow 0
		.amdhsa_tg_split 0
		.amdhsa_exception_fp_ieee_invalid_op 0
		.amdhsa_exception_fp_denorm_src 0
		.amdhsa_exception_fp_ieee_div_zero 0
		.amdhsa_exception_fp_ieee_overflow 0
		.amdhsa_exception_fp_ieee_underflow 0
		.amdhsa_exception_fp_ieee_inexact 0
		.amdhsa_exception_int_div_zero 0
	.end_amdhsa_kernel
	.section	.text._ZN9rocsolver6v33100L23getf2_npvt_small_kernelILi7EdiiPKPdEEvT1_T3_lS5_lPT2_S5_S5_,"axG",@progbits,_ZN9rocsolver6v33100L23getf2_npvt_small_kernelILi7EdiiPKPdEEvT1_T3_lS5_lPT2_S5_S5_,comdat
.Lfunc_end13:
	.size	_ZN9rocsolver6v33100L23getf2_npvt_small_kernelILi7EdiiPKPdEEvT1_T3_lS5_lPT2_S5_S5_, .Lfunc_end13-_ZN9rocsolver6v33100L23getf2_npvt_small_kernelILi7EdiiPKPdEEvT1_T3_lS5_lPT2_S5_S5_
                                        ; -- End function
	.section	.AMDGPU.csdata,"",@progbits
; Kernel info:
; codeLenInByte = 2480
; NumSgprs: 20
; NumVgprs: 54
; NumAgprs: 0
; TotalNumVgprs: 54
; ScratchSize: 0
; MemoryBound: 0
; FloatMode: 240
; IeeeMode: 1
; LDSByteSize: 0 bytes/workgroup (compile time only)
; SGPRBlocks: 2
; VGPRBlocks: 6
; NumSGPRsForWavesPerEU: 20
; NumVGPRsForWavesPerEU: 54
; AccumOffset: 56
; Occupancy: 8
; WaveLimiterHint : 1
; COMPUTE_PGM_RSRC2:SCRATCH_EN: 0
; COMPUTE_PGM_RSRC2:USER_SGPR: 6
; COMPUTE_PGM_RSRC2:TRAP_HANDLER: 0
; COMPUTE_PGM_RSRC2:TGID_X_EN: 1
; COMPUTE_PGM_RSRC2:TGID_Y_EN: 1
; COMPUTE_PGM_RSRC2:TGID_Z_EN: 0
; COMPUTE_PGM_RSRC2:TIDIG_COMP_CNT: 1
; COMPUTE_PGM_RSRC3_GFX90A:ACCUM_OFFSET: 13
; COMPUTE_PGM_RSRC3_GFX90A:TG_SPLIT: 0
	.section	.text._ZN9rocsolver6v33100L18getf2_small_kernelILi8EdiiPKPdEEvT1_T3_lS5_lPS5_llPT2_S5_S5_S7_l,"axG",@progbits,_ZN9rocsolver6v33100L18getf2_small_kernelILi8EdiiPKPdEEvT1_T3_lS5_lPS5_llPT2_S5_S5_S7_l,comdat
	.globl	_ZN9rocsolver6v33100L18getf2_small_kernelILi8EdiiPKPdEEvT1_T3_lS5_lPS5_llPT2_S5_S5_S7_l ; -- Begin function _ZN9rocsolver6v33100L18getf2_small_kernelILi8EdiiPKPdEEvT1_T3_lS5_lPS5_llPT2_S5_S5_S7_l
	.p2align	8
	.type	_ZN9rocsolver6v33100L18getf2_small_kernelILi8EdiiPKPdEEvT1_T3_lS5_lPS5_llPT2_S5_S5_S7_l,@function
_ZN9rocsolver6v33100L18getf2_small_kernelILi8EdiiPKPdEEvT1_T3_lS5_lPS5_llPT2_S5_S5_S7_l: ; @_ZN9rocsolver6v33100L18getf2_small_kernelILi8EdiiPKPdEEvT1_T3_lS5_lPS5_llPT2_S5_S5_S7_l
; %bb.0:
	s_load_dword s0, s[4:5], 0x6c
	s_load_dwordx2 s[12:13], s[4:5], 0x48
	v_bfe_u32 v20, v0, 10, 10
	s_waitcnt lgkmcnt(0)
	s_lshr_b32 s0, s0, 16
	s_mul_i32 s7, s7, s0
	v_add_u32_e32 v2, s7, v20
	v_cmp_gt_i32_e32 vcc, s12, v2
	s_and_saveexec_b64 s[0:1], vcc
	s_cbranch_execz .LBB14_133
; %bb.1:
	s_load_dwordx4 s[0:3], s[4:5], 0x8
	s_load_dwordx4 s[8:11], s[4:5], 0x50
	v_ashrrev_i32_e32 v3, 31, v2
	v_lshlrev_b64 v[4:5], 3, v[2:3]
	v_pk_mov_b32 v[16:17], 0, 0
	s_waitcnt lgkmcnt(0)
	v_mov_b32_e32 v1, s1
	v_add_co_u32_e32 v4, vcc, s0, v4
	v_addc_co_u32_e32 v5, vcc, v1, v5, vcc
	global_load_dwordx2 v[4:5], v[4:5], off
	s_cmp_eq_u64 s[8:9], 0
	s_cselect_b64 s[6:7], -1, 0
	s_and_b64 vcc, exec, s[6:7]
	s_cbranch_vccnz .LBB14_3
; %bb.2:
	v_mul_lo_u32 v1, v3, s10
	v_mul_lo_u32 v8, v2, s11
	v_mad_u64_u32 v[6:7], s[0:1], v2, s10, 0
	v_add3_u32 v7, v7, v8, v1
	v_lshlrev_b64 v[6:7], 2, v[6:7]
	v_mov_b32_e32 v1, s9
	v_add_co_u32_e32 v16, vcc, s8, v6
	v_addc_co_u32_e32 v17, vcc, v1, v7, vcc
.LBB14_3:
	s_load_dword s8, s[4:5], 0x18
	s_load_dword s12, s[4:5], 0x0
	s_lshl_b64 s[0:1], s[2:3], 3
	v_mov_b32_e32 v1, s1
	s_waitcnt vmcnt(0)
	v_add_co_u32_e32 v26, vcc, s0, v4
	v_and_b32_e32 v29, 0x3ff, v0
	v_addc_co_u32_e32 v27, vcc, v5, v1, vcc
	v_lshlrev_b32_e32 v21, 3, v29
	v_add_co_u32_e32 v6, vcc, v26, v21
	s_waitcnt lgkmcnt(0)
	s_ashr_i32 s9, s8, 31
	v_addc_co_u32_e32 v7, vcc, 0, v27, vcc
	s_lshl_b64 s[10:11], s[8:9], 3
	v_mov_b32_e32 v0, s11
	v_add_co_u32_e32 v12, vcc, s10, v6
	s_add_i32 s9, s8, s8
	v_addc_co_u32_e32 v13, vcc, v7, v0, vcc
	v_add_u32_e32 v0, s9, v29
	v_ashrrev_i32_e32 v1, 31, v0
	v_lshlrev_b64 v[4:5], 3, v[0:1]
	v_add_u32_e32 v18, s8, v0
	v_add_co_u32_e32 v14, vcc, v26, v4
	v_ashrrev_i32_e32 v19, 31, v18
	v_addc_co_u32_e32 v15, vcc, v27, v5, vcc
	v_lshlrev_b64 v[0:1], 3, v[18:19]
	v_add_co_u32_e32 v22, vcc, v26, v0
	v_addc_co_u32_e32 v23, vcc, v27, v1, vcc
	global_load_dwordx2 v[10:11], v[6:7], off
	global_load_dwordx2 v[8:9], v[12:13], off
	;; [unrolled: 1-line block ×4, first 2 shown]
	v_add_u32_e32 v6, s8, v18
	v_ashrrev_i32_e32 v7, 31, v6
	v_lshlrev_b64 v[12:13], 3, v[6:7]
	v_add_u32_e32 v6, s8, v6
	v_add_co_u32_e32 v22, vcc, v26, v12
	v_ashrrev_i32_e32 v7, 31, v6
	v_addc_co_u32_e32 v23, vcc, v27, v13, vcc
	v_lshlrev_b64 v[12:13], 3, v[6:7]
	v_add_u32_e32 v6, s8, v6
	v_add_co_u32_e32 v24, vcc, v26, v12
	v_ashrrev_i32_e32 v7, 31, v6
	v_addc_co_u32_e32 v25, vcc, v27, v13, vcc
	;; [unrolled: 5-line block ×3, first 2 shown]
	v_lshlrev_b64 v[6:7], 3, v[6:7]
	v_add_co_u32_e32 v32, vcc, v26, v6
	v_addc_co_u32_e32 v33, vcc, v27, v7, vcc
	global_load_dwordx2 v[14:15], v[22:23], off
	global_load_dwordx2 v[12:13], v[24:25], off
	;; [unrolled: 1-line block ×4, first 2 shown]
	s_max_i32 s0, s12, 8
	v_mul_lo_u32 v23, s0, v20
	v_lshl_add_u32 v24, v23, 3, 0
	v_add_u32_e32 v20, v24, v21
	v_mov_b32_e32 v22, 0
	s_cmp_lt_i32 s12, 2
	v_lshlrev_b32_e32 v25, 3, v23
	s_waitcnt vmcnt(7)
	ds_write_b64 v20, v[10:11]
	s_waitcnt lgkmcnt(0)
	s_barrier
	ds_read_b64 v[20:21], v24
	s_cbranch_scc1 .LBB14_6
; %bb.4:
	v_add3_u32 v23, v25, 0, 8
	s_mov_b32 s0, 1
	v_mov_b32_e32 v22, 0
.LBB14_5:                               ; =>This Inner Loop Header: Depth=1
	ds_read_b64 v[30:31], v23
	v_mov_b32_e32 v28, s0
	s_add_i32 s0, s0, 1
	v_add_u32_e32 v23, 8, v23
	s_cmp_eq_u32 s12, s0
	s_waitcnt lgkmcnt(0)
	v_cmp_lt_f64_e64 vcc, |v[20:21]|, |v[30:31]|
	v_cndmask_b32_e32 v21, v21, v31, vcc
	v_cndmask_b32_e32 v20, v20, v30, vcc
	;; [unrolled: 1-line block ×3, first 2 shown]
	s_cbranch_scc0 .LBB14_5
.LBB14_6:
	v_cmp_ne_u32_e32 vcc, v29, v22
                                        ; implicit-def: $vgpr28
	s_and_saveexec_b64 s[0:1], vcc
	s_xor_b64 s[0:1], exec, s[0:1]
	s_cbranch_execz .LBB14_12
; %bb.7:
	v_cmp_eq_u32_e32 vcc, 0, v29
	s_and_saveexec_b64 s[2:3], vcc
	s_cbranch_execz .LBB14_11
; %bb.8:
	v_cmp_ne_u32_e32 vcc, 0, v22
	s_xor_b64 s[14:15], s[6:7], -1
	s_and_b64 s[16:17], s[14:15], vcc
	s_and_saveexec_b64 s[14:15], s[16:17]
	s_cbranch_execz .LBB14_10
; %bb.9:
	v_ashrrev_i32_e32 v23, 31, v22
	v_lshlrev_b64 v[28:29], 2, v[22:23]
	v_add_co_u32_e32 v28, vcc, v16, v28
	v_addc_co_u32_e32 v29, vcc, v17, v29, vcc
	flat_load_dword v23, v[28:29]
	flat_load_dword v30, v[16:17]
	s_waitcnt vmcnt(0) lgkmcnt(0)
	flat_store_dword v[16:17], v23
	flat_store_dword v[28:29], v30
.LBB14_10:
	s_or_b64 exec, exec, s[14:15]
	v_mov_b32_e32 v29, v22
.LBB14_11:
	s_or_b64 exec, exec, s[2:3]
	v_mov_b32_e32 v28, v29
                                        ; implicit-def: $vgpr29
.LBB14_12:
	s_or_saveexec_b64 s[0:1], s[0:1]
	v_mov_b32_e32 v23, v28
	s_xor_b64 exec, exec, s[0:1]
	s_cbranch_execz .LBB14_14
; %bb.13:
	v_mov_b32_e32 v28, 0
	v_mov_b32_e32 v23, v29
	s_waitcnt vmcnt(0)
	ds_write2_b64 v24, v[8:9], v[4:5] offset0:1 offset1:2
	ds_write2_b64 v24, v[0:1], v[14:15] offset0:3 offset1:4
	;; [unrolled: 1-line block ×3, first 2 shown]
	ds_write_b64 v24, v[18:19] offset:56
.LBB14_14:
	s_or_b64 exec, exec, s[0:1]
	s_waitcnt lgkmcnt(0)
	v_cmp_eq_f64_e64 s[0:1], 0, v[20:21]
	v_cmp_lt_i32_e32 vcc, 0, v28
	s_barrier
	s_and_saveexec_b64 s[2:3], vcc
	s_cbranch_execz .LBB14_16
; %bb.15:
	v_div_scale_f64 v[30:31], s[14:15], v[20:21], v[20:21], 1.0
	v_rcp_f64_e32 v[32:33], v[30:31]
	v_div_scale_f64 v[34:35], vcc, 1.0, v[20:21], 1.0
	ds_read2_b64 v[38:41], v24 offset0:5 offset1:6
	v_fma_f64 v[36:37], -v[30:31], v[32:33], 1.0
	v_fmac_f64_e32 v[32:33], v[32:33], v[36:37]
	v_fma_f64 v[36:37], -v[30:31], v[32:33], 1.0
	v_fmac_f64_e32 v[32:33], v[32:33], v[36:37]
	v_mul_f64 v[36:37], v[34:35], v[32:33]
	v_fma_f64 v[30:31], -v[30:31], v[36:37], v[34:35]
	v_div_fmas_f64 v[30:31], v[30:31], v[32:33], v[36:37]
	v_div_fixup_f64 v[34:35], v[30:31], v[20:21], 1.0
	v_cndmask_b32_e64 v21, v35, v21, s[0:1]
	v_cndmask_b32_e64 v20, v34, v20, s[0:1]
	ds_read2_b64 v[30:33], v24 offset0:1 offset1:2
	ds_read2_b64 v[34:37], v24 offset0:3 offset1:4
	v_mul_f64 v[10:11], v[10:11], v[20:21]
	ds_read_b64 v[20:21], v24 offset:56
	s_waitcnt vmcnt(0) lgkmcnt(0)
	v_fma_f64 v[12:13], -v[10:11], v[38:39], v[12:13]
	v_fma_f64 v[8:9], -v[10:11], v[30:31], v[8:9]
	;; [unrolled: 1-line block ×7, first 2 shown]
.LBB14_16:
	s_or_b64 exec, exec, s[2:3]
	v_lshl_add_u32 v20, v28, 3, v24
	s_barrier
	s_waitcnt vmcnt(0)
	ds_write_b64 v20, v[8:9]
	s_waitcnt lgkmcnt(0)
	s_barrier
	ds_read_b64 v[20:21], v24 offset:8
	s_cmp_lt_i32 s12, 3
	v_mov_b32_e32 v22, 1
	s_cbranch_scc1 .LBB14_19
; %bb.17:
	v_add3_u32 v29, v25, 0, 16
	s_mov_b32 s2, 2
	v_mov_b32_e32 v22, 1
.LBB14_18:                              ; =>This Inner Loop Header: Depth=1
	ds_read_b64 v[30:31], v29
	v_mov_b32_e32 v32, s2
	s_add_i32 s2, s2, 1
	v_add_u32_e32 v29, 8, v29
	s_cmp_lg_u32 s12, s2
	s_waitcnt lgkmcnt(0)
	v_cmp_lt_f64_e64 vcc, |v[20:21]|, |v[30:31]|
	v_cndmask_b32_e32 v21, v21, v31, vcc
	v_cndmask_b32_e32 v20, v20, v30, vcc
	;; [unrolled: 1-line block ×3, first 2 shown]
	s_cbranch_scc1 .LBB14_18
.LBB14_19:
	v_cmp_ne_u32_e32 vcc, v28, v22
	s_and_saveexec_b64 s[2:3], vcc
	s_xor_b64 s[2:3], exec, s[2:3]
	s_cbranch_execz .LBB14_25
; %bb.20:
	v_cmp_eq_u32_e32 vcc, 1, v28
	s_and_saveexec_b64 s[14:15], vcc
	s_cbranch_execz .LBB14_24
; %bb.21:
	v_cmp_ne_u32_e32 vcc, 1, v22
	s_xor_b64 s[16:17], s[6:7], -1
	s_and_b64 s[18:19], s[16:17], vcc
	s_and_saveexec_b64 s[16:17], s[18:19]
	s_cbranch_execz .LBB14_23
; %bb.22:
	v_ashrrev_i32_e32 v23, 31, v22
	v_lshlrev_b64 v[28:29], 2, v[22:23]
	v_add_co_u32_e32 v28, vcc, v16, v28
	v_addc_co_u32_e32 v29, vcc, v17, v29, vcc
	flat_load_dword v23, v[28:29]
	flat_load_dword v30, v[16:17] offset:4
	s_waitcnt vmcnt(0) lgkmcnt(0)
	flat_store_dword v[16:17], v23 offset:4
	flat_store_dword v[28:29], v30
.LBB14_23:
	s_or_b64 exec, exec, s[16:17]
	v_mov_b32_e32 v23, v22
	v_mov_b32_e32 v28, v22
.LBB14_24:
	s_or_b64 exec, exec, s[14:15]
.LBB14_25:
	s_andn2_saveexec_b64 s[2:3], s[2:3]
	s_cbranch_execz .LBB14_27
; %bb.26:
	v_mov_b32_e32 v28, 1
	ds_write2_b64 v24, v[4:5], v[0:1] offset0:2 offset1:3
	ds_write2_b64 v24, v[14:15], v[12:13] offset0:4 offset1:5
	;; [unrolled: 1-line block ×3, first 2 shown]
.LBB14_27:
	s_or_b64 exec, exec, s[2:3]
	s_waitcnt lgkmcnt(0)
	v_cmp_neq_f64_e64 s[2:3], 0, v[20:21]
	v_cmp_lt_i32_e32 vcc, 1, v28
	s_barrier
	s_and_saveexec_b64 s[14:15], vcc
	s_cbranch_execz .LBB14_29
; %bb.28:
	v_div_scale_f64 v[30:31], s[16:17], v[20:21], v[20:21], 1.0
	v_rcp_f64_e32 v[32:33], v[30:31]
	v_div_scale_f64 v[34:35], vcc, 1.0, v[20:21], 1.0
	ds_read2_b64 v[38:41], v24 offset0:6 offset1:7
	v_fma_f64 v[36:37], -v[30:31], v[32:33], 1.0
	v_fmac_f64_e32 v[32:33], v[32:33], v[36:37]
	v_fma_f64 v[36:37], -v[30:31], v[32:33], 1.0
	v_fmac_f64_e32 v[32:33], v[32:33], v[36:37]
	v_mul_f64 v[36:37], v[34:35], v[32:33]
	v_fma_f64 v[30:31], -v[30:31], v[36:37], v[34:35]
	v_div_fmas_f64 v[30:31], v[30:31], v[32:33], v[36:37]
	v_div_fixup_f64 v[34:35], v[30:31], v[20:21], 1.0
	v_cndmask_b32_e64 v21, v21, v35, s[2:3]
	ds_read2_b64 v[30:33], v24 offset0:2 offset1:3
	v_cndmask_b32_e64 v20, v20, v34, s[2:3]
	ds_read2_b64 v[34:37], v24 offset0:4 offset1:5
	v_mul_f64 v[8:9], v[8:9], v[20:21]
	s_waitcnt lgkmcnt(0)
	v_fma_f64 v[6:7], -v[8:9], v[38:39], v[6:7]
	v_fma_f64 v[4:5], -v[8:9], v[30:31], v[4:5]
	;; [unrolled: 1-line block ×6, first 2 shown]
.LBB14_29:
	s_or_b64 exec, exec, s[14:15]
	v_lshl_add_u32 v20, v28, 3, v24
	s_barrier
	ds_write_b64 v20, v[4:5]
	s_waitcnt lgkmcnt(0)
	s_barrier
	ds_read_b64 v[20:21], v24 offset:16
	s_mov_b32 s14, 3
	s_cmp_lt_i32 s12, 4
	v_mov_b32_e32 v22, 2
	s_cbranch_scc1 .LBB14_32
; %bb.30:
	v_add3_u32 v29, v25, 0, 24
	v_mov_b32_e32 v22, 2
.LBB14_31:                              ; =>This Inner Loop Header: Depth=1
	ds_read_b64 v[30:31], v29
	v_mov_b32_e32 v32, s14
	s_add_i32 s14, s14, 1
	v_add_u32_e32 v29, 8, v29
	s_cmp_lg_u32 s12, s14
	s_waitcnt lgkmcnt(0)
	v_cmp_lt_f64_e64 vcc, |v[20:21]|, |v[30:31]|
	v_cndmask_b32_e32 v21, v21, v31, vcc
	v_cndmask_b32_e32 v20, v20, v30, vcc
	v_cndmask_b32_e32 v22, v22, v32, vcc
	s_cbranch_scc1 .LBB14_31
.LBB14_32:
	v_cndmask_b32_e64 v29, 2, 1, s[0:1]
	v_cndmask_b32_e64 v30, 0, 1, s[0:1]
	;; [unrolled: 1-line block ×3, first 2 shown]
	s_waitcnt lgkmcnt(0)
	v_cmp_eq_f64_e32 vcc, 0, v[20:21]
	s_and_saveexec_b64 s[0:1], vcc
	s_xor_b64 s[0:1], exec, s[0:1]
; %bb.33:
	v_cmp_ne_u32_e32 vcc, 0, v29
	v_cndmask_b32_e32 v29, 3, v29, vcc
; %bb.34:
	s_andn2_saveexec_b64 s[0:1], s[0:1]
; %bb.35:
	v_div_scale_f64 v[30:31], s[2:3], v[20:21], v[20:21], 1.0
	v_rcp_f64_e32 v[32:33], v[30:31]
	v_div_scale_f64 v[34:35], vcc, 1.0, v[20:21], 1.0
	v_fma_f64 v[36:37], -v[30:31], v[32:33], 1.0
	v_fmac_f64_e32 v[32:33], v[32:33], v[36:37]
	v_fma_f64 v[36:37], -v[30:31], v[32:33], 1.0
	v_fmac_f64_e32 v[32:33], v[32:33], v[36:37]
	v_mul_f64 v[36:37], v[34:35], v[32:33]
	v_fma_f64 v[30:31], -v[30:31], v[36:37], v[34:35]
	v_div_fmas_f64 v[30:31], v[30:31], v[32:33], v[36:37]
	v_div_fixup_f64 v[20:21], v[30:31], v[20:21], 1.0
; %bb.36:
	s_or_b64 exec, exec, s[0:1]
	v_cmp_ne_u32_e32 vcc, v28, v22
	s_and_saveexec_b64 s[0:1], vcc
	s_xor_b64 s[0:1], exec, s[0:1]
	s_cbranch_execz .LBB14_42
; %bb.37:
	v_cmp_eq_u32_e32 vcc, 2, v28
	s_and_saveexec_b64 s[2:3], vcc
	s_cbranch_execz .LBB14_41
; %bb.38:
	v_cmp_ne_u32_e32 vcc, 2, v22
	s_xor_b64 s[14:15], s[6:7], -1
	s_and_b64 s[16:17], s[14:15], vcc
	s_and_saveexec_b64 s[14:15], s[16:17]
	s_cbranch_execz .LBB14_40
; %bb.39:
	v_ashrrev_i32_e32 v23, 31, v22
	v_lshlrev_b64 v[30:31], 2, v[22:23]
	v_add_co_u32_e32 v30, vcc, v16, v30
	v_addc_co_u32_e32 v31, vcc, v17, v31, vcc
	flat_load_dword v23, v[30:31]
	flat_load_dword v28, v[16:17] offset:8
	s_waitcnt vmcnt(0) lgkmcnt(0)
	flat_store_dword v[16:17], v23 offset:8
	flat_store_dword v[30:31], v28
.LBB14_40:
	s_or_b64 exec, exec, s[14:15]
	v_mov_b32_e32 v23, v22
	v_mov_b32_e32 v28, v22
.LBB14_41:
	s_or_b64 exec, exec, s[2:3]
.LBB14_42:
	s_andn2_saveexec_b64 s[0:1], s[0:1]
	s_cbranch_execz .LBB14_44
; %bb.43:
	v_mov_b32_e32 v28, 2
	ds_write2_b64 v24, v[0:1], v[14:15] offset0:3 offset1:4
	ds_write2_b64 v24, v[12:13], v[6:7] offset0:5 offset1:6
	ds_write_b64 v24, v[18:19] offset:56
.LBB14_44:
	s_or_b64 exec, exec, s[0:1]
	v_cmp_lt_i32_e32 vcc, 2, v28
	s_waitcnt lgkmcnt(0)
	s_barrier
	s_and_saveexec_b64 s[0:1], vcc
	s_cbranch_execz .LBB14_46
; %bb.45:
	ds_read2_b64 v[30:33], v24 offset0:3 offset1:4
	ds_read2_b64 v[34:37], v24 offset0:5 offset1:6
	v_mul_f64 v[4:5], v[4:5], v[20:21]
	ds_read_b64 v[20:21], v24 offset:56
	s_waitcnt lgkmcnt(0)
	v_fma_f64 v[0:1], -v[4:5], v[30:31], v[0:1]
	v_fma_f64 v[14:15], -v[4:5], v[32:33], v[14:15]
	;; [unrolled: 1-line block ×5, first 2 shown]
.LBB14_46:
	s_or_b64 exec, exec, s[0:1]
	v_lshl_add_u32 v20, v28, 3, v24
	s_barrier
	ds_write_b64 v20, v[0:1]
	s_waitcnt lgkmcnt(0)
	s_barrier
	ds_read_b64 v[20:21], v24 offset:24
	s_cmp_lt_i32 s12, 5
	v_mov_b32_e32 v22, 3
	s_cbranch_scc1 .LBB14_49
; %bb.47:
	v_add3_u32 v30, v25, 0, 32
	s_mov_b32 s0, 4
	v_mov_b32_e32 v22, 3
.LBB14_48:                              ; =>This Inner Loop Header: Depth=1
	ds_read_b64 v[32:33], v30
	v_mov_b32_e32 v31, s0
	s_add_i32 s0, s0, 1
	v_add_u32_e32 v30, 8, v30
	s_cmp_lg_u32 s12, s0
	s_waitcnt lgkmcnt(0)
	v_cmp_lt_f64_e64 vcc, |v[20:21]|, |v[32:33]|
	v_cndmask_b32_e32 v21, v21, v33, vcc
	v_cndmask_b32_e32 v20, v20, v32, vcc
	;; [unrolled: 1-line block ×3, first 2 shown]
	s_cbranch_scc1 .LBB14_48
.LBB14_49:
	s_waitcnt lgkmcnt(0)
	v_cmp_eq_f64_e32 vcc, 0, v[20:21]
	s_and_saveexec_b64 s[0:1], vcc
	s_xor_b64 s[0:1], exec, s[0:1]
; %bb.50:
	v_cmp_ne_u32_e32 vcc, 0, v29
	v_cndmask_b32_e32 v29, 4, v29, vcc
; %bb.51:
	s_andn2_saveexec_b64 s[0:1], s[0:1]
; %bb.52:
	v_div_scale_f64 v[30:31], s[2:3], v[20:21], v[20:21], 1.0
	v_rcp_f64_e32 v[32:33], v[30:31]
	v_div_scale_f64 v[34:35], vcc, 1.0, v[20:21], 1.0
	v_fma_f64 v[36:37], -v[30:31], v[32:33], 1.0
	v_fmac_f64_e32 v[32:33], v[32:33], v[36:37]
	v_fma_f64 v[36:37], -v[30:31], v[32:33], 1.0
	v_fmac_f64_e32 v[32:33], v[32:33], v[36:37]
	v_mul_f64 v[36:37], v[34:35], v[32:33]
	v_fma_f64 v[30:31], -v[30:31], v[36:37], v[34:35]
	v_div_fmas_f64 v[30:31], v[30:31], v[32:33], v[36:37]
	v_div_fixup_f64 v[20:21], v[30:31], v[20:21], 1.0
; %bb.53:
	s_or_b64 exec, exec, s[0:1]
	v_cmp_ne_u32_e32 vcc, v28, v22
	s_and_saveexec_b64 s[0:1], vcc
	s_xor_b64 s[0:1], exec, s[0:1]
	s_cbranch_execz .LBB14_59
; %bb.54:
	v_cmp_eq_u32_e32 vcc, 3, v28
	s_and_saveexec_b64 s[2:3], vcc
	s_cbranch_execz .LBB14_58
; %bb.55:
	v_cmp_ne_u32_e32 vcc, 3, v22
	s_xor_b64 s[14:15], s[6:7], -1
	s_and_b64 s[16:17], s[14:15], vcc
	s_and_saveexec_b64 s[14:15], s[16:17]
	s_cbranch_execz .LBB14_57
; %bb.56:
	v_ashrrev_i32_e32 v23, 31, v22
	v_lshlrev_b64 v[30:31], 2, v[22:23]
	v_add_co_u32_e32 v30, vcc, v16, v30
	v_addc_co_u32_e32 v31, vcc, v17, v31, vcc
	flat_load_dword v23, v[30:31]
	flat_load_dword v28, v[16:17] offset:12
	s_waitcnt vmcnt(0) lgkmcnt(0)
	flat_store_dword v[16:17], v23 offset:12
	flat_store_dword v[30:31], v28
.LBB14_57:
	s_or_b64 exec, exec, s[14:15]
	v_mov_b32_e32 v23, v22
	v_mov_b32_e32 v28, v22
.LBB14_58:
	s_or_b64 exec, exec, s[2:3]
.LBB14_59:
	s_andn2_saveexec_b64 s[0:1], s[0:1]
	s_cbranch_execz .LBB14_61
; %bb.60:
	v_mov_b32_e32 v28, 3
	ds_write2_b64 v24, v[14:15], v[12:13] offset0:4 offset1:5
	ds_write2_b64 v24, v[6:7], v[18:19] offset0:6 offset1:7
.LBB14_61:
	s_or_b64 exec, exec, s[0:1]
	v_cmp_lt_i32_e32 vcc, 3, v28
	s_waitcnt lgkmcnt(0)
	s_barrier
	s_and_saveexec_b64 s[0:1], vcc
	s_cbranch_execz .LBB14_63
; %bb.62:
	ds_read2_b64 v[30:33], v24 offset0:4 offset1:5
	ds_read2_b64 v[34:37], v24 offset0:6 offset1:7
	v_mul_f64 v[0:1], v[0:1], v[20:21]
	s_waitcnt lgkmcnt(0)
	v_fma_f64 v[14:15], -v[0:1], v[30:31], v[14:15]
	v_fma_f64 v[12:13], -v[0:1], v[32:33], v[12:13]
	v_fma_f64 v[6:7], -v[0:1], v[34:35], v[6:7]
	v_fma_f64 v[18:19], -v[0:1], v[36:37], v[18:19]
.LBB14_63:
	s_or_b64 exec, exec, s[0:1]
	v_lshl_add_u32 v20, v28, 3, v24
	s_barrier
	ds_write_b64 v20, v[14:15]
	s_waitcnt lgkmcnt(0)
	s_barrier
	ds_read_b64 v[20:21], v24 offset:32
	s_cmp_lt_i32 s12, 6
	v_mov_b32_e32 v22, 4
	s_cbranch_scc1 .LBB14_66
; %bb.64:
	v_add3_u32 v30, v25, 0, 40
	s_mov_b32 s0, 5
	v_mov_b32_e32 v22, 4
.LBB14_65:                              ; =>This Inner Loop Header: Depth=1
	ds_read_b64 v[32:33], v30
	v_mov_b32_e32 v31, s0
	s_add_i32 s0, s0, 1
	v_add_u32_e32 v30, 8, v30
	s_cmp_lg_u32 s12, s0
	s_waitcnt lgkmcnt(0)
	v_cmp_lt_f64_e64 vcc, |v[20:21]|, |v[32:33]|
	v_cndmask_b32_e32 v21, v21, v33, vcc
	v_cndmask_b32_e32 v20, v20, v32, vcc
	;; [unrolled: 1-line block ×3, first 2 shown]
	s_cbranch_scc1 .LBB14_65
.LBB14_66:
	s_waitcnt lgkmcnt(0)
	v_cmp_eq_f64_e32 vcc, 0, v[20:21]
	s_and_saveexec_b64 s[0:1], vcc
	s_xor_b64 s[0:1], exec, s[0:1]
; %bb.67:
	v_cmp_ne_u32_e32 vcc, 0, v29
	v_cndmask_b32_e32 v29, 5, v29, vcc
; %bb.68:
	s_andn2_saveexec_b64 s[0:1], s[0:1]
; %bb.69:
	v_div_scale_f64 v[30:31], s[2:3], v[20:21], v[20:21], 1.0
	v_rcp_f64_e32 v[32:33], v[30:31]
	v_div_scale_f64 v[34:35], vcc, 1.0, v[20:21], 1.0
	v_fma_f64 v[36:37], -v[30:31], v[32:33], 1.0
	v_fmac_f64_e32 v[32:33], v[32:33], v[36:37]
	v_fma_f64 v[36:37], -v[30:31], v[32:33], 1.0
	v_fmac_f64_e32 v[32:33], v[32:33], v[36:37]
	v_mul_f64 v[36:37], v[34:35], v[32:33]
	v_fma_f64 v[30:31], -v[30:31], v[36:37], v[34:35]
	v_div_fmas_f64 v[30:31], v[30:31], v[32:33], v[36:37]
	v_div_fixup_f64 v[20:21], v[30:31], v[20:21], 1.0
; %bb.70:
	s_or_b64 exec, exec, s[0:1]
	v_cmp_ne_u32_e32 vcc, v28, v22
	s_and_saveexec_b64 s[0:1], vcc
	s_xor_b64 s[0:1], exec, s[0:1]
	s_cbranch_execz .LBB14_76
; %bb.71:
	v_cmp_eq_u32_e32 vcc, 4, v28
	s_and_saveexec_b64 s[2:3], vcc
	s_cbranch_execz .LBB14_75
; %bb.72:
	v_cmp_ne_u32_e32 vcc, 4, v22
	s_xor_b64 s[14:15], s[6:7], -1
	s_and_b64 s[16:17], s[14:15], vcc
	s_and_saveexec_b64 s[14:15], s[16:17]
	s_cbranch_execz .LBB14_74
; %bb.73:
	v_ashrrev_i32_e32 v23, 31, v22
	v_lshlrev_b64 v[30:31], 2, v[22:23]
	v_add_co_u32_e32 v30, vcc, v16, v30
	v_addc_co_u32_e32 v31, vcc, v17, v31, vcc
	flat_load_dword v23, v[30:31]
	flat_load_dword v28, v[16:17] offset:16
	s_waitcnt vmcnt(0) lgkmcnt(0)
	flat_store_dword v[16:17], v23 offset:16
	flat_store_dword v[30:31], v28
.LBB14_74:
	s_or_b64 exec, exec, s[14:15]
	v_mov_b32_e32 v23, v22
	v_mov_b32_e32 v28, v22
.LBB14_75:
	s_or_b64 exec, exec, s[2:3]
.LBB14_76:
	s_andn2_saveexec_b64 s[0:1], s[0:1]
	s_cbranch_execz .LBB14_78
; %bb.77:
	v_mov_b32_e32 v28, 4
	ds_write2_b64 v24, v[12:13], v[6:7] offset0:5 offset1:6
	ds_write_b64 v24, v[18:19] offset:56
.LBB14_78:
	s_or_b64 exec, exec, s[0:1]
	v_cmp_lt_i32_e32 vcc, 4, v28
	s_waitcnt lgkmcnt(0)
	s_barrier
	s_and_saveexec_b64 s[0:1], vcc
	s_cbranch_execz .LBB14_80
; %bb.79:
	ds_read2_b64 v[30:33], v24 offset0:5 offset1:6
	ds_read_b64 v[34:35], v24 offset:56
	v_mul_f64 v[14:15], v[14:15], v[20:21]
	s_waitcnt lgkmcnt(0)
	v_fma_f64 v[12:13], -v[14:15], v[30:31], v[12:13]
	v_fma_f64 v[6:7], -v[14:15], v[32:33], v[6:7]
	;; [unrolled: 1-line block ×3, first 2 shown]
.LBB14_80:
	s_or_b64 exec, exec, s[0:1]
	v_lshl_add_u32 v20, v28, 3, v24
	s_barrier
	ds_write_b64 v20, v[12:13]
	s_waitcnt lgkmcnt(0)
	s_barrier
	ds_read_b64 v[20:21], v24 offset:40
	s_cmp_lt_i32 s12, 7
	v_mov_b32_e32 v22, 5
	s_cbranch_scc1 .LBB14_83
; %bb.81:
	v_add3_u32 v30, v25, 0, 48
	s_mov_b32 s0, 6
	v_mov_b32_e32 v22, 5
.LBB14_82:                              ; =>This Inner Loop Header: Depth=1
	ds_read_b64 v[32:33], v30
	v_mov_b32_e32 v31, s0
	s_add_i32 s0, s0, 1
	v_add_u32_e32 v30, 8, v30
	s_cmp_lg_u32 s12, s0
	s_waitcnt lgkmcnt(0)
	v_cmp_lt_f64_e64 vcc, |v[20:21]|, |v[32:33]|
	v_cndmask_b32_e32 v21, v21, v33, vcc
	v_cndmask_b32_e32 v20, v20, v32, vcc
	;; [unrolled: 1-line block ×3, first 2 shown]
	s_cbranch_scc1 .LBB14_82
.LBB14_83:
	s_waitcnt lgkmcnt(0)
	v_cmp_eq_f64_e32 vcc, 0, v[20:21]
	s_and_saveexec_b64 s[0:1], vcc
	s_xor_b64 s[0:1], exec, s[0:1]
; %bb.84:
	v_cmp_ne_u32_e32 vcc, 0, v29
	v_cndmask_b32_e32 v29, 6, v29, vcc
; %bb.85:
	s_andn2_saveexec_b64 s[0:1], s[0:1]
; %bb.86:
	v_div_scale_f64 v[30:31], s[2:3], v[20:21], v[20:21], 1.0
	v_rcp_f64_e32 v[32:33], v[30:31]
	v_div_scale_f64 v[34:35], vcc, 1.0, v[20:21], 1.0
	v_fma_f64 v[36:37], -v[30:31], v[32:33], 1.0
	v_fmac_f64_e32 v[32:33], v[32:33], v[36:37]
	v_fma_f64 v[36:37], -v[30:31], v[32:33], 1.0
	v_fmac_f64_e32 v[32:33], v[32:33], v[36:37]
	v_mul_f64 v[36:37], v[34:35], v[32:33]
	v_fma_f64 v[30:31], -v[30:31], v[36:37], v[34:35]
	v_div_fmas_f64 v[30:31], v[30:31], v[32:33], v[36:37]
	v_div_fixup_f64 v[20:21], v[30:31], v[20:21], 1.0
; %bb.87:
	s_or_b64 exec, exec, s[0:1]
	v_cmp_ne_u32_e32 vcc, v28, v22
	s_and_saveexec_b64 s[0:1], vcc
	s_xor_b64 s[0:1], exec, s[0:1]
	s_cbranch_execz .LBB14_93
; %bb.88:
	v_cmp_eq_u32_e32 vcc, 5, v28
	s_and_saveexec_b64 s[2:3], vcc
	s_cbranch_execz .LBB14_92
; %bb.89:
	v_cmp_ne_u32_e32 vcc, 5, v22
	s_xor_b64 s[14:15], s[6:7], -1
	s_and_b64 s[16:17], s[14:15], vcc
	s_and_saveexec_b64 s[14:15], s[16:17]
	s_cbranch_execz .LBB14_91
; %bb.90:
	v_ashrrev_i32_e32 v23, 31, v22
	v_lshlrev_b64 v[30:31], 2, v[22:23]
	v_add_co_u32_e32 v30, vcc, v16, v30
	v_addc_co_u32_e32 v31, vcc, v17, v31, vcc
	flat_load_dword v23, v[30:31]
	flat_load_dword v28, v[16:17] offset:20
	s_waitcnt vmcnt(0) lgkmcnt(0)
	flat_store_dword v[16:17], v23 offset:20
	flat_store_dword v[30:31], v28
.LBB14_91:
	s_or_b64 exec, exec, s[14:15]
	v_mov_b32_e32 v23, v22
	v_mov_b32_e32 v28, v22
.LBB14_92:
	s_or_b64 exec, exec, s[2:3]
.LBB14_93:
	s_andn2_saveexec_b64 s[0:1], s[0:1]
	s_cbranch_execz .LBB14_95
; %bb.94:
	v_mov_b32_e32 v28, 5
	ds_write2_b64 v24, v[6:7], v[18:19] offset0:6 offset1:7
.LBB14_95:
	s_or_b64 exec, exec, s[0:1]
	v_cmp_lt_i32_e32 vcc, 5, v28
	s_waitcnt lgkmcnt(0)
	s_barrier
	s_and_saveexec_b64 s[0:1], vcc
	s_cbranch_execz .LBB14_97
; %bb.96:
	ds_read2_b64 v[30:33], v24 offset0:6 offset1:7
	v_mul_f64 v[12:13], v[12:13], v[20:21]
	s_waitcnt lgkmcnt(0)
	v_fma_f64 v[6:7], -v[12:13], v[30:31], v[6:7]
	v_fma_f64 v[18:19], -v[12:13], v[32:33], v[18:19]
.LBB14_97:
	s_or_b64 exec, exec, s[0:1]
	v_lshl_add_u32 v20, v28, 3, v24
	s_barrier
	ds_write_b64 v20, v[6:7]
	s_waitcnt lgkmcnt(0)
	s_barrier
	ds_read_b64 v[20:21], v24 offset:48
	s_cmp_lt_i32 s12, 8
	v_mov_b32_e32 v22, 6
	s_cbranch_scc1 .LBB14_100
; %bb.98:
	v_add3_u32 v30, v25, 0, 56
	s_mov_b32 s0, 7
	v_mov_b32_e32 v22, 6
.LBB14_99:                              ; =>This Inner Loop Header: Depth=1
	ds_read_b64 v[32:33], v30
	v_mov_b32_e32 v31, s0
	s_add_i32 s0, s0, 1
	v_add_u32_e32 v30, 8, v30
	s_cmp_lg_u32 s12, s0
	s_waitcnt lgkmcnt(0)
	v_cmp_lt_f64_e64 vcc, |v[20:21]|, |v[32:33]|
	v_cndmask_b32_e32 v21, v21, v33, vcc
	v_cndmask_b32_e32 v20, v20, v32, vcc
	;; [unrolled: 1-line block ×3, first 2 shown]
	s_cbranch_scc1 .LBB14_99
.LBB14_100:
	s_waitcnt lgkmcnt(0)
	v_cmp_eq_f64_e32 vcc, 0, v[20:21]
	s_and_saveexec_b64 s[0:1], vcc
	s_xor_b64 s[0:1], exec, s[0:1]
; %bb.101:
	v_cmp_ne_u32_e32 vcc, 0, v29
	v_cndmask_b32_e32 v29, 7, v29, vcc
; %bb.102:
	s_andn2_saveexec_b64 s[0:1], s[0:1]
; %bb.103:
	v_div_scale_f64 v[30:31], s[2:3], v[20:21], v[20:21], 1.0
	v_rcp_f64_e32 v[32:33], v[30:31]
	v_div_scale_f64 v[34:35], vcc, 1.0, v[20:21], 1.0
	v_fma_f64 v[36:37], -v[30:31], v[32:33], 1.0
	v_fmac_f64_e32 v[32:33], v[32:33], v[36:37]
	v_fma_f64 v[36:37], -v[30:31], v[32:33], 1.0
	v_fmac_f64_e32 v[32:33], v[32:33], v[36:37]
	v_mul_f64 v[36:37], v[34:35], v[32:33]
	v_fma_f64 v[30:31], -v[30:31], v[36:37], v[34:35]
	v_div_fmas_f64 v[30:31], v[30:31], v[32:33], v[36:37]
	v_div_fixup_f64 v[20:21], v[30:31], v[20:21], 1.0
; %bb.104:
	s_or_b64 exec, exec, s[0:1]
	v_cmp_ne_u32_e32 vcc, v28, v22
	s_and_saveexec_b64 s[0:1], vcc
	s_xor_b64 s[0:1], exec, s[0:1]
	s_cbranch_execz .LBB14_110
; %bb.105:
	v_cmp_eq_u32_e32 vcc, 6, v28
	s_and_saveexec_b64 s[2:3], vcc
	s_cbranch_execz .LBB14_109
; %bb.106:
	v_cmp_ne_u32_e32 vcc, 6, v22
	s_xor_b64 s[14:15], s[6:7], -1
	s_and_b64 s[16:17], s[14:15], vcc
	s_and_saveexec_b64 s[14:15], s[16:17]
	s_cbranch_execz .LBB14_108
; %bb.107:
	v_ashrrev_i32_e32 v23, 31, v22
	v_lshlrev_b64 v[30:31], 2, v[22:23]
	v_add_co_u32_e32 v30, vcc, v16, v30
	v_addc_co_u32_e32 v31, vcc, v17, v31, vcc
	flat_load_dword v23, v[30:31]
	flat_load_dword v28, v[16:17] offset:24
	s_waitcnt vmcnt(0) lgkmcnt(0)
	flat_store_dword v[16:17], v23 offset:24
	flat_store_dword v[30:31], v28
.LBB14_108:
	s_or_b64 exec, exec, s[14:15]
	v_mov_b32_e32 v23, v22
	v_mov_b32_e32 v28, v22
.LBB14_109:
	s_or_b64 exec, exec, s[2:3]
.LBB14_110:
	s_andn2_saveexec_b64 s[0:1], s[0:1]
	s_cbranch_execz .LBB14_112
; %bb.111:
	v_mov_b32_e32 v28, 6
	ds_write_b64 v24, v[18:19] offset:56
.LBB14_112:
	s_or_b64 exec, exec, s[0:1]
	v_cmp_lt_i32_e32 vcc, 6, v28
	s_waitcnt lgkmcnt(0)
	s_barrier
	s_and_saveexec_b64 s[0:1], vcc
	s_cbranch_execz .LBB14_114
; %bb.113:
	ds_read_b64 v[30:31], v24 offset:56
	v_mul_f64 v[6:7], v[6:7], v[20:21]
	s_waitcnt lgkmcnt(0)
	v_fma_f64 v[18:19], -v[6:7], v[30:31], v[18:19]
.LBB14_114:
	s_or_b64 exec, exec, s[0:1]
	v_lshl_add_u32 v20, v28, 3, v24
	s_barrier
	ds_write_b64 v20, v[18:19]
	s_waitcnt lgkmcnt(0)
	s_barrier
	ds_read_b64 v[20:21], v24 offset:56
	s_cmp_lt_i32 s12, 9
	v_mov_b32_e32 v22, 7
	s_cbranch_scc1 .LBB14_117
; %bb.115:
	v_add3_u32 v24, v25, 0, 64
	s_mov_b32 s0, 8
	v_mov_b32_e32 v22, 7
.LBB14_116:                             ; =>This Inner Loop Header: Depth=1
	ds_read_b64 v[30:31], v24
	v_mov_b32_e32 v25, s0
	s_add_i32 s0, s0, 1
	v_add_u32_e32 v24, 8, v24
	s_cmp_lg_u32 s12, s0
	s_waitcnt lgkmcnt(0)
	v_cmp_lt_f64_e64 vcc, |v[20:21]|, |v[30:31]|
	v_cndmask_b32_e32 v21, v21, v31, vcc
	v_cndmask_b32_e32 v20, v20, v30, vcc
	;; [unrolled: 1-line block ×3, first 2 shown]
	s_cbranch_scc1 .LBB14_116
.LBB14_117:
	s_waitcnt lgkmcnt(0)
	v_cmp_eq_f64_e32 vcc, 0, v[20:21]
	s_and_saveexec_b64 s[0:1], vcc
	s_xor_b64 s[0:1], exec, s[0:1]
; %bb.118:
	v_cmp_ne_u32_e32 vcc, 0, v29
	v_cndmask_b32_e32 v29, 8, v29, vcc
; %bb.119:
	s_andn2_saveexec_b64 s[0:1], s[0:1]
; %bb.120:
	v_div_scale_f64 v[24:25], s[2:3], v[20:21], v[20:21], 1.0
	v_rcp_f64_e32 v[30:31], v[24:25]
	v_div_scale_f64 v[32:33], vcc, 1.0, v[20:21], 1.0
	v_fma_f64 v[34:35], -v[24:25], v[30:31], 1.0
	v_fmac_f64_e32 v[30:31], v[30:31], v[34:35]
	v_fma_f64 v[34:35], -v[24:25], v[30:31], 1.0
	v_fmac_f64_e32 v[30:31], v[30:31], v[34:35]
	v_mul_f64 v[34:35], v[32:33], v[30:31]
	v_fma_f64 v[24:25], -v[24:25], v[34:35], v[32:33]
	v_div_fmas_f64 v[24:25], v[24:25], v[30:31], v[34:35]
	v_div_fixup_f64 v[20:21], v[24:25], v[20:21], 1.0
; %bb.121:
	s_or_b64 exec, exec, s[0:1]
	v_cmp_ne_u32_e32 vcc, v28, v22
	v_mov_b32_e32 v24, 7
	s_and_saveexec_b64 s[0:1], vcc
	s_cbranch_execz .LBB14_127
; %bb.122:
	v_cmp_eq_u32_e32 vcc, 7, v28
	s_and_saveexec_b64 s[2:3], vcc
	s_cbranch_execz .LBB14_126
; %bb.123:
	v_cmp_ne_u32_e32 vcc, 7, v22
	s_xor_b64 s[6:7], s[6:7], -1
	s_and_b64 s[14:15], s[6:7], vcc
	s_and_saveexec_b64 s[6:7], s[14:15]
	s_cbranch_execz .LBB14_125
; %bb.124:
	v_ashrrev_i32_e32 v23, 31, v22
	v_lshlrev_b64 v[24:25], 2, v[22:23]
	v_add_co_u32_e32 v24, vcc, v16, v24
	v_addc_co_u32_e32 v25, vcc, v17, v25, vcc
	flat_load_dword v23, v[24:25]
	flat_load_dword v28, v[16:17] offset:28
	s_waitcnt vmcnt(0) lgkmcnt(0)
	flat_store_dword v[16:17], v23 offset:28
	flat_store_dword v[24:25], v28
.LBB14_125:
	s_or_b64 exec, exec, s[6:7]
	v_mov_b32_e32 v23, v22
	v_mov_b32_e32 v28, v22
.LBB14_126:
	s_or_b64 exec, exec, s[2:3]
	v_mov_b32_e32 v24, v28
.LBB14_127:
	s_or_b64 exec, exec, s[0:1]
	s_load_dwordx8 s[0:7], s[4:5], 0x28
	v_cmp_gt_i32_e32 vcc, 8, v24
	v_ashrrev_i32_e32 v25, 31, v24
	s_waitcnt lgkmcnt(0)
	s_barrier
	s_barrier
	s_and_saveexec_b64 s[14:15], vcc
	s_cbranch_execz .LBB14_129
; %bb.128:
	v_mul_lo_u32 v22, v3, s4
	v_mul_lo_u32 v28, v2, s5
	v_mad_u64_u32 v[16:17], s[4:5], v2, s4, 0
	s_lshl_b64 s[2:3], s[2:3], 2
	v_add3_u32 v17, v17, v28, v22
	s_add_u32 s0, s2, s0
	v_lshlrev_b64 v[16:17], 2, v[16:17]
	s_addc_u32 s1, s3, s1
	v_mov_b32_e32 v22, s1
	v_add_co_u32_e32 v28, vcc, s0, v16
	v_addc_co_u32_e32 v22, vcc, v22, v17, vcc
	v_lshlrev_b64 v[16:17], 2, v[24:25]
	v_add_co_u32_e32 v16, vcc, v28, v16
	v_addc_co_u32_e32 v17, vcc, v22, v17, vcc
	v_add3_u32 v22, v23, s13, 1
	global_store_dword v[16:17], v22, off
.LBB14_129:
	s_or_b64 exec, exec, s[14:15]
	v_cmp_eq_u32_e32 vcc, 0, v24
	s_and_saveexec_b64 s[2:3], vcc
	s_cbranch_execz .LBB14_132
; %bb.130:
	v_lshlrev_b64 v[2:3], 2, v[2:3]
	v_mov_b32_e32 v16, s7
	v_add_co_u32_e32 v2, vcc, s6, v2
	v_addc_co_u32_e32 v3, vcc, v16, v3, vcc
	global_load_dword v16, v[2:3], off
	v_cmp_lt_i32_e64 s[0:1], 0, v29
	s_waitcnt vmcnt(0)
	v_cmp_eq_u32_e32 vcc, 0, v16
	s_and_b64 s[0:1], vcc, s[0:1]
	s_and_b64 exec, exec, s[0:1]
	s_cbranch_execz .LBB14_132
; %bb.131:
	v_add_u32_e32 v16, s13, v29
	global_store_dword v[2:3], v16, off
.LBB14_132:
	s_or_b64 exec, exec, s[2:3]
	v_mul_f64 v[2:3], v[18:19], v[20:21]
	v_cmp_lt_i32_e32 vcc, 7, v24
	v_lshlrev_b64 v[16:17], 3, v[24:25]
	v_cndmask_b32_e32 v3, v19, v3, vcc
	v_cndmask_b32_e32 v2, v18, v2, vcc
	v_add_co_u32_e32 v16, vcc, v26, v16
	v_addc_co_u32_e32 v17, vcc, v27, v17, vcc
	global_store_dwordx2 v[16:17], v[10:11], off
	v_mov_b32_e32 v11, s11
	v_add_co_u32_e32 v10, vcc, s10, v16
	v_addc_co_u32_e32 v11, vcc, v17, v11, vcc
	global_store_dwordx2 v[10:11], v[8:9], off
	v_add_u32_e32 v8, s9, v24
	v_ashrrev_i32_e32 v9, 31, v8
	v_lshlrev_b64 v[10:11], 3, v[8:9]
	v_add_co_u32_e32 v10, vcc, v26, v10
	v_addc_co_u32_e32 v11, vcc, v27, v11, vcc
	global_store_dwordx2 v[10:11], v[4:5], off
	v_add_u32_e32 v4, s8, v8
	v_ashrrev_i32_e32 v5, 31, v4
	v_lshlrev_b64 v[8:9], 3, v[4:5]
	;; [unrolled: 6-line block ×3, first 2 shown]
	v_add_co_u32_e32 v4, vcc, v26, v4
	v_add_u32_e32 v0, s8, v0
	v_addc_co_u32_e32 v5, vcc, v27, v5, vcc
	v_ashrrev_i32_e32 v1, 31, v0
	global_store_dwordx2 v[4:5], v[14:15], off
	v_lshlrev_b64 v[4:5], 3, v[0:1]
	v_add_co_u32_e32 v4, vcc, v26, v4
	v_add_u32_e32 v0, s8, v0
	v_addc_co_u32_e32 v5, vcc, v27, v5, vcc
	v_ashrrev_i32_e32 v1, 31, v0
	global_store_dwordx2 v[4:5], v[12:13], off
	v_lshlrev_b64 v[4:5], 3, v[0:1]
	v_add_u32_e32 v0, s8, v0
	v_add_co_u32_e32 v4, vcc, v26, v4
	v_ashrrev_i32_e32 v1, 31, v0
	v_addc_co_u32_e32 v5, vcc, v27, v5, vcc
	v_lshlrev_b64 v[0:1], 3, v[0:1]
	v_add_co_u32_e32 v0, vcc, v26, v0
	v_addc_co_u32_e32 v1, vcc, v27, v1, vcc
	global_store_dwordx2 v[4:5], v[6:7], off
	global_store_dwordx2 v[0:1], v[2:3], off
.LBB14_133:
	s_endpgm
	.section	.rodata,"a",@progbits
	.p2align	6, 0x0
	.amdhsa_kernel _ZN9rocsolver6v33100L18getf2_small_kernelILi8EdiiPKPdEEvT1_T3_lS5_lPS5_llPT2_S5_S5_S7_l
		.amdhsa_group_segment_fixed_size 0
		.amdhsa_private_segment_fixed_size 0
		.amdhsa_kernarg_size 352
		.amdhsa_user_sgpr_count 6
		.amdhsa_user_sgpr_private_segment_buffer 1
		.amdhsa_user_sgpr_dispatch_ptr 0
		.amdhsa_user_sgpr_queue_ptr 0
		.amdhsa_user_sgpr_kernarg_segment_ptr 1
		.amdhsa_user_sgpr_dispatch_id 0
		.amdhsa_user_sgpr_flat_scratch_init 0
		.amdhsa_user_sgpr_kernarg_preload_length 0
		.amdhsa_user_sgpr_kernarg_preload_offset 0
		.amdhsa_user_sgpr_private_segment_size 0
		.amdhsa_uses_dynamic_stack 0
		.amdhsa_system_sgpr_private_segment_wavefront_offset 0
		.amdhsa_system_sgpr_workgroup_id_x 1
		.amdhsa_system_sgpr_workgroup_id_y 1
		.amdhsa_system_sgpr_workgroup_id_z 0
		.amdhsa_system_sgpr_workgroup_info 0
		.amdhsa_system_vgpr_workitem_id 1
		.amdhsa_next_free_vgpr 42
		.amdhsa_next_free_sgpr 20
		.amdhsa_accum_offset 44
		.amdhsa_reserve_vcc 1
		.amdhsa_reserve_flat_scratch 0
		.amdhsa_float_round_mode_32 0
		.amdhsa_float_round_mode_16_64 0
		.amdhsa_float_denorm_mode_32 3
		.amdhsa_float_denorm_mode_16_64 3
		.amdhsa_dx10_clamp 1
		.amdhsa_ieee_mode 1
		.amdhsa_fp16_overflow 0
		.amdhsa_tg_split 0
		.amdhsa_exception_fp_ieee_invalid_op 0
		.amdhsa_exception_fp_denorm_src 0
		.amdhsa_exception_fp_ieee_div_zero 0
		.amdhsa_exception_fp_ieee_overflow 0
		.amdhsa_exception_fp_ieee_underflow 0
		.amdhsa_exception_fp_ieee_inexact 0
		.amdhsa_exception_int_div_zero 0
	.end_amdhsa_kernel
	.section	.text._ZN9rocsolver6v33100L18getf2_small_kernelILi8EdiiPKPdEEvT1_T3_lS5_lPS5_llPT2_S5_S5_S7_l,"axG",@progbits,_ZN9rocsolver6v33100L18getf2_small_kernelILi8EdiiPKPdEEvT1_T3_lS5_lPS5_llPT2_S5_S5_S7_l,comdat
.Lfunc_end14:
	.size	_ZN9rocsolver6v33100L18getf2_small_kernelILi8EdiiPKPdEEvT1_T3_lS5_lPS5_llPT2_S5_S5_S7_l, .Lfunc_end14-_ZN9rocsolver6v33100L18getf2_small_kernelILi8EdiiPKPdEEvT1_T3_lS5_lPS5_llPT2_S5_S5_S7_l
                                        ; -- End function
	.section	.AMDGPU.csdata,"",@progbits
; Kernel info:
; codeLenInByte = 4604
; NumSgprs: 24
; NumVgprs: 42
; NumAgprs: 0
; TotalNumVgprs: 42
; ScratchSize: 0
; MemoryBound: 0
; FloatMode: 240
; IeeeMode: 1
; LDSByteSize: 0 bytes/workgroup (compile time only)
; SGPRBlocks: 2
; VGPRBlocks: 5
; NumSGPRsForWavesPerEU: 24
; NumVGPRsForWavesPerEU: 42
; AccumOffset: 44
; Occupancy: 8
; WaveLimiterHint : 1
; COMPUTE_PGM_RSRC2:SCRATCH_EN: 0
; COMPUTE_PGM_RSRC2:USER_SGPR: 6
; COMPUTE_PGM_RSRC2:TRAP_HANDLER: 0
; COMPUTE_PGM_RSRC2:TGID_X_EN: 1
; COMPUTE_PGM_RSRC2:TGID_Y_EN: 1
; COMPUTE_PGM_RSRC2:TGID_Z_EN: 0
; COMPUTE_PGM_RSRC2:TIDIG_COMP_CNT: 1
; COMPUTE_PGM_RSRC3_GFX90A:ACCUM_OFFSET: 10
; COMPUTE_PGM_RSRC3_GFX90A:TG_SPLIT: 0
	.section	.text._ZN9rocsolver6v33100L23getf2_npvt_small_kernelILi8EdiiPKPdEEvT1_T3_lS5_lPT2_S5_S5_,"axG",@progbits,_ZN9rocsolver6v33100L23getf2_npvt_small_kernelILi8EdiiPKPdEEvT1_T3_lS5_lPT2_S5_S5_,comdat
	.globl	_ZN9rocsolver6v33100L23getf2_npvt_small_kernelILi8EdiiPKPdEEvT1_T3_lS5_lPT2_S5_S5_ ; -- Begin function _ZN9rocsolver6v33100L23getf2_npvt_small_kernelILi8EdiiPKPdEEvT1_T3_lS5_lPT2_S5_S5_
	.p2align	8
	.type	_ZN9rocsolver6v33100L23getf2_npvt_small_kernelILi8EdiiPKPdEEvT1_T3_lS5_lPT2_S5_S5_,@function
_ZN9rocsolver6v33100L23getf2_npvt_small_kernelILi8EdiiPKPdEEvT1_T3_lS5_lPT2_S5_S5_: ; @_ZN9rocsolver6v33100L23getf2_npvt_small_kernelILi8EdiiPKPdEEvT1_T3_lS5_lPT2_S5_S5_
; %bb.0:
	s_load_dword s0, s[4:5], 0x44
	s_load_dwordx2 s[14:15], s[4:5], 0x30
	v_bfe_u32 v34, v0, 10, 10
	s_waitcnt lgkmcnt(0)
	s_lshr_b32 s2, s0, 16
	s_mul_i32 s7, s7, s2
	v_add_u32_e32 v2, s7, v34
	v_cmp_gt_i32_e32 vcc, s14, v2
	s_and_saveexec_b64 s[0:1], vcc
	s_cbranch_execz .LBB15_44
; %bb.1:
	s_load_dwordx4 s[8:11], s[4:5], 0x8
	s_load_dword s0, s[4:5], 0x18
	v_ashrrev_i32_e32 v3, 31, v2
	v_lshlrev_b64 v[4:5], 3, v[2:3]
	v_and_b32_e32 v50, 0x3ff, v0
	s_waitcnt lgkmcnt(0)
	v_mov_b32_e32 v1, s9
	v_add_co_u32_e32 v4, vcc, s8, v4
	v_addc_co_u32_e32 v5, vcc, v1, v5, vcc
	global_load_dwordx2 v[4:5], v[4:5], off
	s_add_i32 s3, s0, s0
	v_add_u32_e32 v0, s3, v50
	v_ashrrev_i32_e32 v1, 31, v0
	v_add_u32_e32 v6, s0, v0
	v_lshlrev_b64 v[8:9], 3, v[0:1]
	v_add_u32_e32 v0, s0, v6
	s_lshl_b64 s[6:7], s[10:11], 3
	v_ashrrev_i32_e32 v1, 31, v0
	v_add_u32_e32 v10, s0, v0
	v_mov_b32_e32 v19, s7
	v_lshlrev_b64 v[12:13], 3, v[0:1]
	v_add_u32_e32 v0, s0, v10
	v_lshlrev_b32_e32 v18, 3, v50
	v_ashrrev_i32_e32 v1, 31, v0
	v_add_u32_e32 v14, s0, v0
	v_lshlrev_b64 v[16:17], 3, v[0:1]
	v_ashrrev_i32_e32 v7, 31, v6
	v_lshlrev_b64 v[6:7], 3, v[6:7]
	v_ashrrev_i32_e32 v11, 31, v10
	;; [unrolled: 2-line block ×3, first 2 shown]
	v_lshlrev_b64 v[14:15], 3, v[14:15]
	s_ashr_i32 s1, s0, 31
	s_lshl_b64 s[8:9], s[0:1], 3
	v_mov_b32_e32 v20, s9
	s_lshl_b32 s0, s2, 6
	s_add_i32 s0, s0, 0
	v_lshl_add_u32 v49, v34, 6, 0
	v_lshl_add_u32 v48, v34, 3, s0
	v_cmp_ne_u32_e64 s[2:3], 0, v50
	v_cmp_eq_u32_e64 s[0:1], 0, v50
	s_waitcnt vmcnt(0)
	v_add_co_u32_e32 v21, vcc, s6, v4
	v_addc_co_u32_e32 v19, vcc, v5, v19, vcc
	v_add_co_u32_e32 v0, vcc, v21, v18
	v_addc_co_u32_e32 v1, vcc, 0, v19, vcc
	;; [unrolled: 2-line block ×9, first 2 shown]
	global_load_dwordx2 v[18:19], v[0:1], off
	global_load_dwordx2 v[20:21], v[16:17], off
	;; [unrolled: 1-line block ×8, first 2 shown]
	s_and_saveexec_b64 s[6:7], s[0:1]
	s_cbranch_execz .LBB15_4
; %bb.2:
	s_waitcnt vmcnt(7)
	ds_write_b64 v48, v[18:19]
	s_waitcnt vmcnt(5)
	ds_write2_b64 v49, v[20:21], v[30:31] offset0:1 offset1:2
	s_waitcnt vmcnt(3)
	ds_write2_b64 v49, v[28:29], v[26:27] offset0:3 offset1:4
	;; [unrolled: 2-line block ×3, first 2 shown]
	s_waitcnt vmcnt(0)
	ds_write_b64 v49, v[32:33] offset:56
	ds_read_b64 v[34:35], v48
	s_waitcnt lgkmcnt(0)
	v_cmp_neq_f64_e32 vcc, 0, v[34:35]
	s_and_b64 exec, exec, vcc
	s_cbranch_execz .LBB15_4
; %bb.3:
	v_div_scale_f64 v[36:37], s[8:9], v[34:35], v[34:35], 1.0
	v_rcp_f64_e32 v[38:39], v[36:37]
	v_div_scale_f64 v[40:41], vcc, 1.0, v[34:35], 1.0
	v_fma_f64 v[42:43], -v[36:37], v[38:39], 1.0
	v_fmac_f64_e32 v[38:39], v[38:39], v[42:43]
	v_fma_f64 v[42:43], -v[36:37], v[38:39], 1.0
	v_fmac_f64_e32 v[38:39], v[38:39], v[42:43]
	v_mul_f64 v[42:43], v[40:41], v[38:39]
	v_fma_f64 v[36:37], -v[36:37], v[42:43], v[40:41]
	v_div_fmas_f64 v[36:37], v[36:37], v[38:39], v[42:43]
	v_div_fixup_f64 v[34:35], v[36:37], v[34:35], 1.0
	ds_write_b64 v48, v[34:35]
.LBB15_4:
	s_or_b64 exec, exec, s[6:7]
	s_waitcnt lgkmcnt(0)
	s_barrier
	ds_read_b64 v[34:35], v48
	s_and_saveexec_b64 s[6:7], s[2:3]
	s_cbranch_execz .LBB15_6
; %bb.5:
	ds_read2_b64 v[36:39], v49 offset0:1 offset1:2
	ds_read2_b64 v[40:43], v49 offset0:3 offset1:4
	s_waitcnt vmcnt(7) lgkmcnt(2)
	v_mul_f64 v[18:19], v[18:19], v[34:35]
	ds_read2_b64 v[44:47], v49 offset0:5 offset1:6
	s_waitcnt vmcnt(6) lgkmcnt(2)
	v_fma_f64 v[20:21], -v[18:19], v[36:37], v[20:21]
	ds_read_b64 v[36:37], v49 offset:56
	s_waitcnt vmcnt(5)
	v_fma_f64 v[30:31], -v[18:19], v[38:39], v[30:31]
	s_waitcnt vmcnt(4) lgkmcnt(2)
	v_fma_f64 v[28:29], -v[18:19], v[40:41], v[28:29]
	s_waitcnt vmcnt(3)
	v_fma_f64 v[26:27], -v[18:19], v[42:43], v[26:27]
	s_waitcnt vmcnt(2) lgkmcnt(1)
	v_fma_f64 v[24:25], -v[18:19], v[44:45], v[24:25]
	;; [unrolled: 4-line block ×3, first 2 shown]
.LBB15_6:
	s_or_b64 exec, exec, s[6:7]
	v_cmp_eq_u32_e32 vcc, 1, v50
	s_waitcnt lgkmcnt(0)
	s_barrier
	s_and_saveexec_b64 s[2:3], vcc
	s_cbranch_execz .LBB15_9
; %bb.7:
	s_waitcnt vmcnt(6)
	ds_write_b64 v48, v[20:21]
	s_waitcnt vmcnt(4)
	ds_write2_b64 v49, v[30:31], v[28:29] offset0:2 offset1:3
	s_waitcnt vmcnt(2)
	ds_write2_b64 v49, v[26:27], v[24:25] offset0:4 offset1:5
	;; [unrolled: 2-line block ×3, first 2 shown]
	ds_read_b64 v[36:37], v48
	s_waitcnt lgkmcnt(0)
	v_cmp_neq_f64_e32 vcc, 0, v[36:37]
	s_and_b64 exec, exec, vcc
	s_cbranch_execz .LBB15_9
; %bb.8:
	v_div_scale_f64 v[38:39], s[6:7], v[36:37], v[36:37], 1.0
	v_rcp_f64_e32 v[40:41], v[38:39]
	v_div_scale_f64 v[42:43], vcc, 1.0, v[36:37], 1.0
	v_fma_f64 v[44:45], -v[38:39], v[40:41], 1.0
	v_fmac_f64_e32 v[40:41], v[40:41], v[44:45]
	v_fma_f64 v[44:45], -v[38:39], v[40:41], 1.0
	v_fmac_f64_e32 v[40:41], v[40:41], v[44:45]
	v_mul_f64 v[44:45], v[42:43], v[40:41]
	v_fma_f64 v[38:39], -v[38:39], v[44:45], v[42:43]
	v_div_fmas_f64 v[38:39], v[38:39], v[40:41], v[44:45]
	v_div_fixup_f64 v[36:37], v[38:39], v[36:37], 1.0
	ds_write_b64 v48, v[36:37]
.LBB15_9:
	s_or_b64 exec, exec, s[2:3]
	s_waitcnt lgkmcnt(0)
	s_barrier
	ds_read_b64 v[36:37], v48
	v_cmp_lt_u32_e32 vcc, 1, v50
	s_and_saveexec_b64 s[2:3], vcc
	s_cbranch_execz .LBB15_11
; %bb.10:
	ds_read2_b64 v[38:41], v49 offset0:2 offset1:3
	ds_read2_b64 v[42:45], v49 offset0:4 offset1:5
	;; [unrolled: 1-line block ×3, first 2 shown]
	s_waitcnt vmcnt(6) lgkmcnt(3)
	v_mul_f64 v[20:21], v[20:21], v[36:37]
	s_waitcnt vmcnt(5) lgkmcnt(2)
	v_fma_f64 v[30:31], -v[20:21], v[38:39], v[30:31]
	s_waitcnt vmcnt(4)
	v_fma_f64 v[28:29], -v[20:21], v[40:41], v[28:29]
	s_waitcnt vmcnt(3) lgkmcnt(1)
	v_fma_f64 v[26:27], -v[20:21], v[42:43], v[26:27]
	s_waitcnt vmcnt(2)
	v_fma_f64 v[24:25], -v[20:21], v[44:45], v[24:25]
	;; [unrolled: 4-line block ×3, first 2 shown]
.LBB15_11:
	s_or_b64 exec, exec, s[2:3]
	v_cmp_eq_u32_e32 vcc, 2, v50
	s_waitcnt lgkmcnt(0)
	s_barrier
	s_and_saveexec_b64 s[2:3], vcc
	s_cbranch_execz .LBB15_14
; %bb.12:
	s_waitcnt vmcnt(5)
	ds_write_b64 v48, v[30:31]
	s_waitcnt vmcnt(3)
	ds_write2_b64 v49, v[28:29], v[26:27] offset0:3 offset1:4
	s_waitcnt vmcnt(1)
	ds_write2_b64 v49, v[24:25], v[22:23] offset0:5 offset1:6
	s_waitcnt vmcnt(0)
	ds_write_b64 v49, v[32:33] offset:56
	ds_read_b64 v[38:39], v48
	s_waitcnt lgkmcnt(0)
	v_cmp_neq_f64_e32 vcc, 0, v[38:39]
	s_and_b64 exec, exec, vcc
	s_cbranch_execz .LBB15_14
; %bb.13:
	v_div_scale_f64 v[40:41], s[6:7], v[38:39], v[38:39], 1.0
	v_rcp_f64_e32 v[42:43], v[40:41]
	v_div_scale_f64 v[44:45], vcc, 1.0, v[38:39], 1.0
	v_fma_f64 v[46:47], -v[40:41], v[42:43], 1.0
	v_fmac_f64_e32 v[42:43], v[42:43], v[46:47]
	v_fma_f64 v[46:47], -v[40:41], v[42:43], 1.0
	v_fmac_f64_e32 v[42:43], v[42:43], v[46:47]
	v_mul_f64 v[46:47], v[44:45], v[42:43]
	v_fma_f64 v[40:41], -v[40:41], v[46:47], v[44:45]
	v_div_fmas_f64 v[40:41], v[40:41], v[42:43], v[46:47]
	v_div_fixup_f64 v[38:39], v[40:41], v[38:39], 1.0
	ds_write_b64 v48, v[38:39]
.LBB15_14:
	s_or_b64 exec, exec, s[2:3]
	s_waitcnt lgkmcnt(0)
	s_barrier
	ds_read_b64 v[38:39], v48
	v_cmp_lt_u32_e32 vcc, 2, v50
	s_and_saveexec_b64 s[2:3], vcc
	s_cbranch_execz .LBB15_16
; %bb.15:
	ds_read2_b64 v[40:43], v49 offset0:3 offset1:4
	ds_read2_b64 v[44:47], v49 offset0:5 offset1:6
	ds_read_b64 v[52:53], v49 offset:56
	s_waitcnt vmcnt(5) lgkmcnt(3)
	v_mul_f64 v[30:31], v[30:31], v[38:39]
	s_waitcnt vmcnt(4) lgkmcnt(2)
	v_fma_f64 v[28:29], -v[30:31], v[40:41], v[28:29]
	s_waitcnt vmcnt(3)
	v_fma_f64 v[26:27], -v[30:31], v[42:43], v[26:27]
	s_waitcnt vmcnt(2) lgkmcnt(1)
	v_fma_f64 v[24:25], -v[30:31], v[44:45], v[24:25]
	s_waitcnt vmcnt(1)
	v_fma_f64 v[22:23], -v[30:31], v[46:47], v[22:23]
	s_waitcnt vmcnt(0) lgkmcnt(0)
	v_fma_f64 v[32:33], -v[30:31], v[52:53], v[32:33]
.LBB15_16:
	s_or_b64 exec, exec, s[2:3]
	v_cmp_eq_u32_e32 vcc, 3, v50
	s_waitcnt lgkmcnt(0)
	s_barrier
	s_and_saveexec_b64 s[2:3], vcc
	s_cbranch_execz .LBB15_19
; %bb.17:
	s_waitcnt vmcnt(4)
	ds_write_b64 v48, v[28:29]
	s_waitcnt vmcnt(2)
	ds_write2_b64 v49, v[26:27], v[24:25] offset0:4 offset1:5
	s_waitcnt vmcnt(0)
	ds_write2_b64 v49, v[22:23], v[32:33] offset0:6 offset1:7
	ds_read_b64 v[40:41], v48
	s_waitcnt lgkmcnt(0)
	v_cmp_neq_f64_e32 vcc, 0, v[40:41]
	s_and_b64 exec, exec, vcc
	s_cbranch_execz .LBB15_19
; %bb.18:
	v_div_scale_f64 v[42:43], s[6:7], v[40:41], v[40:41], 1.0
	v_rcp_f64_e32 v[44:45], v[42:43]
	v_div_scale_f64 v[46:47], vcc, 1.0, v[40:41], 1.0
	v_fma_f64 v[52:53], -v[42:43], v[44:45], 1.0
	v_fmac_f64_e32 v[44:45], v[44:45], v[52:53]
	v_fma_f64 v[52:53], -v[42:43], v[44:45], 1.0
	v_fmac_f64_e32 v[44:45], v[44:45], v[52:53]
	v_mul_f64 v[52:53], v[46:47], v[44:45]
	v_fma_f64 v[42:43], -v[42:43], v[52:53], v[46:47]
	v_div_fmas_f64 v[42:43], v[42:43], v[44:45], v[52:53]
	v_div_fixup_f64 v[40:41], v[42:43], v[40:41], 1.0
	ds_write_b64 v48, v[40:41]
.LBB15_19:
	s_or_b64 exec, exec, s[2:3]
	s_waitcnt lgkmcnt(0)
	s_barrier
	ds_read_b64 v[40:41], v48
	v_cmp_lt_u32_e32 vcc, 3, v50
	s_and_saveexec_b64 s[2:3], vcc
	s_cbranch_execz .LBB15_21
; %bb.20:
	ds_read2_b64 v[42:45], v49 offset0:4 offset1:5
	ds_read2_b64 v[52:55], v49 offset0:6 offset1:7
	s_waitcnt vmcnt(4) lgkmcnt(2)
	v_mul_f64 v[28:29], v[28:29], v[40:41]
	s_waitcnt vmcnt(3) lgkmcnt(1)
	v_fma_f64 v[26:27], -v[28:29], v[42:43], v[26:27]
	s_waitcnt vmcnt(2)
	v_fma_f64 v[24:25], -v[28:29], v[44:45], v[24:25]
	s_waitcnt vmcnt(1) lgkmcnt(0)
	v_fma_f64 v[22:23], -v[28:29], v[52:53], v[22:23]
	s_waitcnt vmcnt(0)
	v_fma_f64 v[32:33], -v[28:29], v[54:55], v[32:33]
.LBB15_21:
	s_or_b64 exec, exec, s[2:3]
	v_cmp_eq_u32_e32 vcc, 4, v50
	s_waitcnt lgkmcnt(0)
	s_barrier
	s_and_saveexec_b64 s[2:3], vcc
	s_cbranch_execz .LBB15_24
; %bb.22:
	s_waitcnt vmcnt(3)
	ds_write_b64 v48, v[26:27]
	s_waitcnt vmcnt(1)
	ds_write2_b64 v49, v[24:25], v[22:23] offset0:5 offset1:6
	s_waitcnt vmcnt(0)
	ds_write_b64 v49, v[32:33] offset:56
	ds_read_b64 v[42:43], v48
	s_waitcnt lgkmcnt(0)
	v_cmp_neq_f64_e32 vcc, 0, v[42:43]
	s_and_b64 exec, exec, vcc
	s_cbranch_execz .LBB15_24
; %bb.23:
	v_div_scale_f64 v[44:45], s[6:7], v[42:43], v[42:43], 1.0
	v_rcp_f64_e32 v[46:47], v[44:45]
	v_div_scale_f64 v[52:53], vcc, 1.0, v[42:43], 1.0
	v_fma_f64 v[54:55], -v[44:45], v[46:47], 1.0
	v_fmac_f64_e32 v[46:47], v[46:47], v[54:55]
	v_fma_f64 v[54:55], -v[44:45], v[46:47], 1.0
	v_fmac_f64_e32 v[46:47], v[46:47], v[54:55]
	v_mul_f64 v[54:55], v[52:53], v[46:47]
	v_fma_f64 v[44:45], -v[44:45], v[54:55], v[52:53]
	v_div_fmas_f64 v[44:45], v[44:45], v[46:47], v[54:55]
	v_div_fixup_f64 v[42:43], v[44:45], v[42:43], 1.0
	ds_write_b64 v48, v[42:43]
.LBB15_24:
	s_or_b64 exec, exec, s[2:3]
	s_waitcnt lgkmcnt(0)
	s_barrier
	ds_read_b64 v[42:43], v48
	v_cmp_lt_u32_e32 vcc, 4, v50
	s_and_saveexec_b64 s[2:3], vcc
	s_cbranch_execz .LBB15_26
; %bb.25:
	ds_read2_b64 v[44:47], v49 offset0:5 offset1:6
	ds_read_b64 v[52:53], v49 offset:56
	s_waitcnt vmcnt(3) lgkmcnt(2)
	v_mul_f64 v[26:27], v[26:27], v[42:43]
	s_waitcnt vmcnt(2) lgkmcnt(1)
	v_fma_f64 v[24:25], -v[26:27], v[44:45], v[24:25]
	s_waitcnt vmcnt(1)
	v_fma_f64 v[22:23], -v[26:27], v[46:47], v[22:23]
	s_waitcnt vmcnt(0) lgkmcnt(0)
	v_fma_f64 v[32:33], -v[26:27], v[52:53], v[32:33]
.LBB15_26:
	s_or_b64 exec, exec, s[2:3]
	v_cmp_eq_u32_e32 vcc, 5, v50
	s_waitcnt lgkmcnt(0)
	s_barrier
	s_and_saveexec_b64 s[2:3], vcc
	s_cbranch_execz .LBB15_29
; %bb.27:
	s_waitcnt vmcnt(2)
	ds_write_b64 v48, v[24:25]
	s_waitcnt vmcnt(0)
	ds_write2_b64 v49, v[22:23], v[32:33] offset0:6 offset1:7
	ds_read_b64 v[44:45], v48
	s_waitcnt lgkmcnt(0)
	v_cmp_neq_f64_e32 vcc, 0, v[44:45]
	s_and_b64 exec, exec, vcc
	s_cbranch_execz .LBB15_29
; %bb.28:
	v_div_scale_f64 v[46:47], s[6:7], v[44:45], v[44:45], 1.0
	v_rcp_f64_e32 v[52:53], v[46:47]
	v_div_scale_f64 v[54:55], vcc, 1.0, v[44:45], 1.0
	v_fma_f64 v[56:57], -v[46:47], v[52:53], 1.0
	v_fmac_f64_e32 v[52:53], v[52:53], v[56:57]
	v_fma_f64 v[56:57], -v[46:47], v[52:53], 1.0
	v_fmac_f64_e32 v[52:53], v[52:53], v[56:57]
	v_mul_f64 v[56:57], v[54:55], v[52:53]
	v_fma_f64 v[46:47], -v[46:47], v[56:57], v[54:55]
	v_div_fmas_f64 v[46:47], v[46:47], v[52:53], v[56:57]
	v_div_fixup_f64 v[44:45], v[46:47], v[44:45], 1.0
	ds_write_b64 v48, v[44:45]
.LBB15_29:
	s_or_b64 exec, exec, s[2:3]
	s_waitcnt lgkmcnt(0)
	s_barrier
	ds_read_b64 v[44:45], v48
	v_cmp_lt_u32_e32 vcc, 5, v50
	s_and_saveexec_b64 s[2:3], vcc
	s_cbranch_execz .LBB15_31
; %bb.30:
	ds_read2_b64 v[52:55], v49 offset0:6 offset1:7
	s_waitcnt vmcnt(2) lgkmcnt(1)
	v_mul_f64 v[24:25], v[24:25], v[44:45]
	s_waitcnt vmcnt(1) lgkmcnt(0)
	v_fma_f64 v[22:23], -v[24:25], v[52:53], v[22:23]
	s_waitcnt vmcnt(0)
	v_fma_f64 v[32:33], -v[24:25], v[54:55], v[32:33]
.LBB15_31:
	s_or_b64 exec, exec, s[2:3]
	v_cmp_eq_u32_e32 vcc, 6, v50
	s_waitcnt lgkmcnt(0)
	s_barrier
	s_and_saveexec_b64 s[2:3], vcc
	s_cbranch_execz .LBB15_34
; %bb.32:
	s_waitcnt vmcnt(1)
	ds_write_b64 v48, v[22:23]
	s_waitcnt vmcnt(0)
	ds_write_b64 v49, v[32:33] offset:56
	ds_read_b64 v[46:47], v48
	s_waitcnt lgkmcnt(0)
	v_cmp_neq_f64_e32 vcc, 0, v[46:47]
	s_and_b64 exec, exec, vcc
	s_cbranch_execz .LBB15_34
; %bb.33:
	v_div_scale_f64 v[52:53], s[6:7], v[46:47], v[46:47], 1.0
	v_rcp_f64_e32 v[54:55], v[52:53]
	v_div_scale_f64 v[56:57], vcc, 1.0, v[46:47], 1.0
	v_fma_f64 v[58:59], -v[52:53], v[54:55], 1.0
	v_fmac_f64_e32 v[54:55], v[54:55], v[58:59]
	v_fma_f64 v[58:59], -v[52:53], v[54:55], 1.0
	v_fmac_f64_e32 v[54:55], v[54:55], v[58:59]
	v_mul_f64 v[58:59], v[56:57], v[54:55]
	v_fma_f64 v[52:53], -v[52:53], v[58:59], v[56:57]
	v_div_fmas_f64 v[52:53], v[52:53], v[54:55], v[58:59]
	v_div_fixup_f64 v[46:47], v[52:53], v[46:47], 1.0
	ds_write_b64 v48, v[46:47]
.LBB15_34:
	s_or_b64 exec, exec, s[2:3]
	s_waitcnt lgkmcnt(0)
	s_barrier
	ds_read_b64 v[46:47], v48
	v_cmp_lt_u32_e32 vcc, 6, v50
	s_and_saveexec_b64 s[2:3], vcc
	s_cbranch_execz .LBB15_36
; %bb.35:
	ds_read_b64 v[52:53], v49 offset:56
	s_waitcnt vmcnt(1) lgkmcnt(1)
	v_mul_f64 v[22:23], v[22:23], v[46:47]
	s_waitcnt vmcnt(0) lgkmcnt(0)
	v_fma_f64 v[32:33], -v[22:23], v[52:53], v[32:33]
.LBB15_36:
	s_or_b64 exec, exec, s[2:3]
	v_cmp_ne_u32_e32 vcc, 7, v50
	s_waitcnt lgkmcnt(0)
	s_barrier
	s_and_saveexec_b64 s[2:3], vcc
	s_xor_b64 s[2:3], exec, s[2:3]
	s_andn2_saveexec_b64 s[2:3], s[2:3]
	s_cbranch_execz .LBB15_40
; %bb.37:
	s_waitcnt vmcnt(0)
	v_cmp_neq_f64_e32 vcc, 0, v[32:33]
	ds_write_b64 v48, v[32:33]
	s_and_saveexec_b64 s[6:7], vcc
	s_cbranch_execz .LBB15_39
; %bb.38:
	v_div_scale_f64 v[52:53], s[8:9], v[32:33], v[32:33], 1.0
	v_rcp_f64_e32 v[54:55], v[52:53]
	v_div_scale_f64 v[56:57], vcc, 1.0, v[32:33], 1.0
	v_fma_f64 v[58:59], -v[52:53], v[54:55], 1.0
	v_fmac_f64_e32 v[54:55], v[54:55], v[58:59]
	v_fma_f64 v[58:59], -v[52:53], v[54:55], 1.0
	v_fmac_f64_e32 v[54:55], v[54:55], v[58:59]
	v_mul_f64 v[58:59], v[56:57], v[54:55]
	v_fma_f64 v[52:53], -v[52:53], v[58:59], v[56:57]
	v_div_fmas_f64 v[52:53], v[52:53], v[54:55], v[58:59]
	v_div_fixup_f64 v[52:53], v[52:53], v[32:33], 1.0
	ds_write_b64 v48, v[52:53]
.LBB15_39:
	s_or_b64 exec, exec, s[6:7]
.LBB15_40:
	s_or_b64 exec, exec, s[2:3]
	s_waitcnt lgkmcnt(0)
	s_barrier
	ds_read_b64 v[48:49], v48
	s_waitcnt lgkmcnt(0)
	s_barrier
	s_and_saveexec_b64 s[16:17], s[0:1]
	s_cbranch_execz .LBB15_43
; %bb.41:
	s_load_dwordx2 s[0:1], s[4:5], 0x28
	v_lshlrev_b64 v[2:3], 2, v[2:3]
	v_cmp_eq_f64_e64 s[2:3], 0, v[38:39]
	v_cmp_eq_f64_e64 s[4:5], 0, v[40:41]
	;; [unrolled: 1-line block ×3, first 2 shown]
	s_waitcnt lgkmcnt(0)
	v_mov_b32_e32 v51, s1
	v_add_co_u32_e32 v2, vcc, s0, v2
	v_addc_co_u32_e32 v3, vcc, v51, v3, vcc
	global_load_dword v51, v[2:3], off
	v_cmp_eq_f64_e32 vcc, 0, v[34:35]
	v_cmp_neq_f64_e64 s[0:1], 0, v[36:37]
	v_cndmask_b32_e64 v34, 0, 1, vcc
	s_or_b64 vcc, s[0:1], vcc
	v_cndmask_b32_e32 v34, 2, v34, vcc
	v_cmp_eq_u32_e32 vcc, 0, v34
	s_and_b64 s[0:1], s[2:3], vcc
	v_cndmask_b32_e64 v34, v34, 3, s[0:1]
	v_cmp_eq_u32_e32 vcc, 0, v34
	s_and_b64 s[0:1], s[4:5], vcc
	v_cndmask_b32_e64 v34, v34, 4, s[0:1]
	;; [unrolled: 3-line block ×3, first 2 shown]
	v_cmp_eq_f64_e64 s[8:9], 0, v[44:45]
	v_cmp_eq_u32_e32 vcc, 0, v34
	s_and_b64 s[0:1], s[8:9], vcc
	v_cndmask_b32_e64 v34, v34, 6, s[0:1]
	v_cmp_eq_f64_e64 s[10:11], 0, v[46:47]
	v_cmp_eq_u32_e32 vcc, 0, v34
	s_and_b64 s[0:1], s[10:11], vcc
	v_cndmask_b32_e64 v34, v34, 7, s[0:1]
	;; [unrolled: 4-line block ×3, first 2 shown]
	v_cmp_ne_u32_e64 s[0:1], 0, v34
	s_waitcnt vmcnt(0)
	v_cmp_eq_u32_e32 vcc, 0, v51
	s_and_b64 s[0:1], vcc, s[0:1]
	s_and_b64 exec, exec, s[0:1]
	s_cbranch_execz .LBB15_43
; %bb.42:
	v_add_u32_e32 v34, s15, v34
	global_store_dword v[2:3], v34, off
.LBB15_43:
	s_or_b64 exec, exec, s[16:17]
	s_waitcnt vmcnt(0)
	v_mul_f64 v[2:3], v[32:33], v[48:49]
	v_cmp_lt_u32_e32 vcc, 7, v50
	v_cndmask_b32_e32 v3, v33, v3, vcc
	v_cndmask_b32_e32 v2, v32, v2, vcc
	global_store_dwordx2 v[0:1], v[18:19], off
	global_store_dwordx2 v[16:17], v[20:21], off
	global_store_dwordx2 v[4:5], v[30:31], off
	global_store_dwordx2 v[6:7], v[28:29], off
	global_store_dwordx2 v[8:9], v[26:27], off
	global_store_dwordx2 v[10:11], v[24:25], off
	global_store_dwordx2 v[12:13], v[22:23], off
	global_store_dwordx2 v[14:15], v[2:3], off
.LBB15_44:
	s_endpgm
	.section	.rodata,"a",@progbits
	.p2align	6, 0x0
	.amdhsa_kernel _ZN9rocsolver6v33100L23getf2_npvt_small_kernelILi8EdiiPKPdEEvT1_T3_lS5_lPT2_S5_S5_
		.amdhsa_group_segment_fixed_size 0
		.amdhsa_private_segment_fixed_size 0
		.amdhsa_kernarg_size 312
		.amdhsa_user_sgpr_count 6
		.amdhsa_user_sgpr_private_segment_buffer 1
		.amdhsa_user_sgpr_dispatch_ptr 0
		.amdhsa_user_sgpr_queue_ptr 0
		.amdhsa_user_sgpr_kernarg_segment_ptr 1
		.amdhsa_user_sgpr_dispatch_id 0
		.amdhsa_user_sgpr_flat_scratch_init 0
		.amdhsa_user_sgpr_kernarg_preload_length 0
		.amdhsa_user_sgpr_kernarg_preload_offset 0
		.amdhsa_user_sgpr_private_segment_size 0
		.amdhsa_uses_dynamic_stack 0
		.amdhsa_system_sgpr_private_segment_wavefront_offset 0
		.amdhsa_system_sgpr_workgroup_id_x 1
		.amdhsa_system_sgpr_workgroup_id_y 1
		.amdhsa_system_sgpr_workgroup_id_z 0
		.amdhsa_system_sgpr_workgroup_info 0
		.amdhsa_system_vgpr_workitem_id 1
		.amdhsa_next_free_vgpr 60
		.amdhsa_next_free_sgpr 18
		.amdhsa_accum_offset 60
		.amdhsa_reserve_vcc 1
		.amdhsa_reserve_flat_scratch 0
		.amdhsa_float_round_mode_32 0
		.amdhsa_float_round_mode_16_64 0
		.amdhsa_float_denorm_mode_32 3
		.amdhsa_float_denorm_mode_16_64 3
		.amdhsa_dx10_clamp 1
		.amdhsa_ieee_mode 1
		.amdhsa_fp16_overflow 0
		.amdhsa_tg_split 0
		.amdhsa_exception_fp_ieee_invalid_op 0
		.amdhsa_exception_fp_denorm_src 0
		.amdhsa_exception_fp_ieee_div_zero 0
		.amdhsa_exception_fp_ieee_overflow 0
		.amdhsa_exception_fp_ieee_underflow 0
		.amdhsa_exception_fp_ieee_inexact 0
		.amdhsa_exception_int_div_zero 0
	.end_amdhsa_kernel
	.section	.text._ZN9rocsolver6v33100L23getf2_npvt_small_kernelILi8EdiiPKPdEEvT1_T3_lS5_lPT2_S5_S5_,"axG",@progbits,_ZN9rocsolver6v33100L23getf2_npvt_small_kernelILi8EdiiPKPdEEvT1_T3_lS5_lPT2_S5_S5_,comdat
.Lfunc_end15:
	.size	_ZN9rocsolver6v33100L23getf2_npvt_small_kernelILi8EdiiPKPdEEvT1_T3_lS5_lPT2_S5_S5_, .Lfunc_end15-_ZN9rocsolver6v33100L23getf2_npvt_small_kernelILi8EdiiPKPdEEvT1_T3_lS5_lPT2_S5_S5_
                                        ; -- End function
	.section	.AMDGPU.csdata,"",@progbits
; Kernel info:
; codeLenInByte = 2896
; NumSgprs: 22
; NumVgprs: 60
; NumAgprs: 0
; TotalNumVgprs: 60
; ScratchSize: 0
; MemoryBound: 0
; FloatMode: 240
; IeeeMode: 1
; LDSByteSize: 0 bytes/workgroup (compile time only)
; SGPRBlocks: 2
; VGPRBlocks: 7
; NumSGPRsForWavesPerEU: 22
; NumVGPRsForWavesPerEU: 60
; AccumOffset: 60
; Occupancy: 8
; WaveLimiterHint : 1
; COMPUTE_PGM_RSRC2:SCRATCH_EN: 0
; COMPUTE_PGM_RSRC2:USER_SGPR: 6
; COMPUTE_PGM_RSRC2:TRAP_HANDLER: 0
; COMPUTE_PGM_RSRC2:TGID_X_EN: 1
; COMPUTE_PGM_RSRC2:TGID_Y_EN: 1
; COMPUTE_PGM_RSRC2:TGID_Z_EN: 0
; COMPUTE_PGM_RSRC2:TIDIG_COMP_CNT: 1
; COMPUTE_PGM_RSRC3_GFX90A:ACCUM_OFFSET: 14
; COMPUTE_PGM_RSRC3_GFX90A:TG_SPLIT: 0
	.section	.text._ZN9rocsolver6v33100L18getf2_small_kernelILi9EdiiPKPdEEvT1_T3_lS5_lPS5_llPT2_S5_S5_S7_l,"axG",@progbits,_ZN9rocsolver6v33100L18getf2_small_kernelILi9EdiiPKPdEEvT1_T3_lS5_lPS5_llPT2_S5_S5_S7_l,comdat
	.globl	_ZN9rocsolver6v33100L18getf2_small_kernelILi9EdiiPKPdEEvT1_T3_lS5_lPS5_llPT2_S5_S5_S7_l ; -- Begin function _ZN9rocsolver6v33100L18getf2_small_kernelILi9EdiiPKPdEEvT1_T3_lS5_lPS5_llPT2_S5_S5_S7_l
	.p2align	8
	.type	_ZN9rocsolver6v33100L18getf2_small_kernelILi9EdiiPKPdEEvT1_T3_lS5_lPS5_llPT2_S5_S5_S7_l,@function
_ZN9rocsolver6v33100L18getf2_small_kernelILi9EdiiPKPdEEvT1_T3_lS5_lPS5_llPT2_S5_S5_S7_l: ; @_ZN9rocsolver6v33100L18getf2_small_kernelILi9EdiiPKPdEEvT1_T3_lS5_lPS5_llPT2_S5_S5_S7_l
; %bb.0:
	s_load_dword s0, s[4:5], 0x6c
	s_load_dwordx2 s[12:13], s[4:5], 0x48
	v_bfe_u32 v22, v0, 10, 10
	s_waitcnt lgkmcnt(0)
	s_lshr_b32 s0, s0, 16
	s_mul_i32 s7, s7, s0
	v_add_u32_e32 v2, s7, v22
	v_cmp_gt_i32_e32 vcc, s12, v2
	s_and_saveexec_b64 s[0:1], vcc
	s_cbranch_execz .LBB16_150
; %bb.1:
	s_load_dwordx4 s[0:3], s[4:5], 0x8
	s_load_dwordx4 s[8:11], s[4:5], 0x50
	v_ashrrev_i32_e32 v3, 31, v2
	v_lshlrev_b64 v[4:5], 3, v[2:3]
	v_pk_mov_b32 v[18:19], 0, 0
	s_waitcnt lgkmcnt(0)
	v_mov_b32_e32 v1, s1
	v_add_co_u32_e32 v4, vcc, s0, v4
	v_addc_co_u32_e32 v5, vcc, v1, v5, vcc
	global_load_dwordx2 v[4:5], v[4:5], off
	s_cmp_eq_u64 s[8:9], 0
	s_cselect_b64 s[6:7], -1, 0
	s_and_b64 vcc, exec, s[6:7]
	s_cbranch_vccnz .LBB16_3
; %bb.2:
	v_mul_lo_u32 v1, v3, s10
	v_mul_lo_u32 v8, v2, s11
	v_mad_u64_u32 v[6:7], s[0:1], v2, s10, 0
	v_add3_u32 v7, v7, v8, v1
	v_lshlrev_b64 v[6:7], 2, v[6:7]
	v_mov_b32_e32 v1, s9
	v_add_co_u32_e32 v18, vcc, s8, v6
	v_addc_co_u32_e32 v19, vcc, v1, v7, vcc
.LBB16_3:
	s_load_dword s8, s[4:5], 0x18
	s_load_dword s12, s[4:5], 0x0
	s_lshl_b64 s[0:1], s[2:3], 3
	v_mov_b32_e32 v1, s1
	s_waitcnt vmcnt(0)
	v_add_co_u32_e32 v28, vcc, s0, v4
	v_and_b32_e32 v31, 0x3ff, v0
	v_addc_co_u32_e32 v29, vcc, v5, v1, vcc
	v_lshlrev_b32_e32 v23, 3, v31
	v_add_co_u32_e32 v6, vcc, v28, v23
	s_waitcnt lgkmcnt(0)
	s_ashr_i32 s9, s8, 31
	v_addc_co_u32_e32 v7, vcc, 0, v29, vcc
	s_lshl_b64 s[10:11], s[8:9], 3
	v_mov_b32_e32 v0, s11
	v_add_co_u32_e32 v8, vcc, s10, v6
	s_add_i32 s9, s8, s8
	v_addc_co_u32_e32 v9, vcc, v7, v0, vcc
	v_add_u32_e32 v0, s9, v31
	v_ashrrev_i32_e32 v1, 31, v0
	v_lshlrev_b64 v[4:5], 3, v[0:1]
	v_add_u32_e32 v16, s8, v0
	v_add_co_u32_e32 v14, vcc, v28, v4
	v_ashrrev_i32_e32 v17, 31, v16
	v_addc_co_u32_e32 v15, vcc, v29, v5, vcc
	v_lshlrev_b64 v[0:1], 3, v[16:17]
	v_add_co_u32_e32 v20, vcc, v28, v0
	v_addc_co_u32_e32 v21, vcc, v29, v1, vcc
	global_load_dwordx2 v[12:13], v[6:7], off
	global_load_dwordx2 v[10:11], v[8:9], off
	;; [unrolled: 1-line block ×4, first 2 shown]
	v_add_u32_e32 v6, s8, v16
	v_ashrrev_i32_e32 v7, 31, v6
	v_lshlrev_b64 v[8:9], 3, v[6:7]
	v_add_u32_e32 v6, s8, v6
	v_add_co_u32_e32 v20, vcc, v28, v8
	v_ashrrev_i32_e32 v7, 31, v6
	v_addc_co_u32_e32 v21, vcc, v29, v9, vcc
	v_lshlrev_b64 v[8:9], 3, v[6:7]
	v_add_u32_e32 v6, s8, v6
	v_add_co_u32_e32 v24, vcc, v28, v8
	v_ashrrev_i32_e32 v7, 31, v6
	v_addc_co_u32_e32 v25, vcc, v29, v9, vcc
	;; [unrolled: 5-line block ×3, first 2 shown]
	v_lshlrev_b64 v[6:7], 3, v[32:33]
	v_add_co_u32_e32 v34, vcc, v28, v6
	v_addc_co_u32_e32 v35, vcc, v29, v7, vcc
	global_load_dwordx2 v[16:17], v[20:21], off
	global_load_dwordx2 v[14:15], v[24:25], off
	;; [unrolled: 1-line block ×4, first 2 shown]
	v_add_u32_e32 v20, s8, v32
	v_ashrrev_i32_e32 v21, 31, v20
	v_lshlrev_b64 v[20:21], 3, v[20:21]
	v_add_co_u32_e32 v20, vcc, v28, v20
	v_addc_co_u32_e32 v21, vcc, v29, v21, vcc
	global_load_dwordx2 v[20:21], v[20:21], off
	s_max_i32 s0, s12, 9
	v_mul_lo_u32 v25, s0, v22
	v_lshl_add_u32 v26, v25, 3, 0
	v_add_u32_e32 v22, v26, v23
	v_mov_b32_e32 v24, 0
	s_cmp_lt_i32 s12, 2
	v_lshlrev_b32_e32 v27, 3, v25
	s_waitcnt vmcnt(8)
	ds_write_b64 v22, v[12:13]
	s_waitcnt lgkmcnt(0)
	s_barrier
	ds_read_b64 v[22:23], v26
	s_cbranch_scc1 .LBB16_6
; %bb.4:
	v_add3_u32 v25, v27, 0, 8
	s_mov_b32 s0, 1
	v_mov_b32_e32 v24, 0
.LBB16_5:                               ; =>This Inner Loop Header: Depth=1
	ds_read_b64 v[32:33], v25
	v_mov_b32_e32 v30, s0
	s_add_i32 s0, s0, 1
	v_add_u32_e32 v25, 8, v25
	s_cmp_eq_u32 s12, s0
	s_waitcnt lgkmcnt(0)
	v_cmp_lt_f64_e64 vcc, |v[22:23]|, |v[32:33]|
	v_cndmask_b32_e32 v23, v23, v33, vcc
	v_cndmask_b32_e32 v22, v22, v32, vcc
	;; [unrolled: 1-line block ×3, first 2 shown]
	s_cbranch_scc0 .LBB16_5
.LBB16_6:
	v_cmp_ne_u32_e32 vcc, v31, v24
                                        ; implicit-def: $vgpr30
	s_and_saveexec_b64 s[0:1], vcc
	s_xor_b64 s[0:1], exec, s[0:1]
	s_cbranch_execz .LBB16_12
; %bb.7:
	v_cmp_eq_u32_e32 vcc, 0, v31
	s_and_saveexec_b64 s[2:3], vcc
	s_cbranch_execz .LBB16_11
; %bb.8:
	v_cmp_ne_u32_e32 vcc, 0, v24
	s_xor_b64 s[14:15], s[6:7], -1
	s_and_b64 s[16:17], s[14:15], vcc
	s_and_saveexec_b64 s[14:15], s[16:17]
	s_cbranch_execz .LBB16_10
; %bb.9:
	v_ashrrev_i32_e32 v25, 31, v24
	v_lshlrev_b64 v[30:31], 2, v[24:25]
	v_add_co_u32_e32 v30, vcc, v18, v30
	v_addc_co_u32_e32 v31, vcc, v19, v31, vcc
	flat_load_dword v25, v[30:31]
	flat_load_dword v32, v[18:19]
	s_waitcnt vmcnt(0) lgkmcnt(0)
	flat_store_dword v[18:19], v25
	flat_store_dword v[30:31], v32
.LBB16_10:
	s_or_b64 exec, exec, s[14:15]
	v_mov_b32_e32 v31, v24
.LBB16_11:
	s_or_b64 exec, exec, s[2:3]
	v_mov_b32_e32 v30, v31
                                        ; implicit-def: $vgpr31
.LBB16_12:
	s_or_saveexec_b64 s[0:1], s[0:1]
	v_mov_b32_e32 v25, v30
	s_xor_b64 exec, exec, s[0:1]
	s_cbranch_execz .LBB16_14
; %bb.13:
	v_mov_b32_e32 v30, 0
	v_mov_b32_e32 v25, v31
	s_waitcnt vmcnt(0)
	ds_write2_b64 v26, v[10:11], v[4:5] offset0:1 offset1:2
	ds_write2_b64 v26, v[0:1], v[16:17] offset0:3 offset1:4
	;; [unrolled: 1-line block ×4, first 2 shown]
.LBB16_14:
	s_or_b64 exec, exec, s[0:1]
	s_waitcnt lgkmcnt(0)
	v_cmp_eq_f64_e64 s[0:1], 0, v[22:23]
	v_cmp_lt_i32_e32 vcc, 0, v30
	s_barrier
	s_and_saveexec_b64 s[2:3], vcc
	s_cbranch_execz .LBB16_16
; %bb.15:
	v_div_scale_f64 v[32:33], s[14:15], v[22:23], v[22:23], 1.0
	v_rcp_f64_e32 v[34:35], v[32:33]
	v_div_scale_f64 v[36:37], vcc, 1.0, v[22:23], 1.0
	ds_read2_b64 v[40:43], v26 offset0:5 offset1:6
	v_fma_f64 v[38:39], -v[32:33], v[34:35], 1.0
	v_fmac_f64_e32 v[34:35], v[34:35], v[38:39]
	v_fma_f64 v[38:39], -v[32:33], v[34:35], 1.0
	v_fmac_f64_e32 v[34:35], v[34:35], v[38:39]
	v_mul_f64 v[38:39], v[36:37], v[34:35]
	v_fma_f64 v[32:33], -v[32:33], v[38:39], v[36:37]
	v_div_fmas_f64 v[32:33], v[32:33], v[34:35], v[38:39]
	v_div_fixup_f64 v[36:37], v[32:33], v[22:23], 1.0
	ds_read2_b64 v[32:35], v26 offset0:1 offset1:2
	v_cndmask_b32_e64 v23, v37, v23, s[0:1]
	v_cndmask_b32_e64 v22, v36, v22, s[0:1]
	ds_read2_b64 v[36:39], v26 offset0:3 offset1:4
	v_mul_f64 v[12:13], v[12:13], v[22:23]
	s_waitcnt vmcnt(0) lgkmcnt(0)
	v_fma_f64 v[10:11], -v[12:13], v[32:33], v[10:11]
	v_fma_f64 v[4:5], -v[12:13], v[34:35], v[4:5]
	ds_read2_b64 v[32:35], v26 offset0:7 offset1:8
	v_fma_f64 v[0:1], -v[12:13], v[36:37], v[0:1]
	v_fma_f64 v[16:17], -v[12:13], v[38:39], v[16:17]
	v_fma_f64 v[14:15], -v[12:13], v[40:41], v[14:15]
	v_fma_f64 v[8:9], -v[12:13], v[42:43], v[8:9]
	s_waitcnt lgkmcnt(0)
	v_fma_f64 v[6:7], -v[12:13], v[32:33], v[6:7]
	v_fma_f64 v[20:21], -v[12:13], v[34:35], v[20:21]
.LBB16_16:
	s_or_b64 exec, exec, s[2:3]
	v_lshl_add_u32 v22, v30, 3, v26
	s_barrier
	s_waitcnt vmcnt(0)
	ds_write_b64 v22, v[10:11]
	s_waitcnt lgkmcnt(0)
	s_barrier
	ds_read_b64 v[22:23], v26 offset:8
	s_cmp_lt_i32 s12, 3
	v_mov_b32_e32 v24, 1
	s_cbranch_scc1 .LBB16_19
; %bb.17:
	v_add3_u32 v31, v27, 0, 16
	s_mov_b32 s2, 2
	v_mov_b32_e32 v24, 1
.LBB16_18:                              ; =>This Inner Loop Header: Depth=1
	ds_read_b64 v[32:33], v31
	v_mov_b32_e32 v34, s2
	s_add_i32 s2, s2, 1
	v_add_u32_e32 v31, 8, v31
	s_cmp_lg_u32 s12, s2
	s_waitcnt lgkmcnt(0)
	v_cmp_lt_f64_e64 vcc, |v[22:23]|, |v[32:33]|
	v_cndmask_b32_e32 v23, v23, v33, vcc
	v_cndmask_b32_e32 v22, v22, v32, vcc
	;; [unrolled: 1-line block ×3, first 2 shown]
	s_cbranch_scc1 .LBB16_18
.LBB16_19:
	v_cmp_ne_u32_e32 vcc, v30, v24
	s_and_saveexec_b64 s[2:3], vcc
	s_xor_b64 s[2:3], exec, s[2:3]
	s_cbranch_execz .LBB16_25
; %bb.20:
	v_cmp_eq_u32_e32 vcc, 1, v30
	s_and_saveexec_b64 s[14:15], vcc
	s_cbranch_execz .LBB16_24
; %bb.21:
	v_cmp_ne_u32_e32 vcc, 1, v24
	s_xor_b64 s[16:17], s[6:7], -1
	s_and_b64 s[18:19], s[16:17], vcc
	s_and_saveexec_b64 s[16:17], s[18:19]
	s_cbranch_execz .LBB16_23
; %bb.22:
	v_ashrrev_i32_e32 v25, 31, v24
	v_lshlrev_b64 v[30:31], 2, v[24:25]
	v_add_co_u32_e32 v30, vcc, v18, v30
	v_addc_co_u32_e32 v31, vcc, v19, v31, vcc
	flat_load_dword v25, v[30:31]
	flat_load_dword v32, v[18:19] offset:4
	s_waitcnt vmcnt(0) lgkmcnt(0)
	flat_store_dword v[18:19], v25 offset:4
	flat_store_dword v[30:31], v32
.LBB16_23:
	s_or_b64 exec, exec, s[16:17]
	v_mov_b32_e32 v25, v24
	v_mov_b32_e32 v30, v24
.LBB16_24:
	s_or_b64 exec, exec, s[14:15]
.LBB16_25:
	s_andn2_saveexec_b64 s[2:3], s[2:3]
	s_cbranch_execz .LBB16_27
; %bb.26:
	v_mov_b32_e32 v30, 1
	ds_write2_b64 v26, v[4:5], v[0:1] offset0:2 offset1:3
	ds_write2_b64 v26, v[16:17], v[14:15] offset0:4 offset1:5
	;; [unrolled: 1-line block ×3, first 2 shown]
	ds_write_b64 v26, v[20:21] offset:64
.LBB16_27:
	s_or_b64 exec, exec, s[2:3]
	s_waitcnt lgkmcnt(0)
	v_cmp_neq_f64_e64 s[2:3], 0, v[22:23]
	v_cmp_lt_i32_e32 vcc, 1, v30
	s_barrier
	s_and_saveexec_b64 s[14:15], vcc
	s_cbranch_execz .LBB16_29
; %bb.28:
	v_div_scale_f64 v[32:33], s[16:17], v[22:23], v[22:23], 1.0
	v_rcp_f64_e32 v[34:35], v[32:33]
	v_div_scale_f64 v[36:37], vcc, 1.0, v[22:23], 1.0
	ds_read2_b64 v[40:43], v26 offset0:6 offset1:7
	v_fma_f64 v[38:39], -v[32:33], v[34:35], 1.0
	v_fmac_f64_e32 v[34:35], v[34:35], v[38:39]
	v_fma_f64 v[38:39], -v[32:33], v[34:35], 1.0
	v_fmac_f64_e32 v[34:35], v[34:35], v[38:39]
	v_mul_f64 v[38:39], v[36:37], v[34:35]
	v_fma_f64 v[32:33], -v[32:33], v[38:39], v[36:37]
	v_div_fmas_f64 v[32:33], v[32:33], v[34:35], v[38:39]
	v_div_fixup_f64 v[36:37], v[32:33], v[22:23], 1.0
	v_cndmask_b32_e64 v23, v23, v37, s[2:3]
	v_cndmask_b32_e64 v22, v22, v36, s[2:3]
	ds_read2_b64 v[32:35], v26 offset0:2 offset1:3
	ds_read2_b64 v[36:39], v26 offset0:4 offset1:5
	v_mul_f64 v[10:11], v[10:11], v[22:23]
	ds_read_b64 v[22:23], v26 offset:64
	s_waitcnt lgkmcnt(0)
	v_fma_f64 v[8:9], -v[10:11], v[40:41], v[8:9]
	v_fma_f64 v[4:5], -v[10:11], v[32:33], v[4:5]
	;; [unrolled: 1-line block ×7, first 2 shown]
.LBB16_29:
	s_or_b64 exec, exec, s[14:15]
	v_lshl_add_u32 v22, v30, 3, v26
	s_barrier
	ds_write_b64 v22, v[4:5]
	s_waitcnt lgkmcnt(0)
	s_barrier
	ds_read_b64 v[22:23], v26 offset:16
	s_mov_b32 s14, 3
	s_cmp_lt_i32 s12, 4
	v_mov_b32_e32 v24, 2
	s_cbranch_scc1 .LBB16_32
; %bb.30:
	v_add3_u32 v31, v27, 0, 24
	v_mov_b32_e32 v24, 2
.LBB16_31:                              ; =>This Inner Loop Header: Depth=1
	ds_read_b64 v[32:33], v31
	v_mov_b32_e32 v34, s14
	s_add_i32 s14, s14, 1
	v_add_u32_e32 v31, 8, v31
	s_cmp_lg_u32 s12, s14
	s_waitcnt lgkmcnt(0)
	v_cmp_lt_f64_e64 vcc, |v[22:23]|, |v[32:33]|
	v_cndmask_b32_e32 v23, v23, v33, vcc
	v_cndmask_b32_e32 v22, v22, v32, vcc
	;; [unrolled: 1-line block ×3, first 2 shown]
	s_cbranch_scc1 .LBB16_31
.LBB16_32:
	v_cndmask_b32_e64 v31, 2, 1, s[0:1]
	v_cndmask_b32_e64 v32, 0, 1, s[0:1]
	;; [unrolled: 1-line block ×3, first 2 shown]
	s_waitcnt lgkmcnt(0)
	v_cmp_eq_f64_e32 vcc, 0, v[22:23]
	s_and_saveexec_b64 s[0:1], vcc
	s_xor_b64 s[0:1], exec, s[0:1]
; %bb.33:
	v_cmp_ne_u32_e32 vcc, 0, v31
	v_cndmask_b32_e32 v31, 3, v31, vcc
; %bb.34:
	s_andn2_saveexec_b64 s[0:1], s[0:1]
; %bb.35:
	v_div_scale_f64 v[32:33], s[2:3], v[22:23], v[22:23], 1.0
	v_rcp_f64_e32 v[34:35], v[32:33]
	v_div_scale_f64 v[36:37], vcc, 1.0, v[22:23], 1.0
	v_fma_f64 v[38:39], -v[32:33], v[34:35], 1.0
	v_fmac_f64_e32 v[34:35], v[34:35], v[38:39]
	v_fma_f64 v[38:39], -v[32:33], v[34:35], 1.0
	v_fmac_f64_e32 v[34:35], v[34:35], v[38:39]
	v_mul_f64 v[38:39], v[36:37], v[34:35]
	v_fma_f64 v[32:33], -v[32:33], v[38:39], v[36:37]
	v_div_fmas_f64 v[32:33], v[32:33], v[34:35], v[38:39]
	v_div_fixup_f64 v[22:23], v[32:33], v[22:23], 1.0
; %bb.36:
	s_or_b64 exec, exec, s[0:1]
	v_cmp_ne_u32_e32 vcc, v30, v24
	s_and_saveexec_b64 s[0:1], vcc
	s_xor_b64 s[0:1], exec, s[0:1]
	s_cbranch_execz .LBB16_42
; %bb.37:
	v_cmp_eq_u32_e32 vcc, 2, v30
	s_and_saveexec_b64 s[2:3], vcc
	s_cbranch_execz .LBB16_41
; %bb.38:
	v_cmp_ne_u32_e32 vcc, 2, v24
	s_xor_b64 s[14:15], s[6:7], -1
	s_and_b64 s[16:17], s[14:15], vcc
	s_and_saveexec_b64 s[14:15], s[16:17]
	s_cbranch_execz .LBB16_40
; %bb.39:
	v_ashrrev_i32_e32 v25, 31, v24
	v_lshlrev_b64 v[32:33], 2, v[24:25]
	v_add_co_u32_e32 v32, vcc, v18, v32
	v_addc_co_u32_e32 v33, vcc, v19, v33, vcc
	flat_load_dword v25, v[32:33]
	flat_load_dword v30, v[18:19] offset:8
	s_waitcnt vmcnt(0) lgkmcnt(0)
	flat_store_dword v[18:19], v25 offset:8
	flat_store_dword v[32:33], v30
.LBB16_40:
	s_or_b64 exec, exec, s[14:15]
	v_mov_b32_e32 v25, v24
	v_mov_b32_e32 v30, v24
.LBB16_41:
	s_or_b64 exec, exec, s[2:3]
.LBB16_42:
	s_andn2_saveexec_b64 s[0:1], s[0:1]
	s_cbranch_execz .LBB16_44
; %bb.43:
	v_mov_b32_e32 v30, 2
	ds_write2_b64 v26, v[0:1], v[16:17] offset0:3 offset1:4
	ds_write2_b64 v26, v[14:15], v[8:9] offset0:5 offset1:6
	;; [unrolled: 1-line block ×3, first 2 shown]
.LBB16_44:
	s_or_b64 exec, exec, s[0:1]
	v_cmp_lt_i32_e32 vcc, 2, v30
	s_waitcnt lgkmcnt(0)
	s_barrier
	s_and_saveexec_b64 s[0:1], vcc
	s_cbranch_execz .LBB16_46
; %bb.45:
	ds_read2_b64 v[32:35], v26 offset0:3 offset1:4
	ds_read2_b64 v[36:39], v26 offset0:5 offset1:6
	;; [unrolled: 1-line block ×3, first 2 shown]
	v_mul_f64 v[4:5], v[4:5], v[22:23]
	s_waitcnt lgkmcnt(0)
	v_fma_f64 v[0:1], -v[4:5], v[32:33], v[0:1]
	v_fma_f64 v[16:17], -v[4:5], v[34:35], v[16:17]
	;; [unrolled: 1-line block ×6, first 2 shown]
.LBB16_46:
	s_or_b64 exec, exec, s[0:1]
	v_lshl_add_u32 v22, v30, 3, v26
	s_barrier
	ds_write_b64 v22, v[0:1]
	s_waitcnt lgkmcnt(0)
	s_barrier
	ds_read_b64 v[22:23], v26 offset:24
	s_cmp_lt_i32 s12, 5
	v_mov_b32_e32 v24, 3
	s_cbranch_scc1 .LBB16_49
; %bb.47:
	v_add3_u32 v32, v27, 0, 32
	s_mov_b32 s0, 4
	v_mov_b32_e32 v24, 3
.LBB16_48:                              ; =>This Inner Loop Header: Depth=1
	ds_read_b64 v[34:35], v32
	v_mov_b32_e32 v33, s0
	s_add_i32 s0, s0, 1
	v_add_u32_e32 v32, 8, v32
	s_cmp_lg_u32 s12, s0
	s_waitcnt lgkmcnt(0)
	v_cmp_lt_f64_e64 vcc, |v[22:23]|, |v[34:35]|
	v_cndmask_b32_e32 v23, v23, v35, vcc
	v_cndmask_b32_e32 v22, v22, v34, vcc
	;; [unrolled: 1-line block ×3, first 2 shown]
	s_cbranch_scc1 .LBB16_48
.LBB16_49:
	s_waitcnt lgkmcnt(0)
	v_cmp_eq_f64_e32 vcc, 0, v[22:23]
	s_and_saveexec_b64 s[0:1], vcc
	s_xor_b64 s[0:1], exec, s[0:1]
; %bb.50:
	v_cmp_ne_u32_e32 vcc, 0, v31
	v_cndmask_b32_e32 v31, 4, v31, vcc
; %bb.51:
	s_andn2_saveexec_b64 s[0:1], s[0:1]
; %bb.52:
	v_div_scale_f64 v[32:33], s[2:3], v[22:23], v[22:23], 1.0
	v_rcp_f64_e32 v[34:35], v[32:33]
	v_div_scale_f64 v[36:37], vcc, 1.0, v[22:23], 1.0
	v_fma_f64 v[38:39], -v[32:33], v[34:35], 1.0
	v_fmac_f64_e32 v[34:35], v[34:35], v[38:39]
	v_fma_f64 v[38:39], -v[32:33], v[34:35], 1.0
	v_fmac_f64_e32 v[34:35], v[34:35], v[38:39]
	v_mul_f64 v[38:39], v[36:37], v[34:35]
	v_fma_f64 v[32:33], -v[32:33], v[38:39], v[36:37]
	v_div_fmas_f64 v[32:33], v[32:33], v[34:35], v[38:39]
	v_div_fixup_f64 v[22:23], v[32:33], v[22:23], 1.0
; %bb.53:
	s_or_b64 exec, exec, s[0:1]
	v_cmp_ne_u32_e32 vcc, v30, v24
	s_and_saveexec_b64 s[0:1], vcc
	s_xor_b64 s[0:1], exec, s[0:1]
	s_cbranch_execz .LBB16_59
; %bb.54:
	v_cmp_eq_u32_e32 vcc, 3, v30
	s_and_saveexec_b64 s[2:3], vcc
	s_cbranch_execz .LBB16_58
; %bb.55:
	v_cmp_ne_u32_e32 vcc, 3, v24
	s_xor_b64 s[14:15], s[6:7], -1
	s_and_b64 s[16:17], s[14:15], vcc
	s_and_saveexec_b64 s[14:15], s[16:17]
	s_cbranch_execz .LBB16_57
; %bb.56:
	v_ashrrev_i32_e32 v25, 31, v24
	v_lshlrev_b64 v[32:33], 2, v[24:25]
	v_add_co_u32_e32 v32, vcc, v18, v32
	v_addc_co_u32_e32 v33, vcc, v19, v33, vcc
	flat_load_dword v25, v[32:33]
	flat_load_dword v30, v[18:19] offset:12
	s_waitcnt vmcnt(0) lgkmcnt(0)
	flat_store_dword v[18:19], v25 offset:12
	flat_store_dword v[32:33], v30
.LBB16_57:
	s_or_b64 exec, exec, s[14:15]
	v_mov_b32_e32 v25, v24
	v_mov_b32_e32 v30, v24
.LBB16_58:
	s_or_b64 exec, exec, s[2:3]
.LBB16_59:
	s_andn2_saveexec_b64 s[0:1], s[0:1]
	s_cbranch_execz .LBB16_61
; %bb.60:
	v_mov_b32_e32 v30, 3
	ds_write2_b64 v26, v[16:17], v[14:15] offset0:4 offset1:5
	ds_write2_b64 v26, v[8:9], v[6:7] offset0:6 offset1:7
	ds_write_b64 v26, v[20:21] offset:64
.LBB16_61:
	s_or_b64 exec, exec, s[0:1]
	v_cmp_lt_i32_e32 vcc, 3, v30
	s_waitcnt lgkmcnt(0)
	s_barrier
	s_and_saveexec_b64 s[0:1], vcc
	s_cbranch_execz .LBB16_63
; %bb.62:
	ds_read2_b64 v[32:35], v26 offset0:4 offset1:5
	ds_read2_b64 v[36:39], v26 offset0:6 offset1:7
	v_mul_f64 v[0:1], v[0:1], v[22:23]
	ds_read_b64 v[22:23], v26 offset:64
	s_waitcnt lgkmcnt(0)
	v_fma_f64 v[16:17], -v[0:1], v[32:33], v[16:17]
	v_fma_f64 v[14:15], -v[0:1], v[34:35], v[14:15]
	;; [unrolled: 1-line block ×5, first 2 shown]
.LBB16_63:
	s_or_b64 exec, exec, s[0:1]
	v_lshl_add_u32 v22, v30, 3, v26
	s_barrier
	ds_write_b64 v22, v[16:17]
	s_waitcnt lgkmcnt(0)
	s_barrier
	ds_read_b64 v[22:23], v26 offset:32
	s_cmp_lt_i32 s12, 6
	v_mov_b32_e32 v24, 4
	s_cbranch_scc1 .LBB16_66
; %bb.64:
	v_add3_u32 v32, v27, 0, 40
	s_mov_b32 s0, 5
	v_mov_b32_e32 v24, 4
.LBB16_65:                              ; =>This Inner Loop Header: Depth=1
	ds_read_b64 v[34:35], v32
	v_mov_b32_e32 v33, s0
	s_add_i32 s0, s0, 1
	v_add_u32_e32 v32, 8, v32
	s_cmp_lg_u32 s12, s0
	s_waitcnt lgkmcnt(0)
	v_cmp_lt_f64_e64 vcc, |v[22:23]|, |v[34:35]|
	v_cndmask_b32_e32 v23, v23, v35, vcc
	v_cndmask_b32_e32 v22, v22, v34, vcc
	;; [unrolled: 1-line block ×3, first 2 shown]
	s_cbranch_scc1 .LBB16_65
.LBB16_66:
	s_waitcnt lgkmcnt(0)
	v_cmp_eq_f64_e32 vcc, 0, v[22:23]
	s_and_saveexec_b64 s[0:1], vcc
	s_xor_b64 s[0:1], exec, s[0:1]
; %bb.67:
	v_cmp_ne_u32_e32 vcc, 0, v31
	v_cndmask_b32_e32 v31, 5, v31, vcc
; %bb.68:
	s_andn2_saveexec_b64 s[0:1], s[0:1]
; %bb.69:
	v_div_scale_f64 v[32:33], s[2:3], v[22:23], v[22:23], 1.0
	v_rcp_f64_e32 v[34:35], v[32:33]
	v_div_scale_f64 v[36:37], vcc, 1.0, v[22:23], 1.0
	v_fma_f64 v[38:39], -v[32:33], v[34:35], 1.0
	v_fmac_f64_e32 v[34:35], v[34:35], v[38:39]
	v_fma_f64 v[38:39], -v[32:33], v[34:35], 1.0
	v_fmac_f64_e32 v[34:35], v[34:35], v[38:39]
	v_mul_f64 v[38:39], v[36:37], v[34:35]
	v_fma_f64 v[32:33], -v[32:33], v[38:39], v[36:37]
	v_div_fmas_f64 v[32:33], v[32:33], v[34:35], v[38:39]
	v_div_fixup_f64 v[22:23], v[32:33], v[22:23], 1.0
; %bb.70:
	s_or_b64 exec, exec, s[0:1]
	v_cmp_ne_u32_e32 vcc, v30, v24
	s_and_saveexec_b64 s[0:1], vcc
	s_xor_b64 s[0:1], exec, s[0:1]
	s_cbranch_execz .LBB16_76
; %bb.71:
	v_cmp_eq_u32_e32 vcc, 4, v30
	s_and_saveexec_b64 s[2:3], vcc
	s_cbranch_execz .LBB16_75
; %bb.72:
	v_cmp_ne_u32_e32 vcc, 4, v24
	s_xor_b64 s[14:15], s[6:7], -1
	s_and_b64 s[16:17], s[14:15], vcc
	s_and_saveexec_b64 s[14:15], s[16:17]
	s_cbranch_execz .LBB16_74
; %bb.73:
	v_ashrrev_i32_e32 v25, 31, v24
	v_lshlrev_b64 v[32:33], 2, v[24:25]
	v_add_co_u32_e32 v32, vcc, v18, v32
	v_addc_co_u32_e32 v33, vcc, v19, v33, vcc
	flat_load_dword v25, v[32:33]
	flat_load_dword v30, v[18:19] offset:16
	s_waitcnt vmcnt(0) lgkmcnt(0)
	flat_store_dword v[18:19], v25 offset:16
	flat_store_dword v[32:33], v30
.LBB16_74:
	s_or_b64 exec, exec, s[14:15]
	v_mov_b32_e32 v25, v24
	v_mov_b32_e32 v30, v24
.LBB16_75:
	s_or_b64 exec, exec, s[2:3]
.LBB16_76:
	s_andn2_saveexec_b64 s[0:1], s[0:1]
	s_cbranch_execz .LBB16_78
; %bb.77:
	v_mov_b32_e32 v30, 4
	ds_write2_b64 v26, v[14:15], v[8:9] offset0:5 offset1:6
	ds_write2_b64 v26, v[6:7], v[20:21] offset0:7 offset1:8
.LBB16_78:
	s_or_b64 exec, exec, s[0:1]
	v_cmp_lt_i32_e32 vcc, 4, v30
	s_waitcnt lgkmcnt(0)
	s_barrier
	s_and_saveexec_b64 s[0:1], vcc
	s_cbranch_execz .LBB16_80
; %bb.79:
	ds_read2_b64 v[32:35], v26 offset0:5 offset1:6
	ds_read2_b64 v[36:39], v26 offset0:7 offset1:8
	v_mul_f64 v[16:17], v[16:17], v[22:23]
	s_waitcnt lgkmcnt(0)
	v_fma_f64 v[14:15], -v[16:17], v[32:33], v[14:15]
	v_fma_f64 v[8:9], -v[16:17], v[34:35], v[8:9]
	;; [unrolled: 1-line block ×4, first 2 shown]
.LBB16_80:
	s_or_b64 exec, exec, s[0:1]
	v_lshl_add_u32 v22, v30, 3, v26
	s_barrier
	ds_write_b64 v22, v[14:15]
	s_waitcnt lgkmcnt(0)
	s_barrier
	ds_read_b64 v[22:23], v26 offset:40
	s_cmp_lt_i32 s12, 7
	v_mov_b32_e32 v24, 5
	s_cbranch_scc1 .LBB16_83
; %bb.81:
	v_add3_u32 v32, v27, 0, 48
	s_mov_b32 s0, 6
	v_mov_b32_e32 v24, 5
.LBB16_82:                              ; =>This Inner Loop Header: Depth=1
	ds_read_b64 v[34:35], v32
	v_mov_b32_e32 v33, s0
	s_add_i32 s0, s0, 1
	v_add_u32_e32 v32, 8, v32
	s_cmp_lg_u32 s12, s0
	s_waitcnt lgkmcnt(0)
	v_cmp_lt_f64_e64 vcc, |v[22:23]|, |v[34:35]|
	v_cndmask_b32_e32 v23, v23, v35, vcc
	v_cndmask_b32_e32 v22, v22, v34, vcc
	;; [unrolled: 1-line block ×3, first 2 shown]
	s_cbranch_scc1 .LBB16_82
.LBB16_83:
	s_waitcnt lgkmcnt(0)
	v_cmp_eq_f64_e32 vcc, 0, v[22:23]
	s_and_saveexec_b64 s[0:1], vcc
	s_xor_b64 s[0:1], exec, s[0:1]
; %bb.84:
	v_cmp_ne_u32_e32 vcc, 0, v31
	v_cndmask_b32_e32 v31, 6, v31, vcc
; %bb.85:
	s_andn2_saveexec_b64 s[0:1], s[0:1]
; %bb.86:
	v_div_scale_f64 v[32:33], s[2:3], v[22:23], v[22:23], 1.0
	v_rcp_f64_e32 v[34:35], v[32:33]
	v_div_scale_f64 v[36:37], vcc, 1.0, v[22:23], 1.0
	v_fma_f64 v[38:39], -v[32:33], v[34:35], 1.0
	v_fmac_f64_e32 v[34:35], v[34:35], v[38:39]
	v_fma_f64 v[38:39], -v[32:33], v[34:35], 1.0
	v_fmac_f64_e32 v[34:35], v[34:35], v[38:39]
	v_mul_f64 v[38:39], v[36:37], v[34:35]
	v_fma_f64 v[32:33], -v[32:33], v[38:39], v[36:37]
	v_div_fmas_f64 v[32:33], v[32:33], v[34:35], v[38:39]
	v_div_fixup_f64 v[22:23], v[32:33], v[22:23], 1.0
; %bb.87:
	s_or_b64 exec, exec, s[0:1]
	v_cmp_ne_u32_e32 vcc, v30, v24
	s_and_saveexec_b64 s[0:1], vcc
	s_xor_b64 s[0:1], exec, s[0:1]
	s_cbranch_execz .LBB16_93
; %bb.88:
	v_cmp_eq_u32_e32 vcc, 5, v30
	s_and_saveexec_b64 s[2:3], vcc
	s_cbranch_execz .LBB16_92
; %bb.89:
	v_cmp_ne_u32_e32 vcc, 5, v24
	s_xor_b64 s[14:15], s[6:7], -1
	s_and_b64 s[16:17], s[14:15], vcc
	s_and_saveexec_b64 s[14:15], s[16:17]
	s_cbranch_execz .LBB16_91
; %bb.90:
	v_ashrrev_i32_e32 v25, 31, v24
	v_lshlrev_b64 v[32:33], 2, v[24:25]
	v_add_co_u32_e32 v32, vcc, v18, v32
	v_addc_co_u32_e32 v33, vcc, v19, v33, vcc
	flat_load_dword v25, v[32:33]
	flat_load_dword v30, v[18:19] offset:20
	s_waitcnt vmcnt(0) lgkmcnt(0)
	flat_store_dword v[18:19], v25 offset:20
	flat_store_dword v[32:33], v30
.LBB16_91:
	s_or_b64 exec, exec, s[14:15]
	v_mov_b32_e32 v25, v24
	v_mov_b32_e32 v30, v24
.LBB16_92:
	s_or_b64 exec, exec, s[2:3]
.LBB16_93:
	s_andn2_saveexec_b64 s[0:1], s[0:1]
	s_cbranch_execz .LBB16_95
; %bb.94:
	v_mov_b32_e32 v30, 5
	ds_write2_b64 v26, v[8:9], v[6:7] offset0:6 offset1:7
	ds_write_b64 v26, v[20:21] offset:64
.LBB16_95:
	s_or_b64 exec, exec, s[0:1]
	v_cmp_lt_i32_e32 vcc, 5, v30
	s_waitcnt lgkmcnt(0)
	s_barrier
	s_and_saveexec_b64 s[0:1], vcc
	s_cbranch_execz .LBB16_97
; %bb.96:
	ds_read2_b64 v[32:35], v26 offset0:6 offset1:7
	ds_read_b64 v[36:37], v26 offset:64
	v_mul_f64 v[14:15], v[14:15], v[22:23]
	s_waitcnt lgkmcnt(0)
	v_fma_f64 v[8:9], -v[14:15], v[32:33], v[8:9]
	v_fma_f64 v[6:7], -v[14:15], v[34:35], v[6:7]
	;; [unrolled: 1-line block ×3, first 2 shown]
.LBB16_97:
	s_or_b64 exec, exec, s[0:1]
	v_lshl_add_u32 v22, v30, 3, v26
	s_barrier
	ds_write_b64 v22, v[8:9]
	s_waitcnt lgkmcnt(0)
	s_barrier
	ds_read_b64 v[22:23], v26 offset:48
	s_cmp_lt_i32 s12, 8
	v_mov_b32_e32 v24, 6
	s_cbranch_scc1 .LBB16_100
; %bb.98:
	v_add3_u32 v32, v27, 0, 56
	s_mov_b32 s0, 7
	v_mov_b32_e32 v24, 6
.LBB16_99:                              ; =>This Inner Loop Header: Depth=1
	ds_read_b64 v[34:35], v32
	v_mov_b32_e32 v33, s0
	s_add_i32 s0, s0, 1
	v_add_u32_e32 v32, 8, v32
	s_cmp_lg_u32 s12, s0
	s_waitcnt lgkmcnt(0)
	v_cmp_lt_f64_e64 vcc, |v[22:23]|, |v[34:35]|
	v_cndmask_b32_e32 v23, v23, v35, vcc
	v_cndmask_b32_e32 v22, v22, v34, vcc
	;; [unrolled: 1-line block ×3, first 2 shown]
	s_cbranch_scc1 .LBB16_99
.LBB16_100:
	s_waitcnt lgkmcnt(0)
	v_cmp_eq_f64_e32 vcc, 0, v[22:23]
	s_and_saveexec_b64 s[0:1], vcc
	s_xor_b64 s[0:1], exec, s[0:1]
; %bb.101:
	v_cmp_ne_u32_e32 vcc, 0, v31
	v_cndmask_b32_e32 v31, 7, v31, vcc
; %bb.102:
	s_andn2_saveexec_b64 s[0:1], s[0:1]
; %bb.103:
	v_div_scale_f64 v[32:33], s[2:3], v[22:23], v[22:23], 1.0
	v_rcp_f64_e32 v[34:35], v[32:33]
	v_div_scale_f64 v[36:37], vcc, 1.0, v[22:23], 1.0
	v_fma_f64 v[38:39], -v[32:33], v[34:35], 1.0
	v_fmac_f64_e32 v[34:35], v[34:35], v[38:39]
	v_fma_f64 v[38:39], -v[32:33], v[34:35], 1.0
	v_fmac_f64_e32 v[34:35], v[34:35], v[38:39]
	v_mul_f64 v[38:39], v[36:37], v[34:35]
	v_fma_f64 v[32:33], -v[32:33], v[38:39], v[36:37]
	v_div_fmas_f64 v[32:33], v[32:33], v[34:35], v[38:39]
	v_div_fixup_f64 v[22:23], v[32:33], v[22:23], 1.0
; %bb.104:
	s_or_b64 exec, exec, s[0:1]
	v_cmp_ne_u32_e32 vcc, v30, v24
	s_and_saveexec_b64 s[0:1], vcc
	s_xor_b64 s[0:1], exec, s[0:1]
	s_cbranch_execz .LBB16_110
; %bb.105:
	v_cmp_eq_u32_e32 vcc, 6, v30
	s_and_saveexec_b64 s[2:3], vcc
	s_cbranch_execz .LBB16_109
; %bb.106:
	v_cmp_ne_u32_e32 vcc, 6, v24
	s_xor_b64 s[14:15], s[6:7], -1
	s_and_b64 s[16:17], s[14:15], vcc
	s_and_saveexec_b64 s[14:15], s[16:17]
	s_cbranch_execz .LBB16_108
; %bb.107:
	v_ashrrev_i32_e32 v25, 31, v24
	v_lshlrev_b64 v[32:33], 2, v[24:25]
	v_add_co_u32_e32 v32, vcc, v18, v32
	v_addc_co_u32_e32 v33, vcc, v19, v33, vcc
	flat_load_dword v25, v[32:33]
	flat_load_dword v30, v[18:19] offset:24
	s_waitcnt vmcnt(0) lgkmcnt(0)
	flat_store_dword v[18:19], v25 offset:24
	flat_store_dword v[32:33], v30
.LBB16_108:
	s_or_b64 exec, exec, s[14:15]
	v_mov_b32_e32 v25, v24
	v_mov_b32_e32 v30, v24
.LBB16_109:
	s_or_b64 exec, exec, s[2:3]
.LBB16_110:
	s_andn2_saveexec_b64 s[0:1], s[0:1]
	s_cbranch_execz .LBB16_112
; %bb.111:
	v_mov_b32_e32 v30, 6
	ds_write2_b64 v26, v[6:7], v[20:21] offset0:7 offset1:8
.LBB16_112:
	s_or_b64 exec, exec, s[0:1]
	v_cmp_lt_i32_e32 vcc, 6, v30
	s_waitcnt lgkmcnt(0)
	s_barrier
	s_and_saveexec_b64 s[0:1], vcc
	s_cbranch_execz .LBB16_114
; %bb.113:
	ds_read2_b64 v[32:35], v26 offset0:7 offset1:8
	v_mul_f64 v[8:9], v[8:9], v[22:23]
	s_waitcnt lgkmcnt(0)
	v_fma_f64 v[6:7], -v[8:9], v[32:33], v[6:7]
	v_fma_f64 v[20:21], -v[8:9], v[34:35], v[20:21]
.LBB16_114:
	s_or_b64 exec, exec, s[0:1]
	v_lshl_add_u32 v22, v30, 3, v26
	s_barrier
	ds_write_b64 v22, v[6:7]
	s_waitcnt lgkmcnt(0)
	s_barrier
	ds_read_b64 v[22:23], v26 offset:56
	s_cmp_lt_i32 s12, 9
	v_mov_b32_e32 v24, 7
	s_cbranch_scc1 .LBB16_117
; %bb.115:
	v_add3_u32 v27, v27, 0, 64
	s_mov_b32 s0, 8
	v_mov_b32_e32 v24, 7
.LBB16_116:                             ; =>This Inner Loop Header: Depth=1
	ds_read_b64 v[32:33], v27
	v_mov_b32_e32 v34, s0
	s_add_i32 s0, s0, 1
	v_add_u32_e32 v27, 8, v27
	s_cmp_lg_u32 s12, s0
	s_waitcnt lgkmcnt(0)
	v_cmp_lt_f64_e64 vcc, |v[22:23]|, |v[32:33]|
	v_cndmask_b32_e32 v23, v23, v33, vcc
	v_cndmask_b32_e32 v22, v22, v32, vcc
	;; [unrolled: 1-line block ×3, first 2 shown]
	s_cbranch_scc1 .LBB16_116
.LBB16_117:
	s_waitcnt lgkmcnt(0)
	v_cmp_eq_f64_e32 vcc, 0, v[22:23]
	s_and_saveexec_b64 s[0:1], vcc
	s_xor_b64 s[0:1], exec, s[0:1]
; %bb.118:
	v_cmp_ne_u32_e32 vcc, 0, v31
	v_cndmask_b32_e32 v31, 8, v31, vcc
; %bb.119:
	s_andn2_saveexec_b64 s[0:1], s[0:1]
; %bb.120:
	v_div_scale_f64 v[32:33], s[2:3], v[22:23], v[22:23], 1.0
	v_rcp_f64_e32 v[34:35], v[32:33]
	v_div_scale_f64 v[36:37], vcc, 1.0, v[22:23], 1.0
	v_fma_f64 v[38:39], -v[32:33], v[34:35], 1.0
	v_fmac_f64_e32 v[34:35], v[34:35], v[38:39]
	v_fma_f64 v[38:39], -v[32:33], v[34:35], 1.0
	v_fmac_f64_e32 v[34:35], v[34:35], v[38:39]
	v_mul_f64 v[38:39], v[36:37], v[34:35]
	v_fma_f64 v[32:33], -v[32:33], v[38:39], v[36:37]
	v_div_fmas_f64 v[32:33], v[32:33], v[34:35], v[38:39]
	v_div_fixup_f64 v[22:23], v[32:33], v[22:23], 1.0
; %bb.121:
	s_or_b64 exec, exec, s[0:1]
	v_cmp_ne_u32_e32 vcc, v30, v24
	s_and_saveexec_b64 s[0:1], vcc
	s_xor_b64 s[0:1], exec, s[0:1]
	s_cbranch_execz .LBB16_127
; %bb.122:
	v_cmp_eq_u32_e32 vcc, 7, v30
	s_and_saveexec_b64 s[2:3], vcc
	s_cbranch_execz .LBB16_126
; %bb.123:
	v_cmp_ne_u32_e32 vcc, 7, v24
	s_xor_b64 s[14:15], s[6:7], -1
	s_and_b64 s[16:17], s[14:15], vcc
	s_and_saveexec_b64 s[14:15], s[16:17]
	s_cbranch_execz .LBB16_125
; %bb.124:
	v_ashrrev_i32_e32 v25, 31, v24
	v_lshlrev_b64 v[32:33], 2, v[24:25]
	v_add_co_u32_e32 v32, vcc, v18, v32
	v_addc_co_u32_e32 v33, vcc, v19, v33, vcc
	flat_load_dword v25, v[32:33]
	flat_load_dword v27, v[18:19] offset:28
	s_waitcnt vmcnt(0) lgkmcnt(0)
	flat_store_dword v[18:19], v25 offset:28
	flat_store_dword v[32:33], v27
.LBB16_125:
	s_or_b64 exec, exec, s[14:15]
	v_mov_b32_e32 v25, v24
	v_mov_b32_e32 v30, v24
.LBB16_126:
	s_or_b64 exec, exec, s[2:3]
.LBB16_127:
	s_andn2_saveexec_b64 s[0:1], s[0:1]
	s_cbranch_execz .LBB16_129
; %bb.128:
	v_mov_b32_e32 v30, 7
	ds_write_b64 v26, v[20:21] offset:64
.LBB16_129:
	s_or_b64 exec, exec, s[0:1]
	v_cmp_lt_i32_e32 vcc, 7, v30
	s_waitcnt lgkmcnt(0)
	s_barrier
	s_and_saveexec_b64 s[0:1], vcc
	s_cbranch_execz .LBB16_131
; %bb.130:
	ds_read_b64 v[32:33], v26 offset:64
	v_mul_f64 v[6:7], v[6:7], v[22:23]
	s_waitcnt lgkmcnt(0)
	v_fma_f64 v[20:21], -v[6:7], v[32:33], v[20:21]
.LBB16_131:
	s_or_b64 exec, exec, s[0:1]
	v_lshl_add_u32 v22, v30, 3, v26
	s_barrier
	ds_write_b64 v22, v[20:21]
	s_waitcnt lgkmcnt(0)
	s_barrier
	ds_read_b64 v[22:23], v26 offset:64
	s_cmp_lt_i32 s12, 10
	v_mov_b32_e32 v24, 8
	s_cbranch_scc1 .LBB16_134
; %bb.132:
	v_add_u32_e32 v26, 0x48, v26
	s_mov_b32 s0, 9
	v_mov_b32_e32 v24, 8
.LBB16_133:                             ; =>This Inner Loop Header: Depth=1
	ds_read_b64 v[32:33], v26
	v_mov_b32_e32 v27, s0
	s_add_i32 s0, s0, 1
	v_add_u32_e32 v26, 8, v26
	s_cmp_lg_u32 s12, s0
	s_waitcnt lgkmcnt(0)
	v_cmp_lt_f64_e64 vcc, |v[22:23]|, |v[32:33]|
	v_cndmask_b32_e32 v23, v23, v33, vcc
	v_cndmask_b32_e32 v22, v22, v32, vcc
	;; [unrolled: 1-line block ×3, first 2 shown]
	s_cbranch_scc1 .LBB16_133
.LBB16_134:
	s_waitcnt lgkmcnt(0)
	v_cmp_eq_f64_e32 vcc, 0, v[22:23]
	s_and_saveexec_b64 s[0:1], vcc
	s_xor_b64 s[0:1], exec, s[0:1]
; %bb.135:
	v_cmp_ne_u32_e32 vcc, 0, v31
	v_cndmask_b32_e32 v31, 9, v31, vcc
; %bb.136:
	s_andn2_saveexec_b64 s[0:1], s[0:1]
; %bb.137:
	v_div_scale_f64 v[26:27], s[2:3], v[22:23], v[22:23], 1.0
	v_rcp_f64_e32 v[32:33], v[26:27]
	v_div_scale_f64 v[34:35], vcc, 1.0, v[22:23], 1.0
	v_fma_f64 v[36:37], -v[26:27], v[32:33], 1.0
	v_fmac_f64_e32 v[32:33], v[32:33], v[36:37]
	v_fma_f64 v[36:37], -v[26:27], v[32:33], 1.0
	v_fmac_f64_e32 v[32:33], v[32:33], v[36:37]
	v_mul_f64 v[36:37], v[34:35], v[32:33]
	v_fma_f64 v[26:27], -v[26:27], v[36:37], v[34:35]
	v_div_fmas_f64 v[26:27], v[26:27], v[32:33], v[36:37]
	v_div_fixup_f64 v[22:23], v[26:27], v[22:23], 1.0
; %bb.138:
	s_or_b64 exec, exec, s[0:1]
	v_cmp_ne_u32_e32 vcc, v30, v24
	v_mov_b32_e32 v26, 8
	s_and_saveexec_b64 s[0:1], vcc
	s_cbranch_execz .LBB16_144
; %bb.139:
	v_cmp_eq_u32_e32 vcc, 8, v30
	s_and_saveexec_b64 s[2:3], vcc
	s_cbranch_execz .LBB16_143
; %bb.140:
	v_cmp_ne_u32_e32 vcc, 8, v24
	s_xor_b64 s[6:7], s[6:7], -1
	s_and_b64 s[14:15], s[6:7], vcc
	s_and_saveexec_b64 s[6:7], s[14:15]
	s_cbranch_execz .LBB16_142
; %bb.141:
	v_ashrrev_i32_e32 v25, 31, v24
	v_lshlrev_b64 v[26:27], 2, v[24:25]
	v_add_co_u32_e32 v26, vcc, v18, v26
	v_addc_co_u32_e32 v27, vcc, v19, v27, vcc
	flat_load_dword v25, v[26:27]
	flat_load_dword v30, v[18:19] offset:32
	s_waitcnt vmcnt(0) lgkmcnt(0)
	flat_store_dword v[18:19], v25 offset:32
	flat_store_dword v[26:27], v30
.LBB16_142:
	s_or_b64 exec, exec, s[6:7]
	v_mov_b32_e32 v25, v24
	v_mov_b32_e32 v30, v24
.LBB16_143:
	s_or_b64 exec, exec, s[2:3]
	v_mov_b32_e32 v26, v30
.LBB16_144:
	s_or_b64 exec, exec, s[0:1]
	s_load_dwordx8 s[0:7], s[4:5], 0x28
	v_cmp_gt_i32_e32 vcc, 9, v26
	v_ashrrev_i32_e32 v27, 31, v26
	s_waitcnt lgkmcnt(0)
	s_barrier
	s_barrier
	s_and_saveexec_b64 s[14:15], vcc
	s_cbranch_execz .LBB16_146
; %bb.145:
	v_mul_lo_u32 v24, v3, s4
	v_mul_lo_u32 v30, v2, s5
	v_mad_u64_u32 v[18:19], s[4:5], v2, s4, 0
	s_lshl_b64 s[2:3], s[2:3], 2
	v_add3_u32 v19, v19, v30, v24
	s_add_u32 s0, s2, s0
	v_lshlrev_b64 v[18:19], 2, v[18:19]
	s_addc_u32 s1, s3, s1
	v_mov_b32_e32 v24, s1
	v_add_co_u32_e32 v30, vcc, s0, v18
	v_addc_co_u32_e32 v24, vcc, v24, v19, vcc
	v_lshlrev_b64 v[18:19], 2, v[26:27]
	v_add_co_u32_e32 v18, vcc, v30, v18
	v_addc_co_u32_e32 v19, vcc, v24, v19, vcc
	v_add3_u32 v24, v25, s13, 1
	global_store_dword v[18:19], v24, off
.LBB16_146:
	s_or_b64 exec, exec, s[14:15]
	v_cmp_eq_u32_e32 vcc, 0, v26
	s_and_saveexec_b64 s[2:3], vcc
	s_cbranch_execz .LBB16_149
; %bb.147:
	v_lshlrev_b64 v[2:3], 2, v[2:3]
	v_mov_b32_e32 v18, s7
	v_add_co_u32_e32 v2, vcc, s6, v2
	v_addc_co_u32_e32 v3, vcc, v18, v3, vcc
	global_load_dword v18, v[2:3], off
	v_cmp_lt_i32_e64 s[0:1], 0, v31
	s_waitcnt vmcnt(0)
	v_cmp_eq_u32_e32 vcc, 0, v18
	s_and_b64 s[0:1], vcc, s[0:1]
	s_and_b64 exec, exec, s[0:1]
	s_cbranch_execz .LBB16_149
; %bb.148:
	v_add_u32_e32 v18, s13, v31
	global_store_dword v[2:3], v18, off
.LBB16_149:
	s_or_b64 exec, exec, s[2:3]
	v_mul_f64 v[2:3], v[20:21], v[22:23]
	v_cmp_lt_i32_e32 vcc, 8, v26
	v_lshlrev_b64 v[18:19], 3, v[26:27]
	v_cndmask_b32_e32 v3, v21, v3, vcc
	v_cndmask_b32_e32 v2, v20, v2, vcc
	v_add_co_u32_e32 v18, vcc, v28, v18
	v_addc_co_u32_e32 v19, vcc, v29, v19, vcc
	global_store_dwordx2 v[18:19], v[12:13], off
	v_mov_b32_e32 v13, s11
	v_add_co_u32_e32 v12, vcc, s10, v18
	v_addc_co_u32_e32 v13, vcc, v19, v13, vcc
	global_store_dwordx2 v[12:13], v[10:11], off
	v_add_u32_e32 v10, s9, v26
	v_ashrrev_i32_e32 v11, 31, v10
	v_lshlrev_b64 v[12:13], 3, v[10:11]
	v_add_co_u32_e32 v12, vcc, v28, v12
	v_addc_co_u32_e32 v13, vcc, v29, v13, vcc
	global_store_dwordx2 v[12:13], v[4:5], off
	v_add_u32_e32 v4, s8, v10
	v_ashrrev_i32_e32 v5, 31, v4
	v_lshlrev_b64 v[10:11], 3, v[4:5]
	;; [unrolled: 6-line block ×3, first 2 shown]
	v_add_co_u32_e32 v4, vcc, v28, v4
	v_add_u32_e32 v0, s8, v0
	v_addc_co_u32_e32 v5, vcc, v29, v5, vcc
	v_ashrrev_i32_e32 v1, 31, v0
	global_store_dwordx2 v[4:5], v[16:17], off
	v_lshlrev_b64 v[4:5], 3, v[0:1]
	v_add_co_u32_e32 v4, vcc, v28, v4
	v_add_u32_e32 v0, s8, v0
	v_addc_co_u32_e32 v5, vcc, v29, v5, vcc
	v_ashrrev_i32_e32 v1, 31, v0
	global_store_dwordx2 v[4:5], v[14:15], off
	v_lshlrev_b64 v[4:5], 3, v[0:1]
	;; [unrolled: 6-line block ×3, first 2 shown]
	v_add_u32_e32 v0, s8, v0
	v_add_co_u32_e32 v4, vcc, v28, v4
	v_ashrrev_i32_e32 v1, 31, v0
	v_addc_co_u32_e32 v5, vcc, v29, v5, vcc
	v_lshlrev_b64 v[0:1], 3, v[0:1]
	v_add_co_u32_e32 v0, vcc, v28, v0
	v_addc_co_u32_e32 v1, vcc, v29, v1, vcc
	global_store_dwordx2 v[4:5], v[6:7], off
	global_store_dwordx2 v[0:1], v[2:3], off
.LBB16_150:
	s_endpgm
	.section	.rodata,"a",@progbits
	.p2align	6, 0x0
	.amdhsa_kernel _ZN9rocsolver6v33100L18getf2_small_kernelILi9EdiiPKPdEEvT1_T3_lS5_lPS5_llPT2_S5_S5_S7_l
		.amdhsa_group_segment_fixed_size 0
		.amdhsa_private_segment_fixed_size 0
		.amdhsa_kernarg_size 352
		.amdhsa_user_sgpr_count 6
		.amdhsa_user_sgpr_private_segment_buffer 1
		.amdhsa_user_sgpr_dispatch_ptr 0
		.amdhsa_user_sgpr_queue_ptr 0
		.amdhsa_user_sgpr_kernarg_segment_ptr 1
		.amdhsa_user_sgpr_dispatch_id 0
		.amdhsa_user_sgpr_flat_scratch_init 0
		.amdhsa_user_sgpr_kernarg_preload_length 0
		.amdhsa_user_sgpr_kernarg_preload_offset 0
		.amdhsa_user_sgpr_private_segment_size 0
		.amdhsa_uses_dynamic_stack 0
		.amdhsa_system_sgpr_private_segment_wavefront_offset 0
		.amdhsa_system_sgpr_workgroup_id_x 1
		.amdhsa_system_sgpr_workgroup_id_y 1
		.amdhsa_system_sgpr_workgroup_id_z 0
		.amdhsa_system_sgpr_workgroup_info 0
		.amdhsa_system_vgpr_workitem_id 1
		.amdhsa_next_free_vgpr 44
		.amdhsa_next_free_sgpr 20
		.amdhsa_accum_offset 44
		.amdhsa_reserve_vcc 1
		.amdhsa_reserve_flat_scratch 0
		.amdhsa_float_round_mode_32 0
		.amdhsa_float_round_mode_16_64 0
		.amdhsa_float_denorm_mode_32 3
		.amdhsa_float_denorm_mode_16_64 3
		.amdhsa_dx10_clamp 1
		.amdhsa_ieee_mode 1
		.amdhsa_fp16_overflow 0
		.amdhsa_tg_split 0
		.amdhsa_exception_fp_ieee_invalid_op 0
		.amdhsa_exception_fp_denorm_src 0
		.amdhsa_exception_fp_ieee_div_zero 0
		.amdhsa_exception_fp_ieee_overflow 0
		.amdhsa_exception_fp_ieee_underflow 0
		.amdhsa_exception_fp_ieee_inexact 0
		.amdhsa_exception_int_div_zero 0
	.end_amdhsa_kernel
	.section	.text._ZN9rocsolver6v33100L18getf2_small_kernelILi9EdiiPKPdEEvT1_T3_lS5_lPS5_llPT2_S5_S5_S7_l,"axG",@progbits,_ZN9rocsolver6v33100L18getf2_small_kernelILi9EdiiPKPdEEvT1_T3_lS5_lPS5_llPT2_S5_S5_S7_l,comdat
.Lfunc_end16:
	.size	_ZN9rocsolver6v33100L18getf2_small_kernelILi9EdiiPKPdEEvT1_T3_lS5_lPS5_llPT2_S5_S5_S7_l, .Lfunc_end16-_ZN9rocsolver6v33100L18getf2_small_kernelILi9EdiiPKPdEEvT1_T3_lS5_lPS5_llPT2_S5_S5_S7_l
                                        ; -- End function
	.section	.AMDGPU.csdata,"",@progbits
; Kernel info:
; codeLenInByte = 5196
; NumSgprs: 24
; NumVgprs: 44
; NumAgprs: 0
; TotalNumVgprs: 44
; ScratchSize: 0
; MemoryBound: 0
; FloatMode: 240
; IeeeMode: 1
; LDSByteSize: 0 bytes/workgroup (compile time only)
; SGPRBlocks: 2
; VGPRBlocks: 5
; NumSGPRsForWavesPerEU: 24
; NumVGPRsForWavesPerEU: 44
; AccumOffset: 44
; Occupancy: 8
; WaveLimiterHint : 1
; COMPUTE_PGM_RSRC2:SCRATCH_EN: 0
; COMPUTE_PGM_RSRC2:USER_SGPR: 6
; COMPUTE_PGM_RSRC2:TRAP_HANDLER: 0
; COMPUTE_PGM_RSRC2:TGID_X_EN: 1
; COMPUTE_PGM_RSRC2:TGID_Y_EN: 1
; COMPUTE_PGM_RSRC2:TGID_Z_EN: 0
; COMPUTE_PGM_RSRC2:TIDIG_COMP_CNT: 1
; COMPUTE_PGM_RSRC3_GFX90A:ACCUM_OFFSET: 10
; COMPUTE_PGM_RSRC3_GFX90A:TG_SPLIT: 0
	.section	.text._ZN9rocsolver6v33100L23getf2_npvt_small_kernelILi9EdiiPKPdEEvT1_T3_lS5_lPT2_S5_S5_,"axG",@progbits,_ZN9rocsolver6v33100L23getf2_npvt_small_kernelILi9EdiiPKPdEEvT1_T3_lS5_lPT2_S5_S5_,comdat
	.globl	_ZN9rocsolver6v33100L23getf2_npvt_small_kernelILi9EdiiPKPdEEvT1_T3_lS5_lPT2_S5_S5_ ; -- Begin function _ZN9rocsolver6v33100L23getf2_npvt_small_kernelILi9EdiiPKPdEEvT1_T3_lS5_lPT2_S5_S5_
	.p2align	8
	.type	_ZN9rocsolver6v33100L23getf2_npvt_small_kernelILi9EdiiPKPdEEvT1_T3_lS5_lPT2_S5_S5_,@function
_ZN9rocsolver6v33100L23getf2_npvt_small_kernelILi9EdiiPKPdEEvT1_T3_lS5_lPT2_S5_S5_: ; @_ZN9rocsolver6v33100L23getf2_npvt_small_kernelILi9EdiiPKPdEEvT1_T3_lS5_lPT2_S5_S5_
; %bb.0:
	s_load_dword s0, s[4:5], 0x44
	s_load_dwordx2 s[16:17], s[4:5], 0x30
	v_bfe_u32 v38, v0, 10, 10
	s_waitcnt lgkmcnt(0)
	s_lshr_b32 s2, s0, 16
	s_mul_i32 s7, s7, s2
	v_add_u32_e32 v2, s7, v38
	v_cmp_gt_i32_e32 vcc, s16, v2
	s_and_saveexec_b64 s[0:1], vcc
	s_cbranch_execz .LBB17_49
; %bb.1:
	s_load_dwordx4 s[8:11], s[4:5], 0x8
	s_load_dword s0, s[4:5], 0x18
	v_ashrrev_i32_e32 v3, 31, v2
	v_lshlrev_b64 v[4:5], 3, v[2:3]
	v_and_b32_e32 v56, 0x3ff, v0
	s_waitcnt lgkmcnt(0)
	v_mov_b32_e32 v1, s9
	v_add_co_u32_e32 v4, vcc, s8, v4
	v_addc_co_u32_e32 v5, vcc, v1, v5, vcc
	global_load_dwordx2 v[4:5], v[4:5], off
	s_add_i32 s3, s0, s0
	v_add_u32_e32 v0, s3, v56
	v_ashrrev_i32_e32 v1, 31, v0
	v_add_u32_e32 v6, s0, v0
	v_lshlrev_b64 v[8:9], 3, v[0:1]
	v_add_u32_e32 v0, s0, v6
	v_ashrrev_i32_e32 v1, 31, v0
	v_add_u32_e32 v10, s0, v0
	v_lshlrev_b64 v[12:13], 3, v[0:1]
	v_add_u32_e32 v0, s0, v10
	s_lshl_b64 s[6:7], s[10:11], 3
	v_ashrrev_i32_e32 v1, 31, v0
	v_add_u32_e32 v14, s0, v0
	v_mov_b32_e32 v21, s7
	v_lshlrev_b64 v[16:17], 3, v[0:1]
	v_add_u32_e32 v0, s0, v14
	v_lshlrev_b32_e32 v20, 3, v56
	v_ashrrev_i32_e32 v1, 31, v0
	v_lshlrev_b64 v[18:19], 3, v[0:1]
	v_ashrrev_i32_e32 v7, 31, v6
	v_lshlrev_b64 v[6:7], 3, v[6:7]
	;; [unrolled: 2-line block ×4, first 2 shown]
	s_ashr_i32 s1, s0, 31
	s_lshl_b64 s[8:9], s[0:1], 3
	v_mov_b32_e32 v22, s9
	s_mulk_i32 s2, 0x48
	s_movk_i32 s0, 0x48
	s_add_i32 s1, s2, 0
	v_mad_u32_u24 v55, v38, s0, 0
	v_lshl_add_u32 v54, v38, 3, s1
	v_cmp_ne_u32_e64 s[2:3], 0, v56
	v_cmp_eq_u32_e64 s[0:1], 0, v56
	s_waitcnt vmcnt(0)
	v_add_co_u32_e32 v23, vcc, s6, v4
	v_addc_co_u32_e32 v21, vcc, v5, v21, vcc
	v_add_co_u32_e32 v0, vcc, v23, v20
	v_addc_co_u32_e32 v1, vcc, 0, v21, vcc
	v_add_co_u32_e32 v4, vcc, v23, v8
	v_addc_co_u32_e32 v5, vcc, v21, v9, vcc
	v_add_co_u32_e32 v6, vcc, v23, v6
	v_addc_co_u32_e32 v7, vcc, v21, v7, vcc
	v_add_co_u32_e32 v8, vcc, v23, v12
	v_addc_co_u32_e32 v9, vcc, v21, v13, vcc
	v_add_co_u32_e32 v10, vcc, v23, v10
	v_addc_co_u32_e32 v11, vcc, v21, v11, vcc
	v_add_co_u32_e32 v12, vcc, v23, v16
	v_addc_co_u32_e32 v13, vcc, v21, v17, vcc
	v_add_co_u32_e32 v14, vcc, v23, v14
	v_addc_co_u32_e32 v15, vcc, v21, v15, vcc
	v_add_co_u32_e32 v16, vcc, v23, v18
	v_addc_co_u32_e32 v17, vcc, v21, v19, vcc
	v_add_co_u32_e32 v26, vcc, s8, v0
	v_addc_co_u32_e32 v27, vcc, v1, v22, vcc
	global_load_dwordx2 v[18:19], v[8:9], off
	global_load_dwordx2 v[20:21], v[10:11], off
	;; [unrolled: 1-line block ×9, first 2 shown]
	s_and_saveexec_b64 s[6:7], s[0:1]
	s_cbranch_execz .LBB17_4
; %bb.2:
	s_waitcnt vmcnt(4)
	ds_write_b64 v54, v[28:29]
	s_waitcnt vmcnt(2)
	ds_write2_b64 v55, v[30:31], v[32:33] offset0:1 offset1:2
	s_waitcnt vmcnt(1)
	ds_write2_b64 v55, v[34:35], v[18:19] offset0:3 offset1:4
	ds_write2_b64 v55, v[20:21], v[22:23] offset0:5 offset1:6
	s_waitcnt vmcnt(0)
	ds_write2_b64 v55, v[24:25], v[36:37] offset0:7 offset1:8
	ds_read_b64 v[38:39], v54
	s_waitcnt lgkmcnt(0)
	v_cmp_neq_f64_e32 vcc, 0, v[38:39]
	s_and_b64 exec, exec, vcc
	s_cbranch_execz .LBB17_4
; %bb.3:
	v_div_scale_f64 v[40:41], s[8:9], v[38:39], v[38:39], 1.0
	v_rcp_f64_e32 v[42:43], v[40:41]
	v_div_scale_f64 v[44:45], vcc, 1.0, v[38:39], 1.0
	v_fma_f64 v[46:47], -v[40:41], v[42:43], 1.0
	v_fmac_f64_e32 v[42:43], v[42:43], v[46:47]
	v_fma_f64 v[46:47], -v[40:41], v[42:43], 1.0
	v_fmac_f64_e32 v[42:43], v[42:43], v[46:47]
	v_mul_f64 v[46:47], v[44:45], v[42:43]
	v_fma_f64 v[40:41], -v[40:41], v[46:47], v[44:45]
	v_div_fmas_f64 v[40:41], v[40:41], v[42:43], v[46:47]
	v_div_fixup_f64 v[38:39], v[40:41], v[38:39], 1.0
	ds_write_b64 v54, v[38:39]
.LBB17_4:
	s_or_b64 exec, exec, s[6:7]
	s_waitcnt lgkmcnt(0)
	s_barrier
	ds_read_b64 v[38:39], v54
	s_and_saveexec_b64 s[6:7], s[2:3]
	s_cbranch_execz .LBB17_6
; %bb.5:
	ds_read2_b64 v[40:43], v55 offset0:1 offset1:2
	ds_read2_b64 v[44:47], v55 offset0:3 offset1:4
	s_waitcnt vmcnt(4) lgkmcnt(2)
	v_mul_f64 v[28:29], v[28:29], v[38:39]
	ds_read2_b64 v[48:51], v55 offset0:5 offset1:6
	s_waitcnt vmcnt(3) lgkmcnt(2)
	v_fma_f64 v[30:31], -v[28:29], v[40:41], v[30:31]
	s_waitcnt vmcnt(2)
	v_fma_f64 v[32:33], -v[28:29], v[42:43], v[32:33]
	ds_read2_b64 v[40:43], v55 offset0:7 offset1:8
	s_waitcnt vmcnt(1) lgkmcnt(2)
	v_fma_f64 v[34:35], -v[28:29], v[44:45], v[34:35]
	v_fma_f64 v[18:19], -v[28:29], v[46:47], v[18:19]
	s_waitcnt lgkmcnt(1)
	v_fma_f64 v[20:21], -v[28:29], v[48:49], v[20:21]
	v_fma_f64 v[22:23], -v[28:29], v[50:51], v[22:23]
	s_waitcnt lgkmcnt(0)
	v_fma_f64 v[24:25], -v[28:29], v[40:41], v[24:25]
	s_waitcnt vmcnt(0)
	v_fma_f64 v[36:37], -v[28:29], v[42:43], v[36:37]
.LBB17_6:
	s_or_b64 exec, exec, s[6:7]
	v_cmp_eq_u32_e32 vcc, 1, v56
	s_waitcnt lgkmcnt(0)
	s_barrier
	s_and_saveexec_b64 s[2:3], vcc
	s_cbranch_execz .LBB17_9
; %bb.7:
	s_waitcnt vmcnt(3)
	ds_write_b64 v54, v[30:31]
	s_waitcnt vmcnt(1)
	ds_write2_b64 v55, v[32:33], v[34:35] offset0:2 offset1:3
	ds_write2_b64 v55, v[18:19], v[20:21] offset0:4 offset1:5
	;; [unrolled: 1-line block ×3, first 2 shown]
	s_waitcnt vmcnt(0)
	ds_write_b64 v55, v[36:37] offset:64
	ds_read_b64 v[40:41], v54
	s_waitcnt lgkmcnt(0)
	v_cmp_neq_f64_e32 vcc, 0, v[40:41]
	s_and_b64 exec, exec, vcc
	s_cbranch_execz .LBB17_9
; %bb.8:
	v_div_scale_f64 v[42:43], s[6:7], v[40:41], v[40:41], 1.0
	v_rcp_f64_e32 v[44:45], v[42:43]
	v_div_scale_f64 v[46:47], vcc, 1.0, v[40:41], 1.0
	v_fma_f64 v[48:49], -v[42:43], v[44:45], 1.0
	v_fmac_f64_e32 v[44:45], v[44:45], v[48:49]
	v_fma_f64 v[48:49], -v[42:43], v[44:45], 1.0
	v_fmac_f64_e32 v[44:45], v[44:45], v[48:49]
	v_mul_f64 v[48:49], v[46:47], v[44:45]
	v_fma_f64 v[42:43], -v[42:43], v[48:49], v[46:47]
	v_div_fmas_f64 v[42:43], v[42:43], v[44:45], v[48:49]
	v_div_fixup_f64 v[40:41], v[42:43], v[40:41], 1.0
	ds_write_b64 v54, v[40:41]
.LBB17_9:
	s_or_b64 exec, exec, s[2:3]
	s_waitcnt lgkmcnt(0)
	s_barrier
	ds_read_b64 v[40:41], v54
	v_cmp_lt_u32_e32 vcc, 1, v56
	s_and_saveexec_b64 s[2:3], vcc
	s_cbranch_execz .LBB17_11
; %bb.10:
	ds_read2_b64 v[42:45], v55 offset0:2 offset1:3
	ds_read2_b64 v[46:49], v55 offset0:4 offset1:5
	s_waitcnt vmcnt(3) lgkmcnt(2)
	v_mul_f64 v[30:31], v[30:31], v[40:41]
	ds_read2_b64 v[50:53], v55 offset0:6 offset1:7
	s_waitcnt vmcnt(2) lgkmcnt(2)
	v_fma_f64 v[32:33], -v[30:31], v[42:43], v[32:33]
	ds_read_b64 v[42:43], v55 offset:64
	s_waitcnt vmcnt(1)
	v_fma_f64 v[34:35], -v[30:31], v[44:45], v[34:35]
	s_waitcnt lgkmcnt(2)
	v_fma_f64 v[18:19], -v[30:31], v[46:47], v[18:19]
	v_fma_f64 v[20:21], -v[30:31], v[48:49], v[20:21]
	s_waitcnt lgkmcnt(1)
	v_fma_f64 v[22:23], -v[30:31], v[50:51], v[22:23]
	v_fma_f64 v[24:25], -v[30:31], v[52:53], v[24:25]
	s_waitcnt vmcnt(0) lgkmcnt(0)
	v_fma_f64 v[36:37], -v[30:31], v[42:43], v[36:37]
.LBB17_11:
	s_or_b64 exec, exec, s[2:3]
	v_cmp_eq_u32_e32 vcc, 2, v56
	s_waitcnt lgkmcnt(0)
	s_barrier
	s_and_saveexec_b64 s[2:3], vcc
	s_cbranch_execz .LBB17_14
; %bb.12:
	s_waitcnt vmcnt(2)
	ds_write_b64 v54, v[32:33]
	s_waitcnt vmcnt(1)
	ds_write2_b64 v55, v[34:35], v[18:19] offset0:3 offset1:4
	ds_write2_b64 v55, v[20:21], v[22:23] offset0:5 offset1:6
	s_waitcnt vmcnt(0)
	ds_write2_b64 v55, v[24:25], v[36:37] offset0:7 offset1:8
	ds_read_b64 v[42:43], v54
	s_waitcnt lgkmcnt(0)
	v_cmp_neq_f64_e32 vcc, 0, v[42:43]
	s_and_b64 exec, exec, vcc
	s_cbranch_execz .LBB17_14
; %bb.13:
	v_div_scale_f64 v[44:45], s[6:7], v[42:43], v[42:43], 1.0
	v_rcp_f64_e32 v[46:47], v[44:45]
	v_div_scale_f64 v[48:49], vcc, 1.0, v[42:43], 1.0
	v_fma_f64 v[50:51], -v[44:45], v[46:47], 1.0
	v_fmac_f64_e32 v[46:47], v[46:47], v[50:51]
	v_fma_f64 v[50:51], -v[44:45], v[46:47], 1.0
	v_fmac_f64_e32 v[46:47], v[46:47], v[50:51]
	v_mul_f64 v[50:51], v[48:49], v[46:47]
	v_fma_f64 v[44:45], -v[44:45], v[50:51], v[48:49]
	v_div_fmas_f64 v[44:45], v[44:45], v[46:47], v[50:51]
	v_div_fixup_f64 v[42:43], v[44:45], v[42:43], 1.0
	ds_write_b64 v54, v[42:43]
.LBB17_14:
	s_or_b64 exec, exec, s[2:3]
	s_waitcnt lgkmcnt(0)
	s_barrier
	ds_read_b64 v[42:43], v54
	v_cmp_lt_u32_e32 vcc, 2, v56
	s_and_saveexec_b64 s[2:3], vcc
	s_cbranch_execz .LBB17_16
; %bb.15:
	ds_read2_b64 v[44:47], v55 offset0:3 offset1:4
	ds_read2_b64 v[48:51], v55 offset0:5 offset1:6
	;; [unrolled: 1-line block ×3, first 2 shown]
	s_waitcnt vmcnt(2) lgkmcnt(3)
	v_mul_f64 v[32:33], v[32:33], v[42:43]
	s_waitcnt vmcnt(1) lgkmcnt(2)
	v_fma_f64 v[34:35], -v[32:33], v[44:45], v[34:35]
	v_fma_f64 v[18:19], -v[32:33], v[46:47], v[18:19]
	s_waitcnt lgkmcnt(1)
	v_fma_f64 v[20:21], -v[32:33], v[48:49], v[20:21]
	v_fma_f64 v[22:23], -v[32:33], v[50:51], v[22:23]
	s_waitcnt lgkmcnt(0)
	v_fma_f64 v[24:25], -v[32:33], v[58:59], v[24:25]
	s_waitcnt vmcnt(0)
	v_fma_f64 v[36:37], -v[32:33], v[60:61], v[36:37]
.LBB17_16:
	s_or_b64 exec, exec, s[2:3]
	v_cmp_eq_u32_e32 vcc, 3, v56
	s_waitcnt lgkmcnt(0)
	s_barrier
	s_and_saveexec_b64 s[2:3], vcc
	s_cbranch_execz .LBB17_19
; %bb.17:
	s_waitcnt vmcnt(1)
	ds_write_b64 v54, v[34:35]
	ds_write2_b64 v55, v[18:19], v[20:21] offset0:4 offset1:5
	ds_write2_b64 v55, v[22:23], v[24:25] offset0:6 offset1:7
	s_waitcnt vmcnt(0)
	ds_write_b64 v55, v[36:37] offset:64
	ds_read_b64 v[44:45], v54
	s_waitcnt lgkmcnt(0)
	v_cmp_neq_f64_e32 vcc, 0, v[44:45]
	s_and_b64 exec, exec, vcc
	s_cbranch_execz .LBB17_19
; %bb.18:
	v_div_scale_f64 v[46:47], s[6:7], v[44:45], v[44:45], 1.0
	v_rcp_f64_e32 v[48:49], v[46:47]
	v_div_scale_f64 v[50:51], vcc, 1.0, v[44:45], 1.0
	v_fma_f64 v[52:53], -v[46:47], v[48:49], 1.0
	v_fmac_f64_e32 v[48:49], v[48:49], v[52:53]
	v_fma_f64 v[52:53], -v[46:47], v[48:49], 1.0
	v_fmac_f64_e32 v[48:49], v[48:49], v[52:53]
	v_mul_f64 v[52:53], v[50:51], v[48:49]
	v_fma_f64 v[46:47], -v[46:47], v[52:53], v[50:51]
	v_div_fmas_f64 v[46:47], v[46:47], v[48:49], v[52:53]
	v_div_fixup_f64 v[44:45], v[46:47], v[44:45], 1.0
	ds_write_b64 v54, v[44:45]
.LBB17_19:
	s_or_b64 exec, exec, s[2:3]
	s_waitcnt lgkmcnt(0)
	s_barrier
	ds_read_b64 v[44:45], v54
	v_cmp_lt_u32_e32 vcc, 3, v56
	s_and_saveexec_b64 s[2:3], vcc
	s_cbranch_execz .LBB17_21
; %bb.20:
	ds_read2_b64 v[46:49], v55 offset0:4 offset1:5
	ds_read2_b64 v[50:53], v55 offset0:6 offset1:7
	ds_read_b64 v[58:59], v55 offset:64
	s_waitcnt vmcnt(1) lgkmcnt(3)
	v_mul_f64 v[34:35], v[34:35], v[44:45]
	s_waitcnt lgkmcnt(2)
	v_fma_f64 v[18:19], -v[34:35], v[46:47], v[18:19]
	v_fma_f64 v[20:21], -v[34:35], v[48:49], v[20:21]
	s_waitcnt lgkmcnt(1)
	v_fma_f64 v[22:23], -v[34:35], v[50:51], v[22:23]
	v_fma_f64 v[24:25], -v[34:35], v[52:53], v[24:25]
	s_waitcnt vmcnt(0) lgkmcnt(0)
	v_fma_f64 v[36:37], -v[34:35], v[58:59], v[36:37]
.LBB17_21:
	s_or_b64 exec, exec, s[2:3]
	v_cmp_eq_u32_e32 vcc, 4, v56
	s_waitcnt lgkmcnt(0)
	s_barrier
	s_and_saveexec_b64 s[2:3], vcc
	s_cbranch_execz .LBB17_24
; %bb.22:
	s_waitcnt vmcnt(8)
	ds_write_b64 v54, v[18:19]
	s_waitcnt vmcnt(6)
	ds_write2_b64 v55, v[20:21], v[22:23] offset0:5 offset1:6
	s_waitcnt vmcnt(0)
	ds_write2_b64 v55, v[24:25], v[36:37] offset0:7 offset1:8
	ds_read_b64 v[46:47], v54
	s_waitcnt lgkmcnt(0)
	v_cmp_neq_f64_e32 vcc, 0, v[46:47]
	s_and_b64 exec, exec, vcc
	s_cbranch_execz .LBB17_24
; %bb.23:
	v_div_scale_f64 v[48:49], s[6:7], v[46:47], v[46:47], 1.0
	v_rcp_f64_e32 v[50:51], v[48:49]
	v_div_scale_f64 v[52:53], vcc, 1.0, v[46:47], 1.0
	v_fma_f64 v[58:59], -v[48:49], v[50:51], 1.0
	v_fmac_f64_e32 v[50:51], v[50:51], v[58:59]
	v_fma_f64 v[58:59], -v[48:49], v[50:51], 1.0
	v_fmac_f64_e32 v[50:51], v[50:51], v[58:59]
	v_mul_f64 v[58:59], v[52:53], v[50:51]
	v_fma_f64 v[48:49], -v[48:49], v[58:59], v[52:53]
	v_div_fmas_f64 v[48:49], v[48:49], v[50:51], v[58:59]
	v_div_fixup_f64 v[46:47], v[48:49], v[46:47], 1.0
	ds_write_b64 v54, v[46:47]
.LBB17_24:
	s_or_b64 exec, exec, s[2:3]
	s_waitcnt lgkmcnt(0)
	s_barrier
	ds_read_b64 v[46:47], v54
	v_cmp_lt_u32_e32 vcc, 4, v56
	s_and_saveexec_b64 s[2:3], vcc
	s_cbranch_execz .LBB17_26
; %bb.25:
	ds_read2_b64 v[48:51], v55 offset0:5 offset1:6
	ds_read2_b64 v[58:61], v55 offset0:7 offset1:8
	s_waitcnt vmcnt(8) lgkmcnt(2)
	v_mul_f64 v[18:19], v[18:19], v[46:47]
	s_waitcnt vmcnt(7) lgkmcnt(1)
	v_fma_f64 v[20:21], -v[18:19], v[48:49], v[20:21]
	s_waitcnt vmcnt(6)
	v_fma_f64 v[22:23], -v[18:19], v[50:51], v[22:23]
	s_waitcnt vmcnt(5) lgkmcnt(0)
	v_fma_f64 v[24:25], -v[18:19], v[58:59], v[24:25]
	s_waitcnt vmcnt(0)
	v_fma_f64 v[36:37], -v[18:19], v[60:61], v[36:37]
.LBB17_26:
	s_or_b64 exec, exec, s[2:3]
	v_cmp_eq_u32_e32 vcc, 5, v56
	s_waitcnt lgkmcnt(0)
	s_barrier
	s_and_saveexec_b64 s[2:3], vcc
	s_cbranch_execz .LBB17_29
; %bb.27:
	s_waitcnt vmcnt(7)
	ds_write_b64 v54, v[20:21]
	s_waitcnt vmcnt(5)
	ds_write2_b64 v55, v[22:23], v[24:25] offset0:6 offset1:7
	s_waitcnt vmcnt(0)
	ds_write_b64 v55, v[36:37] offset:64
	ds_read_b64 v[48:49], v54
	s_waitcnt lgkmcnt(0)
	v_cmp_neq_f64_e32 vcc, 0, v[48:49]
	s_and_b64 exec, exec, vcc
	s_cbranch_execz .LBB17_29
; %bb.28:
	v_div_scale_f64 v[50:51], s[6:7], v[48:49], v[48:49], 1.0
	v_rcp_f64_e32 v[52:53], v[50:51]
	v_div_scale_f64 v[58:59], vcc, 1.0, v[48:49], 1.0
	v_fma_f64 v[60:61], -v[50:51], v[52:53], 1.0
	v_fmac_f64_e32 v[52:53], v[52:53], v[60:61]
	v_fma_f64 v[60:61], -v[50:51], v[52:53], 1.0
	v_fmac_f64_e32 v[52:53], v[52:53], v[60:61]
	v_mul_f64 v[60:61], v[58:59], v[52:53]
	v_fma_f64 v[50:51], -v[50:51], v[60:61], v[58:59]
	v_div_fmas_f64 v[50:51], v[50:51], v[52:53], v[60:61]
	v_div_fixup_f64 v[48:49], v[50:51], v[48:49], 1.0
	ds_write_b64 v54, v[48:49]
.LBB17_29:
	s_or_b64 exec, exec, s[2:3]
	s_waitcnt lgkmcnt(0)
	s_barrier
	ds_read_b64 v[48:49], v54
	v_cmp_lt_u32_e32 vcc, 5, v56
	s_and_saveexec_b64 s[2:3], vcc
	s_cbranch_execz .LBB17_31
; %bb.30:
	ds_read2_b64 v[50:53], v55 offset0:6 offset1:7
	ds_read_b64 v[58:59], v55 offset:64
	s_waitcnt vmcnt(7) lgkmcnt(2)
	v_mul_f64 v[20:21], v[20:21], v[48:49]
	s_waitcnt vmcnt(6) lgkmcnt(1)
	v_fma_f64 v[22:23], -v[20:21], v[50:51], v[22:23]
	s_waitcnt vmcnt(5)
	v_fma_f64 v[24:25], -v[20:21], v[52:53], v[24:25]
	s_waitcnt vmcnt(0) lgkmcnt(0)
	v_fma_f64 v[36:37], -v[20:21], v[58:59], v[36:37]
.LBB17_31:
	s_or_b64 exec, exec, s[2:3]
	v_cmp_eq_u32_e32 vcc, 6, v56
	s_waitcnt lgkmcnt(0)
	s_barrier
	s_and_saveexec_b64 s[2:3], vcc
	s_cbranch_execz .LBB17_34
; %bb.32:
	s_waitcnt vmcnt(6)
	ds_write_b64 v54, v[22:23]
	s_waitcnt vmcnt(0)
	ds_write2_b64 v55, v[24:25], v[36:37] offset0:7 offset1:8
	ds_read_b64 v[50:51], v54
	s_waitcnt lgkmcnt(0)
	v_cmp_neq_f64_e32 vcc, 0, v[50:51]
	s_and_b64 exec, exec, vcc
	s_cbranch_execz .LBB17_34
; %bb.33:
	v_div_scale_f64 v[52:53], s[6:7], v[50:51], v[50:51], 1.0
	v_rcp_f64_e32 v[58:59], v[52:53]
	v_div_scale_f64 v[60:61], vcc, 1.0, v[50:51], 1.0
	v_fma_f64 v[62:63], -v[52:53], v[58:59], 1.0
	v_fmac_f64_e32 v[58:59], v[58:59], v[62:63]
	v_fma_f64 v[62:63], -v[52:53], v[58:59], 1.0
	v_fmac_f64_e32 v[58:59], v[58:59], v[62:63]
	v_mul_f64 v[62:63], v[60:61], v[58:59]
	v_fma_f64 v[52:53], -v[52:53], v[62:63], v[60:61]
	v_div_fmas_f64 v[52:53], v[52:53], v[58:59], v[62:63]
	v_div_fixup_f64 v[50:51], v[52:53], v[50:51], 1.0
	ds_write_b64 v54, v[50:51]
.LBB17_34:
	s_or_b64 exec, exec, s[2:3]
	s_waitcnt lgkmcnt(0)
	s_barrier
	ds_read_b64 v[50:51], v54
	v_cmp_lt_u32_e32 vcc, 6, v56
	s_and_saveexec_b64 s[2:3], vcc
	s_cbranch_execz .LBB17_36
; %bb.35:
	ds_read2_b64 v[58:61], v55 offset0:7 offset1:8
	s_waitcnt vmcnt(6) lgkmcnt(1)
	v_mul_f64 v[22:23], v[22:23], v[50:51]
	s_waitcnt vmcnt(5) lgkmcnt(0)
	v_fma_f64 v[24:25], -v[22:23], v[58:59], v[24:25]
	s_waitcnt vmcnt(0)
	v_fma_f64 v[36:37], -v[22:23], v[60:61], v[36:37]
.LBB17_36:
	s_or_b64 exec, exec, s[2:3]
	v_cmp_eq_u32_e32 vcc, 7, v56
	s_waitcnt lgkmcnt(0)
	s_barrier
	s_and_saveexec_b64 s[2:3], vcc
	s_cbranch_execz .LBB17_39
; %bb.37:
	s_waitcnt vmcnt(5)
	ds_write_b64 v54, v[24:25]
	s_waitcnt vmcnt(0)
	ds_write_b64 v55, v[36:37] offset:64
	ds_read_b64 v[52:53], v54
	s_waitcnt lgkmcnt(0)
	v_cmp_neq_f64_e32 vcc, 0, v[52:53]
	s_and_b64 exec, exec, vcc
	s_cbranch_execz .LBB17_39
; %bb.38:
	v_div_scale_f64 v[58:59], s[6:7], v[52:53], v[52:53], 1.0
	v_rcp_f64_e32 v[60:61], v[58:59]
	v_div_scale_f64 v[62:63], vcc, 1.0, v[52:53], 1.0
	v_fma_f64 v[64:65], -v[58:59], v[60:61], 1.0
	v_fmac_f64_e32 v[60:61], v[60:61], v[64:65]
	v_fma_f64 v[64:65], -v[58:59], v[60:61], 1.0
	v_fmac_f64_e32 v[60:61], v[60:61], v[64:65]
	v_mul_f64 v[64:65], v[62:63], v[60:61]
	v_fma_f64 v[58:59], -v[58:59], v[64:65], v[62:63]
	v_div_fmas_f64 v[58:59], v[58:59], v[60:61], v[64:65]
	v_div_fixup_f64 v[52:53], v[58:59], v[52:53], 1.0
	ds_write_b64 v54, v[52:53]
.LBB17_39:
	s_or_b64 exec, exec, s[2:3]
	s_waitcnt lgkmcnt(0)
	s_barrier
	ds_read_b64 v[52:53], v54
	v_cmp_lt_u32_e32 vcc, 7, v56
	s_and_saveexec_b64 s[2:3], vcc
	s_cbranch_execz .LBB17_41
; %bb.40:
	ds_read_b64 v[58:59], v55 offset:64
	s_waitcnt vmcnt(5) lgkmcnt(1)
	v_mul_f64 v[24:25], v[24:25], v[52:53]
	s_waitcnt vmcnt(0) lgkmcnt(0)
	v_fma_f64 v[36:37], -v[24:25], v[58:59], v[36:37]
.LBB17_41:
	s_or_b64 exec, exec, s[2:3]
	v_cmp_ne_u32_e32 vcc, 8, v56
	s_waitcnt lgkmcnt(0)
	s_barrier
	s_and_saveexec_b64 s[2:3], vcc
	s_xor_b64 s[2:3], exec, s[2:3]
	s_andn2_saveexec_b64 s[2:3], s[2:3]
	s_cbranch_execz .LBB17_45
; %bb.42:
	s_waitcnt vmcnt(0)
	v_cmp_neq_f64_e32 vcc, 0, v[36:37]
	ds_write_b64 v54, v[36:37]
	s_and_saveexec_b64 s[6:7], vcc
	s_cbranch_execz .LBB17_44
; %bb.43:
	v_div_scale_f64 v[58:59], s[8:9], v[36:37], v[36:37], 1.0
	v_rcp_f64_e32 v[60:61], v[58:59]
	v_div_scale_f64 v[62:63], vcc, 1.0, v[36:37], 1.0
	v_fma_f64 v[64:65], -v[58:59], v[60:61], 1.0
	v_fmac_f64_e32 v[60:61], v[60:61], v[64:65]
	v_fma_f64 v[64:65], -v[58:59], v[60:61], 1.0
	v_fmac_f64_e32 v[60:61], v[60:61], v[64:65]
	v_mul_f64 v[64:65], v[62:63], v[60:61]
	v_fma_f64 v[58:59], -v[58:59], v[64:65], v[62:63]
	v_div_fmas_f64 v[58:59], v[58:59], v[60:61], v[64:65]
	v_div_fixup_f64 v[58:59], v[58:59], v[36:37], 1.0
	ds_write_b64 v54, v[58:59]
.LBB17_44:
	s_or_b64 exec, exec, s[6:7]
.LBB17_45:
	s_or_b64 exec, exec, s[2:3]
	s_waitcnt lgkmcnt(0)
	s_barrier
	ds_read_b64 v[54:55], v54
	s_waitcnt lgkmcnt(0)
	s_barrier
	s_and_saveexec_b64 s[18:19], s[0:1]
	s_cbranch_execz .LBB17_48
; %bb.46:
	s_load_dwordx2 s[0:1], s[4:5], 0x28
	v_lshlrev_b64 v[2:3], 2, v[2:3]
	v_cmp_eq_f64_e64 s[2:3], 0, v[42:43]
	v_cmp_eq_f64_e64 s[4:5], 0, v[44:45]
	;; [unrolled: 1-line block ×3, first 2 shown]
	s_waitcnt lgkmcnt(0)
	v_mov_b32_e32 v57, s1
	v_add_co_u32_e32 v2, vcc, s0, v2
	v_addc_co_u32_e32 v3, vcc, v57, v3, vcc
	global_load_dword v57, v[2:3], off
	v_cmp_eq_f64_e32 vcc, 0, v[38:39]
	v_cmp_neq_f64_e64 s[0:1], 0, v[40:41]
	v_cndmask_b32_e64 v38, 0, 1, vcc
	s_or_b64 vcc, s[0:1], vcc
	v_cndmask_b32_e32 v38, 2, v38, vcc
	v_cmp_eq_u32_e32 vcc, 0, v38
	s_and_b64 s[0:1], s[2:3], vcc
	v_cndmask_b32_e64 v38, v38, 3, s[0:1]
	v_cmp_eq_u32_e32 vcc, 0, v38
	s_and_b64 s[0:1], s[4:5], vcc
	v_cndmask_b32_e64 v38, v38, 4, s[0:1]
	;; [unrolled: 3-line block ×3, first 2 shown]
	v_cmp_eq_f64_e64 s[8:9], 0, v[48:49]
	v_cmp_eq_u32_e32 vcc, 0, v38
	s_and_b64 s[0:1], s[8:9], vcc
	v_cndmask_b32_e64 v38, v38, 6, s[0:1]
	v_cmp_eq_f64_e64 s[10:11], 0, v[50:51]
	v_cmp_eq_u32_e32 vcc, 0, v38
	s_and_b64 s[0:1], s[10:11], vcc
	v_cndmask_b32_e64 v38, v38, 7, s[0:1]
	;; [unrolled: 4-line block ×4, first 2 shown]
	v_cmp_ne_u32_e64 s[0:1], 0, v38
	s_waitcnt vmcnt(0)
	v_cmp_eq_u32_e32 vcc, 0, v57
	s_and_b64 s[0:1], vcc, s[0:1]
	s_and_b64 exec, exec, s[0:1]
	s_cbranch_execz .LBB17_48
; %bb.47:
	v_add_u32_e32 v38, s17, v38
	global_store_dword v[2:3], v38, off
.LBB17_48:
	s_or_b64 exec, exec, s[18:19]
	s_waitcnt vmcnt(0)
	v_mul_f64 v[2:3], v[36:37], v[54:55]
	v_cmp_lt_u32_e32 vcc, 8, v56
	v_cndmask_b32_e32 v3, v37, v3, vcc
	v_cndmask_b32_e32 v2, v36, v2, vcc
	global_store_dwordx2 v[0:1], v[28:29], off
	global_store_dwordx2 v[26:27], v[30:31], off
	;; [unrolled: 1-line block ×9, first 2 shown]
.LBB17_49:
	s_endpgm
	.section	.rodata,"a",@progbits
	.p2align	6, 0x0
	.amdhsa_kernel _ZN9rocsolver6v33100L23getf2_npvt_small_kernelILi9EdiiPKPdEEvT1_T3_lS5_lPT2_S5_S5_
		.amdhsa_group_segment_fixed_size 0
		.amdhsa_private_segment_fixed_size 0
		.amdhsa_kernarg_size 312
		.amdhsa_user_sgpr_count 6
		.amdhsa_user_sgpr_private_segment_buffer 1
		.amdhsa_user_sgpr_dispatch_ptr 0
		.amdhsa_user_sgpr_queue_ptr 0
		.amdhsa_user_sgpr_kernarg_segment_ptr 1
		.amdhsa_user_sgpr_dispatch_id 0
		.amdhsa_user_sgpr_flat_scratch_init 0
		.amdhsa_user_sgpr_kernarg_preload_length 0
		.amdhsa_user_sgpr_kernarg_preload_offset 0
		.amdhsa_user_sgpr_private_segment_size 0
		.amdhsa_uses_dynamic_stack 0
		.amdhsa_system_sgpr_private_segment_wavefront_offset 0
		.amdhsa_system_sgpr_workgroup_id_x 1
		.amdhsa_system_sgpr_workgroup_id_y 1
		.amdhsa_system_sgpr_workgroup_id_z 0
		.amdhsa_system_sgpr_workgroup_info 0
		.amdhsa_system_vgpr_workitem_id 1
		.amdhsa_next_free_vgpr 66
		.amdhsa_next_free_sgpr 20
		.amdhsa_accum_offset 68
		.amdhsa_reserve_vcc 1
		.amdhsa_reserve_flat_scratch 0
		.amdhsa_float_round_mode_32 0
		.amdhsa_float_round_mode_16_64 0
		.amdhsa_float_denorm_mode_32 3
		.amdhsa_float_denorm_mode_16_64 3
		.amdhsa_dx10_clamp 1
		.amdhsa_ieee_mode 1
		.amdhsa_fp16_overflow 0
		.amdhsa_tg_split 0
		.amdhsa_exception_fp_ieee_invalid_op 0
		.amdhsa_exception_fp_denorm_src 0
		.amdhsa_exception_fp_ieee_div_zero 0
		.amdhsa_exception_fp_ieee_overflow 0
		.amdhsa_exception_fp_ieee_underflow 0
		.amdhsa_exception_fp_ieee_inexact 0
		.amdhsa_exception_int_div_zero 0
	.end_amdhsa_kernel
	.section	.text._ZN9rocsolver6v33100L23getf2_npvt_small_kernelILi9EdiiPKPdEEvT1_T3_lS5_lPT2_S5_S5_,"axG",@progbits,_ZN9rocsolver6v33100L23getf2_npvt_small_kernelILi9EdiiPKPdEEvT1_T3_lS5_lPT2_S5_S5_,comdat
.Lfunc_end17:
	.size	_ZN9rocsolver6v33100L23getf2_npvt_small_kernelILi9EdiiPKPdEEvT1_T3_lS5_lPT2_S5_S5_, .Lfunc_end17-_ZN9rocsolver6v33100L23getf2_npvt_small_kernelILi9EdiiPKPdEEvT1_T3_lS5_lPT2_S5_S5_
                                        ; -- End function
	.section	.AMDGPU.csdata,"",@progbits
; Kernel info:
; codeLenInByte = 3272
; NumSgprs: 24
; NumVgprs: 66
; NumAgprs: 0
; TotalNumVgprs: 66
; ScratchSize: 0
; MemoryBound: 0
; FloatMode: 240
; IeeeMode: 1
; LDSByteSize: 0 bytes/workgroup (compile time only)
; SGPRBlocks: 2
; VGPRBlocks: 8
; NumSGPRsForWavesPerEU: 24
; NumVGPRsForWavesPerEU: 66
; AccumOffset: 68
; Occupancy: 7
; WaveLimiterHint : 1
; COMPUTE_PGM_RSRC2:SCRATCH_EN: 0
; COMPUTE_PGM_RSRC2:USER_SGPR: 6
; COMPUTE_PGM_RSRC2:TRAP_HANDLER: 0
; COMPUTE_PGM_RSRC2:TGID_X_EN: 1
; COMPUTE_PGM_RSRC2:TGID_Y_EN: 1
; COMPUTE_PGM_RSRC2:TGID_Z_EN: 0
; COMPUTE_PGM_RSRC2:TIDIG_COMP_CNT: 1
; COMPUTE_PGM_RSRC3_GFX90A:ACCUM_OFFSET: 16
; COMPUTE_PGM_RSRC3_GFX90A:TG_SPLIT: 0
	.section	.text._ZN9rocsolver6v33100L18getf2_small_kernelILi10EdiiPKPdEEvT1_T3_lS5_lPS5_llPT2_S5_S5_S7_l,"axG",@progbits,_ZN9rocsolver6v33100L18getf2_small_kernelILi10EdiiPKPdEEvT1_T3_lS5_lPS5_llPT2_S5_S5_S7_l,comdat
	.globl	_ZN9rocsolver6v33100L18getf2_small_kernelILi10EdiiPKPdEEvT1_T3_lS5_lPS5_llPT2_S5_S5_S7_l ; -- Begin function _ZN9rocsolver6v33100L18getf2_small_kernelILi10EdiiPKPdEEvT1_T3_lS5_lPS5_llPT2_S5_S5_S7_l
	.p2align	8
	.type	_ZN9rocsolver6v33100L18getf2_small_kernelILi10EdiiPKPdEEvT1_T3_lS5_lPS5_llPT2_S5_S5_S7_l,@function
_ZN9rocsolver6v33100L18getf2_small_kernelILi10EdiiPKPdEEvT1_T3_lS5_lPS5_llPT2_S5_S5_S7_l: ; @_ZN9rocsolver6v33100L18getf2_small_kernelILi10EdiiPKPdEEvT1_T3_lS5_lPS5_llPT2_S5_S5_S7_l
; %bb.0:
	s_load_dword s0, s[4:5], 0x6c
	s_load_dwordx2 s[12:13], s[4:5], 0x48
	v_bfe_u32 v24, v0, 10, 10
	s_waitcnt lgkmcnt(0)
	s_lshr_b32 s0, s0, 16
	s_mul_i32 s7, s7, s0
	v_add_u32_e32 v2, s7, v24
	v_cmp_gt_i32_e32 vcc, s12, v2
	s_and_saveexec_b64 s[0:1], vcc
	s_cbranch_execz .LBB18_167
; %bb.1:
	s_load_dwordx4 s[0:3], s[4:5], 0x8
	s_load_dwordx4 s[8:11], s[4:5], 0x50
	v_ashrrev_i32_e32 v3, 31, v2
	v_lshlrev_b64 v[4:5], 3, v[2:3]
	v_pk_mov_b32 v[20:21], 0, 0
	s_waitcnt lgkmcnt(0)
	v_mov_b32_e32 v1, s1
	v_add_co_u32_e32 v4, vcc, s0, v4
	v_addc_co_u32_e32 v5, vcc, v1, v5, vcc
	global_load_dwordx2 v[4:5], v[4:5], off
	s_cmp_eq_u64 s[8:9], 0
	s_cselect_b64 s[6:7], -1, 0
	s_and_b64 vcc, exec, s[6:7]
	s_cbranch_vccnz .LBB18_3
; %bb.2:
	v_mul_lo_u32 v1, v3, s10
	v_mul_lo_u32 v8, v2, s11
	v_mad_u64_u32 v[6:7], s[0:1], v2, s10, 0
	v_add3_u32 v7, v7, v8, v1
	v_lshlrev_b64 v[6:7], 2, v[6:7]
	v_mov_b32_e32 v1, s9
	v_add_co_u32_e32 v20, vcc, s8, v6
	v_addc_co_u32_e32 v21, vcc, v1, v7, vcc
.LBB18_3:
	s_load_dword s8, s[4:5], 0x18
	s_load_dword s12, s[4:5], 0x0
	s_lshl_b64 s[0:1], s[2:3], 3
	v_mov_b32_e32 v1, s1
	s_waitcnt vmcnt(0)
	v_add_co_u32_e32 v30, vcc, s0, v4
	v_and_b32_e32 v33, 0x3ff, v0
	v_addc_co_u32_e32 v31, vcc, v5, v1, vcc
	v_lshlrev_b32_e32 v25, 3, v33
	v_add_co_u32_e32 v6, vcc, v30, v25
	s_waitcnt lgkmcnt(0)
	s_ashr_i32 s9, s8, 31
	v_addc_co_u32_e32 v7, vcc, 0, v31, vcc
	s_lshl_b64 s[10:11], s[8:9], 3
	v_mov_b32_e32 v0, s11
	v_add_co_u32_e32 v8, vcc, s10, v6
	s_add_i32 s9, s8, s8
	v_addc_co_u32_e32 v9, vcc, v7, v0, vcc
	v_add_u32_e32 v0, s9, v33
	v_ashrrev_i32_e32 v1, 31, v0
	v_lshlrev_b64 v[4:5], 3, v[0:1]
	v_add_u32_e32 v16, s8, v0
	v_add_co_u32_e32 v12, vcc, v30, v4
	v_ashrrev_i32_e32 v17, 31, v16
	v_addc_co_u32_e32 v13, vcc, v31, v5, vcc
	v_lshlrev_b64 v[0:1], 3, v[16:17]
	v_add_co_u32_e32 v18, vcc, v30, v0
	v_addc_co_u32_e32 v19, vcc, v31, v1, vcc
	global_load_dwordx2 v[14:15], v[6:7], off
	global_load_dwordx2 v[10:11], v[8:9], off
	;; [unrolled: 1-line block ×4, first 2 shown]
	v_add_u32_e32 v6, s8, v16
	v_ashrrev_i32_e32 v7, 31, v6
	v_lshlrev_b64 v[8:9], 3, v[6:7]
	v_add_u32_e32 v6, s8, v6
	v_add_co_u32_e32 v12, vcc, v30, v8
	v_ashrrev_i32_e32 v7, 31, v6
	v_addc_co_u32_e32 v13, vcc, v31, v9, vcc
	v_lshlrev_b64 v[8:9], 3, v[6:7]
	v_add_u32_e32 v6, s8, v6
	v_add_co_u32_e32 v22, vcc, v30, v8
	v_ashrrev_i32_e32 v7, 31, v6
	v_addc_co_u32_e32 v23, vcc, v31, v9, vcc
	;; [unrolled: 5-line block ×3, first 2 shown]
	v_lshlrev_b64 v[6:7], 3, v[28:29]
	v_add_co_u32_e32 v34, vcc, v30, v6
	v_addc_co_u32_e32 v35, vcc, v31, v7, vcc
	global_load_dwordx2 v[18:19], v[12:13], off
	global_load_dwordx2 v[16:17], v[22:23], off
	;; [unrolled: 1-line block ×4, first 2 shown]
	v_add_u32_e32 v12, s8, v28
	v_ashrrev_i32_e32 v13, 31, v12
	v_lshlrev_b64 v[22:23], 3, v[12:13]
	v_add_u32_e32 v12, s8, v12
	v_add_co_u32_e32 v26, vcc, v30, v22
	v_ashrrev_i32_e32 v13, 31, v12
	v_addc_co_u32_e32 v27, vcc, v31, v23, vcc
	v_lshlrev_b64 v[12:13], 3, v[12:13]
	v_add_co_u32_e32 v28, vcc, v30, v12
	v_addc_co_u32_e32 v29, vcc, v31, v13, vcc
	global_load_dwordx2 v[12:13], v[26:27], off
	global_load_dwordx2 v[22:23], v[28:29], off
	s_max_i32 s0, s12, 10
	v_mul_lo_u32 v27, s0, v24
	v_lshl_add_u32 v28, v27, 3, 0
	v_add_u32_e32 v24, v28, v25
	v_mov_b32_e32 v26, 0
	s_cmp_lt_i32 s12, 2
	v_lshlrev_b32_e32 v32, 3, v27
	s_waitcnt vmcnt(9)
	ds_write_b64 v24, v[14:15]
	s_waitcnt lgkmcnt(0)
	s_barrier
	ds_read_b64 v[24:25], v28
	s_cbranch_scc1 .LBB18_6
; %bb.4:
	v_add3_u32 v27, v32, 0, 8
	s_mov_b32 s0, 1
	v_mov_b32_e32 v26, 0
.LBB18_5:                               ; =>This Inner Loop Header: Depth=1
	ds_read_b64 v[34:35], v27
	v_mov_b32_e32 v29, s0
	s_add_i32 s0, s0, 1
	v_add_u32_e32 v27, 8, v27
	s_cmp_eq_u32 s12, s0
	s_waitcnt lgkmcnt(0)
	v_cmp_lt_f64_e64 vcc, |v[24:25]|, |v[34:35]|
	v_cndmask_b32_e32 v25, v25, v35, vcc
	v_cndmask_b32_e32 v24, v24, v34, vcc
	;; [unrolled: 1-line block ×3, first 2 shown]
	s_cbranch_scc0 .LBB18_5
.LBB18_6:
	v_cmp_ne_u32_e32 vcc, v33, v26
                                        ; implicit-def: $vgpr29
	s_and_saveexec_b64 s[0:1], vcc
	s_xor_b64 s[0:1], exec, s[0:1]
	s_cbranch_execz .LBB18_12
; %bb.7:
	v_cmp_eq_u32_e32 vcc, 0, v33
	s_and_saveexec_b64 s[2:3], vcc
	s_cbranch_execz .LBB18_11
; %bb.8:
	v_cmp_ne_u32_e32 vcc, 0, v26
	s_xor_b64 s[14:15], s[6:7], -1
	s_and_b64 s[16:17], s[14:15], vcc
	s_and_saveexec_b64 s[14:15], s[16:17]
	s_cbranch_execz .LBB18_10
; %bb.9:
	v_ashrrev_i32_e32 v27, 31, v26
	v_lshlrev_b64 v[34:35], 2, v[26:27]
	v_add_co_u32_e32 v34, vcc, v20, v34
	v_addc_co_u32_e32 v35, vcc, v21, v35, vcc
	flat_load_dword v27, v[34:35]
	flat_load_dword v29, v[20:21]
	s_waitcnt vmcnt(0) lgkmcnt(0)
	flat_store_dword v[20:21], v27
	flat_store_dword v[34:35], v29
.LBB18_10:
	s_or_b64 exec, exec, s[14:15]
	v_mov_b32_e32 v33, v26
.LBB18_11:
	s_or_b64 exec, exec, s[2:3]
	v_mov_b32_e32 v29, v33
                                        ; implicit-def: $vgpr33
.LBB18_12:
	s_or_saveexec_b64 s[0:1], s[0:1]
	v_mov_b32_e32 v27, v29
	s_xor_b64 exec, exec, s[0:1]
	s_cbranch_execz .LBB18_14
; %bb.13:
	v_mov_b32_e32 v29, 0
	v_mov_b32_e32 v27, v33
	s_waitcnt vmcnt(0)
	ds_write2_b64 v28, v[10:11], v[4:5] offset0:1 offset1:2
	ds_write2_b64 v28, v[0:1], v[18:19] offset0:3 offset1:4
	;; [unrolled: 1-line block ×4, first 2 shown]
	ds_write_b64 v28, v[22:23] offset:72
.LBB18_14:
	s_or_b64 exec, exec, s[0:1]
	s_waitcnt lgkmcnt(0)
	v_cmp_eq_f64_e64 s[0:1], 0, v[24:25]
	v_cmp_lt_i32_e32 vcc, 0, v29
	s_barrier
	s_and_saveexec_b64 s[2:3], vcc
	s_cbranch_execz .LBB18_16
; %bb.15:
	v_div_scale_f64 v[34:35], s[14:15], v[24:25], v[24:25], 1.0
	v_rcp_f64_e32 v[36:37], v[34:35]
	v_div_scale_f64 v[38:39], vcc, 1.0, v[24:25], 1.0
	ds_read2_b64 v[42:45], v28 offset0:7 offset1:8
	v_fma_f64 v[40:41], -v[34:35], v[36:37], 1.0
	v_fmac_f64_e32 v[36:37], v[36:37], v[40:41]
	v_fma_f64 v[40:41], -v[34:35], v[36:37], 1.0
	v_fmac_f64_e32 v[36:37], v[36:37], v[40:41]
	v_mul_f64 v[40:41], v[38:39], v[36:37]
	v_fma_f64 v[34:35], -v[34:35], v[40:41], v[38:39]
	v_div_fmas_f64 v[34:35], v[34:35], v[36:37], v[40:41]
	v_div_fixup_f64 v[38:39], v[34:35], v[24:25], 1.0
	ds_read2_b64 v[34:37], v28 offset0:1 offset1:2
	v_cndmask_b32_e64 v25, v39, v25, s[0:1]
	v_cndmask_b32_e64 v24, v38, v24, s[0:1]
	ds_read2_b64 v[38:41], v28 offset0:3 offset1:4
	v_mul_f64 v[14:15], v[14:15], v[24:25]
	s_waitcnt vmcnt(0) lgkmcnt(0)
	v_fma_f64 v[10:11], -v[14:15], v[34:35], v[10:11]
	v_fma_f64 v[4:5], -v[14:15], v[36:37], v[4:5]
	ds_read2_b64 v[34:37], v28 offset0:5 offset1:6
	ds_read_b64 v[24:25], v28 offset:72
	v_fma_f64 v[0:1], -v[14:15], v[38:39], v[0:1]
	v_fma_f64 v[18:19], -v[14:15], v[40:41], v[18:19]
	;; [unrolled: 1-line block ×3, first 2 shown]
	s_waitcnt lgkmcnt(1)
	v_fma_f64 v[16:17], -v[14:15], v[34:35], v[16:17]
	v_fma_f64 v[8:9], -v[14:15], v[36:37], v[8:9]
	;; [unrolled: 1-line block ×3, first 2 shown]
	s_waitcnt lgkmcnt(0)
	v_fma_f64 v[22:23], -v[14:15], v[24:25], v[22:23]
.LBB18_16:
	s_or_b64 exec, exec, s[2:3]
	v_lshl_add_u32 v24, v29, 3, v28
	s_barrier
	s_waitcnt vmcnt(0)
	ds_write_b64 v24, v[10:11]
	s_waitcnt lgkmcnt(0)
	s_barrier
	ds_read_b64 v[24:25], v28 offset:8
	s_cmp_lt_i32 s12, 3
	v_mov_b32_e32 v26, 1
	s_cbranch_scc1 .LBB18_19
; %bb.17:
	v_add3_u32 v33, v32, 0, 16
	s_mov_b32 s2, 2
	v_mov_b32_e32 v26, 1
.LBB18_18:                              ; =>This Inner Loop Header: Depth=1
	ds_read_b64 v[34:35], v33
	v_mov_b32_e32 v36, s2
	s_add_i32 s2, s2, 1
	v_add_u32_e32 v33, 8, v33
	s_cmp_lg_u32 s12, s2
	s_waitcnt lgkmcnt(0)
	v_cmp_lt_f64_e64 vcc, |v[24:25]|, |v[34:35]|
	v_cndmask_b32_e32 v25, v25, v35, vcc
	v_cndmask_b32_e32 v24, v24, v34, vcc
	;; [unrolled: 1-line block ×3, first 2 shown]
	s_cbranch_scc1 .LBB18_18
.LBB18_19:
	v_cmp_ne_u32_e32 vcc, v29, v26
	s_and_saveexec_b64 s[2:3], vcc
	s_xor_b64 s[2:3], exec, s[2:3]
	s_cbranch_execz .LBB18_25
; %bb.20:
	v_cmp_eq_u32_e32 vcc, 1, v29
	s_and_saveexec_b64 s[14:15], vcc
	s_cbranch_execz .LBB18_24
; %bb.21:
	v_cmp_ne_u32_e32 vcc, 1, v26
	s_xor_b64 s[16:17], s[6:7], -1
	s_and_b64 s[18:19], s[16:17], vcc
	s_and_saveexec_b64 s[16:17], s[18:19]
	s_cbranch_execz .LBB18_23
; %bb.22:
	v_ashrrev_i32_e32 v27, 31, v26
	v_lshlrev_b64 v[34:35], 2, v[26:27]
	v_add_co_u32_e32 v34, vcc, v20, v34
	v_addc_co_u32_e32 v35, vcc, v21, v35, vcc
	flat_load_dword v27, v[34:35]
	flat_load_dword v29, v[20:21] offset:4
	s_waitcnt vmcnt(0) lgkmcnt(0)
	flat_store_dword v[20:21], v27 offset:4
	flat_store_dword v[34:35], v29
.LBB18_23:
	s_or_b64 exec, exec, s[16:17]
	v_mov_b32_e32 v27, v26
	v_mov_b32_e32 v29, v26
.LBB18_24:
	s_or_b64 exec, exec, s[14:15]
.LBB18_25:
	s_andn2_saveexec_b64 s[2:3], s[2:3]
	s_cbranch_execz .LBB18_27
; %bb.26:
	v_mov_b32_e32 v29, 1
	ds_write2_b64 v28, v[4:5], v[0:1] offset0:2 offset1:3
	ds_write2_b64 v28, v[18:19], v[16:17] offset0:4 offset1:5
	;; [unrolled: 1-line block ×4, first 2 shown]
.LBB18_27:
	s_or_b64 exec, exec, s[2:3]
	s_waitcnt lgkmcnt(0)
	v_cmp_neq_f64_e64 s[2:3], 0, v[24:25]
	v_cmp_lt_i32_e32 vcc, 1, v29
	s_barrier
	s_and_saveexec_b64 s[14:15], vcc
	s_cbranch_execz .LBB18_29
; %bb.28:
	v_div_scale_f64 v[34:35], s[16:17], v[24:25], v[24:25], 1.0
	v_rcp_f64_e32 v[36:37], v[34:35]
	v_div_scale_f64 v[38:39], vcc, 1.0, v[24:25], 1.0
	ds_read2_b64 v[42:45], v28 offset0:6 offset1:7
	v_fma_f64 v[40:41], -v[34:35], v[36:37], 1.0
	v_fmac_f64_e32 v[36:37], v[36:37], v[40:41]
	v_fma_f64 v[40:41], -v[34:35], v[36:37], 1.0
	v_fmac_f64_e32 v[36:37], v[36:37], v[40:41]
	v_mul_f64 v[40:41], v[38:39], v[36:37]
	v_fma_f64 v[34:35], -v[34:35], v[40:41], v[38:39]
	v_div_fmas_f64 v[34:35], v[34:35], v[36:37], v[40:41]
	v_div_fixup_f64 v[38:39], v[34:35], v[24:25], 1.0
	ds_read2_b64 v[34:37], v28 offset0:2 offset1:3
	v_cndmask_b32_e64 v25, v25, v39, s[2:3]
	v_cndmask_b32_e64 v24, v24, v38, s[2:3]
	ds_read2_b64 v[38:41], v28 offset0:4 offset1:5
	v_mul_f64 v[10:11], v[10:11], v[24:25]
	s_waitcnt lgkmcnt(0)
	v_fma_f64 v[4:5], -v[10:11], v[34:35], v[4:5]
	v_fma_f64 v[0:1], -v[10:11], v[36:37], v[0:1]
	ds_read2_b64 v[34:37], v28 offset0:8 offset1:9
	v_fma_f64 v[18:19], -v[10:11], v[38:39], v[18:19]
	v_fma_f64 v[16:17], -v[10:11], v[40:41], v[16:17]
	;; [unrolled: 1-line block ×4, first 2 shown]
	s_waitcnt lgkmcnt(0)
	v_fma_f64 v[12:13], -v[10:11], v[34:35], v[12:13]
	v_fma_f64 v[22:23], -v[10:11], v[36:37], v[22:23]
.LBB18_29:
	s_or_b64 exec, exec, s[14:15]
	v_lshl_add_u32 v24, v29, 3, v28
	s_barrier
	ds_write_b64 v24, v[4:5]
	s_waitcnt lgkmcnt(0)
	s_barrier
	ds_read_b64 v[24:25], v28 offset:16
	s_mov_b32 s14, 3
	s_cmp_lt_i32 s12, 4
	v_mov_b32_e32 v26, 2
	s_cbranch_scc1 .LBB18_32
; %bb.30:
	v_add3_u32 v33, v32, 0, 24
	v_mov_b32_e32 v26, 2
.LBB18_31:                              ; =>This Inner Loop Header: Depth=1
	ds_read_b64 v[34:35], v33
	v_mov_b32_e32 v36, s14
	s_add_i32 s14, s14, 1
	v_add_u32_e32 v33, 8, v33
	s_cmp_lg_u32 s12, s14
	s_waitcnt lgkmcnt(0)
	v_cmp_lt_f64_e64 vcc, |v[24:25]|, |v[34:35]|
	v_cndmask_b32_e32 v25, v25, v35, vcc
	v_cndmask_b32_e32 v24, v24, v34, vcc
	;; [unrolled: 1-line block ×3, first 2 shown]
	s_cbranch_scc1 .LBB18_31
.LBB18_32:
	v_cndmask_b32_e64 v33, 2, 1, s[0:1]
	v_cndmask_b32_e64 v34, 0, 1, s[0:1]
	;; [unrolled: 1-line block ×3, first 2 shown]
	s_waitcnt lgkmcnt(0)
	v_cmp_eq_f64_e32 vcc, 0, v[24:25]
	s_and_saveexec_b64 s[0:1], vcc
	s_xor_b64 s[0:1], exec, s[0:1]
; %bb.33:
	v_cmp_ne_u32_e32 vcc, 0, v33
	v_cndmask_b32_e32 v33, 3, v33, vcc
; %bb.34:
	s_andn2_saveexec_b64 s[0:1], s[0:1]
; %bb.35:
	v_div_scale_f64 v[34:35], s[2:3], v[24:25], v[24:25], 1.0
	v_rcp_f64_e32 v[36:37], v[34:35]
	v_div_scale_f64 v[38:39], vcc, 1.0, v[24:25], 1.0
	v_fma_f64 v[40:41], -v[34:35], v[36:37], 1.0
	v_fmac_f64_e32 v[36:37], v[36:37], v[40:41]
	v_fma_f64 v[40:41], -v[34:35], v[36:37], 1.0
	v_fmac_f64_e32 v[36:37], v[36:37], v[40:41]
	v_mul_f64 v[40:41], v[38:39], v[36:37]
	v_fma_f64 v[34:35], -v[34:35], v[40:41], v[38:39]
	v_div_fmas_f64 v[34:35], v[34:35], v[36:37], v[40:41]
	v_div_fixup_f64 v[24:25], v[34:35], v[24:25], 1.0
; %bb.36:
	s_or_b64 exec, exec, s[0:1]
	v_cmp_ne_u32_e32 vcc, v29, v26
	s_and_saveexec_b64 s[0:1], vcc
	s_xor_b64 s[0:1], exec, s[0:1]
	s_cbranch_execz .LBB18_42
; %bb.37:
	v_cmp_eq_u32_e32 vcc, 2, v29
	s_and_saveexec_b64 s[2:3], vcc
	s_cbranch_execz .LBB18_41
; %bb.38:
	v_cmp_ne_u32_e32 vcc, 2, v26
	s_xor_b64 s[14:15], s[6:7], -1
	s_and_b64 s[16:17], s[14:15], vcc
	s_and_saveexec_b64 s[14:15], s[16:17]
	s_cbranch_execz .LBB18_40
; %bb.39:
	v_ashrrev_i32_e32 v27, 31, v26
	v_lshlrev_b64 v[34:35], 2, v[26:27]
	v_add_co_u32_e32 v34, vcc, v20, v34
	v_addc_co_u32_e32 v35, vcc, v21, v35, vcc
	flat_load_dword v27, v[34:35]
	flat_load_dword v29, v[20:21] offset:8
	s_waitcnt vmcnt(0) lgkmcnt(0)
	flat_store_dword v[20:21], v27 offset:8
	flat_store_dword v[34:35], v29
.LBB18_40:
	s_or_b64 exec, exec, s[14:15]
	v_mov_b32_e32 v27, v26
	v_mov_b32_e32 v29, v26
.LBB18_41:
	s_or_b64 exec, exec, s[2:3]
.LBB18_42:
	s_andn2_saveexec_b64 s[0:1], s[0:1]
	s_cbranch_execz .LBB18_44
; %bb.43:
	v_mov_b32_e32 v29, 2
	ds_write2_b64 v28, v[0:1], v[18:19] offset0:3 offset1:4
	ds_write2_b64 v28, v[16:17], v[8:9] offset0:5 offset1:6
	;; [unrolled: 1-line block ×3, first 2 shown]
	ds_write_b64 v28, v[22:23] offset:72
.LBB18_44:
	s_or_b64 exec, exec, s[0:1]
	v_cmp_lt_i32_e32 vcc, 2, v29
	s_waitcnt lgkmcnt(0)
	s_barrier
	s_and_saveexec_b64 s[0:1], vcc
	s_cbranch_execz .LBB18_46
; %bb.45:
	ds_read2_b64 v[34:37], v28 offset0:3 offset1:4
	ds_read2_b64 v[38:41], v28 offset0:5 offset1:6
	v_mul_f64 v[4:5], v[4:5], v[24:25]
	ds_read2_b64 v[42:45], v28 offset0:7 offset1:8
	ds_read_b64 v[24:25], v28 offset:72
	s_waitcnt lgkmcnt(0)
	v_fma_f64 v[0:1], -v[4:5], v[34:35], v[0:1]
	v_fma_f64 v[18:19], -v[4:5], v[36:37], v[18:19]
	;; [unrolled: 1-line block ×7, first 2 shown]
.LBB18_46:
	s_or_b64 exec, exec, s[0:1]
	v_lshl_add_u32 v24, v29, 3, v28
	s_barrier
	ds_write_b64 v24, v[0:1]
	s_waitcnt lgkmcnt(0)
	s_barrier
	ds_read_b64 v[24:25], v28 offset:24
	s_cmp_lt_i32 s12, 5
	v_mov_b32_e32 v26, 3
	s_cbranch_scc1 .LBB18_49
; %bb.47:
	v_add3_u32 v34, v32, 0, 32
	s_mov_b32 s0, 4
	v_mov_b32_e32 v26, 3
.LBB18_48:                              ; =>This Inner Loop Header: Depth=1
	ds_read_b64 v[36:37], v34
	v_mov_b32_e32 v35, s0
	s_add_i32 s0, s0, 1
	v_add_u32_e32 v34, 8, v34
	s_cmp_lg_u32 s12, s0
	s_waitcnt lgkmcnt(0)
	v_cmp_lt_f64_e64 vcc, |v[24:25]|, |v[36:37]|
	v_cndmask_b32_e32 v25, v25, v37, vcc
	v_cndmask_b32_e32 v24, v24, v36, vcc
	;; [unrolled: 1-line block ×3, first 2 shown]
	s_cbranch_scc1 .LBB18_48
.LBB18_49:
	s_waitcnt lgkmcnt(0)
	v_cmp_eq_f64_e32 vcc, 0, v[24:25]
	s_and_saveexec_b64 s[0:1], vcc
	s_xor_b64 s[0:1], exec, s[0:1]
; %bb.50:
	v_cmp_ne_u32_e32 vcc, 0, v33
	v_cndmask_b32_e32 v33, 4, v33, vcc
; %bb.51:
	s_andn2_saveexec_b64 s[0:1], s[0:1]
; %bb.52:
	v_div_scale_f64 v[34:35], s[2:3], v[24:25], v[24:25], 1.0
	v_rcp_f64_e32 v[36:37], v[34:35]
	v_div_scale_f64 v[38:39], vcc, 1.0, v[24:25], 1.0
	v_fma_f64 v[40:41], -v[34:35], v[36:37], 1.0
	v_fmac_f64_e32 v[36:37], v[36:37], v[40:41]
	v_fma_f64 v[40:41], -v[34:35], v[36:37], 1.0
	v_fmac_f64_e32 v[36:37], v[36:37], v[40:41]
	v_mul_f64 v[40:41], v[38:39], v[36:37]
	v_fma_f64 v[34:35], -v[34:35], v[40:41], v[38:39]
	v_div_fmas_f64 v[34:35], v[34:35], v[36:37], v[40:41]
	v_div_fixup_f64 v[24:25], v[34:35], v[24:25], 1.0
; %bb.53:
	s_or_b64 exec, exec, s[0:1]
	v_cmp_ne_u32_e32 vcc, v29, v26
	s_and_saveexec_b64 s[0:1], vcc
	s_xor_b64 s[0:1], exec, s[0:1]
	s_cbranch_execz .LBB18_59
; %bb.54:
	v_cmp_eq_u32_e32 vcc, 3, v29
	s_and_saveexec_b64 s[2:3], vcc
	s_cbranch_execz .LBB18_58
; %bb.55:
	v_cmp_ne_u32_e32 vcc, 3, v26
	s_xor_b64 s[14:15], s[6:7], -1
	s_and_b64 s[16:17], s[14:15], vcc
	s_and_saveexec_b64 s[14:15], s[16:17]
	s_cbranch_execz .LBB18_57
; %bb.56:
	v_ashrrev_i32_e32 v27, 31, v26
	v_lshlrev_b64 v[34:35], 2, v[26:27]
	v_add_co_u32_e32 v34, vcc, v20, v34
	v_addc_co_u32_e32 v35, vcc, v21, v35, vcc
	flat_load_dword v27, v[34:35]
	flat_load_dword v29, v[20:21] offset:12
	s_waitcnt vmcnt(0) lgkmcnt(0)
	flat_store_dword v[20:21], v27 offset:12
	flat_store_dword v[34:35], v29
.LBB18_57:
	s_or_b64 exec, exec, s[14:15]
	v_mov_b32_e32 v27, v26
	v_mov_b32_e32 v29, v26
.LBB18_58:
	s_or_b64 exec, exec, s[2:3]
.LBB18_59:
	s_andn2_saveexec_b64 s[0:1], s[0:1]
	s_cbranch_execz .LBB18_61
; %bb.60:
	v_mov_b32_e32 v29, 3
	ds_write2_b64 v28, v[18:19], v[16:17] offset0:4 offset1:5
	ds_write2_b64 v28, v[8:9], v[6:7] offset0:6 offset1:7
	;; [unrolled: 1-line block ×3, first 2 shown]
.LBB18_61:
	s_or_b64 exec, exec, s[0:1]
	v_cmp_lt_i32_e32 vcc, 3, v29
	s_waitcnt lgkmcnt(0)
	s_barrier
	s_and_saveexec_b64 s[0:1], vcc
	s_cbranch_execz .LBB18_63
; %bb.62:
	ds_read2_b64 v[34:37], v28 offset0:4 offset1:5
	ds_read2_b64 v[38:41], v28 offset0:6 offset1:7
	;; [unrolled: 1-line block ×3, first 2 shown]
	v_mul_f64 v[0:1], v[0:1], v[24:25]
	s_waitcnt lgkmcnt(0)
	v_fma_f64 v[18:19], -v[0:1], v[34:35], v[18:19]
	v_fma_f64 v[16:17], -v[0:1], v[36:37], v[16:17]
	;; [unrolled: 1-line block ×6, first 2 shown]
.LBB18_63:
	s_or_b64 exec, exec, s[0:1]
	v_lshl_add_u32 v24, v29, 3, v28
	s_barrier
	ds_write_b64 v24, v[18:19]
	s_waitcnt lgkmcnt(0)
	s_barrier
	ds_read_b64 v[24:25], v28 offset:32
	s_cmp_lt_i32 s12, 6
	v_mov_b32_e32 v26, 4
	s_cbranch_scc1 .LBB18_66
; %bb.64:
	v_add3_u32 v34, v32, 0, 40
	s_mov_b32 s0, 5
	v_mov_b32_e32 v26, 4
.LBB18_65:                              ; =>This Inner Loop Header: Depth=1
	ds_read_b64 v[36:37], v34
	v_mov_b32_e32 v35, s0
	s_add_i32 s0, s0, 1
	v_add_u32_e32 v34, 8, v34
	s_cmp_lg_u32 s12, s0
	s_waitcnt lgkmcnt(0)
	v_cmp_lt_f64_e64 vcc, |v[24:25]|, |v[36:37]|
	v_cndmask_b32_e32 v25, v25, v37, vcc
	v_cndmask_b32_e32 v24, v24, v36, vcc
	;; [unrolled: 1-line block ×3, first 2 shown]
	s_cbranch_scc1 .LBB18_65
.LBB18_66:
	s_waitcnt lgkmcnt(0)
	v_cmp_eq_f64_e32 vcc, 0, v[24:25]
	s_and_saveexec_b64 s[0:1], vcc
	s_xor_b64 s[0:1], exec, s[0:1]
; %bb.67:
	v_cmp_ne_u32_e32 vcc, 0, v33
	v_cndmask_b32_e32 v33, 5, v33, vcc
; %bb.68:
	s_andn2_saveexec_b64 s[0:1], s[0:1]
; %bb.69:
	v_div_scale_f64 v[34:35], s[2:3], v[24:25], v[24:25], 1.0
	v_rcp_f64_e32 v[36:37], v[34:35]
	v_div_scale_f64 v[38:39], vcc, 1.0, v[24:25], 1.0
	v_fma_f64 v[40:41], -v[34:35], v[36:37], 1.0
	v_fmac_f64_e32 v[36:37], v[36:37], v[40:41]
	v_fma_f64 v[40:41], -v[34:35], v[36:37], 1.0
	v_fmac_f64_e32 v[36:37], v[36:37], v[40:41]
	v_mul_f64 v[40:41], v[38:39], v[36:37]
	v_fma_f64 v[34:35], -v[34:35], v[40:41], v[38:39]
	v_div_fmas_f64 v[34:35], v[34:35], v[36:37], v[40:41]
	v_div_fixup_f64 v[24:25], v[34:35], v[24:25], 1.0
; %bb.70:
	s_or_b64 exec, exec, s[0:1]
	v_cmp_ne_u32_e32 vcc, v29, v26
	s_and_saveexec_b64 s[0:1], vcc
	s_xor_b64 s[0:1], exec, s[0:1]
	s_cbranch_execz .LBB18_76
; %bb.71:
	v_cmp_eq_u32_e32 vcc, 4, v29
	s_and_saveexec_b64 s[2:3], vcc
	s_cbranch_execz .LBB18_75
; %bb.72:
	v_cmp_ne_u32_e32 vcc, 4, v26
	s_xor_b64 s[14:15], s[6:7], -1
	s_and_b64 s[16:17], s[14:15], vcc
	s_and_saveexec_b64 s[14:15], s[16:17]
	s_cbranch_execz .LBB18_74
; %bb.73:
	v_ashrrev_i32_e32 v27, 31, v26
	v_lshlrev_b64 v[34:35], 2, v[26:27]
	v_add_co_u32_e32 v34, vcc, v20, v34
	v_addc_co_u32_e32 v35, vcc, v21, v35, vcc
	flat_load_dword v27, v[34:35]
	flat_load_dword v29, v[20:21] offset:16
	s_waitcnt vmcnt(0) lgkmcnt(0)
	flat_store_dword v[20:21], v27 offset:16
	flat_store_dword v[34:35], v29
.LBB18_74:
	s_or_b64 exec, exec, s[14:15]
	v_mov_b32_e32 v27, v26
	v_mov_b32_e32 v29, v26
.LBB18_75:
	s_or_b64 exec, exec, s[2:3]
.LBB18_76:
	s_andn2_saveexec_b64 s[0:1], s[0:1]
	s_cbranch_execz .LBB18_78
; %bb.77:
	v_mov_b32_e32 v29, 4
	ds_write2_b64 v28, v[16:17], v[8:9] offset0:5 offset1:6
	ds_write2_b64 v28, v[6:7], v[12:13] offset0:7 offset1:8
	ds_write_b64 v28, v[22:23] offset:72
.LBB18_78:
	s_or_b64 exec, exec, s[0:1]
	v_cmp_lt_i32_e32 vcc, 4, v29
	s_waitcnt lgkmcnt(0)
	s_barrier
	s_and_saveexec_b64 s[0:1], vcc
	s_cbranch_execz .LBB18_80
; %bb.79:
	ds_read2_b64 v[34:37], v28 offset0:5 offset1:6
	ds_read2_b64 v[38:41], v28 offset0:7 offset1:8
	v_mul_f64 v[18:19], v[18:19], v[24:25]
	ds_read_b64 v[24:25], v28 offset:72
	s_waitcnt lgkmcnt(0)
	v_fma_f64 v[16:17], -v[18:19], v[34:35], v[16:17]
	v_fma_f64 v[8:9], -v[18:19], v[36:37], v[8:9]
	;; [unrolled: 1-line block ×5, first 2 shown]
.LBB18_80:
	s_or_b64 exec, exec, s[0:1]
	v_lshl_add_u32 v24, v29, 3, v28
	s_barrier
	ds_write_b64 v24, v[16:17]
	s_waitcnt lgkmcnt(0)
	s_barrier
	ds_read_b64 v[24:25], v28 offset:40
	s_cmp_lt_i32 s12, 7
	v_mov_b32_e32 v26, 5
	s_cbranch_scc1 .LBB18_83
; %bb.81:
	v_add3_u32 v34, v32, 0, 48
	s_mov_b32 s0, 6
	v_mov_b32_e32 v26, 5
.LBB18_82:                              ; =>This Inner Loop Header: Depth=1
	ds_read_b64 v[36:37], v34
	v_mov_b32_e32 v35, s0
	s_add_i32 s0, s0, 1
	v_add_u32_e32 v34, 8, v34
	s_cmp_lg_u32 s12, s0
	s_waitcnt lgkmcnt(0)
	v_cmp_lt_f64_e64 vcc, |v[24:25]|, |v[36:37]|
	v_cndmask_b32_e32 v25, v25, v37, vcc
	v_cndmask_b32_e32 v24, v24, v36, vcc
	;; [unrolled: 1-line block ×3, first 2 shown]
	s_cbranch_scc1 .LBB18_82
.LBB18_83:
	s_waitcnt lgkmcnt(0)
	v_cmp_eq_f64_e32 vcc, 0, v[24:25]
	s_and_saveexec_b64 s[0:1], vcc
	s_xor_b64 s[0:1], exec, s[0:1]
; %bb.84:
	v_cmp_ne_u32_e32 vcc, 0, v33
	v_cndmask_b32_e32 v33, 6, v33, vcc
; %bb.85:
	s_andn2_saveexec_b64 s[0:1], s[0:1]
; %bb.86:
	v_div_scale_f64 v[34:35], s[2:3], v[24:25], v[24:25], 1.0
	v_rcp_f64_e32 v[36:37], v[34:35]
	v_div_scale_f64 v[38:39], vcc, 1.0, v[24:25], 1.0
	v_fma_f64 v[40:41], -v[34:35], v[36:37], 1.0
	v_fmac_f64_e32 v[36:37], v[36:37], v[40:41]
	v_fma_f64 v[40:41], -v[34:35], v[36:37], 1.0
	v_fmac_f64_e32 v[36:37], v[36:37], v[40:41]
	v_mul_f64 v[40:41], v[38:39], v[36:37]
	v_fma_f64 v[34:35], -v[34:35], v[40:41], v[38:39]
	v_div_fmas_f64 v[34:35], v[34:35], v[36:37], v[40:41]
	v_div_fixup_f64 v[24:25], v[34:35], v[24:25], 1.0
; %bb.87:
	s_or_b64 exec, exec, s[0:1]
	v_cmp_ne_u32_e32 vcc, v29, v26
	s_and_saveexec_b64 s[0:1], vcc
	s_xor_b64 s[0:1], exec, s[0:1]
	s_cbranch_execz .LBB18_93
; %bb.88:
	v_cmp_eq_u32_e32 vcc, 5, v29
	s_and_saveexec_b64 s[2:3], vcc
	s_cbranch_execz .LBB18_92
; %bb.89:
	v_cmp_ne_u32_e32 vcc, 5, v26
	s_xor_b64 s[14:15], s[6:7], -1
	s_and_b64 s[16:17], s[14:15], vcc
	s_and_saveexec_b64 s[14:15], s[16:17]
	s_cbranch_execz .LBB18_91
; %bb.90:
	v_ashrrev_i32_e32 v27, 31, v26
	v_lshlrev_b64 v[34:35], 2, v[26:27]
	v_add_co_u32_e32 v34, vcc, v20, v34
	v_addc_co_u32_e32 v35, vcc, v21, v35, vcc
	flat_load_dword v27, v[34:35]
	flat_load_dword v29, v[20:21] offset:20
	s_waitcnt vmcnt(0) lgkmcnt(0)
	flat_store_dword v[20:21], v27 offset:20
	flat_store_dword v[34:35], v29
.LBB18_91:
	s_or_b64 exec, exec, s[14:15]
	v_mov_b32_e32 v27, v26
	v_mov_b32_e32 v29, v26
.LBB18_92:
	s_or_b64 exec, exec, s[2:3]
.LBB18_93:
	s_andn2_saveexec_b64 s[0:1], s[0:1]
	s_cbranch_execz .LBB18_95
; %bb.94:
	v_mov_b32_e32 v29, 5
	ds_write2_b64 v28, v[8:9], v[6:7] offset0:6 offset1:7
	ds_write2_b64 v28, v[12:13], v[22:23] offset0:8 offset1:9
.LBB18_95:
	s_or_b64 exec, exec, s[0:1]
	v_cmp_lt_i32_e32 vcc, 5, v29
	s_waitcnt lgkmcnt(0)
	s_barrier
	s_and_saveexec_b64 s[0:1], vcc
	s_cbranch_execz .LBB18_97
; %bb.96:
	ds_read2_b64 v[34:37], v28 offset0:6 offset1:7
	ds_read2_b64 v[38:41], v28 offset0:8 offset1:9
	v_mul_f64 v[16:17], v[16:17], v[24:25]
	s_waitcnt lgkmcnt(0)
	v_fma_f64 v[8:9], -v[16:17], v[34:35], v[8:9]
	v_fma_f64 v[6:7], -v[16:17], v[36:37], v[6:7]
	;; [unrolled: 1-line block ×4, first 2 shown]
.LBB18_97:
	s_or_b64 exec, exec, s[0:1]
	v_lshl_add_u32 v24, v29, 3, v28
	s_barrier
	ds_write_b64 v24, v[8:9]
	s_waitcnt lgkmcnt(0)
	s_barrier
	ds_read_b64 v[24:25], v28 offset:48
	s_cmp_lt_i32 s12, 8
	v_mov_b32_e32 v26, 6
	s_cbranch_scc1 .LBB18_100
; %bb.98:
	v_add3_u32 v34, v32, 0, 56
	s_mov_b32 s0, 7
	v_mov_b32_e32 v26, 6
.LBB18_99:                              ; =>This Inner Loop Header: Depth=1
	ds_read_b64 v[36:37], v34
	v_mov_b32_e32 v35, s0
	s_add_i32 s0, s0, 1
	v_add_u32_e32 v34, 8, v34
	s_cmp_lg_u32 s12, s0
	s_waitcnt lgkmcnt(0)
	v_cmp_lt_f64_e64 vcc, |v[24:25]|, |v[36:37]|
	v_cndmask_b32_e32 v25, v25, v37, vcc
	v_cndmask_b32_e32 v24, v24, v36, vcc
	;; [unrolled: 1-line block ×3, first 2 shown]
	s_cbranch_scc1 .LBB18_99
.LBB18_100:
	s_waitcnt lgkmcnt(0)
	v_cmp_eq_f64_e32 vcc, 0, v[24:25]
	s_and_saveexec_b64 s[0:1], vcc
	s_xor_b64 s[0:1], exec, s[0:1]
; %bb.101:
	v_cmp_ne_u32_e32 vcc, 0, v33
	v_cndmask_b32_e32 v33, 7, v33, vcc
; %bb.102:
	s_andn2_saveexec_b64 s[0:1], s[0:1]
; %bb.103:
	v_div_scale_f64 v[34:35], s[2:3], v[24:25], v[24:25], 1.0
	v_rcp_f64_e32 v[36:37], v[34:35]
	v_div_scale_f64 v[38:39], vcc, 1.0, v[24:25], 1.0
	v_fma_f64 v[40:41], -v[34:35], v[36:37], 1.0
	v_fmac_f64_e32 v[36:37], v[36:37], v[40:41]
	v_fma_f64 v[40:41], -v[34:35], v[36:37], 1.0
	v_fmac_f64_e32 v[36:37], v[36:37], v[40:41]
	v_mul_f64 v[40:41], v[38:39], v[36:37]
	v_fma_f64 v[34:35], -v[34:35], v[40:41], v[38:39]
	v_div_fmas_f64 v[34:35], v[34:35], v[36:37], v[40:41]
	v_div_fixup_f64 v[24:25], v[34:35], v[24:25], 1.0
; %bb.104:
	s_or_b64 exec, exec, s[0:1]
	v_cmp_ne_u32_e32 vcc, v29, v26
	s_and_saveexec_b64 s[0:1], vcc
	s_xor_b64 s[0:1], exec, s[0:1]
	s_cbranch_execz .LBB18_110
; %bb.105:
	v_cmp_eq_u32_e32 vcc, 6, v29
	s_and_saveexec_b64 s[2:3], vcc
	s_cbranch_execz .LBB18_109
; %bb.106:
	v_cmp_ne_u32_e32 vcc, 6, v26
	s_xor_b64 s[14:15], s[6:7], -1
	s_and_b64 s[16:17], s[14:15], vcc
	s_and_saveexec_b64 s[14:15], s[16:17]
	s_cbranch_execz .LBB18_108
; %bb.107:
	v_ashrrev_i32_e32 v27, 31, v26
	v_lshlrev_b64 v[34:35], 2, v[26:27]
	v_add_co_u32_e32 v34, vcc, v20, v34
	v_addc_co_u32_e32 v35, vcc, v21, v35, vcc
	flat_load_dword v27, v[34:35]
	flat_load_dword v29, v[20:21] offset:24
	s_waitcnt vmcnt(0) lgkmcnt(0)
	flat_store_dword v[20:21], v27 offset:24
	flat_store_dword v[34:35], v29
.LBB18_108:
	s_or_b64 exec, exec, s[14:15]
	v_mov_b32_e32 v27, v26
	v_mov_b32_e32 v29, v26
.LBB18_109:
	s_or_b64 exec, exec, s[2:3]
.LBB18_110:
	s_andn2_saveexec_b64 s[0:1], s[0:1]
	s_cbranch_execz .LBB18_112
; %bb.111:
	v_mov_b32_e32 v29, 6
	ds_write2_b64 v28, v[6:7], v[12:13] offset0:7 offset1:8
	ds_write_b64 v28, v[22:23] offset:72
.LBB18_112:
	s_or_b64 exec, exec, s[0:1]
	v_cmp_lt_i32_e32 vcc, 6, v29
	s_waitcnt lgkmcnt(0)
	s_barrier
	s_and_saveexec_b64 s[0:1], vcc
	s_cbranch_execz .LBB18_114
; %bb.113:
	ds_read2_b64 v[34:37], v28 offset0:7 offset1:8
	ds_read_b64 v[38:39], v28 offset:72
	v_mul_f64 v[8:9], v[8:9], v[24:25]
	s_waitcnt lgkmcnt(0)
	v_fma_f64 v[6:7], -v[8:9], v[34:35], v[6:7]
	v_fma_f64 v[12:13], -v[8:9], v[36:37], v[12:13]
	;; [unrolled: 1-line block ×3, first 2 shown]
.LBB18_114:
	s_or_b64 exec, exec, s[0:1]
	v_lshl_add_u32 v24, v29, 3, v28
	s_barrier
	ds_write_b64 v24, v[6:7]
	s_waitcnt lgkmcnt(0)
	s_barrier
	ds_read_b64 v[24:25], v28 offset:56
	s_cmp_lt_i32 s12, 9
	v_mov_b32_e32 v26, 7
	s_cbranch_scc1 .LBB18_117
; %bb.115:
	v_add3_u32 v32, v32, 0, 64
	s_mov_b32 s0, 8
	v_mov_b32_e32 v26, 7
.LBB18_116:                             ; =>This Inner Loop Header: Depth=1
	ds_read_b64 v[34:35], v32
	v_mov_b32_e32 v36, s0
	s_add_i32 s0, s0, 1
	v_add_u32_e32 v32, 8, v32
	s_cmp_lg_u32 s12, s0
	s_waitcnt lgkmcnt(0)
	v_cmp_lt_f64_e64 vcc, |v[24:25]|, |v[34:35]|
	v_cndmask_b32_e32 v25, v25, v35, vcc
	v_cndmask_b32_e32 v24, v24, v34, vcc
	;; [unrolled: 1-line block ×3, first 2 shown]
	s_cbranch_scc1 .LBB18_116
.LBB18_117:
	s_waitcnt lgkmcnt(0)
	v_cmp_eq_f64_e32 vcc, 0, v[24:25]
	s_and_saveexec_b64 s[0:1], vcc
	s_xor_b64 s[0:1], exec, s[0:1]
; %bb.118:
	v_cmp_ne_u32_e32 vcc, 0, v33
	v_cndmask_b32_e32 v33, 8, v33, vcc
; %bb.119:
	s_andn2_saveexec_b64 s[0:1], s[0:1]
; %bb.120:
	v_div_scale_f64 v[34:35], s[2:3], v[24:25], v[24:25], 1.0
	v_rcp_f64_e32 v[36:37], v[34:35]
	v_div_scale_f64 v[38:39], vcc, 1.0, v[24:25], 1.0
	v_fma_f64 v[40:41], -v[34:35], v[36:37], 1.0
	v_fmac_f64_e32 v[36:37], v[36:37], v[40:41]
	v_fma_f64 v[40:41], -v[34:35], v[36:37], 1.0
	v_fmac_f64_e32 v[36:37], v[36:37], v[40:41]
	v_mul_f64 v[40:41], v[38:39], v[36:37]
	v_fma_f64 v[34:35], -v[34:35], v[40:41], v[38:39]
	v_div_fmas_f64 v[34:35], v[34:35], v[36:37], v[40:41]
	v_div_fixup_f64 v[24:25], v[34:35], v[24:25], 1.0
; %bb.121:
	s_or_b64 exec, exec, s[0:1]
	v_cmp_ne_u32_e32 vcc, v29, v26
	s_and_saveexec_b64 s[0:1], vcc
	s_xor_b64 s[0:1], exec, s[0:1]
	s_cbranch_execz .LBB18_127
; %bb.122:
	v_cmp_eq_u32_e32 vcc, 7, v29
	s_and_saveexec_b64 s[2:3], vcc
	s_cbranch_execz .LBB18_126
; %bb.123:
	v_cmp_ne_u32_e32 vcc, 7, v26
	s_xor_b64 s[14:15], s[6:7], -1
	s_and_b64 s[16:17], s[14:15], vcc
	s_and_saveexec_b64 s[14:15], s[16:17]
	s_cbranch_execz .LBB18_125
; %bb.124:
	v_ashrrev_i32_e32 v27, 31, v26
	v_lshlrev_b64 v[34:35], 2, v[26:27]
	v_add_co_u32_e32 v34, vcc, v20, v34
	v_addc_co_u32_e32 v35, vcc, v21, v35, vcc
	flat_load_dword v27, v[34:35]
	flat_load_dword v29, v[20:21] offset:28
	s_waitcnt vmcnt(0) lgkmcnt(0)
	flat_store_dword v[20:21], v27 offset:28
	flat_store_dword v[34:35], v29
.LBB18_125:
	s_or_b64 exec, exec, s[14:15]
	v_mov_b32_e32 v27, v26
	v_mov_b32_e32 v29, v26
.LBB18_126:
	s_or_b64 exec, exec, s[2:3]
.LBB18_127:
	s_andn2_saveexec_b64 s[0:1], s[0:1]
	s_cbranch_execz .LBB18_129
; %bb.128:
	v_mov_b32_e32 v29, 7
	ds_write2_b64 v28, v[12:13], v[22:23] offset0:8 offset1:9
.LBB18_129:
	s_or_b64 exec, exec, s[0:1]
	v_cmp_lt_i32_e32 vcc, 7, v29
	s_waitcnt lgkmcnt(0)
	s_barrier
	s_and_saveexec_b64 s[0:1], vcc
	s_cbranch_execz .LBB18_131
; %bb.130:
	ds_read2_b64 v[34:37], v28 offset0:8 offset1:9
	v_mul_f64 v[6:7], v[6:7], v[24:25]
	s_waitcnt lgkmcnt(0)
	v_fma_f64 v[12:13], -v[6:7], v[34:35], v[12:13]
	v_fma_f64 v[22:23], -v[6:7], v[36:37], v[22:23]
.LBB18_131:
	s_or_b64 exec, exec, s[0:1]
	v_lshl_add_u32 v24, v29, 3, v28
	s_barrier
	ds_write_b64 v24, v[12:13]
	s_waitcnt lgkmcnt(0)
	s_barrier
	ds_read_b64 v[24:25], v28 offset:64
	s_cmp_lt_i32 s12, 10
	v_mov_b32_e32 v26, 8
	s_cbranch_scc1 .LBB18_134
; %bb.132:
	v_add_u32_e32 v32, 0x48, v28
	s_mov_b32 s0, 9
	v_mov_b32_e32 v26, 8
.LBB18_133:                             ; =>This Inner Loop Header: Depth=1
	ds_read_b64 v[34:35], v32
	v_mov_b32_e32 v36, s0
	s_add_i32 s0, s0, 1
	v_add_u32_e32 v32, 8, v32
	s_cmp_lg_u32 s12, s0
	s_waitcnt lgkmcnt(0)
	v_cmp_lt_f64_e64 vcc, |v[24:25]|, |v[34:35]|
	v_cndmask_b32_e32 v25, v25, v35, vcc
	v_cndmask_b32_e32 v24, v24, v34, vcc
	;; [unrolled: 1-line block ×3, first 2 shown]
	s_cbranch_scc1 .LBB18_133
.LBB18_134:
	s_waitcnt lgkmcnt(0)
	v_cmp_eq_f64_e32 vcc, 0, v[24:25]
	s_and_saveexec_b64 s[0:1], vcc
	s_xor_b64 s[0:1], exec, s[0:1]
; %bb.135:
	v_cmp_ne_u32_e32 vcc, 0, v33
	v_cndmask_b32_e32 v33, 9, v33, vcc
; %bb.136:
	s_andn2_saveexec_b64 s[0:1], s[0:1]
; %bb.137:
	v_div_scale_f64 v[34:35], s[2:3], v[24:25], v[24:25], 1.0
	v_rcp_f64_e32 v[36:37], v[34:35]
	v_div_scale_f64 v[38:39], vcc, 1.0, v[24:25], 1.0
	v_fma_f64 v[40:41], -v[34:35], v[36:37], 1.0
	v_fmac_f64_e32 v[36:37], v[36:37], v[40:41]
	v_fma_f64 v[40:41], -v[34:35], v[36:37], 1.0
	v_fmac_f64_e32 v[36:37], v[36:37], v[40:41]
	v_mul_f64 v[40:41], v[38:39], v[36:37]
	v_fma_f64 v[34:35], -v[34:35], v[40:41], v[38:39]
	v_div_fmas_f64 v[34:35], v[34:35], v[36:37], v[40:41]
	v_div_fixup_f64 v[24:25], v[34:35], v[24:25], 1.0
; %bb.138:
	s_or_b64 exec, exec, s[0:1]
	v_cmp_ne_u32_e32 vcc, v29, v26
	s_and_saveexec_b64 s[0:1], vcc
	s_xor_b64 s[0:1], exec, s[0:1]
	s_cbranch_execz .LBB18_144
; %bb.139:
	v_cmp_eq_u32_e32 vcc, 8, v29
	s_and_saveexec_b64 s[2:3], vcc
	s_cbranch_execz .LBB18_143
; %bb.140:
	v_cmp_ne_u32_e32 vcc, 8, v26
	s_xor_b64 s[14:15], s[6:7], -1
	s_and_b64 s[16:17], s[14:15], vcc
	s_and_saveexec_b64 s[14:15], s[16:17]
	s_cbranch_execz .LBB18_142
; %bb.141:
	v_ashrrev_i32_e32 v27, 31, v26
	v_lshlrev_b64 v[34:35], 2, v[26:27]
	v_add_co_u32_e32 v34, vcc, v20, v34
	v_addc_co_u32_e32 v35, vcc, v21, v35, vcc
	flat_load_dword v27, v[34:35]
	flat_load_dword v29, v[20:21] offset:32
	s_waitcnt vmcnt(0) lgkmcnt(0)
	flat_store_dword v[20:21], v27 offset:32
	flat_store_dword v[34:35], v29
.LBB18_142:
	s_or_b64 exec, exec, s[14:15]
	v_mov_b32_e32 v27, v26
	v_mov_b32_e32 v29, v26
.LBB18_143:
	s_or_b64 exec, exec, s[2:3]
.LBB18_144:
	s_andn2_saveexec_b64 s[0:1], s[0:1]
	s_cbranch_execz .LBB18_146
; %bb.145:
	v_mov_b32_e32 v29, 8
	ds_write_b64 v28, v[22:23] offset:72
.LBB18_146:
	s_or_b64 exec, exec, s[0:1]
	v_cmp_lt_i32_e32 vcc, 8, v29
	s_waitcnt lgkmcnt(0)
	s_barrier
	s_and_saveexec_b64 s[0:1], vcc
	s_cbranch_execz .LBB18_148
; %bb.147:
	ds_read_b64 v[34:35], v28 offset:72
	v_mul_f64 v[12:13], v[12:13], v[24:25]
	s_waitcnt lgkmcnt(0)
	v_fma_f64 v[22:23], -v[12:13], v[34:35], v[22:23]
.LBB18_148:
	s_or_b64 exec, exec, s[0:1]
	v_lshl_add_u32 v24, v29, 3, v28
	s_barrier
	ds_write_b64 v24, v[22:23]
	s_waitcnt lgkmcnt(0)
	s_barrier
	ds_read_b64 v[24:25], v28 offset:72
	s_cmp_lt_i32 s12, 11
	v_mov_b32_e32 v26, 9
	s_cbranch_scc1 .LBB18_151
; %bb.149:
	v_add_u32_e32 v28, 0x50, v28
	s_mov_b32 s0, 10
	v_mov_b32_e32 v26, 9
.LBB18_150:                             ; =>This Inner Loop Header: Depth=1
	ds_read_b64 v[34:35], v28
	v_mov_b32_e32 v32, s0
	s_add_i32 s0, s0, 1
	v_add_u32_e32 v28, 8, v28
	s_cmp_lg_u32 s12, s0
	s_waitcnt lgkmcnt(0)
	v_cmp_lt_f64_e64 vcc, |v[24:25]|, |v[34:35]|
	v_cndmask_b32_e32 v25, v25, v35, vcc
	v_cndmask_b32_e32 v24, v24, v34, vcc
	;; [unrolled: 1-line block ×3, first 2 shown]
	s_cbranch_scc1 .LBB18_150
.LBB18_151:
	s_waitcnt lgkmcnt(0)
	v_cmp_eq_f64_e32 vcc, 0, v[24:25]
	s_and_saveexec_b64 s[0:1], vcc
	s_xor_b64 s[0:1], exec, s[0:1]
; %bb.152:
	v_cmp_ne_u32_e32 vcc, 0, v33
	v_cndmask_b32_e32 v33, 10, v33, vcc
; %bb.153:
	s_andn2_saveexec_b64 s[0:1], s[0:1]
; %bb.154:
	v_div_scale_f64 v[34:35], s[2:3], v[24:25], v[24:25], 1.0
	v_rcp_f64_e32 v[36:37], v[34:35]
	v_div_scale_f64 v[38:39], vcc, 1.0, v[24:25], 1.0
	v_fma_f64 v[40:41], -v[34:35], v[36:37], 1.0
	v_fmac_f64_e32 v[36:37], v[36:37], v[40:41]
	v_fma_f64 v[40:41], -v[34:35], v[36:37], 1.0
	v_fmac_f64_e32 v[36:37], v[36:37], v[40:41]
	v_mul_f64 v[40:41], v[38:39], v[36:37]
	v_fma_f64 v[34:35], -v[34:35], v[40:41], v[38:39]
	v_div_fmas_f64 v[34:35], v[34:35], v[36:37], v[40:41]
	v_div_fixup_f64 v[24:25], v[34:35], v[24:25], 1.0
; %bb.155:
	s_or_b64 exec, exec, s[0:1]
	v_cmp_ne_u32_e32 vcc, v29, v26
	v_mov_b32_e32 v28, 9
	s_and_saveexec_b64 s[0:1], vcc
	s_cbranch_execz .LBB18_161
; %bb.156:
	v_cmp_eq_u32_e32 vcc, 9, v29
	s_and_saveexec_b64 s[2:3], vcc
	s_cbranch_execz .LBB18_160
; %bb.157:
	v_cmp_ne_u32_e32 vcc, 9, v26
	s_xor_b64 s[6:7], s[6:7], -1
	s_and_b64 s[14:15], s[6:7], vcc
	s_and_saveexec_b64 s[6:7], s[14:15]
	s_cbranch_execz .LBB18_159
; %bb.158:
	v_ashrrev_i32_e32 v27, 31, v26
	v_lshlrev_b64 v[28:29], 2, v[26:27]
	v_add_co_u32_e32 v28, vcc, v20, v28
	v_addc_co_u32_e32 v29, vcc, v21, v29, vcc
	flat_load_dword v27, v[28:29]
	flat_load_dword v32, v[20:21] offset:36
	s_waitcnt vmcnt(0) lgkmcnt(0)
	flat_store_dword v[20:21], v27 offset:36
	flat_store_dword v[28:29], v32
.LBB18_159:
	s_or_b64 exec, exec, s[6:7]
	v_mov_b32_e32 v27, v26
	v_mov_b32_e32 v29, v26
.LBB18_160:
	s_or_b64 exec, exec, s[2:3]
	v_mov_b32_e32 v28, v29
.LBB18_161:
	s_or_b64 exec, exec, s[0:1]
	s_load_dwordx8 s[0:7], s[4:5], 0x28
	v_cmp_gt_i32_e32 vcc, 10, v28
	v_ashrrev_i32_e32 v29, 31, v28
	s_waitcnt lgkmcnt(0)
	s_barrier
	s_barrier
	s_and_saveexec_b64 s[14:15], vcc
	s_cbranch_execz .LBB18_163
; %bb.162:
	v_mul_lo_u32 v26, v3, s4
	v_mul_lo_u32 v32, v2, s5
	v_mad_u64_u32 v[20:21], s[4:5], v2, s4, 0
	s_lshl_b64 s[2:3], s[2:3], 2
	v_add3_u32 v21, v21, v32, v26
	s_add_u32 s0, s2, s0
	v_lshlrev_b64 v[20:21], 2, v[20:21]
	s_addc_u32 s1, s3, s1
	v_mov_b32_e32 v26, s1
	v_add_co_u32_e32 v32, vcc, s0, v20
	v_addc_co_u32_e32 v26, vcc, v26, v21, vcc
	v_lshlrev_b64 v[20:21], 2, v[28:29]
	v_add_co_u32_e32 v20, vcc, v32, v20
	v_addc_co_u32_e32 v21, vcc, v26, v21, vcc
	v_add3_u32 v26, v27, s13, 1
	global_store_dword v[20:21], v26, off
.LBB18_163:
	s_or_b64 exec, exec, s[14:15]
	v_cmp_eq_u32_e32 vcc, 0, v28
	s_and_saveexec_b64 s[2:3], vcc
	s_cbranch_execz .LBB18_166
; %bb.164:
	v_lshlrev_b64 v[2:3], 2, v[2:3]
	v_mov_b32_e32 v20, s7
	v_add_co_u32_e32 v2, vcc, s6, v2
	v_addc_co_u32_e32 v3, vcc, v20, v3, vcc
	global_load_dword v20, v[2:3], off
	v_cmp_lt_i32_e64 s[0:1], 0, v33
	s_waitcnt vmcnt(0)
	v_cmp_eq_u32_e32 vcc, 0, v20
	s_and_b64 s[0:1], vcc, s[0:1]
	s_and_b64 exec, exec, s[0:1]
	s_cbranch_execz .LBB18_166
; %bb.165:
	v_add_u32_e32 v20, s13, v33
	global_store_dword v[2:3], v20, off
.LBB18_166:
	s_or_b64 exec, exec, s[2:3]
	v_mul_f64 v[2:3], v[22:23], v[24:25]
	v_cmp_lt_i32_e32 vcc, 9, v28
	v_lshlrev_b64 v[20:21], 3, v[28:29]
	v_cndmask_b32_e32 v3, v23, v3, vcc
	v_cndmask_b32_e32 v2, v22, v2, vcc
	v_add_co_u32_e32 v20, vcc, v30, v20
	v_addc_co_u32_e32 v21, vcc, v31, v21, vcc
	global_store_dwordx2 v[20:21], v[14:15], off
	v_mov_b32_e32 v15, s11
	v_add_co_u32_e32 v14, vcc, s10, v20
	v_addc_co_u32_e32 v15, vcc, v21, v15, vcc
	global_store_dwordx2 v[14:15], v[10:11], off
	v_add_u32_e32 v10, s9, v28
	v_ashrrev_i32_e32 v11, 31, v10
	v_lshlrev_b64 v[14:15], 3, v[10:11]
	v_add_co_u32_e32 v14, vcc, v30, v14
	v_addc_co_u32_e32 v15, vcc, v31, v15, vcc
	global_store_dwordx2 v[14:15], v[4:5], off
	v_add_u32_e32 v4, s8, v10
	v_ashrrev_i32_e32 v5, 31, v4
	v_lshlrev_b64 v[10:11], 3, v[4:5]
	;; [unrolled: 6-line block ×3, first 2 shown]
	v_add_co_u32_e32 v4, vcc, v30, v4
	v_add_u32_e32 v0, s8, v0
	v_addc_co_u32_e32 v5, vcc, v31, v5, vcc
	v_ashrrev_i32_e32 v1, 31, v0
	global_store_dwordx2 v[4:5], v[18:19], off
	v_lshlrev_b64 v[4:5], 3, v[0:1]
	v_add_co_u32_e32 v4, vcc, v30, v4
	v_add_u32_e32 v0, s8, v0
	v_addc_co_u32_e32 v5, vcc, v31, v5, vcc
	v_ashrrev_i32_e32 v1, 31, v0
	global_store_dwordx2 v[4:5], v[16:17], off
	v_lshlrev_b64 v[4:5], 3, v[0:1]
	;; [unrolled: 6-line block ×4, first 2 shown]
	v_add_u32_e32 v0, s8, v0
	v_add_co_u32_e32 v4, vcc, v30, v4
	v_ashrrev_i32_e32 v1, 31, v0
	v_addc_co_u32_e32 v5, vcc, v31, v5, vcc
	v_lshlrev_b64 v[0:1], 3, v[0:1]
	v_add_co_u32_e32 v0, vcc, v30, v0
	v_addc_co_u32_e32 v1, vcc, v31, v1, vcc
	global_store_dwordx2 v[4:5], v[12:13], off
	global_store_dwordx2 v[0:1], v[2:3], off
.LBB18_167:
	s_endpgm
	.section	.rodata,"a",@progbits
	.p2align	6, 0x0
	.amdhsa_kernel _ZN9rocsolver6v33100L18getf2_small_kernelILi10EdiiPKPdEEvT1_T3_lS5_lPS5_llPT2_S5_S5_S7_l
		.amdhsa_group_segment_fixed_size 0
		.amdhsa_private_segment_fixed_size 0
		.amdhsa_kernarg_size 352
		.amdhsa_user_sgpr_count 6
		.amdhsa_user_sgpr_private_segment_buffer 1
		.amdhsa_user_sgpr_dispatch_ptr 0
		.amdhsa_user_sgpr_queue_ptr 0
		.amdhsa_user_sgpr_kernarg_segment_ptr 1
		.amdhsa_user_sgpr_dispatch_id 0
		.amdhsa_user_sgpr_flat_scratch_init 0
		.amdhsa_user_sgpr_kernarg_preload_length 0
		.amdhsa_user_sgpr_kernarg_preload_offset 0
		.amdhsa_user_sgpr_private_segment_size 0
		.amdhsa_uses_dynamic_stack 0
		.amdhsa_system_sgpr_private_segment_wavefront_offset 0
		.amdhsa_system_sgpr_workgroup_id_x 1
		.amdhsa_system_sgpr_workgroup_id_y 1
		.amdhsa_system_sgpr_workgroup_id_z 0
		.amdhsa_system_sgpr_workgroup_info 0
		.amdhsa_system_vgpr_workitem_id 1
		.amdhsa_next_free_vgpr 46
		.amdhsa_next_free_sgpr 20
		.amdhsa_accum_offset 48
		.amdhsa_reserve_vcc 1
		.amdhsa_reserve_flat_scratch 0
		.amdhsa_float_round_mode_32 0
		.amdhsa_float_round_mode_16_64 0
		.amdhsa_float_denorm_mode_32 3
		.amdhsa_float_denorm_mode_16_64 3
		.amdhsa_dx10_clamp 1
		.amdhsa_ieee_mode 1
		.amdhsa_fp16_overflow 0
		.amdhsa_tg_split 0
		.amdhsa_exception_fp_ieee_invalid_op 0
		.amdhsa_exception_fp_denorm_src 0
		.amdhsa_exception_fp_ieee_div_zero 0
		.amdhsa_exception_fp_ieee_overflow 0
		.amdhsa_exception_fp_ieee_underflow 0
		.amdhsa_exception_fp_ieee_inexact 0
		.amdhsa_exception_int_div_zero 0
	.end_amdhsa_kernel
	.section	.text._ZN9rocsolver6v33100L18getf2_small_kernelILi10EdiiPKPdEEvT1_T3_lS5_lPS5_llPT2_S5_S5_S7_l,"axG",@progbits,_ZN9rocsolver6v33100L18getf2_small_kernelILi10EdiiPKPdEEvT1_T3_lS5_lPS5_llPT2_S5_S5_S7_l,comdat
.Lfunc_end18:
	.size	_ZN9rocsolver6v33100L18getf2_small_kernelILi10EdiiPKPdEEvT1_T3_lS5_lPS5_llPT2_S5_S5_S7_l, .Lfunc_end18-_ZN9rocsolver6v33100L18getf2_small_kernelILi10EdiiPKPdEEvT1_T3_lS5_lPS5_llPT2_S5_S5_S7_l
                                        ; -- End function
	.section	.AMDGPU.csdata,"",@progbits
; Kernel info:
; codeLenInByte = 5816
; NumSgprs: 24
; NumVgprs: 46
; NumAgprs: 0
; TotalNumVgprs: 46
; ScratchSize: 0
; MemoryBound: 0
; FloatMode: 240
; IeeeMode: 1
; LDSByteSize: 0 bytes/workgroup (compile time only)
; SGPRBlocks: 2
; VGPRBlocks: 5
; NumSGPRsForWavesPerEU: 24
; NumVGPRsForWavesPerEU: 46
; AccumOffset: 48
; Occupancy: 8
; WaveLimiterHint : 1
; COMPUTE_PGM_RSRC2:SCRATCH_EN: 0
; COMPUTE_PGM_RSRC2:USER_SGPR: 6
; COMPUTE_PGM_RSRC2:TRAP_HANDLER: 0
; COMPUTE_PGM_RSRC2:TGID_X_EN: 1
; COMPUTE_PGM_RSRC2:TGID_Y_EN: 1
; COMPUTE_PGM_RSRC2:TGID_Z_EN: 0
; COMPUTE_PGM_RSRC2:TIDIG_COMP_CNT: 1
; COMPUTE_PGM_RSRC3_GFX90A:ACCUM_OFFSET: 11
; COMPUTE_PGM_RSRC3_GFX90A:TG_SPLIT: 0
	.section	.text._ZN9rocsolver6v33100L23getf2_npvt_small_kernelILi10EdiiPKPdEEvT1_T3_lS5_lPT2_S5_S5_,"axG",@progbits,_ZN9rocsolver6v33100L23getf2_npvt_small_kernelILi10EdiiPKPdEEvT1_T3_lS5_lPT2_S5_S5_,comdat
	.globl	_ZN9rocsolver6v33100L23getf2_npvt_small_kernelILi10EdiiPKPdEEvT1_T3_lS5_lPT2_S5_S5_ ; -- Begin function _ZN9rocsolver6v33100L23getf2_npvt_small_kernelILi10EdiiPKPdEEvT1_T3_lS5_lPT2_S5_S5_
	.p2align	8
	.type	_ZN9rocsolver6v33100L23getf2_npvt_small_kernelILi10EdiiPKPdEEvT1_T3_lS5_lPT2_S5_S5_,@function
_ZN9rocsolver6v33100L23getf2_npvt_small_kernelILi10EdiiPKPdEEvT1_T3_lS5_lPT2_S5_S5_: ; @_ZN9rocsolver6v33100L23getf2_npvt_small_kernelILi10EdiiPKPdEEvT1_T3_lS5_lPT2_S5_S5_
; %bb.0:
	s_load_dword s0, s[4:5], 0x44
	s_load_dwordx2 s[18:19], s[4:5], 0x30
	v_bfe_u32 v42, v0, 10, 10
	s_waitcnt lgkmcnt(0)
	s_lshr_b32 s8, s0, 16
	s_mul_i32 s7, s7, s8
	v_add_u32_e32 v2, s7, v42
	v_cmp_gt_i32_e32 vcc, s18, v2
	s_and_saveexec_b64 s[0:1], vcc
	s_cbranch_execz .LBB19_54
; %bb.1:
	s_load_dwordx4 s[12:15], s[4:5], 0x8
	s_load_dword s0, s[4:5], 0x18
	v_ashrrev_i32_e32 v3, 31, v2
	v_lshlrev_b64 v[4:5], 3, v[2:3]
	v_and_b32_e32 v62, 0x3ff, v0
	s_waitcnt lgkmcnt(0)
	v_mov_b32_e32 v1, s13
	v_add_co_u32_e32 v4, vcc, s12, v4
	v_addc_co_u32_e32 v5, vcc, v1, v5, vcc
	global_load_dwordx2 v[4:5], v[4:5], off
	s_add_i32 s9, s0, s0
	v_add_u32_e32 v0, s9, v62
	v_ashrrev_i32_e32 v1, 31, v0
	v_add_u32_e32 v6, s0, v0
	v_lshlrev_b64 v[8:9], 3, v[0:1]
	v_add_u32_e32 v0, s0, v6
	v_ashrrev_i32_e32 v1, 31, v0
	v_add_u32_e32 v10, s0, v0
	v_lshlrev_b64 v[12:13], 3, v[0:1]
	v_add_u32_e32 v0, s0, v10
	s_lshl_b64 s[6:7], s[14:15], 3
	v_ashrrev_i32_e32 v1, 31, v0
	v_add_u32_e32 v14, s0, v0
	v_mov_b32_e32 v23, s7
	v_lshlrev_b64 v[16:17], 3, v[0:1]
	v_add_u32_e32 v0, s0, v14
	v_lshlrev_b32_e32 v22, 3, v62
	v_ashrrev_i32_e32 v1, 31, v0
	v_add_u32_e32 v18, s0, v0
	v_lshlrev_b64 v[20:21], 3, v[0:1]
	v_ashrrev_i32_e32 v7, 31, v6
	v_lshlrev_b64 v[6:7], 3, v[6:7]
	v_ashrrev_i32_e32 v11, 31, v10
	;; [unrolled: 2-line block ×3, first 2 shown]
	v_lshlrev_b64 v[14:15], 3, v[14:15]
	s_ashr_i32 s1, s0, 31
	s_lshl_b64 s[2:3], s[0:1], 3
	v_mov_b32_e32 v24, s3
	v_ashrrev_i32_e32 v19, 31, v18
	v_lshlrev_b64 v[28:29], 3, v[18:19]
	s_mulk_i32 s8, 0x50
	s_movk_i32 s0, 0x50
	s_add_i32 s1, s8, 0
	v_mad_u32_u24 v61, v42, s0, 0
	v_lshl_add_u32 v60, v42, 3, s1
	v_cmp_eq_u32_e64 s[0:1], 0, v62
	s_waitcnt vmcnt(0)
	v_add_co_u32_e32 v30, vcc, s6, v4
	v_addc_co_u32_e32 v31, vcc, v5, v23, vcc
	v_add_co_u32_e32 v0, vcc, v30, v22
	v_addc_co_u32_e32 v1, vcc, 0, v31, vcc
	;; [unrolled: 2-line block ×10, first 2 shown]
	global_load_dwordx2 v[18:19], v[8:9], off
	global_load_dwordx2 v[20:21], v[10:11], off
	global_load_dwordx2 v[22:23], v[12:13], off
	global_load_dwordx2 v[24:25], v[14:15], off
	global_load_dwordx2 v[32:33], v[0:1], off
	global_load_dwordx2 v[34:35], v[26:27], off
	global_load_dwordx2 v[36:37], v[4:5], off
	global_load_dwordx2 v[38:39], v[6:7], off
	v_add_co_u32_e32 v28, vcc, v30, v28
	v_addc_co_u32_e32 v29, vcc, v31, v29, vcc
	global_load_dwordx2 v[30:31], v[16:17], off
	global_load_dwordx2 v[40:41], v[28:29], off
	v_cmp_ne_u32_e64 s[2:3], 0, v62
	s_and_saveexec_b64 s[6:7], s[0:1]
	s_cbranch_execz .LBB19_4
; %bb.2:
	s_waitcnt vmcnt(5)
	ds_write_b64 v60, v[32:33]
	s_waitcnt vmcnt(3)
	ds_write2_b64 v61, v[34:35], v[36:37] offset0:1 offset1:2
	s_waitcnt vmcnt(2)
	ds_write2_b64 v61, v[38:39], v[18:19] offset0:3 offset1:4
	ds_write2_b64 v61, v[20:21], v[22:23] offset0:5 offset1:6
	s_waitcnt vmcnt(1)
	ds_write2_b64 v61, v[24:25], v[30:31] offset0:7 offset1:8
	s_waitcnt vmcnt(0)
	ds_write_b64 v61, v[40:41] offset:72
	ds_read_b64 v[42:43], v60
	s_waitcnt lgkmcnt(0)
	v_cmp_neq_f64_e32 vcc, 0, v[42:43]
	s_and_b64 exec, exec, vcc
	s_cbranch_execz .LBB19_4
; %bb.3:
	v_div_scale_f64 v[44:45], s[8:9], v[42:43], v[42:43], 1.0
	v_rcp_f64_e32 v[46:47], v[44:45]
	v_div_scale_f64 v[48:49], vcc, 1.0, v[42:43], 1.0
	v_fma_f64 v[50:51], -v[44:45], v[46:47], 1.0
	v_fmac_f64_e32 v[46:47], v[46:47], v[50:51]
	v_fma_f64 v[50:51], -v[44:45], v[46:47], 1.0
	v_fmac_f64_e32 v[46:47], v[46:47], v[50:51]
	v_mul_f64 v[50:51], v[48:49], v[46:47]
	v_fma_f64 v[44:45], -v[44:45], v[50:51], v[48:49]
	v_div_fmas_f64 v[44:45], v[44:45], v[46:47], v[50:51]
	v_div_fixup_f64 v[42:43], v[44:45], v[42:43], 1.0
	ds_write_b64 v60, v[42:43]
.LBB19_4:
	s_or_b64 exec, exec, s[6:7]
	s_waitcnt lgkmcnt(0)
	s_barrier
	ds_read_b64 v[42:43], v60
	s_and_saveexec_b64 s[6:7], s[2:3]
	s_cbranch_execz .LBB19_6
; %bb.5:
	ds_read2_b64 v[44:47], v61 offset0:1 offset1:2
	ds_read2_b64 v[48:51], v61 offset0:3 offset1:4
	s_waitcnt vmcnt(5) lgkmcnt(2)
	v_mul_f64 v[32:33], v[32:33], v[42:43]
	ds_read2_b64 v[52:55], v61 offset0:7 offset1:8
	s_waitcnt vmcnt(4) lgkmcnt(2)
	v_fma_f64 v[34:35], -v[32:33], v[44:45], v[34:35]
	s_waitcnt vmcnt(3)
	v_fma_f64 v[36:37], -v[32:33], v[46:47], v[36:37]
	ds_read2_b64 v[44:47], v61 offset0:5 offset1:6
	s_waitcnt vmcnt(2) lgkmcnt(2)
	v_fma_f64 v[38:39], -v[32:33], v[48:49], v[38:39]
	ds_read_b64 v[48:49], v61 offset:72
	v_fma_f64 v[18:19], -v[32:33], v[50:51], v[18:19]
	s_waitcnt lgkmcnt(2)
	v_fma_f64 v[24:25], -v[32:33], v[52:53], v[24:25]
	s_waitcnt lgkmcnt(1)
	v_fma_f64 v[20:21], -v[32:33], v[44:45], v[20:21]
	v_fma_f64 v[22:23], -v[32:33], v[46:47], v[22:23]
	s_waitcnt vmcnt(1)
	v_fma_f64 v[30:31], -v[32:33], v[54:55], v[30:31]
	s_waitcnt vmcnt(0) lgkmcnt(0)
	v_fma_f64 v[40:41], -v[32:33], v[48:49], v[40:41]
.LBB19_6:
	s_or_b64 exec, exec, s[6:7]
	v_cmp_eq_u32_e32 vcc, 1, v62
	s_waitcnt lgkmcnt(0)
	s_barrier
	s_and_saveexec_b64 s[2:3], vcc
	s_cbranch_execz .LBB19_9
; %bb.7:
	s_waitcnt vmcnt(4)
	ds_write_b64 v60, v[34:35]
	s_waitcnt vmcnt(2)
	ds_write2_b64 v61, v[36:37], v[38:39] offset0:2 offset1:3
	ds_write2_b64 v61, v[18:19], v[20:21] offset0:4 offset1:5
	;; [unrolled: 1-line block ×3, first 2 shown]
	s_waitcnt vmcnt(0)
	ds_write2_b64 v61, v[30:31], v[40:41] offset0:8 offset1:9
	ds_read_b64 v[44:45], v60
	s_waitcnt lgkmcnt(0)
	v_cmp_neq_f64_e32 vcc, 0, v[44:45]
	s_and_b64 exec, exec, vcc
	s_cbranch_execz .LBB19_9
; %bb.8:
	v_div_scale_f64 v[46:47], s[6:7], v[44:45], v[44:45], 1.0
	v_rcp_f64_e32 v[48:49], v[46:47]
	v_div_scale_f64 v[50:51], vcc, 1.0, v[44:45], 1.0
	v_fma_f64 v[52:53], -v[46:47], v[48:49], 1.0
	v_fmac_f64_e32 v[48:49], v[48:49], v[52:53]
	v_fma_f64 v[52:53], -v[46:47], v[48:49], 1.0
	v_fmac_f64_e32 v[48:49], v[48:49], v[52:53]
	v_mul_f64 v[52:53], v[50:51], v[48:49]
	v_fma_f64 v[46:47], -v[46:47], v[52:53], v[50:51]
	v_div_fmas_f64 v[46:47], v[46:47], v[48:49], v[52:53]
	v_div_fixup_f64 v[44:45], v[46:47], v[44:45], 1.0
	ds_write_b64 v60, v[44:45]
.LBB19_9:
	s_or_b64 exec, exec, s[2:3]
	s_waitcnt lgkmcnt(0)
	s_barrier
	ds_read_b64 v[44:45], v60
	v_cmp_lt_u32_e32 vcc, 1, v62
	s_and_saveexec_b64 s[2:3], vcc
	s_cbranch_execz .LBB19_11
; %bb.10:
	ds_read2_b64 v[46:49], v61 offset0:2 offset1:3
	ds_read2_b64 v[50:53], v61 offset0:4 offset1:5
	s_waitcnt vmcnt(4) lgkmcnt(2)
	v_mul_f64 v[34:35], v[34:35], v[44:45]
	ds_read2_b64 v[54:57], v61 offset0:6 offset1:7
	s_waitcnt vmcnt(3) lgkmcnt(2)
	v_fma_f64 v[36:37], -v[34:35], v[46:47], v[36:37]
	s_waitcnt vmcnt(2)
	v_fma_f64 v[38:39], -v[34:35], v[48:49], v[38:39]
	ds_read2_b64 v[46:49], v61 offset0:8 offset1:9
	s_waitcnt lgkmcnt(2)
	v_fma_f64 v[18:19], -v[34:35], v[50:51], v[18:19]
	v_fma_f64 v[20:21], -v[34:35], v[52:53], v[20:21]
	s_waitcnt lgkmcnt(1)
	v_fma_f64 v[22:23], -v[34:35], v[54:55], v[22:23]
	v_fma_f64 v[24:25], -v[34:35], v[56:57], v[24:25]
	s_waitcnt vmcnt(1) lgkmcnt(0)
	v_fma_f64 v[30:31], -v[34:35], v[46:47], v[30:31]
	s_waitcnt vmcnt(0)
	v_fma_f64 v[40:41], -v[34:35], v[48:49], v[40:41]
.LBB19_11:
	s_or_b64 exec, exec, s[2:3]
	v_cmp_eq_u32_e32 vcc, 2, v62
	s_waitcnt lgkmcnt(0)
	s_barrier
	s_and_saveexec_b64 s[2:3], vcc
	s_cbranch_execz .LBB19_14
; %bb.12:
	s_waitcnt vmcnt(3)
	ds_write_b64 v60, v[36:37]
	s_waitcnt vmcnt(2)
	ds_write2_b64 v61, v[38:39], v[18:19] offset0:3 offset1:4
	ds_write2_b64 v61, v[20:21], v[22:23] offset0:5 offset1:6
	s_waitcnt vmcnt(1)
	ds_write2_b64 v61, v[24:25], v[30:31] offset0:7 offset1:8
	s_waitcnt vmcnt(0)
	ds_write_b64 v61, v[40:41] offset:72
	ds_read_b64 v[46:47], v60
	s_waitcnt lgkmcnt(0)
	v_cmp_neq_f64_e32 vcc, 0, v[46:47]
	s_and_b64 exec, exec, vcc
	s_cbranch_execz .LBB19_14
; %bb.13:
	v_div_scale_f64 v[48:49], s[6:7], v[46:47], v[46:47], 1.0
	v_rcp_f64_e32 v[50:51], v[48:49]
	v_div_scale_f64 v[52:53], vcc, 1.0, v[46:47], 1.0
	v_fma_f64 v[54:55], -v[48:49], v[50:51], 1.0
	v_fmac_f64_e32 v[50:51], v[50:51], v[54:55]
	v_fma_f64 v[54:55], -v[48:49], v[50:51], 1.0
	v_fmac_f64_e32 v[50:51], v[50:51], v[54:55]
	v_mul_f64 v[54:55], v[52:53], v[50:51]
	v_fma_f64 v[48:49], -v[48:49], v[54:55], v[52:53]
	v_div_fmas_f64 v[48:49], v[48:49], v[50:51], v[54:55]
	v_div_fixup_f64 v[46:47], v[48:49], v[46:47], 1.0
	ds_write_b64 v60, v[46:47]
.LBB19_14:
	s_or_b64 exec, exec, s[2:3]
	s_waitcnt lgkmcnt(0)
	s_barrier
	ds_read_b64 v[46:47], v60
	v_cmp_lt_u32_e32 vcc, 2, v62
	s_and_saveexec_b64 s[2:3], vcc
	s_cbranch_execz .LBB19_16
; %bb.15:
	ds_read2_b64 v[48:51], v61 offset0:3 offset1:4
	ds_read2_b64 v[52:55], v61 offset0:5 offset1:6
	s_waitcnt vmcnt(3) lgkmcnt(2)
	v_mul_f64 v[36:37], v[36:37], v[46:47]
	ds_read2_b64 v[56:59], v61 offset0:7 offset1:8
	s_waitcnt vmcnt(2) lgkmcnt(2)
	v_fma_f64 v[38:39], -v[36:37], v[48:49], v[38:39]
	ds_read_b64 v[48:49], v61 offset:72
	v_fma_f64 v[18:19], -v[36:37], v[50:51], v[18:19]
	s_waitcnt lgkmcnt(2)
	v_fma_f64 v[20:21], -v[36:37], v[52:53], v[20:21]
	v_fma_f64 v[22:23], -v[36:37], v[54:55], v[22:23]
	s_waitcnt lgkmcnt(1)
	v_fma_f64 v[24:25], -v[36:37], v[56:57], v[24:25]
	s_waitcnt vmcnt(1)
	v_fma_f64 v[30:31], -v[36:37], v[58:59], v[30:31]
	s_waitcnt vmcnt(0) lgkmcnt(0)
	v_fma_f64 v[40:41], -v[36:37], v[48:49], v[40:41]
.LBB19_16:
	s_or_b64 exec, exec, s[2:3]
	v_cmp_eq_u32_e32 vcc, 3, v62
	s_waitcnt lgkmcnt(0)
	s_barrier
	s_and_saveexec_b64 s[2:3], vcc
	s_cbranch_execz .LBB19_19
; %bb.17:
	s_waitcnt vmcnt(2)
	ds_write_b64 v60, v[38:39]
	ds_write2_b64 v61, v[18:19], v[20:21] offset0:4 offset1:5
	ds_write2_b64 v61, v[22:23], v[24:25] offset0:6 offset1:7
	s_waitcnt vmcnt(0)
	ds_write2_b64 v61, v[30:31], v[40:41] offset0:8 offset1:9
	ds_read_b64 v[48:49], v60
	s_waitcnt lgkmcnt(0)
	v_cmp_neq_f64_e32 vcc, 0, v[48:49]
	s_and_b64 exec, exec, vcc
	s_cbranch_execz .LBB19_19
; %bb.18:
	v_div_scale_f64 v[50:51], s[6:7], v[48:49], v[48:49], 1.0
	v_rcp_f64_e32 v[52:53], v[50:51]
	v_div_scale_f64 v[54:55], vcc, 1.0, v[48:49], 1.0
	v_fma_f64 v[56:57], -v[50:51], v[52:53], 1.0
	v_fmac_f64_e32 v[52:53], v[52:53], v[56:57]
	v_fma_f64 v[56:57], -v[50:51], v[52:53], 1.0
	v_fmac_f64_e32 v[52:53], v[52:53], v[56:57]
	v_mul_f64 v[56:57], v[54:55], v[52:53]
	v_fma_f64 v[50:51], -v[50:51], v[56:57], v[54:55]
	v_div_fmas_f64 v[50:51], v[50:51], v[52:53], v[56:57]
	v_div_fixup_f64 v[48:49], v[50:51], v[48:49], 1.0
	ds_write_b64 v60, v[48:49]
.LBB19_19:
	s_or_b64 exec, exec, s[2:3]
	s_waitcnt lgkmcnt(0)
	s_barrier
	ds_read_b64 v[48:49], v60
	v_cmp_lt_u32_e32 vcc, 3, v62
	s_and_saveexec_b64 s[2:3], vcc
	s_cbranch_execz .LBB19_21
; %bb.20:
	ds_read2_b64 v[50:53], v61 offset0:4 offset1:5
	ds_read2_b64 v[54:57], v61 offset0:6 offset1:7
	;; [unrolled: 1-line block ×3, first 2 shown]
	s_waitcnt vmcnt(2) lgkmcnt(3)
	v_mul_f64 v[38:39], v[38:39], v[48:49]
	s_waitcnt lgkmcnt(2)
	v_fma_f64 v[18:19], -v[38:39], v[50:51], v[18:19]
	v_fma_f64 v[20:21], -v[38:39], v[52:53], v[20:21]
	s_waitcnt lgkmcnt(1)
	v_fma_f64 v[22:23], -v[38:39], v[54:55], v[22:23]
	v_fma_f64 v[24:25], -v[38:39], v[56:57], v[24:25]
	s_waitcnt vmcnt(1) lgkmcnt(0)
	v_fma_f64 v[30:31], -v[38:39], v[64:65], v[30:31]
	s_waitcnt vmcnt(0)
	v_fma_f64 v[40:41], -v[38:39], v[66:67], v[40:41]
.LBB19_21:
	s_or_b64 exec, exec, s[2:3]
	v_cmp_eq_u32_e32 vcc, 4, v62
	s_waitcnt lgkmcnt(0)
	s_barrier
	s_and_saveexec_b64 s[2:3], vcc
	s_cbranch_execz .LBB19_24
; %bb.22:
	s_waitcnt vmcnt(9)
	ds_write_b64 v60, v[18:19]
	s_waitcnt vmcnt(7)
	ds_write2_b64 v61, v[20:21], v[22:23] offset0:5 offset1:6
	s_waitcnt vmcnt(1)
	ds_write2_b64 v61, v[24:25], v[30:31] offset0:7 offset1:8
	s_waitcnt vmcnt(0)
	ds_write_b64 v61, v[40:41] offset:72
	ds_read_b64 v[50:51], v60
	s_waitcnt lgkmcnt(0)
	v_cmp_neq_f64_e32 vcc, 0, v[50:51]
	s_and_b64 exec, exec, vcc
	s_cbranch_execz .LBB19_24
; %bb.23:
	v_div_scale_f64 v[52:53], s[6:7], v[50:51], v[50:51], 1.0
	v_rcp_f64_e32 v[54:55], v[52:53]
	v_div_scale_f64 v[56:57], vcc, 1.0, v[50:51], 1.0
	v_fma_f64 v[58:59], -v[52:53], v[54:55], 1.0
	v_fmac_f64_e32 v[54:55], v[54:55], v[58:59]
	v_fma_f64 v[58:59], -v[52:53], v[54:55], 1.0
	v_fmac_f64_e32 v[54:55], v[54:55], v[58:59]
	v_mul_f64 v[58:59], v[56:57], v[54:55]
	v_fma_f64 v[52:53], -v[52:53], v[58:59], v[56:57]
	v_div_fmas_f64 v[52:53], v[52:53], v[54:55], v[58:59]
	v_div_fixup_f64 v[50:51], v[52:53], v[50:51], 1.0
	ds_write_b64 v60, v[50:51]
.LBB19_24:
	s_or_b64 exec, exec, s[2:3]
	s_waitcnt lgkmcnt(0)
	s_barrier
	ds_read_b64 v[50:51], v60
	v_cmp_lt_u32_e32 vcc, 4, v62
	s_and_saveexec_b64 s[2:3], vcc
	s_cbranch_execz .LBB19_26
; %bb.25:
	ds_read2_b64 v[52:55], v61 offset0:5 offset1:6
	ds_read2_b64 v[56:59], v61 offset0:7 offset1:8
	ds_read_b64 v[64:65], v61 offset:72
	s_waitcnt vmcnt(9) lgkmcnt(3)
	v_mul_f64 v[18:19], v[18:19], v[50:51]
	s_waitcnt vmcnt(8) lgkmcnt(2)
	v_fma_f64 v[20:21], -v[18:19], v[52:53], v[20:21]
	s_waitcnt vmcnt(7)
	v_fma_f64 v[22:23], -v[18:19], v[54:55], v[22:23]
	s_waitcnt vmcnt(6) lgkmcnt(1)
	v_fma_f64 v[24:25], -v[18:19], v[56:57], v[24:25]
	s_waitcnt vmcnt(1)
	v_fma_f64 v[30:31], -v[18:19], v[58:59], v[30:31]
	s_waitcnt vmcnt(0) lgkmcnt(0)
	v_fma_f64 v[40:41], -v[18:19], v[64:65], v[40:41]
.LBB19_26:
	s_or_b64 exec, exec, s[2:3]
	v_cmp_eq_u32_e32 vcc, 5, v62
	s_waitcnt lgkmcnt(0)
	s_barrier
	s_and_saveexec_b64 s[2:3], vcc
	s_cbranch_execz .LBB19_29
; %bb.27:
	s_waitcnt vmcnt(8)
	ds_write_b64 v60, v[20:21]
	s_waitcnt vmcnt(6)
	ds_write2_b64 v61, v[22:23], v[24:25] offset0:6 offset1:7
	s_waitcnt vmcnt(0)
	ds_write2_b64 v61, v[30:31], v[40:41] offset0:8 offset1:9
	ds_read_b64 v[52:53], v60
	s_waitcnt lgkmcnt(0)
	v_cmp_neq_f64_e32 vcc, 0, v[52:53]
	s_and_b64 exec, exec, vcc
	s_cbranch_execz .LBB19_29
; %bb.28:
	v_div_scale_f64 v[54:55], s[6:7], v[52:53], v[52:53], 1.0
	v_rcp_f64_e32 v[56:57], v[54:55]
	v_div_scale_f64 v[58:59], vcc, 1.0, v[52:53], 1.0
	v_fma_f64 v[64:65], -v[54:55], v[56:57], 1.0
	v_fmac_f64_e32 v[56:57], v[56:57], v[64:65]
	v_fma_f64 v[64:65], -v[54:55], v[56:57], 1.0
	v_fmac_f64_e32 v[56:57], v[56:57], v[64:65]
	v_mul_f64 v[64:65], v[58:59], v[56:57]
	v_fma_f64 v[54:55], -v[54:55], v[64:65], v[58:59]
	v_div_fmas_f64 v[54:55], v[54:55], v[56:57], v[64:65]
	v_div_fixup_f64 v[52:53], v[54:55], v[52:53], 1.0
	ds_write_b64 v60, v[52:53]
.LBB19_29:
	s_or_b64 exec, exec, s[2:3]
	s_waitcnt lgkmcnt(0)
	s_barrier
	ds_read_b64 v[52:53], v60
	v_cmp_lt_u32_e32 vcc, 5, v62
	s_and_saveexec_b64 s[2:3], vcc
	s_cbranch_execz .LBB19_31
; %bb.30:
	ds_read2_b64 v[54:57], v61 offset0:6 offset1:7
	ds_read2_b64 v[64:67], v61 offset0:8 offset1:9
	s_waitcnt vmcnt(8) lgkmcnt(2)
	v_mul_f64 v[20:21], v[20:21], v[52:53]
	s_waitcnt vmcnt(7) lgkmcnt(1)
	v_fma_f64 v[22:23], -v[20:21], v[54:55], v[22:23]
	s_waitcnt vmcnt(6)
	v_fma_f64 v[24:25], -v[20:21], v[56:57], v[24:25]
	s_waitcnt vmcnt(1) lgkmcnt(0)
	v_fma_f64 v[30:31], -v[20:21], v[64:65], v[30:31]
	s_waitcnt vmcnt(0)
	v_fma_f64 v[40:41], -v[20:21], v[66:67], v[40:41]
.LBB19_31:
	s_or_b64 exec, exec, s[2:3]
	v_cmp_eq_u32_e32 vcc, 6, v62
	s_waitcnt lgkmcnt(0)
	s_barrier
	s_and_saveexec_b64 s[2:3], vcc
	s_cbranch_execz .LBB19_34
; %bb.32:
	s_waitcnt vmcnt(7)
	ds_write_b64 v60, v[22:23]
	s_waitcnt vmcnt(1)
	ds_write2_b64 v61, v[24:25], v[30:31] offset0:7 offset1:8
	s_waitcnt vmcnt(0)
	ds_write_b64 v61, v[40:41] offset:72
	ds_read_b64 v[54:55], v60
	s_waitcnt lgkmcnt(0)
	v_cmp_neq_f64_e32 vcc, 0, v[54:55]
	s_and_b64 exec, exec, vcc
	s_cbranch_execz .LBB19_34
; %bb.33:
	v_div_scale_f64 v[56:57], s[6:7], v[54:55], v[54:55], 1.0
	v_rcp_f64_e32 v[58:59], v[56:57]
	v_div_scale_f64 v[64:65], vcc, 1.0, v[54:55], 1.0
	v_fma_f64 v[66:67], -v[56:57], v[58:59], 1.0
	v_fmac_f64_e32 v[58:59], v[58:59], v[66:67]
	v_fma_f64 v[66:67], -v[56:57], v[58:59], 1.0
	v_fmac_f64_e32 v[58:59], v[58:59], v[66:67]
	v_mul_f64 v[66:67], v[64:65], v[58:59]
	v_fma_f64 v[56:57], -v[56:57], v[66:67], v[64:65]
	v_div_fmas_f64 v[56:57], v[56:57], v[58:59], v[66:67]
	v_div_fixup_f64 v[54:55], v[56:57], v[54:55], 1.0
	ds_write_b64 v60, v[54:55]
.LBB19_34:
	s_or_b64 exec, exec, s[2:3]
	s_waitcnt lgkmcnt(0)
	s_barrier
	ds_read_b64 v[54:55], v60
	v_cmp_lt_u32_e32 vcc, 6, v62
	s_and_saveexec_b64 s[2:3], vcc
	s_cbranch_execz .LBB19_36
; %bb.35:
	ds_read2_b64 v[56:59], v61 offset0:7 offset1:8
	ds_read_b64 v[64:65], v61 offset:72
	s_waitcnt vmcnt(7) lgkmcnt(2)
	v_mul_f64 v[22:23], v[22:23], v[54:55]
	s_waitcnt vmcnt(6) lgkmcnt(1)
	v_fma_f64 v[24:25], -v[22:23], v[56:57], v[24:25]
	s_waitcnt vmcnt(1)
	v_fma_f64 v[30:31], -v[22:23], v[58:59], v[30:31]
	s_waitcnt vmcnt(0) lgkmcnt(0)
	v_fma_f64 v[40:41], -v[22:23], v[64:65], v[40:41]
.LBB19_36:
	s_or_b64 exec, exec, s[2:3]
	v_cmp_eq_u32_e32 vcc, 7, v62
	s_waitcnt lgkmcnt(0)
	s_barrier
	s_and_saveexec_b64 s[2:3], vcc
	s_cbranch_execz .LBB19_39
; %bb.37:
	s_waitcnt vmcnt(6)
	ds_write_b64 v60, v[24:25]
	s_waitcnt vmcnt(0)
	ds_write2_b64 v61, v[30:31], v[40:41] offset0:8 offset1:9
	ds_read_b64 v[56:57], v60
	s_waitcnt lgkmcnt(0)
	v_cmp_neq_f64_e32 vcc, 0, v[56:57]
	s_and_b64 exec, exec, vcc
	s_cbranch_execz .LBB19_39
; %bb.38:
	v_div_scale_f64 v[58:59], s[6:7], v[56:57], v[56:57], 1.0
	v_rcp_f64_e32 v[64:65], v[58:59]
	v_div_scale_f64 v[66:67], vcc, 1.0, v[56:57], 1.0
	v_fma_f64 v[68:69], -v[58:59], v[64:65], 1.0
	v_fmac_f64_e32 v[64:65], v[64:65], v[68:69]
	v_fma_f64 v[68:69], -v[58:59], v[64:65], 1.0
	v_fmac_f64_e32 v[64:65], v[64:65], v[68:69]
	v_mul_f64 v[68:69], v[66:67], v[64:65]
	v_fma_f64 v[58:59], -v[58:59], v[68:69], v[66:67]
	v_div_fmas_f64 v[58:59], v[58:59], v[64:65], v[68:69]
	v_div_fixup_f64 v[56:57], v[58:59], v[56:57], 1.0
	ds_write_b64 v60, v[56:57]
.LBB19_39:
	s_or_b64 exec, exec, s[2:3]
	s_waitcnt lgkmcnt(0)
	s_barrier
	ds_read_b64 v[56:57], v60
	v_cmp_lt_u32_e32 vcc, 7, v62
	s_and_saveexec_b64 s[2:3], vcc
	s_cbranch_execz .LBB19_41
; %bb.40:
	ds_read2_b64 v[64:67], v61 offset0:8 offset1:9
	s_waitcnt vmcnt(6) lgkmcnt(1)
	v_mul_f64 v[24:25], v[24:25], v[56:57]
	s_waitcnt vmcnt(1) lgkmcnt(0)
	v_fma_f64 v[30:31], -v[24:25], v[64:65], v[30:31]
	s_waitcnt vmcnt(0)
	v_fma_f64 v[40:41], -v[24:25], v[66:67], v[40:41]
.LBB19_41:
	s_or_b64 exec, exec, s[2:3]
	v_cmp_eq_u32_e32 vcc, 8, v62
	s_waitcnt lgkmcnt(0)
	s_barrier
	s_and_saveexec_b64 s[2:3], vcc
	s_cbranch_execz .LBB19_44
; %bb.42:
	s_waitcnt vmcnt(1)
	ds_write_b64 v60, v[30:31]
	s_waitcnt vmcnt(0)
	ds_write_b64 v61, v[40:41] offset:72
	ds_read_b64 v[58:59], v60
	s_waitcnt lgkmcnt(0)
	v_cmp_neq_f64_e32 vcc, 0, v[58:59]
	s_and_b64 exec, exec, vcc
	s_cbranch_execz .LBB19_44
; %bb.43:
	v_div_scale_f64 v[64:65], s[6:7], v[58:59], v[58:59], 1.0
	v_rcp_f64_e32 v[66:67], v[64:65]
	v_div_scale_f64 v[68:69], vcc, 1.0, v[58:59], 1.0
	v_fma_f64 v[70:71], -v[64:65], v[66:67], 1.0
	v_fmac_f64_e32 v[66:67], v[66:67], v[70:71]
	v_fma_f64 v[70:71], -v[64:65], v[66:67], 1.0
	v_fmac_f64_e32 v[66:67], v[66:67], v[70:71]
	v_mul_f64 v[70:71], v[68:69], v[66:67]
	v_fma_f64 v[64:65], -v[64:65], v[70:71], v[68:69]
	v_div_fmas_f64 v[64:65], v[64:65], v[66:67], v[70:71]
	v_div_fixup_f64 v[58:59], v[64:65], v[58:59], 1.0
	ds_write_b64 v60, v[58:59]
.LBB19_44:
	s_or_b64 exec, exec, s[2:3]
	s_waitcnt lgkmcnt(0)
	s_barrier
	ds_read_b64 v[58:59], v60
	v_cmp_lt_u32_e32 vcc, 8, v62
	s_and_saveexec_b64 s[2:3], vcc
	s_cbranch_execz .LBB19_46
; %bb.45:
	ds_read_b64 v[64:65], v61 offset:72
	s_waitcnt vmcnt(1) lgkmcnt(1)
	v_mul_f64 v[30:31], v[30:31], v[58:59]
	s_waitcnt vmcnt(0) lgkmcnt(0)
	v_fma_f64 v[40:41], -v[30:31], v[64:65], v[40:41]
.LBB19_46:
	s_or_b64 exec, exec, s[2:3]
	v_cmp_ne_u32_e32 vcc, 9, v62
	s_waitcnt lgkmcnt(0)
	s_barrier
	s_and_saveexec_b64 s[2:3], vcc
	s_xor_b64 s[2:3], exec, s[2:3]
	s_andn2_saveexec_b64 s[2:3], s[2:3]
	s_cbranch_execz .LBB19_50
; %bb.47:
	s_waitcnt vmcnt(0)
	v_cmp_neq_f64_e32 vcc, 0, v[40:41]
	ds_write_b64 v60, v[40:41]
	s_and_saveexec_b64 s[6:7], vcc
	s_cbranch_execz .LBB19_49
; %bb.48:
	v_div_scale_f64 v[64:65], s[8:9], v[40:41], v[40:41], 1.0
	v_rcp_f64_e32 v[66:67], v[64:65]
	v_div_scale_f64 v[68:69], vcc, 1.0, v[40:41], 1.0
	v_fma_f64 v[70:71], -v[64:65], v[66:67], 1.0
	v_fmac_f64_e32 v[66:67], v[66:67], v[70:71]
	v_fma_f64 v[70:71], -v[64:65], v[66:67], 1.0
	v_fmac_f64_e32 v[66:67], v[66:67], v[70:71]
	v_mul_f64 v[70:71], v[68:69], v[66:67]
	v_fma_f64 v[64:65], -v[64:65], v[70:71], v[68:69]
	v_div_fmas_f64 v[64:65], v[64:65], v[66:67], v[70:71]
	v_div_fixup_f64 v[64:65], v[64:65], v[40:41], 1.0
	ds_write_b64 v60, v[64:65]
.LBB19_49:
	s_or_b64 exec, exec, s[6:7]
.LBB19_50:
	s_or_b64 exec, exec, s[2:3]
	s_waitcnt lgkmcnt(0)
	s_barrier
	ds_read_b64 v[60:61], v60
	s_waitcnt lgkmcnt(0)
	s_barrier
	s_and_saveexec_b64 s[20:21], s[0:1]
	s_cbranch_execz .LBB19_53
; %bb.51:
	s_load_dwordx2 s[0:1], s[4:5], 0x28
	v_lshlrev_b64 v[2:3], 2, v[2:3]
	v_cmp_eq_f64_e64 s[2:3], 0, v[46:47]
	v_cmp_eq_f64_e64 s[4:5], 0, v[48:49]
	v_cmp_eq_f64_e64 s[6:7], 0, v[50:51]
	s_waitcnt lgkmcnt(0)
	v_mov_b32_e32 v63, s1
	v_add_co_u32_e32 v2, vcc, s0, v2
	v_addc_co_u32_e32 v3, vcc, v63, v3, vcc
	global_load_dword v63, v[2:3], off
	v_cmp_eq_f64_e32 vcc, 0, v[42:43]
	v_cmp_neq_f64_e64 s[0:1], 0, v[44:45]
	v_cndmask_b32_e64 v42, 0, 1, vcc
	s_or_b64 vcc, s[0:1], vcc
	v_cndmask_b32_e32 v42, 2, v42, vcc
	v_cmp_eq_u32_e32 vcc, 0, v42
	s_and_b64 s[0:1], s[2:3], vcc
	v_cndmask_b32_e64 v42, v42, 3, s[0:1]
	v_cmp_eq_u32_e32 vcc, 0, v42
	s_and_b64 s[0:1], s[4:5], vcc
	v_cndmask_b32_e64 v42, v42, 4, s[0:1]
	;; [unrolled: 3-line block ×3, first 2 shown]
	v_cmp_eq_f64_e64 s[8:9], 0, v[52:53]
	v_cmp_eq_u32_e32 vcc, 0, v42
	s_and_b64 s[0:1], s[8:9], vcc
	v_cndmask_b32_e64 v42, v42, 6, s[0:1]
	v_cmp_eq_f64_e64 s[10:11], 0, v[54:55]
	v_cmp_eq_u32_e32 vcc, 0, v42
	s_and_b64 s[0:1], s[10:11], vcc
	v_cndmask_b32_e64 v42, v42, 7, s[0:1]
	;; [unrolled: 4-line block ×5, first 2 shown]
	v_cmp_ne_u32_e64 s[0:1], 0, v42
	s_waitcnt vmcnt(0)
	v_cmp_eq_u32_e32 vcc, 0, v63
	s_and_b64 s[0:1], vcc, s[0:1]
	s_and_b64 exec, exec, s[0:1]
	s_cbranch_execz .LBB19_53
; %bb.52:
	v_add_u32_e32 v42, s19, v42
	global_store_dword v[2:3], v42, off
.LBB19_53:
	s_or_b64 exec, exec, s[20:21]
	s_waitcnt vmcnt(0)
	v_mul_f64 v[2:3], v[40:41], v[60:61]
	v_cmp_lt_u32_e32 vcc, 9, v62
	v_cndmask_b32_e32 v3, v41, v3, vcc
	v_cndmask_b32_e32 v2, v40, v2, vcc
	global_store_dwordx2 v[0:1], v[32:33], off
	global_store_dwordx2 v[26:27], v[34:35], off
	;; [unrolled: 1-line block ×10, first 2 shown]
.LBB19_54:
	s_endpgm
	.section	.rodata,"a",@progbits
	.p2align	6, 0x0
	.amdhsa_kernel _ZN9rocsolver6v33100L23getf2_npvt_small_kernelILi10EdiiPKPdEEvT1_T3_lS5_lPT2_S5_S5_
		.amdhsa_group_segment_fixed_size 0
		.amdhsa_private_segment_fixed_size 0
		.amdhsa_kernarg_size 312
		.amdhsa_user_sgpr_count 6
		.amdhsa_user_sgpr_private_segment_buffer 1
		.amdhsa_user_sgpr_dispatch_ptr 0
		.amdhsa_user_sgpr_queue_ptr 0
		.amdhsa_user_sgpr_kernarg_segment_ptr 1
		.amdhsa_user_sgpr_dispatch_id 0
		.amdhsa_user_sgpr_flat_scratch_init 0
		.amdhsa_user_sgpr_kernarg_preload_length 0
		.amdhsa_user_sgpr_kernarg_preload_offset 0
		.amdhsa_user_sgpr_private_segment_size 0
		.amdhsa_uses_dynamic_stack 0
		.amdhsa_system_sgpr_private_segment_wavefront_offset 0
		.amdhsa_system_sgpr_workgroup_id_x 1
		.amdhsa_system_sgpr_workgroup_id_y 1
		.amdhsa_system_sgpr_workgroup_id_z 0
		.amdhsa_system_sgpr_workgroup_info 0
		.amdhsa_system_vgpr_workitem_id 1
		.amdhsa_next_free_vgpr 72
		.amdhsa_next_free_sgpr 22
		.amdhsa_accum_offset 72
		.amdhsa_reserve_vcc 1
		.amdhsa_reserve_flat_scratch 0
		.amdhsa_float_round_mode_32 0
		.amdhsa_float_round_mode_16_64 0
		.amdhsa_float_denorm_mode_32 3
		.amdhsa_float_denorm_mode_16_64 3
		.amdhsa_dx10_clamp 1
		.amdhsa_ieee_mode 1
		.amdhsa_fp16_overflow 0
		.amdhsa_tg_split 0
		.amdhsa_exception_fp_ieee_invalid_op 0
		.amdhsa_exception_fp_denorm_src 0
		.amdhsa_exception_fp_ieee_div_zero 0
		.amdhsa_exception_fp_ieee_overflow 0
		.amdhsa_exception_fp_ieee_underflow 0
		.amdhsa_exception_fp_ieee_inexact 0
		.amdhsa_exception_int_div_zero 0
	.end_amdhsa_kernel
	.section	.text._ZN9rocsolver6v33100L23getf2_npvt_small_kernelILi10EdiiPKPdEEvT1_T3_lS5_lPT2_S5_S5_,"axG",@progbits,_ZN9rocsolver6v33100L23getf2_npvt_small_kernelILi10EdiiPKPdEEvT1_T3_lS5_lPT2_S5_S5_,comdat
.Lfunc_end19:
	.size	_ZN9rocsolver6v33100L23getf2_npvt_small_kernelILi10EdiiPKPdEEvT1_T3_lS5_lPT2_S5_S5_, .Lfunc_end19-_ZN9rocsolver6v33100L23getf2_npvt_small_kernelILi10EdiiPKPdEEvT1_T3_lS5_lPT2_S5_S5_
                                        ; -- End function
	.section	.AMDGPU.csdata,"",@progbits
; Kernel info:
; codeLenInByte = 3732
; NumSgprs: 26
; NumVgprs: 72
; NumAgprs: 0
; TotalNumVgprs: 72
; ScratchSize: 0
; MemoryBound: 0
; FloatMode: 240
; IeeeMode: 1
; LDSByteSize: 0 bytes/workgroup (compile time only)
; SGPRBlocks: 3
; VGPRBlocks: 8
; NumSGPRsForWavesPerEU: 26
; NumVGPRsForWavesPerEU: 72
; AccumOffset: 72
; Occupancy: 7
; WaveLimiterHint : 1
; COMPUTE_PGM_RSRC2:SCRATCH_EN: 0
; COMPUTE_PGM_RSRC2:USER_SGPR: 6
; COMPUTE_PGM_RSRC2:TRAP_HANDLER: 0
; COMPUTE_PGM_RSRC2:TGID_X_EN: 1
; COMPUTE_PGM_RSRC2:TGID_Y_EN: 1
; COMPUTE_PGM_RSRC2:TGID_Z_EN: 0
; COMPUTE_PGM_RSRC2:TIDIG_COMP_CNT: 1
; COMPUTE_PGM_RSRC3_GFX90A:ACCUM_OFFSET: 17
; COMPUTE_PGM_RSRC3_GFX90A:TG_SPLIT: 0
	.section	.text._ZN9rocsolver6v33100L18getf2_small_kernelILi11EdiiPKPdEEvT1_T3_lS5_lPS5_llPT2_S5_S5_S7_l,"axG",@progbits,_ZN9rocsolver6v33100L18getf2_small_kernelILi11EdiiPKPdEEvT1_T3_lS5_lPS5_llPT2_S5_S5_S7_l,comdat
	.globl	_ZN9rocsolver6v33100L18getf2_small_kernelILi11EdiiPKPdEEvT1_T3_lS5_lPS5_llPT2_S5_S5_S7_l ; -- Begin function _ZN9rocsolver6v33100L18getf2_small_kernelILi11EdiiPKPdEEvT1_T3_lS5_lPS5_llPT2_S5_S5_S7_l
	.p2align	8
	.type	_ZN9rocsolver6v33100L18getf2_small_kernelILi11EdiiPKPdEEvT1_T3_lS5_lPS5_llPT2_S5_S5_S7_l,@function
_ZN9rocsolver6v33100L18getf2_small_kernelILi11EdiiPKPdEEvT1_T3_lS5_lPS5_llPT2_S5_S5_S7_l: ; @_ZN9rocsolver6v33100L18getf2_small_kernelILi11EdiiPKPdEEvT1_T3_lS5_lPS5_llPT2_S5_S5_S7_l
; %bb.0:
	s_load_dword s0, s[4:5], 0x6c
	s_load_dwordx2 s[12:13], s[4:5], 0x48
	v_bfe_u32 v26, v0, 10, 10
	s_waitcnt lgkmcnt(0)
	s_lshr_b32 s0, s0, 16
	s_mul_i32 s7, s7, s0
	v_add_u32_e32 v2, s7, v26
	v_cmp_gt_i32_e32 vcc, s12, v2
	s_and_saveexec_b64 s[0:1], vcc
	s_cbranch_execz .LBB20_184
; %bb.1:
	s_load_dwordx4 s[0:3], s[4:5], 0x8
	s_load_dwordx4 s[8:11], s[4:5], 0x50
	v_ashrrev_i32_e32 v3, 31, v2
	v_lshlrev_b64 v[4:5], 3, v[2:3]
	v_pk_mov_b32 v[22:23], 0, 0
	s_waitcnt lgkmcnt(0)
	v_mov_b32_e32 v1, s1
	v_add_co_u32_e32 v4, vcc, s0, v4
	v_addc_co_u32_e32 v5, vcc, v1, v5, vcc
	global_load_dwordx2 v[4:5], v[4:5], off
	s_cmp_eq_u64 s[8:9], 0
	s_cselect_b64 s[6:7], -1, 0
	s_and_b64 vcc, exec, s[6:7]
	s_cbranch_vccnz .LBB20_3
; %bb.2:
	v_mul_lo_u32 v1, v3, s10
	v_mul_lo_u32 v8, v2, s11
	v_mad_u64_u32 v[6:7], s[0:1], v2, s10, 0
	v_add3_u32 v7, v7, v8, v1
	v_lshlrev_b64 v[6:7], 2, v[6:7]
	v_mov_b32_e32 v1, s9
	v_add_co_u32_e32 v22, vcc, s8, v6
	v_addc_co_u32_e32 v23, vcc, v1, v7, vcc
.LBB20_3:
	s_load_dword s8, s[4:5], 0x18
	s_load_dword s12, s[4:5], 0x0
	s_lshl_b64 s[0:1], s[2:3], 3
	v_mov_b32_e32 v1, s1
	s_waitcnt vmcnt(0)
	v_add_co_u32_e32 v32, vcc, s0, v4
	v_and_b32_e32 v35, 0x3ff, v0
	v_addc_co_u32_e32 v33, vcc, v5, v1, vcc
	v_lshlrev_b32_e32 v27, 3, v35
	v_add_co_u32_e32 v6, vcc, v32, v27
	s_waitcnt lgkmcnt(0)
	s_ashr_i32 s9, s8, 31
	v_addc_co_u32_e32 v7, vcc, 0, v33, vcc
	s_lshl_b64 s[10:11], s[8:9], 3
	v_mov_b32_e32 v0, s11
	v_add_co_u32_e32 v8, vcc, s10, v6
	s_add_i32 s9, s8, s8
	v_addc_co_u32_e32 v9, vcc, v7, v0, vcc
	v_add_u32_e32 v0, s9, v35
	v_ashrrev_i32_e32 v1, 31, v0
	v_lshlrev_b64 v[4:5], 3, v[0:1]
	v_add_u32_e32 v16, s8, v0
	v_add_co_u32_e32 v12, vcc, v32, v4
	v_ashrrev_i32_e32 v17, 31, v16
	v_addc_co_u32_e32 v13, vcc, v33, v5, vcc
	v_lshlrev_b64 v[0:1], 3, v[16:17]
	v_add_co_u32_e32 v18, vcc, v32, v0
	v_addc_co_u32_e32 v19, vcc, v33, v1, vcc
	global_load_dwordx2 v[14:15], v[6:7], off
	global_load_dwordx2 v[10:11], v[8:9], off
	;; [unrolled: 1-line block ×4, first 2 shown]
	v_add_u32_e32 v6, s8, v16
	v_ashrrev_i32_e32 v7, 31, v6
	v_lshlrev_b64 v[8:9], 3, v[6:7]
	v_add_u32_e32 v6, s8, v6
	v_add_co_u32_e32 v12, vcc, v32, v8
	v_ashrrev_i32_e32 v7, 31, v6
	v_addc_co_u32_e32 v13, vcc, v33, v9, vcc
	v_lshlrev_b64 v[8:9], 3, v[6:7]
	v_add_u32_e32 v6, s8, v6
	v_add_co_u32_e32 v18, vcc, v32, v8
	v_ashrrev_i32_e32 v7, 31, v6
	v_addc_co_u32_e32 v19, vcc, v33, v9, vcc
	;; [unrolled: 5-line block ×3, first 2 shown]
	v_lshlrev_b64 v[6:7], 3, v[28:29]
	v_add_co_u32_e32 v30, vcc, v32, v6
	v_addc_co_u32_e32 v31, vcc, v33, v7, vcc
	global_load_dwordx2 v[20:21], v[12:13], off
	global_load_dwordx2 v[16:17], v[18:19], off
	;; [unrolled: 1-line block ×4, first 2 shown]
	v_add_u32_e32 v12, s8, v28
	v_ashrrev_i32_e32 v13, 31, v12
	v_lshlrev_b64 v[18:19], 3, v[12:13]
	v_add_u32_e32 v12, s8, v12
	v_add_co_u32_e32 v28, vcc, v32, v18
	v_ashrrev_i32_e32 v13, 31, v12
	v_addc_co_u32_e32 v29, vcc, v33, v19, vcc
	v_lshlrev_b64 v[18:19], 3, v[12:13]
	v_add_u32_e32 v12, s8, v12
	v_add_co_u32_e32 v30, vcc, v32, v18
	v_ashrrev_i32_e32 v13, 31, v12
	v_addc_co_u32_e32 v31, vcc, v33, v19, vcc
	v_lshlrev_b64 v[12:13], 3, v[12:13]
	v_add_co_u32_e32 v36, vcc, v32, v12
	v_addc_co_u32_e32 v37, vcc, v33, v13, vcc
	global_load_dwordx2 v[18:19], v[28:29], off
	global_load_dwordx2 v[12:13], v[30:31], off
	;; [unrolled: 1-line block ×3, first 2 shown]
	s_max_i32 s0, s12, 11
	v_mul_lo_u32 v29, s0, v26
	v_lshl_add_u32 v31, v29, 3, 0
	v_add_u32_e32 v26, v31, v27
	v_mov_b32_e32 v28, 0
	s_cmp_lt_i32 s12, 2
	v_lshlrev_b32_e32 v30, 3, v29
	s_waitcnt vmcnt(10)
	ds_write_b64 v26, v[14:15]
	s_waitcnt lgkmcnt(0)
	s_barrier
	ds_read_b64 v[26:27], v31
	s_cbranch_scc1 .LBB20_6
; %bb.4:
	v_add3_u32 v29, v30, 0, 8
	s_mov_b32 s0, 1
	v_mov_b32_e32 v28, 0
.LBB20_5:                               ; =>This Inner Loop Header: Depth=1
	ds_read_b64 v[36:37], v29
	v_mov_b32_e32 v34, s0
	s_add_i32 s0, s0, 1
	v_add_u32_e32 v29, 8, v29
	s_cmp_eq_u32 s12, s0
	s_waitcnt lgkmcnt(0)
	v_cmp_lt_f64_e64 vcc, |v[26:27]|, |v[36:37]|
	v_cndmask_b32_e32 v27, v27, v37, vcc
	v_cndmask_b32_e32 v26, v26, v36, vcc
	;; [unrolled: 1-line block ×3, first 2 shown]
	s_cbranch_scc0 .LBB20_5
.LBB20_6:
	v_cmp_ne_u32_e32 vcc, v35, v28
                                        ; implicit-def: $vgpr29
	s_and_saveexec_b64 s[0:1], vcc
	s_xor_b64 s[0:1], exec, s[0:1]
	s_cbranch_execz .LBB20_12
; %bb.7:
	v_cmp_eq_u32_e32 vcc, 0, v35
	s_and_saveexec_b64 s[2:3], vcc
	s_cbranch_execz .LBB20_11
; %bb.8:
	v_cmp_ne_u32_e32 vcc, 0, v28
	s_xor_b64 s[14:15], s[6:7], -1
	s_and_b64 s[16:17], s[14:15], vcc
	s_and_saveexec_b64 s[14:15], s[16:17]
	s_cbranch_execz .LBB20_10
; %bb.9:
	v_ashrrev_i32_e32 v29, 31, v28
	v_lshlrev_b64 v[34:35], 2, v[28:29]
	v_add_co_u32_e32 v34, vcc, v22, v34
	v_addc_co_u32_e32 v35, vcc, v23, v35, vcc
	flat_load_dword v29, v[34:35]
	flat_load_dword v36, v[22:23]
	s_waitcnt vmcnt(0) lgkmcnt(0)
	flat_store_dword v[22:23], v29
	flat_store_dword v[34:35], v36
.LBB20_10:
	s_or_b64 exec, exec, s[14:15]
	v_mov_b32_e32 v35, v28
.LBB20_11:
	s_or_b64 exec, exec, s[2:3]
	v_mov_b32_e32 v29, v35
                                        ; implicit-def: $vgpr35
.LBB20_12:
	s_or_saveexec_b64 s[0:1], s[0:1]
	v_mov_b32_e32 v34, v29
	s_xor_b64 exec, exec, s[0:1]
	s_cbranch_execz .LBB20_14
; %bb.13:
	v_mov_b32_e32 v29, 0
	v_mov_b32_e32 v34, v35
	s_waitcnt vmcnt(0)
	ds_write2_b64 v31, v[10:11], v[4:5] offset0:1 offset1:2
	ds_write2_b64 v31, v[0:1], v[20:21] offset0:3 offset1:4
	;; [unrolled: 1-line block ×5, first 2 shown]
.LBB20_14:
	s_or_b64 exec, exec, s[0:1]
	s_waitcnt lgkmcnt(0)
	v_cmp_eq_f64_e64 s[0:1], 0, v[26:27]
	v_cmp_lt_i32_e32 vcc, 0, v29
	s_barrier
	s_and_saveexec_b64 s[2:3], vcc
	s_cbranch_execz .LBB20_16
; %bb.15:
	v_div_scale_f64 v[36:37], s[14:15], v[26:27], v[26:27], 1.0
	v_rcp_f64_e32 v[38:39], v[36:37]
	v_div_scale_f64 v[40:41], vcc, 1.0, v[26:27], 1.0
	ds_read2_b64 v[44:47], v31 offset0:7 offset1:8
	v_fma_f64 v[42:43], -v[36:37], v[38:39], 1.0
	v_fmac_f64_e32 v[38:39], v[38:39], v[42:43]
	v_fma_f64 v[42:43], -v[36:37], v[38:39], 1.0
	v_fmac_f64_e32 v[38:39], v[38:39], v[42:43]
	v_mul_f64 v[42:43], v[40:41], v[38:39]
	v_fma_f64 v[36:37], -v[36:37], v[42:43], v[40:41]
	v_div_fmas_f64 v[36:37], v[36:37], v[38:39], v[42:43]
	v_div_fixup_f64 v[40:41], v[36:37], v[26:27], 1.0
	ds_read2_b64 v[36:39], v31 offset0:1 offset1:2
	v_cndmask_b32_e64 v27, v41, v27, s[0:1]
	v_cndmask_b32_e64 v26, v40, v26, s[0:1]
	ds_read2_b64 v[40:43], v31 offset0:3 offset1:4
	v_mul_f64 v[14:15], v[14:15], v[26:27]
	s_waitcnt vmcnt(0) lgkmcnt(0)
	v_fma_f64 v[10:11], -v[14:15], v[36:37], v[10:11]
	v_fma_f64 v[4:5], -v[14:15], v[38:39], v[4:5]
	ds_read2_b64 v[36:39], v31 offset0:5 offset1:6
	v_fma_f64 v[0:1], -v[14:15], v[40:41], v[0:1]
	v_fma_f64 v[20:21], -v[14:15], v[42:43], v[20:21]
	ds_read2_b64 v[40:43], v31 offset0:9 offset1:10
	v_fma_f64 v[6:7], -v[14:15], v[44:45], v[6:7]
	s_waitcnt lgkmcnt(1)
	v_fma_f64 v[16:17], -v[14:15], v[36:37], v[16:17]
	v_fma_f64 v[8:9], -v[14:15], v[38:39], v[8:9]
	;; [unrolled: 1-line block ×3, first 2 shown]
	s_waitcnt lgkmcnt(0)
	v_fma_f64 v[12:13], -v[14:15], v[40:41], v[12:13]
	v_fma_f64 v[24:25], -v[14:15], v[42:43], v[24:25]
.LBB20_16:
	s_or_b64 exec, exec, s[2:3]
	v_lshl_add_u32 v26, v29, 3, v31
	s_barrier
	s_waitcnt vmcnt(0)
	ds_write_b64 v26, v[10:11]
	s_waitcnt lgkmcnt(0)
	s_barrier
	ds_read_b64 v[26:27], v31 offset:8
	s_cmp_lt_i32 s12, 3
	v_mov_b32_e32 v28, 1
	s_cbranch_scc1 .LBB20_19
; %bb.17:
	v_add3_u32 v35, v30, 0, 16
	s_mov_b32 s2, 2
	v_mov_b32_e32 v28, 1
.LBB20_18:                              ; =>This Inner Loop Header: Depth=1
	ds_read_b64 v[36:37], v35
	v_mov_b32_e32 v38, s2
	s_add_i32 s2, s2, 1
	v_add_u32_e32 v35, 8, v35
	s_cmp_lg_u32 s12, s2
	s_waitcnt lgkmcnt(0)
	v_cmp_lt_f64_e64 vcc, |v[26:27]|, |v[36:37]|
	v_cndmask_b32_e32 v27, v27, v37, vcc
	v_cndmask_b32_e32 v26, v26, v36, vcc
	;; [unrolled: 1-line block ×3, first 2 shown]
	s_cbranch_scc1 .LBB20_18
.LBB20_19:
	v_cmp_ne_u32_e32 vcc, v29, v28
	s_and_saveexec_b64 s[2:3], vcc
	s_xor_b64 s[2:3], exec, s[2:3]
	s_cbranch_execz .LBB20_25
; %bb.20:
	v_cmp_eq_u32_e32 vcc, 1, v29
	s_and_saveexec_b64 s[14:15], vcc
	s_cbranch_execz .LBB20_24
; %bb.21:
	v_cmp_ne_u32_e32 vcc, 1, v28
	s_xor_b64 s[16:17], s[6:7], -1
	s_and_b64 s[18:19], s[16:17], vcc
	s_and_saveexec_b64 s[16:17], s[18:19]
	s_cbranch_execz .LBB20_23
; %bb.22:
	v_ashrrev_i32_e32 v29, 31, v28
	v_lshlrev_b64 v[34:35], 2, v[28:29]
	v_add_co_u32_e32 v34, vcc, v22, v34
	v_addc_co_u32_e32 v35, vcc, v23, v35, vcc
	flat_load_dword v29, v[34:35]
	flat_load_dword v36, v[22:23] offset:4
	s_waitcnt vmcnt(0) lgkmcnt(0)
	flat_store_dword v[22:23], v29 offset:4
	flat_store_dword v[34:35], v36
.LBB20_23:
	s_or_b64 exec, exec, s[16:17]
	v_mov_b32_e32 v34, v28
	v_mov_b32_e32 v29, v28
.LBB20_24:
	s_or_b64 exec, exec, s[14:15]
.LBB20_25:
	s_andn2_saveexec_b64 s[2:3], s[2:3]
	s_cbranch_execz .LBB20_27
; %bb.26:
	v_mov_b32_e32 v29, 1
	ds_write2_b64 v31, v[4:5], v[0:1] offset0:2 offset1:3
	ds_write2_b64 v31, v[20:21], v[16:17] offset0:4 offset1:5
	;; [unrolled: 1-line block ×4, first 2 shown]
	ds_write_b64 v31, v[24:25] offset:80
.LBB20_27:
	s_or_b64 exec, exec, s[2:3]
	s_waitcnt lgkmcnt(0)
	v_cmp_neq_f64_e64 s[2:3], 0, v[26:27]
	v_cmp_lt_i32_e32 vcc, 1, v29
	s_barrier
	s_and_saveexec_b64 s[14:15], vcc
	s_cbranch_execz .LBB20_29
; %bb.28:
	v_div_scale_f64 v[36:37], s[16:17], v[26:27], v[26:27], 1.0
	v_rcp_f64_e32 v[38:39], v[36:37]
	v_div_scale_f64 v[40:41], vcc, 1.0, v[26:27], 1.0
	ds_read2_b64 v[44:47], v31 offset0:8 offset1:9
	v_fma_f64 v[42:43], -v[36:37], v[38:39], 1.0
	v_fmac_f64_e32 v[38:39], v[38:39], v[42:43]
	v_fma_f64 v[42:43], -v[36:37], v[38:39], 1.0
	v_fmac_f64_e32 v[38:39], v[38:39], v[42:43]
	v_mul_f64 v[42:43], v[40:41], v[38:39]
	v_fma_f64 v[36:37], -v[36:37], v[42:43], v[40:41]
	v_div_fmas_f64 v[36:37], v[36:37], v[38:39], v[42:43]
	v_div_fixup_f64 v[40:41], v[36:37], v[26:27], 1.0
	ds_read2_b64 v[36:39], v31 offset0:2 offset1:3
	v_cndmask_b32_e64 v27, v27, v41, s[2:3]
	v_cndmask_b32_e64 v26, v26, v40, s[2:3]
	ds_read2_b64 v[40:43], v31 offset0:4 offset1:5
	v_mul_f64 v[10:11], v[10:11], v[26:27]
	s_waitcnt lgkmcnt(0)
	v_fma_f64 v[4:5], -v[10:11], v[36:37], v[4:5]
	v_fma_f64 v[0:1], -v[10:11], v[38:39], v[0:1]
	ds_read2_b64 v[36:39], v31 offset0:6 offset1:7
	ds_read_b64 v[26:27], v31 offset:80
	v_fma_f64 v[20:21], -v[10:11], v[40:41], v[20:21]
	v_fma_f64 v[16:17], -v[10:11], v[42:43], v[16:17]
	;; [unrolled: 1-line block ×3, first 2 shown]
	s_waitcnt lgkmcnt(0)
	v_fma_f64 v[8:9], -v[10:11], v[36:37], v[8:9]
	v_fma_f64 v[6:7], -v[10:11], v[38:39], v[6:7]
	;; [unrolled: 1-line block ×4, first 2 shown]
.LBB20_29:
	s_or_b64 exec, exec, s[14:15]
	v_lshl_add_u32 v26, v29, 3, v31
	s_barrier
	ds_write_b64 v26, v[4:5]
	s_waitcnt lgkmcnt(0)
	s_barrier
	ds_read_b64 v[26:27], v31 offset:16
	s_mov_b32 s14, 3
	s_cmp_lt_i32 s12, 4
	v_mov_b32_e32 v28, 2
	s_cbranch_scc1 .LBB20_32
; %bb.30:
	v_add3_u32 v35, v30, 0, 24
	v_mov_b32_e32 v28, 2
.LBB20_31:                              ; =>This Inner Loop Header: Depth=1
	ds_read_b64 v[36:37], v35
	v_mov_b32_e32 v38, s14
	s_add_i32 s14, s14, 1
	v_add_u32_e32 v35, 8, v35
	s_cmp_lg_u32 s12, s14
	s_waitcnt lgkmcnt(0)
	v_cmp_lt_f64_e64 vcc, |v[26:27]|, |v[36:37]|
	v_cndmask_b32_e32 v27, v27, v37, vcc
	v_cndmask_b32_e32 v26, v26, v36, vcc
	;; [unrolled: 1-line block ×3, first 2 shown]
	s_cbranch_scc1 .LBB20_31
.LBB20_32:
	v_cndmask_b32_e64 v35, 2, 1, s[0:1]
	v_cndmask_b32_e64 v36, 0, 1, s[0:1]
	;; [unrolled: 1-line block ×3, first 2 shown]
	s_waitcnt lgkmcnt(0)
	v_cmp_eq_f64_e32 vcc, 0, v[26:27]
	s_and_saveexec_b64 s[0:1], vcc
	s_xor_b64 s[0:1], exec, s[0:1]
; %bb.33:
	v_cmp_ne_u32_e32 vcc, 0, v35
	v_cndmask_b32_e32 v35, 3, v35, vcc
; %bb.34:
	s_andn2_saveexec_b64 s[0:1], s[0:1]
; %bb.35:
	v_div_scale_f64 v[36:37], s[2:3], v[26:27], v[26:27], 1.0
	v_rcp_f64_e32 v[38:39], v[36:37]
	v_div_scale_f64 v[40:41], vcc, 1.0, v[26:27], 1.0
	v_fma_f64 v[42:43], -v[36:37], v[38:39], 1.0
	v_fmac_f64_e32 v[38:39], v[38:39], v[42:43]
	v_fma_f64 v[42:43], -v[36:37], v[38:39], 1.0
	v_fmac_f64_e32 v[38:39], v[38:39], v[42:43]
	v_mul_f64 v[42:43], v[40:41], v[38:39]
	v_fma_f64 v[36:37], -v[36:37], v[42:43], v[40:41]
	v_div_fmas_f64 v[36:37], v[36:37], v[38:39], v[42:43]
	v_div_fixup_f64 v[26:27], v[36:37], v[26:27], 1.0
; %bb.36:
	s_or_b64 exec, exec, s[0:1]
	v_cmp_ne_u32_e32 vcc, v29, v28
	s_and_saveexec_b64 s[0:1], vcc
	s_xor_b64 s[0:1], exec, s[0:1]
	s_cbranch_execz .LBB20_42
; %bb.37:
	v_cmp_eq_u32_e32 vcc, 2, v29
	s_and_saveexec_b64 s[2:3], vcc
	s_cbranch_execz .LBB20_41
; %bb.38:
	v_cmp_ne_u32_e32 vcc, 2, v28
	s_xor_b64 s[14:15], s[6:7], -1
	s_and_b64 s[16:17], s[14:15], vcc
	s_and_saveexec_b64 s[14:15], s[16:17]
	s_cbranch_execz .LBB20_40
; %bb.39:
	v_ashrrev_i32_e32 v29, 31, v28
	v_lshlrev_b64 v[36:37], 2, v[28:29]
	v_add_co_u32_e32 v36, vcc, v22, v36
	v_addc_co_u32_e32 v37, vcc, v23, v37, vcc
	flat_load_dword v29, v[36:37]
	flat_load_dword v34, v[22:23] offset:8
	s_waitcnt vmcnt(0) lgkmcnt(0)
	flat_store_dword v[22:23], v29 offset:8
	flat_store_dword v[36:37], v34
.LBB20_40:
	s_or_b64 exec, exec, s[14:15]
	v_mov_b32_e32 v34, v28
	v_mov_b32_e32 v29, v28
.LBB20_41:
	s_or_b64 exec, exec, s[2:3]
.LBB20_42:
	s_andn2_saveexec_b64 s[0:1], s[0:1]
	s_cbranch_execz .LBB20_44
; %bb.43:
	v_mov_b32_e32 v29, 2
	ds_write2_b64 v31, v[0:1], v[20:21] offset0:3 offset1:4
	ds_write2_b64 v31, v[16:17], v[8:9] offset0:5 offset1:6
	;; [unrolled: 1-line block ×4, first 2 shown]
.LBB20_44:
	s_or_b64 exec, exec, s[0:1]
	v_cmp_lt_i32_e32 vcc, 2, v29
	s_waitcnt lgkmcnt(0)
	s_barrier
	s_and_saveexec_b64 s[0:1], vcc
	s_cbranch_execz .LBB20_46
; %bb.45:
	ds_read2_b64 v[36:39], v31 offset0:3 offset1:4
	ds_read2_b64 v[40:43], v31 offset0:5 offset1:6
	v_mul_f64 v[4:5], v[4:5], v[26:27]
	ds_read2_b64 v[44:47], v31 offset0:7 offset1:8
	s_waitcnt lgkmcnt(0)
	v_fma_f64 v[0:1], -v[4:5], v[36:37], v[0:1]
	v_fma_f64 v[20:21], -v[4:5], v[38:39], v[20:21]
	ds_read2_b64 v[36:39], v31 offset0:9 offset1:10
	v_fma_f64 v[16:17], -v[4:5], v[40:41], v[16:17]
	v_fma_f64 v[8:9], -v[4:5], v[42:43], v[8:9]
	;; [unrolled: 1-line block ×4, first 2 shown]
	s_waitcnt lgkmcnt(0)
	v_fma_f64 v[12:13], -v[4:5], v[36:37], v[12:13]
	v_fma_f64 v[24:25], -v[4:5], v[38:39], v[24:25]
.LBB20_46:
	s_or_b64 exec, exec, s[0:1]
	v_lshl_add_u32 v26, v29, 3, v31
	s_barrier
	ds_write_b64 v26, v[0:1]
	s_waitcnt lgkmcnt(0)
	s_barrier
	ds_read_b64 v[26:27], v31 offset:24
	s_cmp_lt_i32 s12, 5
	v_mov_b32_e32 v28, 3
	s_cbranch_scc1 .LBB20_49
; %bb.47:
	v_add3_u32 v36, v30, 0, 32
	s_mov_b32 s0, 4
	v_mov_b32_e32 v28, 3
.LBB20_48:                              ; =>This Inner Loop Header: Depth=1
	ds_read_b64 v[38:39], v36
	v_mov_b32_e32 v37, s0
	s_add_i32 s0, s0, 1
	v_add_u32_e32 v36, 8, v36
	s_cmp_lg_u32 s12, s0
	s_waitcnt lgkmcnt(0)
	v_cmp_lt_f64_e64 vcc, |v[26:27]|, |v[38:39]|
	v_cndmask_b32_e32 v27, v27, v39, vcc
	v_cndmask_b32_e32 v26, v26, v38, vcc
	;; [unrolled: 1-line block ×3, first 2 shown]
	s_cbranch_scc1 .LBB20_48
.LBB20_49:
	s_waitcnt lgkmcnt(0)
	v_cmp_eq_f64_e32 vcc, 0, v[26:27]
	s_and_saveexec_b64 s[0:1], vcc
	s_xor_b64 s[0:1], exec, s[0:1]
; %bb.50:
	v_cmp_ne_u32_e32 vcc, 0, v35
	v_cndmask_b32_e32 v35, 4, v35, vcc
; %bb.51:
	s_andn2_saveexec_b64 s[0:1], s[0:1]
; %bb.52:
	v_div_scale_f64 v[36:37], s[2:3], v[26:27], v[26:27], 1.0
	v_rcp_f64_e32 v[38:39], v[36:37]
	v_div_scale_f64 v[40:41], vcc, 1.0, v[26:27], 1.0
	v_fma_f64 v[42:43], -v[36:37], v[38:39], 1.0
	v_fmac_f64_e32 v[38:39], v[38:39], v[42:43]
	v_fma_f64 v[42:43], -v[36:37], v[38:39], 1.0
	v_fmac_f64_e32 v[38:39], v[38:39], v[42:43]
	v_mul_f64 v[42:43], v[40:41], v[38:39]
	v_fma_f64 v[36:37], -v[36:37], v[42:43], v[40:41]
	v_div_fmas_f64 v[36:37], v[36:37], v[38:39], v[42:43]
	v_div_fixup_f64 v[26:27], v[36:37], v[26:27], 1.0
; %bb.53:
	s_or_b64 exec, exec, s[0:1]
	v_cmp_ne_u32_e32 vcc, v29, v28
	s_and_saveexec_b64 s[0:1], vcc
	s_xor_b64 s[0:1], exec, s[0:1]
	s_cbranch_execz .LBB20_59
; %bb.54:
	v_cmp_eq_u32_e32 vcc, 3, v29
	s_and_saveexec_b64 s[2:3], vcc
	s_cbranch_execz .LBB20_58
; %bb.55:
	v_cmp_ne_u32_e32 vcc, 3, v28
	s_xor_b64 s[14:15], s[6:7], -1
	s_and_b64 s[16:17], s[14:15], vcc
	s_and_saveexec_b64 s[14:15], s[16:17]
	s_cbranch_execz .LBB20_57
; %bb.56:
	v_ashrrev_i32_e32 v29, 31, v28
	v_lshlrev_b64 v[36:37], 2, v[28:29]
	v_add_co_u32_e32 v36, vcc, v22, v36
	v_addc_co_u32_e32 v37, vcc, v23, v37, vcc
	flat_load_dword v29, v[36:37]
	flat_load_dword v34, v[22:23] offset:12
	s_waitcnt vmcnt(0) lgkmcnt(0)
	flat_store_dword v[22:23], v29 offset:12
	flat_store_dword v[36:37], v34
.LBB20_57:
	s_or_b64 exec, exec, s[14:15]
	v_mov_b32_e32 v34, v28
	v_mov_b32_e32 v29, v28
.LBB20_58:
	s_or_b64 exec, exec, s[2:3]
.LBB20_59:
	s_andn2_saveexec_b64 s[0:1], s[0:1]
	s_cbranch_execz .LBB20_61
; %bb.60:
	v_mov_b32_e32 v29, 3
	ds_write2_b64 v31, v[20:21], v[16:17] offset0:4 offset1:5
	ds_write2_b64 v31, v[8:9], v[6:7] offset0:6 offset1:7
	;; [unrolled: 1-line block ×3, first 2 shown]
	ds_write_b64 v31, v[24:25] offset:80
.LBB20_61:
	s_or_b64 exec, exec, s[0:1]
	v_cmp_lt_i32_e32 vcc, 3, v29
	s_waitcnt lgkmcnt(0)
	s_barrier
	s_and_saveexec_b64 s[0:1], vcc
	s_cbranch_execz .LBB20_63
; %bb.62:
	ds_read2_b64 v[36:39], v31 offset0:4 offset1:5
	ds_read2_b64 v[40:43], v31 offset0:6 offset1:7
	v_mul_f64 v[0:1], v[0:1], v[26:27]
	ds_read2_b64 v[44:47], v31 offset0:8 offset1:9
	ds_read_b64 v[26:27], v31 offset:80
	s_waitcnt lgkmcnt(0)
	v_fma_f64 v[20:21], -v[0:1], v[36:37], v[20:21]
	v_fma_f64 v[16:17], -v[0:1], v[38:39], v[16:17]
	;; [unrolled: 1-line block ×7, first 2 shown]
.LBB20_63:
	s_or_b64 exec, exec, s[0:1]
	v_lshl_add_u32 v26, v29, 3, v31
	s_barrier
	ds_write_b64 v26, v[20:21]
	s_waitcnt lgkmcnt(0)
	s_barrier
	ds_read_b64 v[26:27], v31 offset:32
	s_cmp_lt_i32 s12, 6
	v_mov_b32_e32 v28, 4
	s_cbranch_scc1 .LBB20_66
; %bb.64:
	v_add3_u32 v36, v30, 0, 40
	s_mov_b32 s0, 5
	v_mov_b32_e32 v28, 4
.LBB20_65:                              ; =>This Inner Loop Header: Depth=1
	ds_read_b64 v[38:39], v36
	v_mov_b32_e32 v37, s0
	s_add_i32 s0, s0, 1
	v_add_u32_e32 v36, 8, v36
	s_cmp_lg_u32 s12, s0
	s_waitcnt lgkmcnt(0)
	v_cmp_lt_f64_e64 vcc, |v[26:27]|, |v[38:39]|
	v_cndmask_b32_e32 v27, v27, v39, vcc
	v_cndmask_b32_e32 v26, v26, v38, vcc
	;; [unrolled: 1-line block ×3, first 2 shown]
	s_cbranch_scc1 .LBB20_65
.LBB20_66:
	s_waitcnt lgkmcnt(0)
	v_cmp_eq_f64_e32 vcc, 0, v[26:27]
	s_and_saveexec_b64 s[0:1], vcc
	s_xor_b64 s[0:1], exec, s[0:1]
; %bb.67:
	v_cmp_ne_u32_e32 vcc, 0, v35
	v_cndmask_b32_e32 v35, 5, v35, vcc
; %bb.68:
	s_andn2_saveexec_b64 s[0:1], s[0:1]
; %bb.69:
	v_div_scale_f64 v[36:37], s[2:3], v[26:27], v[26:27], 1.0
	v_rcp_f64_e32 v[38:39], v[36:37]
	v_div_scale_f64 v[40:41], vcc, 1.0, v[26:27], 1.0
	v_fma_f64 v[42:43], -v[36:37], v[38:39], 1.0
	v_fmac_f64_e32 v[38:39], v[38:39], v[42:43]
	v_fma_f64 v[42:43], -v[36:37], v[38:39], 1.0
	v_fmac_f64_e32 v[38:39], v[38:39], v[42:43]
	v_mul_f64 v[42:43], v[40:41], v[38:39]
	v_fma_f64 v[36:37], -v[36:37], v[42:43], v[40:41]
	v_div_fmas_f64 v[36:37], v[36:37], v[38:39], v[42:43]
	v_div_fixup_f64 v[26:27], v[36:37], v[26:27], 1.0
; %bb.70:
	s_or_b64 exec, exec, s[0:1]
	v_cmp_ne_u32_e32 vcc, v29, v28
	s_and_saveexec_b64 s[0:1], vcc
	s_xor_b64 s[0:1], exec, s[0:1]
	s_cbranch_execz .LBB20_76
; %bb.71:
	v_cmp_eq_u32_e32 vcc, 4, v29
	s_and_saveexec_b64 s[2:3], vcc
	s_cbranch_execz .LBB20_75
; %bb.72:
	v_cmp_ne_u32_e32 vcc, 4, v28
	s_xor_b64 s[14:15], s[6:7], -1
	s_and_b64 s[16:17], s[14:15], vcc
	s_and_saveexec_b64 s[14:15], s[16:17]
	s_cbranch_execz .LBB20_74
; %bb.73:
	v_ashrrev_i32_e32 v29, 31, v28
	v_lshlrev_b64 v[36:37], 2, v[28:29]
	v_add_co_u32_e32 v36, vcc, v22, v36
	v_addc_co_u32_e32 v37, vcc, v23, v37, vcc
	flat_load_dword v29, v[36:37]
	flat_load_dword v34, v[22:23] offset:16
	s_waitcnt vmcnt(0) lgkmcnt(0)
	flat_store_dword v[22:23], v29 offset:16
	flat_store_dword v[36:37], v34
.LBB20_74:
	s_or_b64 exec, exec, s[14:15]
	v_mov_b32_e32 v34, v28
	v_mov_b32_e32 v29, v28
.LBB20_75:
	s_or_b64 exec, exec, s[2:3]
.LBB20_76:
	s_andn2_saveexec_b64 s[0:1], s[0:1]
	s_cbranch_execz .LBB20_78
; %bb.77:
	v_mov_b32_e32 v29, 4
	ds_write2_b64 v31, v[16:17], v[8:9] offset0:5 offset1:6
	ds_write2_b64 v31, v[6:7], v[18:19] offset0:7 offset1:8
	;; [unrolled: 1-line block ×3, first 2 shown]
.LBB20_78:
	s_or_b64 exec, exec, s[0:1]
	v_cmp_lt_i32_e32 vcc, 4, v29
	s_waitcnt lgkmcnt(0)
	s_barrier
	s_and_saveexec_b64 s[0:1], vcc
	s_cbranch_execz .LBB20_80
; %bb.79:
	ds_read2_b64 v[36:39], v31 offset0:5 offset1:6
	ds_read2_b64 v[40:43], v31 offset0:7 offset1:8
	;; [unrolled: 1-line block ×3, first 2 shown]
	v_mul_f64 v[20:21], v[20:21], v[26:27]
	s_waitcnt lgkmcnt(0)
	v_fma_f64 v[16:17], -v[20:21], v[36:37], v[16:17]
	v_fma_f64 v[8:9], -v[20:21], v[38:39], v[8:9]
	;; [unrolled: 1-line block ×6, first 2 shown]
.LBB20_80:
	s_or_b64 exec, exec, s[0:1]
	v_lshl_add_u32 v26, v29, 3, v31
	s_barrier
	ds_write_b64 v26, v[16:17]
	s_waitcnt lgkmcnt(0)
	s_barrier
	ds_read_b64 v[26:27], v31 offset:40
	s_cmp_lt_i32 s12, 7
	v_mov_b32_e32 v28, 5
	s_cbranch_scc1 .LBB20_83
; %bb.81:
	v_add3_u32 v36, v30, 0, 48
	s_mov_b32 s0, 6
	v_mov_b32_e32 v28, 5
.LBB20_82:                              ; =>This Inner Loop Header: Depth=1
	ds_read_b64 v[38:39], v36
	v_mov_b32_e32 v37, s0
	s_add_i32 s0, s0, 1
	v_add_u32_e32 v36, 8, v36
	s_cmp_lg_u32 s12, s0
	s_waitcnt lgkmcnt(0)
	v_cmp_lt_f64_e64 vcc, |v[26:27]|, |v[38:39]|
	v_cndmask_b32_e32 v27, v27, v39, vcc
	v_cndmask_b32_e32 v26, v26, v38, vcc
	;; [unrolled: 1-line block ×3, first 2 shown]
	s_cbranch_scc1 .LBB20_82
.LBB20_83:
	s_waitcnt lgkmcnt(0)
	v_cmp_eq_f64_e32 vcc, 0, v[26:27]
	s_and_saveexec_b64 s[0:1], vcc
	s_xor_b64 s[0:1], exec, s[0:1]
; %bb.84:
	v_cmp_ne_u32_e32 vcc, 0, v35
	v_cndmask_b32_e32 v35, 6, v35, vcc
; %bb.85:
	s_andn2_saveexec_b64 s[0:1], s[0:1]
; %bb.86:
	v_div_scale_f64 v[36:37], s[2:3], v[26:27], v[26:27], 1.0
	v_rcp_f64_e32 v[38:39], v[36:37]
	v_div_scale_f64 v[40:41], vcc, 1.0, v[26:27], 1.0
	v_fma_f64 v[42:43], -v[36:37], v[38:39], 1.0
	v_fmac_f64_e32 v[38:39], v[38:39], v[42:43]
	v_fma_f64 v[42:43], -v[36:37], v[38:39], 1.0
	v_fmac_f64_e32 v[38:39], v[38:39], v[42:43]
	v_mul_f64 v[42:43], v[40:41], v[38:39]
	v_fma_f64 v[36:37], -v[36:37], v[42:43], v[40:41]
	v_div_fmas_f64 v[36:37], v[36:37], v[38:39], v[42:43]
	v_div_fixup_f64 v[26:27], v[36:37], v[26:27], 1.0
; %bb.87:
	s_or_b64 exec, exec, s[0:1]
	v_cmp_ne_u32_e32 vcc, v29, v28
	s_and_saveexec_b64 s[0:1], vcc
	s_xor_b64 s[0:1], exec, s[0:1]
	s_cbranch_execz .LBB20_93
; %bb.88:
	v_cmp_eq_u32_e32 vcc, 5, v29
	s_and_saveexec_b64 s[2:3], vcc
	s_cbranch_execz .LBB20_92
; %bb.89:
	v_cmp_ne_u32_e32 vcc, 5, v28
	s_xor_b64 s[14:15], s[6:7], -1
	s_and_b64 s[16:17], s[14:15], vcc
	s_and_saveexec_b64 s[14:15], s[16:17]
	s_cbranch_execz .LBB20_91
; %bb.90:
	v_ashrrev_i32_e32 v29, 31, v28
	v_lshlrev_b64 v[36:37], 2, v[28:29]
	v_add_co_u32_e32 v36, vcc, v22, v36
	v_addc_co_u32_e32 v37, vcc, v23, v37, vcc
	flat_load_dword v29, v[36:37]
	flat_load_dword v34, v[22:23] offset:20
	s_waitcnt vmcnt(0) lgkmcnt(0)
	flat_store_dword v[22:23], v29 offset:20
	flat_store_dword v[36:37], v34
.LBB20_91:
	s_or_b64 exec, exec, s[14:15]
	v_mov_b32_e32 v34, v28
	v_mov_b32_e32 v29, v28
.LBB20_92:
	s_or_b64 exec, exec, s[2:3]
.LBB20_93:
	s_andn2_saveexec_b64 s[0:1], s[0:1]
	s_cbranch_execz .LBB20_95
; %bb.94:
	v_mov_b32_e32 v29, 5
	ds_write2_b64 v31, v[8:9], v[6:7] offset0:6 offset1:7
	ds_write2_b64 v31, v[18:19], v[12:13] offset0:8 offset1:9
	ds_write_b64 v31, v[24:25] offset:80
.LBB20_95:
	s_or_b64 exec, exec, s[0:1]
	v_cmp_lt_i32_e32 vcc, 5, v29
	s_waitcnt lgkmcnt(0)
	s_barrier
	s_and_saveexec_b64 s[0:1], vcc
	s_cbranch_execz .LBB20_97
; %bb.96:
	ds_read2_b64 v[36:39], v31 offset0:6 offset1:7
	ds_read2_b64 v[40:43], v31 offset0:8 offset1:9
	v_mul_f64 v[16:17], v[16:17], v[26:27]
	ds_read_b64 v[26:27], v31 offset:80
	s_waitcnt lgkmcnt(0)
	v_fma_f64 v[8:9], -v[16:17], v[36:37], v[8:9]
	v_fma_f64 v[6:7], -v[16:17], v[38:39], v[6:7]
	;; [unrolled: 1-line block ×5, first 2 shown]
.LBB20_97:
	s_or_b64 exec, exec, s[0:1]
	v_lshl_add_u32 v26, v29, 3, v31
	s_barrier
	ds_write_b64 v26, v[8:9]
	s_waitcnt lgkmcnt(0)
	s_barrier
	ds_read_b64 v[26:27], v31 offset:48
	s_cmp_lt_i32 s12, 8
	v_mov_b32_e32 v28, 6
	s_cbranch_scc1 .LBB20_100
; %bb.98:
	v_add3_u32 v36, v30, 0, 56
	s_mov_b32 s0, 7
	v_mov_b32_e32 v28, 6
.LBB20_99:                              ; =>This Inner Loop Header: Depth=1
	ds_read_b64 v[38:39], v36
	v_mov_b32_e32 v37, s0
	s_add_i32 s0, s0, 1
	v_add_u32_e32 v36, 8, v36
	s_cmp_lg_u32 s12, s0
	s_waitcnt lgkmcnt(0)
	v_cmp_lt_f64_e64 vcc, |v[26:27]|, |v[38:39]|
	v_cndmask_b32_e32 v27, v27, v39, vcc
	v_cndmask_b32_e32 v26, v26, v38, vcc
	;; [unrolled: 1-line block ×3, first 2 shown]
	s_cbranch_scc1 .LBB20_99
.LBB20_100:
	s_waitcnt lgkmcnt(0)
	v_cmp_eq_f64_e32 vcc, 0, v[26:27]
	s_and_saveexec_b64 s[0:1], vcc
	s_xor_b64 s[0:1], exec, s[0:1]
; %bb.101:
	v_cmp_ne_u32_e32 vcc, 0, v35
	v_cndmask_b32_e32 v35, 7, v35, vcc
; %bb.102:
	s_andn2_saveexec_b64 s[0:1], s[0:1]
; %bb.103:
	v_div_scale_f64 v[36:37], s[2:3], v[26:27], v[26:27], 1.0
	v_rcp_f64_e32 v[38:39], v[36:37]
	v_div_scale_f64 v[40:41], vcc, 1.0, v[26:27], 1.0
	v_fma_f64 v[42:43], -v[36:37], v[38:39], 1.0
	v_fmac_f64_e32 v[38:39], v[38:39], v[42:43]
	v_fma_f64 v[42:43], -v[36:37], v[38:39], 1.0
	v_fmac_f64_e32 v[38:39], v[38:39], v[42:43]
	v_mul_f64 v[42:43], v[40:41], v[38:39]
	v_fma_f64 v[36:37], -v[36:37], v[42:43], v[40:41]
	v_div_fmas_f64 v[36:37], v[36:37], v[38:39], v[42:43]
	v_div_fixup_f64 v[26:27], v[36:37], v[26:27], 1.0
; %bb.104:
	s_or_b64 exec, exec, s[0:1]
	v_cmp_ne_u32_e32 vcc, v29, v28
	s_and_saveexec_b64 s[0:1], vcc
	s_xor_b64 s[0:1], exec, s[0:1]
	s_cbranch_execz .LBB20_110
; %bb.105:
	v_cmp_eq_u32_e32 vcc, 6, v29
	s_and_saveexec_b64 s[2:3], vcc
	s_cbranch_execz .LBB20_109
; %bb.106:
	v_cmp_ne_u32_e32 vcc, 6, v28
	s_xor_b64 s[14:15], s[6:7], -1
	s_and_b64 s[16:17], s[14:15], vcc
	s_and_saveexec_b64 s[14:15], s[16:17]
	s_cbranch_execz .LBB20_108
; %bb.107:
	v_ashrrev_i32_e32 v29, 31, v28
	v_lshlrev_b64 v[36:37], 2, v[28:29]
	v_add_co_u32_e32 v36, vcc, v22, v36
	v_addc_co_u32_e32 v37, vcc, v23, v37, vcc
	flat_load_dword v29, v[36:37]
	flat_load_dword v34, v[22:23] offset:24
	s_waitcnt vmcnt(0) lgkmcnt(0)
	flat_store_dword v[22:23], v29 offset:24
	flat_store_dword v[36:37], v34
.LBB20_108:
	s_or_b64 exec, exec, s[14:15]
	v_mov_b32_e32 v34, v28
	v_mov_b32_e32 v29, v28
.LBB20_109:
	s_or_b64 exec, exec, s[2:3]
.LBB20_110:
	s_andn2_saveexec_b64 s[0:1], s[0:1]
	s_cbranch_execz .LBB20_112
; %bb.111:
	v_mov_b32_e32 v29, 6
	ds_write2_b64 v31, v[6:7], v[18:19] offset0:7 offset1:8
	ds_write2_b64 v31, v[12:13], v[24:25] offset0:9 offset1:10
.LBB20_112:
	s_or_b64 exec, exec, s[0:1]
	v_cmp_lt_i32_e32 vcc, 6, v29
	s_waitcnt lgkmcnt(0)
	s_barrier
	s_and_saveexec_b64 s[0:1], vcc
	s_cbranch_execz .LBB20_114
; %bb.113:
	ds_read2_b64 v[36:39], v31 offset0:7 offset1:8
	ds_read2_b64 v[40:43], v31 offset0:9 offset1:10
	v_mul_f64 v[8:9], v[8:9], v[26:27]
	s_waitcnt lgkmcnt(0)
	v_fma_f64 v[6:7], -v[8:9], v[36:37], v[6:7]
	v_fma_f64 v[18:19], -v[8:9], v[38:39], v[18:19]
	v_fma_f64 v[12:13], -v[8:9], v[40:41], v[12:13]
	v_fma_f64 v[24:25], -v[8:9], v[42:43], v[24:25]
.LBB20_114:
	s_or_b64 exec, exec, s[0:1]
	v_lshl_add_u32 v26, v29, 3, v31
	s_barrier
	ds_write_b64 v26, v[6:7]
	s_waitcnt lgkmcnt(0)
	s_barrier
	ds_read_b64 v[26:27], v31 offset:56
	s_cmp_lt_i32 s12, 9
	v_mov_b32_e32 v28, 7
	s_cbranch_scc1 .LBB20_117
; %bb.115:
	v_add3_u32 v30, v30, 0, 64
	s_mov_b32 s0, 8
	v_mov_b32_e32 v28, 7
.LBB20_116:                             ; =>This Inner Loop Header: Depth=1
	ds_read_b64 v[36:37], v30
	v_mov_b32_e32 v38, s0
	s_add_i32 s0, s0, 1
	v_add_u32_e32 v30, 8, v30
	s_cmp_lg_u32 s12, s0
	s_waitcnt lgkmcnt(0)
	v_cmp_lt_f64_e64 vcc, |v[26:27]|, |v[36:37]|
	v_cndmask_b32_e32 v27, v27, v37, vcc
	v_cndmask_b32_e32 v26, v26, v36, vcc
	;; [unrolled: 1-line block ×3, first 2 shown]
	s_cbranch_scc1 .LBB20_116
.LBB20_117:
	s_waitcnt lgkmcnt(0)
	v_cmp_eq_f64_e32 vcc, 0, v[26:27]
	s_and_saveexec_b64 s[0:1], vcc
	s_xor_b64 s[0:1], exec, s[0:1]
; %bb.118:
	v_cmp_ne_u32_e32 vcc, 0, v35
	v_cndmask_b32_e32 v35, 8, v35, vcc
; %bb.119:
	s_andn2_saveexec_b64 s[0:1], s[0:1]
; %bb.120:
	v_div_scale_f64 v[36:37], s[2:3], v[26:27], v[26:27], 1.0
	v_rcp_f64_e32 v[38:39], v[36:37]
	v_div_scale_f64 v[40:41], vcc, 1.0, v[26:27], 1.0
	v_fma_f64 v[42:43], -v[36:37], v[38:39], 1.0
	v_fmac_f64_e32 v[38:39], v[38:39], v[42:43]
	v_fma_f64 v[42:43], -v[36:37], v[38:39], 1.0
	v_fmac_f64_e32 v[38:39], v[38:39], v[42:43]
	v_mul_f64 v[42:43], v[40:41], v[38:39]
	v_fma_f64 v[36:37], -v[36:37], v[42:43], v[40:41]
	v_div_fmas_f64 v[36:37], v[36:37], v[38:39], v[42:43]
	v_div_fixup_f64 v[26:27], v[36:37], v[26:27], 1.0
; %bb.121:
	s_or_b64 exec, exec, s[0:1]
	v_cmp_ne_u32_e32 vcc, v29, v28
	s_and_saveexec_b64 s[0:1], vcc
	s_xor_b64 s[0:1], exec, s[0:1]
	s_cbranch_execz .LBB20_127
; %bb.122:
	v_cmp_eq_u32_e32 vcc, 7, v29
	s_and_saveexec_b64 s[2:3], vcc
	s_cbranch_execz .LBB20_126
; %bb.123:
	v_cmp_ne_u32_e32 vcc, 7, v28
	s_xor_b64 s[14:15], s[6:7], -1
	s_and_b64 s[16:17], s[14:15], vcc
	s_and_saveexec_b64 s[14:15], s[16:17]
	s_cbranch_execz .LBB20_125
; %bb.124:
	v_ashrrev_i32_e32 v29, 31, v28
	v_lshlrev_b64 v[36:37], 2, v[28:29]
	v_add_co_u32_e32 v36, vcc, v22, v36
	v_addc_co_u32_e32 v37, vcc, v23, v37, vcc
	flat_load_dword v29, v[36:37]
	flat_load_dword v30, v[22:23] offset:28
	s_waitcnt vmcnt(0) lgkmcnt(0)
	flat_store_dword v[22:23], v29 offset:28
	flat_store_dword v[36:37], v30
.LBB20_125:
	s_or_b64 exec, exec, s[14:15]
	v_mov_b32_e32 v34, v28
	v_mov_b32_e32 v29, v28
.LBB20_126:
	s_or_b64 exec, exec, s[2:3]
.LBB20_127:
	s_andn2_saveexec_b64 s[0:1], s[0:1]
	s_cbranch_execz .LBB20_129
; %bb.128:
	v_mov_b32_e32 v29, 7
	ds_write2_b64 v31, v[18:19], v[12:13] offset0:8 offset1:9
	ds_write_b64 v31, v[24:25] offset:80
.LBB20_129:
	s_or_b64 exec, exec, s[0:1]
	v_cmp_lt_i32_e32 vcc, 7, v29
	s_waitcnt lgkmcnt(0)
	s_barrier
	s_and_saveexec_b64 s[0:1], vcc
	s_cbranch_execz .LBB20_131
; %bb.130:
	ds_read2_b64 v[36:39], v31 offset0:8 offset1:9
	ds_read_b64 v[40:41], v31 offset:80
	v_mul_f64 v[6:7], v[6:7], v[26:27]
	s_waitcnt lgkmcnt(0)
	v_fma_f64 v[18:19], -v[6:7], v[36:37], v[18:19]
	v_fma_f64 v[12:13], -v[6:7], v[38:39], v[12:13]
	;; [unrolled: 1-line block ×3, first 2 shown]
.LBB20_131:
	s_or_b64 exec, exec, s[0:1]
	v_lshl_add_u32 v26, v29, 3, v31
	s_barrier
	ds_write_b64 v26, v[18:19]
	s_waitcnt lgkmcnt(0)
	s_barrier
	ds_read_b64 v[26:27], v31 offset:64
	s_cmp_lt_i32 s12, 10
	v_mov_b32_e32 v28, 8
	s_cbranch_scc1 .LBB20_134
; %bb.132:
	v_add_u32_e32 v30, 0x48, v31
	s_mov_b32 s0, 9
	v_mov_b32_e32 v28, 8
.LBB20_133:                             ; =>This Inner Loop Header: Depth=1
	ds_read_b64 v[36:37], v30
	v_mov_b32_e32 v38, s0
	s_add_i32 s0, s0, 1
	v_add_u32_e32 v30, 8, v30
	s_cmp_lg_u32 s12, s0
	s_waitcnt lgkmcnt(0)
	v_cmp_lt_f64_e64 vcc, |v[26:27]|, |v[36:37]|
	v_cndmask_b32_e32 v27, v27, v37, vcc
	v_cndmask_b32_e32 v26, v26, v36, vcc
	;; [unrolled: 1-line block ×3, first 2 shown]
	s_cbranch_scc1 .LBB20_133
.LBB20_134:
	s_waitcnt lgkmcnt(0)
	v_cmp_eq_f64_e32 vcc, 0, v[26:27]
	s_and_saveexec_b64 s[0:1], vcc
	s_xor_b64 s[0:1], exec, s[0:1]
; %bb.135:
	v_cmp_ne_u32_e32 vcc, 0, v35
	v_cndmask_b32_e32 v35, 9, v35, vcc
; %bb.136:
	s_andn2_saveexec_b64 s[0:1], s[0:1]
; %bb.137:
	v_div_scale_f64 v[36:37], s[2:3], v[26:27], v[26:27], 1.0
	v_rcp_f64_e32 v[38:39], v[36:37]
	v_div_scale_f64 v[40:41], vcc, 1.0, v[26:27], 1.0
	v_fma_f64 v[42:43], -v[36:37], v[38:39], 1.0
	v_fmac_f64_e32 v[38:39], v[38:39], v[42:43]
	v_fma_f64 v[42:43], -v[36:37], v[38:39], 1.0
	v_fmac_f64_e32 v[38:39], v[38:39], v[42:43]
	v_mul_f64 v[42:43], v[40:41], v[38:39]
	v_fma_f64 v[36:37], -v[36:37], v[42:43], v[40:41]
	v_div_fmas_f64 v[36:37], v[36:37], v[38:39], v[42:43]
	v_div_fixup_f64 v[26:27], v[36:37], v[26:27], 1.0
; %bb.138:
	s_or_b64 exec, exec, s[0:1]
	v_cmp_ne_u32_e32 vcc, v29, v28
	s_and_saveexec_b64 s[0:1], vcc
	s_xor_b64 s[0:1], exec, s[0:1]
	s_cbranch_execz .LBB20_144
; %bb.139:
	v_cmp_eq_u32_e32 vcc, 8, v29
	s_and_saveexec_b64 s[2:3], vcc
	s_cbranch_execz .LBB20_143
; %bb.140:
	v_cmp_ne_u32_e32 vcc, 8, v28
	s_xor_b64 s[14:15], s[6:7], -1
	s_and_b64 s[16:17], s[14:15], vcc
	s_and_saveexec_b64 s[14:15], s[16:17]
	s_cbranch_execz .LBB20_142
; %bb.141:
	v_ashrrev_i32_e32 v29, 31, v28
	v_lshlrev_b64 v[36:37], 2, v[28:29]
	v_add_co_u32_e32 v36, vcc, v22, v36
	v_addc_co_u32_e32 v37, vcc, v23, v37, vcc
	flat_load_dword v29, v[36:37]
	flat_load_dword v30, v[22:23] offset:32
	s_waitcnt vmcnt(0) lgkmcnt(0)
	flat_store_dword v[22:23], v29 offset:32
	flat_store_dword v[36:37], v30
.LBB20_142:
	s_or_b64 exec, exec, s[14:15]
	v_mov_b32_e32 v34, v28
	v_mov_b32_e32 v29, v28
.LBB20_143:
	s_or_b64 exec, exec, s[2:3]
.LBB20_144:
	s_andn2_saveexec_b64 s[0:1], s[0:1]
	s_cbranch_execz .LBB20_146
; %bb.145:
	v_mov_b32_e32 v29, 8
	ds_write2_b64 v31, v[12:13], v[24:25] offset0:9 offset1:10
.LBB20_146:
	s_or_b64 exec, exec, s[0:1]
	v_cmp_lt_i32_e32 vcc, 8, v29
	s_waitcnt lgkmcnt(0)
	s_barrier
	s_and_saveexec_b64 s[0:1], vcc
	s_cbranch_execz .LBB20_148
; %bb.147:
	ds_read2_b64 v[36:39], v31 offset0:9 offset1:10
	v_mul_f64 v[18:19], v[18:19], v[26:27]
	s_waitcnt lgkmcnt(0)
	v_fma_f64 v[12:13], -v[18:19], v[36:37], v[12:13]
	v_fma_f64 v[24:25], -v[18:19], v[38:39], v[24:25]
.LBB20_148:
	s_or_b64 exec, exec, s[0:1]
	v_lshl_add_u32 v26, v29, 3, v31
	s_barrier
	ds_write_b64 v26, v[12:13]
	s_waitcnt lgkmcnt(0)
	s_barrier
	ds_read_b64 v[26:27], v31 offset:72
	s_cmp_lt_i32 s12, 11
	v_mov_b32_e32 v28, 9
	s_cbranch_scc1 .LBB20_151
; %bb.149:
	v_add_u32_e32 v30, 0x50, v31
	s_mov_b32 s0, 10
	v_mov_b32_e32 v28, 9
.LBB20_150:                             ; =>This Inner Loop Header: Depth=1
	ds_read_b64 v[36:37], v30
	v_mov_b32_e32 v38, s0
	s_add_i32 s0, s0, 1
	v_add_u32_e32 v30, 8, v30
	s_cmp_lg_u32 s12, s0
	s_waitcnt lgkmcnt(0)
	v_cmp_lt_f64_e64 vcc, |v[26:27]|, |v[36:37]|
	v_cndmask_b32_e32 v27, v27, v37, vcc
	v_cndmask_b32_e32 v26, v26, v36, vcc
	;; [unrolled: 1-line block ×3, first 2 shown]
	s_cbranch_scc1 .LBB20_150
.LBB20_151:
	s_waitcnt lgkmcnt(0)
	v_cmp_eq_f64_e32 vcc, 0, v[26:27]
	s_and_saveexec_b64 s[0:1], vcc
	s_xor_b64 s[0:1], exec, s[0:1]
; %bb.152:
	v_cmp_ne_u32_e32 vcc, 0, v35
	v_cndmask_b32_e32 v35, 10, v35, vcc
; %bb.153:
	s_andn2_saveexec_b64 s[0:1], s[0:1]
; %bb.154:
	v_div_scale_f64 v[36:37], s[2:3], v[26:27], v[26:27], 1.0
	v_rcp_f64_e32 v[38:39], v[36:37]
	v_div_scale_f64 v[40:41], vcc, 1.0, v[26:27], 1.0
	v_fma_f64 v[42:43], -v[36:37], v[38:39], 1.0
	v_fmac_f64_e32 v[38:39], v[38:39], v[42:43]
	v_fma_f64 v[42:43], -v[36:37], v[38:39], 1.0
	v_fmac_f64_e32 v[38:39], v[38:39], v[42:43]
	v_mul_f64 v[42:43], v[40:41], v[38:39]
	v_fma_f64 v[36:37], -v[36:37], v[42:43], v[40:41]
	v_div_fmas_f64 v[36:37], v[36:37], v[38:39], v[42:43]
	v_div_fixup_f64 v[26:27], v[36:37], v[26:27], 1.0
; %bb.155:
	s_or_b64 exec, exec, s[0:1]
	v_cmp_ne_u32_e32 vcc, v29, v28
	s_and_saveexec_b64 s[0:1], vcc
	s_xor_b64 s[0:1], exec, s[0:1]
	s_cbranch_execz .LBB20_161
; %bb.156:
	v_cmp_eq_u32_e32 vcc, 9, v29
	s_and_saveexec_b64 s[2:3], vcc
	s_cbranch_execz .LBB20_160
; %bb.157:
	v_cmp_ne_u32_e32 vcc, 9, v28
	s_xor_b64 s[14:15], s[6:7], -1
	s_and_b64 s[16:17], s[14:15], vcc
	s_and_saveexec_b64 s[14:15], s[16:17]
	s_cbranch_execz .LBB20_159
; %bb.158:
	v_ashrrev_i32_e32 v29, 31, v28
	v_lshlrev_b64 v[36:37], 2, v[28:29]
	v_add_co_u32_e32 v36, vcc, v22, v36
	v_addc_co_u32_e32 v37, vcc, v23, v37, vcc
	flat_load_dword v29, v[36:37]
	flat_load_dword v30, v[22:23] offset:36
	s_waitcnt vmcnt(0) lgkmcnt(0)
	flat_store_dword v[22:23], v29 offset:36
	flat_store_dword v[36:37], v30
.LBB20_159:
	s_or_b64 exec, exec, s[14:15]
	v_mov_b32_e32 v34, v28
	v_mov_b32_e32 v29, v28
.LBB20_160:
	s_or_b64 exec, exec, s[2:3]
.LBB20_161:
	s_andn2_saveexec_b64 s[0:1], s[0:1]
	s_cbranch_execz .LBB20_163
; %bb.162:
	v_mov_b32_e32 v29, 9
	ds_write_b64 v31, v[24:25] offset:80
.LBB20_163:
	s_or_b64 exec, exec, s[0:1]
	v_cmp_lt_i32_e32 vcc, 9, v29
	s_waitcnt lgkmcnt(0)
	s_barrier
	s_and_saveexec_b64 s[0:1], vcc
	s_cbranch_execz .LBB20_165
; %bb.164:
	ds_read_b64 v[36:37], v31 offset:80
	v_mul_f64 v[12:13], v[12:13], v[26:27]
	s_waitcnt lgkmcnt(0)
	v_fma_f64 v[24:25], -v[12:13], v[36:37], v[24:25]
.LBB20_165:
	s_or_b64 exec, exec, s[0:1]
	v_lshl_add_u32 v26, v29, 3, v31
	s_barrier
	ds_write_b64 v26, v[24:25]
	s_waitcnt lgkmcnt(0)
	s_barrier
	ds_read_b64 v[26:27], v31 offset:80
	s_cmp_lt_i32 s12, 12
	v_mov_b32_e32 v30, 10
	s_cbranch_scc1 .LBB20_168
; %bb.166:
	v_add_u32_e32 v28, 0x58, v31
	s_mov_b32 s0, 11
	v_mov_b32_e32 v30, 10
.LBB20_167:                             ; =>This Inner Loop Header: Depth=1
	ds_read_b64 v[36:37], v28
	v_mov_b32_e32 v31, s0
	s_add_i32 s0, s0, 1
	v_add_u32_e32 v28, 8, v28
	s_cmp_lg_u32 s12, s0
	s_waitcnt lgkmcnt(0)
	v_cmp_lt_f64_e64 vcc, |v[26:27]|, |v[36:37]|
	v_cndmask_b32_e32 v27, v27, v37, vcc
	v_cndmask_b32_e32 v26, v26, v36, vcc
	;; [unrolled: 1-line block ×3, first 2 shown]
	s_cbranch_scc1 .LBB20_167
.LBB20_168:
	s_waitcnt lgkmcnt(0)
	v_cmp_eq_f64_e32 vcc, 0, v[26:27]
	s_and_saveexec_b64 s[0:1], vcc
	s_xor_b64 s[0:1], exec, s[0:1]
; %bb.169:
	v_cmp_ne_u32_e32 vcc, 0, v35
	v_cndmask_b32_e32 v35, 11, v35, vcc
; %bb.170:
	s_andn2_saveexec_b64 s[0:1], s[0:1]
; %bb.171:
	v_div_scale_f64 v[36:37], s[2:3], v[26:27], v[26:27], 1.0
	v_rcp_f64_e32 v[38:39], v[36:37]
	v_div_scale_f64 v[40:41], vcc, 1.0, v[26:27], 1.0
	v_fma_f64 v[42:43], -v[36:37], v[38:39], 1.0
	v_fmac_f64_e32 v[38:39], v[38:39], v[42:43]
	v_fma_f64 v[42:43], -v[36:37], v[38:39], 1.0
	v_fmac_f64_e32 v[38:39], v[38:39], v[42:43]
	v_mul_f64 v[42:43], v[40:41], v[38:39]
	v_fma_f64 v[36:37], -v[36:37], v[42:43], v[40:41]
	v_div_fmas_f64 v[36:37], v[36:37], v[38:39], v[42:43]
	v_div_fixup_f64 v[26:27], v[36:37], v[26:27], 1.0
; %bb.172:
	s_or_b64 exec, exec, s[0:1]
	v_cmp_ne_u32_e32 vcc, v29, v30
	v_mov_b32_e32 v28, 10
	s_and_saveexec_b64 s[0:1], vcc
	s_cbranch_execz .LBB20_178
; %bb.173:
	v_cmp_eq_u32_e32 vcc, 10, v29
	s_and_saveexec_b64 s[2:3], vcc
	s_cbranch_execz .LBB20_177
; %bb.174:
	v_cmp_ne_u32_e32 vcc, 10, v30
	s_xor_b64 s[6:7], s[6:7], -1
	s_and_b64 s[14:15], s[6:7], vcc
	s_and_saveexec_b64 s[6:7], s[14:15]
	s_cbranch_execz .LBB20_176
; %bb.175:
	v_ashrrev_i32_e32 v31, 31, v30
	v_lshlrev_b64 v[28:29], 2, v[30:31]
	v_add_co_u32_e32 v28, vcc, v22, v28
	v_addc_co_u32_e32 v29, vcc, v23, v29, vcc
	flat_load_dword v31, v[28:29]
	flat_load_dword v34, v[22:23] offset:40
	s_waitcnt vmcnt(0) lgkmcnt(0)
	flat_store_dword v[22:23], v31 offset:40
	flat_store_dword v[28:29], v34
.LBB20_176:
	s_or_b64 exec, exec, s[6:7]
	v_mov_b32_e32 v34, v30
	v_mov_b32_e32 v29, v30
.LBB20_177:
	s_or_b64 exec, exec, s[2:3]
	v_mov_b32_e32 v28, v29
.LBB20_178:
	s_or_b64 exec, exec, s[0:1]
	s_load_dwordx8 s[0:7], s[4:5], 0x28
	v_cmp_gt_i32_e32 vcc, 11, v28
	v_ashrrev_i32_e32 v29, 31, v28
	s_waitcnt lgkmcnt(0)
	s_barrier
	s_barrier
	s_and_saveexec_b64 s[14:15], vcc
	s_cbranch_execz .LBB20_180
; %bb.179:
	v_mul_lo_u32 v30, v3, s4
	v_mul_lo_u32 v31, v2, s5
	v_mad_u64_u32 v[22:23], s[4:5], v2, s4, 0
	s_lshl_b64 s[2:3], s[2:3], 2
	v_add3_u32 v23, v23, v31, v30
	s_add_u32 s0, s2, s0
	v_lshlrev_b64 v[22:23], 2, v[22:23]
	s_addc_u32 s1, s3, s1
	v_mov_b32_e32 v30, s1
	v_add_co_u32_e32 v31, vcc, s0, v22
	v_addc_co_u32_e32 v30, vcc, v30, v23, vcc
	v_lshlrev_b64 v[22:23], 2, v[28:29]
	v_add_co_u32_e32 v22, vcc, v31, v22
	v_addc_co_u32_e32 v23, vcc, v30, v23, vcc
	v_add3_u32 v30, v34, s13, 1
	global_store_dword v[22:23], v30, off
.LBB20_180:
	s_or_b64 exec, exec, s[14:15]
	v_cmp_eq_u32_e32 vcc, 0, v28
	s_and_saveexec_b64 s[2:3], vcc
	s_cbranch_execz .LBB20_183
; %bb.181:
	v_lshlrev_b64 v[2:3], 2, v[2:3]
	v_mov_b32_e32 v22, s7
	v_add_co_u32_e32 v2, vcc, s6, v2
	v_addc_co_u32_e32 v3, vcc, v22, v3, vcc
	global_load_dword v22, v[2:3], off
	v_cmp_lt_i32_e64 s[0:1], 0, v35
	s_waitcnt vmcnt(0)
	v_cmp_eq_u32_e32 vcc, 0, v22
	s_and_b64 s[0:1], vcc, s[0:1]
	s_and_b64 exec, exec, s[0:1]
	s_cbranch_execz .LBB20_183
; %bb.182:
	v_add_u32_e32 v22, s13, v35
	global_store_dword v[2:3], v22, off
.LBB20_183:
	s_or_b64 exec, exec, s[2:3]
	v_mul_f64 v[2:3], v[24:25], v[26:27]
	v_cmp_lt_i32_e32 vcc, 10, v28
	v_lshlrev_b64 v[22:23], 3, v[28:29]
	v_cndmask_b32_e32 v3, v25, v3, vcc
	v_cndmask_b32_e32 v2, v24, v2, vcc
	v_add_co_u32_e32 v22, vcc, v32, v22
	v_addc_co_u32_e32 v23, vcc, v33, v23, vcc
	global_store_dwordx2 v[22:23], v[14:15], off
	v_mov_b32_e32 v15, s11
	v_add_co_u32_e32 v14, vcc, s10, v22
	v_addc_co_u32_e32 v15, vcc, v23, v15, vcc
	global_store_dwordx2 v[14:15], v[10:11], off
	v_add_u32_e32 v10, s9, v28
	v_ashrrev_i32_e32 v11, 31, v10
	v_lshlrev_b64 v[14:15], 3, v[10:11]
	v_add_co_u32_e32 v14, vcc, v32, v14
	v_addc_co_u32_e32 v15, vcc, v33, v15, vcc
	global_store_dwordx2 v[14:15], v[4:5], off
	v_add_u32_e32 v4, s8, v10
	v_ashrrev_i32_e32 v5, 31, v4
	v_lshlrev_b64 v[10:11], 3, v[4:5]
	;; [unrolled: 6-line block ×3, first 2 shown]
	v_add_co_u32_e32 v4, vcc, v32, v4
	v_add_u32_e32 v0, s8, v0
	v_addc_co_u32_e32 v5, vcc, v33, v5, vcc
	v_ashrrev_i32_e32 v1, 31, v0
	global_store_dwordx2 v[4:5], v[20:21], off
	v_lshlrev_b64 v[4:5], 3, v[0:1]
	v_add_co_u32_e32 v4, vcc, v32, v4
	v_add_u32_e32 v0, s8, v0
	v_addc_co_u32_e32 v5, vcc, v33, v5, vcc
	v_ashrrev_i32_e32 v1, 31, v0
	global_store_dwordx2 v[4:5], v[16:17], off
	v_lshlrev_b64 v[4:5], 3, v[0:1]
	;; [unrolled: 6-line block ×5, first 2 shown]
	v_add_u32_e32 v0, s8, v0
	v_add_co_u32_e32 v4, vcc, v32, v4
	v_ashrrev_i32_e32 v1, 31, v0
	v_addc_co_u32_e32 v5, vcc, v33, v5, vcc
	v_lshlrev_b64 v[0:1], 3, v[0:1]
	v_add_co_u32_e32 v0, vcc, v32, v0
	v_addc_co_u32_e32 v1, vcc, v33, v1, vcc
	global_store_dwordx2 v[4:5], v[12:13], off
	global_store_dwordx2 v[0:1], v[2:3], off
.LBB20_184:
	s_endpgm
	.section	.rodata,"a",@progbits
	.p2align	6, 0x0
	.amdhsa_kernel _ZN9rocsolver6v33100L18getf2_small_kernelILi11EdiiPKPdEEvT1_T3_lS5_lPS5_llPT2_S5_S5_S7_l
		.amdhsa_group_segment_fixed_size 0
		.amdhsa_private_segment_fixed_size 0
		.amdhsa_kernarg_size 352
		.amdhsa_user_sgpr_count 6
		.amdhsa_user_sgpr_private_segment_buffer 1
		.amdhsa_user_sgpr_dispatch_ptr 0
		.amdhsa_user_sgpr_queue_ptr 0
		.amdhsa_user_sgpr_kernarg_segment_ptr 1
		.amdhsa_user_sgpr_dispatch_id 0
		.amdhsa_user_sgpr_flat_scratch_init 0
		.amdhsa_user_sgpr_kernarg_preload_length 0
		.amdhsa_user_sgpr_kernarg_preload_offset 0
		.amdhsa_user_sgpr_private_segment_size 0
		.amdhsa_uses_dynamic_stack 0
		.amdhsa_system_sgpr_private_segment_wavefront_offset 0
		.amdhsa_system_sgpr_workgroup_id_x 1
		.amdhsa_system_sgpr_workgroup_id_y 1
		.amdhsa_system_sgpr_workgroup_id_z 0
		.amdhsa_system_sgpr_workgroup_info 0
		.amdhsa_system_vgpr_workitem_id 1
		.amdhsa_next_free_vgpr 48
		.amdhsa_next_free_sgpr 20
		.amdhsa_accum_offset 48
		.amdhsa_reserve_vcc 1
		.amdhsa_reserve_flat_scratch 0
		.amdhsa_float_round_mode_32 0
		.amdhsa_float_round_mode_16_64 0
		.amdhsa_float_denorm_mode_32 3
		.amdhsa_float_denorm_mode_16_64 3
		.amdhsa_dx10_clamp 1
		.amdhsa_ieee_mode 1
		.amdhsa_fp16_overflow 0
		.amdhsa_tg_split 0
		.amdhsa_exception_fp_ieee_invalid_op 0
		.amdhsa_exception_fp_denorm_src 0
		.amdhsa_exception_fp_ieee_div_zero 0
		.amdhsa_exception_fp_ieee_overflow 0
		.amdhsa_exception_fp_ieee_underflow 0
		.amdhsa_exception_fp_ieee_inexact 0
		.amdhsa_exception_int_div_zero 0
	.end_amdhsa_kernel
	.section	.text._ZN9rocsolver6v33100L18getf2_small_kernelILi11EdiiPKPdEEvT1_T3_lS5_lPS5_llPT2_S5_S5_S7_l,"axG",@progbits,_ZN9rocsolver6v33100L18getf2_small_kernelILi11EdiiPKPdEEvT1_T3_lS5_lPS5_llPT2_S5_S5_S7_l,comdat
.Lfunc_end20:
	.size	_ZN9rocsolver6v33100L18getf2_small_kernelILi11EdiiPKPdEEvT1_T3_lS5_lPS5_llPT2_S5_S5_S7_l, .Lfunc_end20-_ZN9rocsolver6v33100L18getf2_small_kernelILi11EdiiPKPdEEvT1_T3_lS5_lPS5_llPT2_S5_S5_S7_l
                                        ; -- End function
	.section	.AMDGPU.csdata,"",@progbits
; Kernel info:
; codeLenInByte = 6440
; NumSgprs: 24
; NumVgprs: 48
; NumAgprs: 0
; TotalNumVgprs: 48
; ScratchSize: 0
; MemoryBound: 0
; FloatMode: 240
; IeeeMode: 1
; LDSByteSize: 0 bytes/workgroup (compile time only)
; SGPRBlocks: 2
; VGPRBlocks: 5
; NumSGPRsForWavesPerEU: 24
; NumVGPRsForWavesPerEU: 48
; AccumOffset: 48
; Occupancy: 8
; WaveLimiterHint : 1
; COMPUTE_PGM_RSRC2:SCRATCH_EN: 0
; COMPUTE_PGM_RSRC2:USER_SGPR: 6
; COMPUTE_PGM_RSRC2:TRAP_HANDLER: 0
; COMPUTE_PGM_RSRC2:TGID_X_EN: 1
; COMPUTE_PGM_RSRC2:TGID_Y_EN: 1
; COMPUTE_PGM_RSRC2:TGID_Z_EN: 0
; COMPUTE_PGM_RSRC2:TIDIG_COMP_CNT: 1
; COMPUTE_PGM_RSRC3_GFX90A:ACCUM_OFFSET: 11
; COMPUTE_PGM_RSRC3_GFX90A:TG_SPLIT: 0
	.section	.text._ZN9rocsolver6v33100L23getf2_npvt_small_kernelILi11EdiiPKPdEEvT1_T3_lS5_lPT2_S5_S5_,"axG",@progbits,_ZN9rocsolver6v33100L23getf2_npvt_small_kernelILi11EdiiPKPdEEvT1_T3_lS5_lPT2_S5_S5_,comdat
	.globl	_ZN9rocsolver6v33100L23getf2_npvt_small_kernelILi11EdiiPKPdEEvT1_T3_lS5_lPT2_S5_S5_ ; -- Begin function _ZN9rocsolver6v33100L23getf2_npvt_small_kernelILi11EdiiPKPdEEvT1_T3_lS5_lPT2_S5_S5_
	.p2align	8
	.type	_ZN9rocsolver6v33100L23getf2_npvt_small_kernelILi11EdiiPKPdEEvT1_T3_lS5_lPT2_S5_S5_,@function
_ZN9rocsolver6v33100L23getf2_npvt_small_kernelILi11EdiiPKPdEEvT1_T3_lS5_lPT2_S5_S5_: ; @_ZN9rocsolver6v33100L23getf2_npvt_small_kernelILi11EdiiPKPdEEvT1_T3_lS5_lPT2_S5_S5_
; %bb.0:
	s_load_dword s0, s[4:5], 0x44
	s_load_dwordx2 s[20:21], s[4:5], 0x30
	v_bfe_u32 v46, v0, 10, 10
	s_waitcnt lgkmcnt(0)
	s_lshr_b32 s8, s0, 16
	s_mul_i32 s7, s7, s8
	v_add_u32_e32 v2, s7, v46
	v_cmp_gt_i32_e32 vcc, s20, v2
	s_and_saveexec_b64 s[0:1], vcc
	s_cbranch_execz .LBB21_59
; %bb.1:
	s_load_dwordx4 s[12:15], s[4:5], 0x8
	s_load_dword s0, s[4:5], 0x18
	v_ashrrev_i32_e32 v3, 31, v2
	v_lshlrev_b64 v[4:5], 3, v[2:3]
	v_and_b32_e32 v68, 0x3ff, v0
	s_waitcnt lgkmcnt(0)
	v_mov_b32_e32 v1, s13
	v_add_co_u32_e32 v4, vcc, s12, v4
	v_addc_co_u32_e32 v5, vcc, v1, v5, vcc
	global_load_dwordx2 v[4:5], v[4:5], off
	s_add_i32 s9, s0, s0
	v_add_u32_e32 v0, s9, v68
	v_ashrrev_i32_e32 v1, 31, v0
	v_add_u32_e32 v6, s0, v0
	v_lshlrev_b64 v[8:9], 3, v[0:1]
	v_add_u32_e32 v0, s0, v6
	v_ashrrev_i32_e32 v1, 31, v0
	v_add_u32_e32 v10, s0, v0
	v_lshlrev_b64 v[12:13], 3, v[0:1]
	v_add_u32_e32 v0, s0, v10
	s_lshl_b64 s[6:7], s[14:15], 3
	v_ashrrev_i32_e32 v1, 31, v0
	v_add_u32_e32 v14, s0, v0
	v_mov_b32_e32 v21, s7
	v_lshlrev_b64 v[16:17], 3, v[0:1]
	v_add_u32_e32 v0, s0, v14
	v_lshlrev_b32_e32 v20, 3, v68
	v_ashrrev_i32_e32 v1, 31, v0
	v_add_u32_e32 v38, s0, v0
	v_lshlrev_b64 v[18:19], 3, v[0:1]
	v_ashrrev_i32_e32 v7, 31, v6
	v_lshlrev_b64 v[6:7], 3, v[6:7]
	v_ashrrev_i32_e32 v11, 31, v10
	;; [unrolled: 2-line block ×3, first 2 shown]
	v_lshlrev_b64 v[14:15], 3, v[14:15]
	s_ashr_i32 s1, s0, 31
	s_lshl_b64 s[2:3], s[0:1], 3
	v_mov_b32_e32 v22, s3
	v_ashrrev_i32_e32 v39, 31, v38
	v_lshlrev_b64 v[28:29], 3, v[38:39]
	v_add_u32_e32 v38, s0, v38
	v_ashrrev_i32_e32 v39, 31, v38
	v_lshlrev_b64 v[38:39], 3, v[38:39]
	s_mulk_i32 s8, 0x58
	s_movk_i32 s0, 0x58
	s_add_i32 s1, s8, 0
	v_mad_u32_u24 v67, v46, s0, 0
	v_lshl_add_u32 v66, v46, 3, s1
	v_cmp_eq_u32_e64 s[0:1], 0, v68
	s_waitcnt vmcnt(0)
	v_add_co_u32_e32 v40, vcc, s6, v4
	v_addc_co_u32_e32 v41, vcc, v5, v21, vcc
	v_add_co_u32_e32 v0, vcc, v40, v20
	v_addc_co_u32_e32 v1, vcc, 0, v41, vcc
	;; [unrolled: 2-line block ×10, first 2 shown]
	global_load_dwordx2 v[18:19], v[8:9], off
	global_load_dwordx2 v[20:21], v[10:11], off
	;; [unrolled: 1-line block ×8, first 2 shown]
	v_add_co_u32_e32 v28, vcc, v40, v28
	v_addc_co_u32_e32 v29, vcc, v41, v29, vcc
	v_add_co_u32_e32 v38, vcc, v40, v38
	v_addc_co_u32_e32 v39, vcc, v41, v39, vcc
	global_load_dwordx2 v[40:41], v[16:17], off
	global_load_dwordx2 v[42:43], v[28:29], off
	global_load_dwordx2 v[44:45], v[38:39], off
	v_cmp_ne_u32_e64 s[2:3], 0, v68
	s_and_saveexec_b64 s[6:7], s[0:1]
	s_cbranch_execz .LBB21_4
; %bb.2:
	s_waitcnt vmcnt(6)
	ds_write_b64 v66, v[30:31]
	s_waitcnt vmcnt(4)
	ds_write2_b64 v67, v[32:33], v[34:35] offset0:1 offset1:2
	s_waitcnt vmcnt(3)
	ds_write2_b64 v67, v[36:37], v[18:19] offset0:3 offset1:4
	ds_write2_b64 v67, v[20:21], v[22:23] offset0:5 offset1:6
	s_waitcnt vmcnt(2)
	ds_write2_b64 v67, v[24:25], v[40:41] offset0:7 offset1:8
	s_waitcnt vmcnt(0)
	ds_write2_b64 v67, v[42:43], v[44:45] offset0:9 offset1:10
	ds_read_b64 v[46:47], v66
	s_waitcnt lgkmcnt(0)
	v_cmp_neq_f64_e32 vcc, 0, v[46:47]
	s_and_b64 exec, exec, vcc
	s_cbranch_execz .LBB21_4
; %bb.3:
	v_div_scale_f64 v[48:49], s[8:9], v[46:47], v[46:47], 1.0
	v_rcp_f64_e32 v[50:51], v[48:49]
	v_div_scale_f64 v[52:53], vcc, 1.0, v[46:47], 1.0
	v_fma_f64 v[54:55], -v[48:49], v[50:51], 1.0
	v_fmac_f64_e32 v[50:51], v[50:51], v[54:55]
	v_fma_f64 v[54:55], -v[48:49], v[50:51], 1.0
	v_fmac_f64_e32 v[50:51], v[50:51], v[54:55]
	v_mul_f64 v[54:55], v[52:53], v[50:51]
	v_fma_f64 v[48:49], -v[48:49], v[54:55], v[52:53]
	v_div_fmas_f64 v[48:49], v[48:49], v[50:51], v[54:55]
	v_div_fixup_f64 v[46:47], v[48:49], v[46:47], 1.0
	ds_write_b64 v66, v[46:47]
.LBB21_4:
	s_or_b64 exec, exec, s[6:7]
	s_waitcnt lgkmcnt(0)
	s_barrier
	ds_read_b64 v[46:47], v66
	s_and_saveexec_b64 s[6:7], s[2:3]
	s_cbranch_execz .LBB21_6
; %bb.5:
	ds_read2_b64 v[48:51], v67 offset0:1 offset1:2
	ds_read2_b64 v[52:55], v67 offset0:3 offset1:4
	s_waitcnt vmcnt(6) lgkmcnt(2)
	v_mul_f64 v[30:31], v[30:31], v[46:47]
	ds_read2_b64 v[56:59], v67 offset0:7 offset1:8
	s_waitcnt vmcnt(5) lgkmcnt(2)
	v_fma_f64 v[32:33], -v[30:31], v[48:49], v[32:33]
	s_waitcnt vmcnt(4)
	v_fma_f64 v[34:35], -v[30:31], v[50:51], v[34:35]
	ds_read2_b64 v[48:51], v67 offset0:5 offset1:6
	s_waitcnt vmcnt(3) lgkmcnt(2)
	v_fma_f64 v[36:37], -v[30:31], v[52:53], v[36:37]
	v_fma_f64 v[18:19], -v[30:31], v[54:55], v[18:19]
	ds_read2_b64 v[52:55], v67 offset0:9 offset1:10
	s_waitcnt lgkmcnt(2)
	v_fma_f64 v[24:25], -v[30:31], v[56:57], v[24:25]
	s_waitcnt lgkmcnt(1)
	v_fma_f64 v[20:21], -v[30:31], v[48:49], v[20:21]
	v_fma_f64 v[22:23], -v[30:31], v[50:51], v[22:23]
	s_waitcnt vmcnt(2)
	v_fma_f64 v[40:41], -v[30:31], v[58:59], v[40:41]
	s_waitcnt vmcnt(1) lgkmcnt(0)
	v_fma_f64 v[42:43], -v[30:31], v[52:53], v[42:43]
	s_waitcnt vmcnt(0)
	v_fma_f64 v[44:45], -v[30:31], v[54:55], v[44:45]
.LBB21_6:
	s_or_b64 exec, exec, s[6:7]
	v_cmp_eq_u32_e32 vcc, 1, v68
	s_waitcnt lgkmcnt(0)
	s_barrier
	s_and_saveexec_b64 s[2:3], vcc
	s_cbranch_execz .LBB21_9
; %bb.7:
	s_waitcnt vmcnt(5)
	ds_write_b64 v66, v[32:33]
	s_waitcnt vmcnt(3)
	ds_write2_b64 v67, v[34:35], v[36:37] offset0:2 offset1:3
	ds_write2_b64 v67, v[18:19], v[20:21] offset0:4 offset1:5
	;; [unrolled: 1-line block ×3, first 2 shown]
	s_waitcnt vmcnt(1)
	ds_write2_b64 v67, v[40:41], v[42:43] offset0:8 offset1:9
	s_waitcnt vmcnt(0)
	ds_write_b64 v67, v[44:45] offset:80
	ds_read_b64 v[48:49], v66
	s_waitcnt lgkmcnt(0)
	v_cmp_neq_f64_e32 vcc, 0, v[48:49]
	s_and_b64 exec, exec, vcc
	s_cbranch_execz .LBB21_9
; %bb.8:
	v_div_scale_f64 v[50:51], s[6:7], v[48:49], v[48:49], 1.0
	v_rcp_f64_e32 v[52:53], v[50:51]
	v_div_scale_f64 v[54:55], vcc, 1.0, v[48:49], 1.0
	v_fma_f64 v[56:57], -v[50:51], v[52:53], 1.0
	v_fmac_f64_e32 v[52:53], v[52:53], v[56:57]
	v_fma_f64 v[56:57], -v[50:51], v[52:53], 1.0
	v_fmac_f64_e32 v[52:53], v[52:53], v[56:57]
	v_mul_f64 v[56:57], v[54:55], v[52:53]
	v_fma_f64 v[50:51], -v[50:51], v[56:57], v[54:55]
	v_div_fmas_f64 v[50:51], v[50:51], v[52:53], v[56:57]
	v_div_fixup_f64 v[48:49], v[50:51], v[48:49], 1.0
	ds_write_b64 v66, v[48:49]
.LBB21_9:
	s_or_b64 exec, exec, s[2:3]
	s_waitcnt lgkmcnt(0)
	s_barrier
	ds_read_b64 v[48:49], v66
	v_cmp_lt_u32_e32 vcc, 1, v68
	s_and_saveexec_b64 s[2:3], vcc
	s_cbranch_execz .LBB21_11
; %bb.10:
	ds_read2_b64 v[50:53], v67 offset0:2 offset1:3
	ds_read2_b64 v[54:57], v67 offset0:4 offset1:5
	s_waitcnt vmcnt(5) lgkmcnt(2)
	v_mul_f64 v[32:33], v[32:33], v[48:49]
	ds_read2_b64 v[58:61], v67 offset0:8 offset1:9
	s_waitcnt vmcnt(4) lgkmcnt(2)
	v_fma_f64 v[34:35], -v[32:33], v[50:51], v[34:35]
	s_waitcnt vmcnt(3)
	v_fma_f64 v[36:37], -v[32:33], v[52:53], v[36:37]
	ds_read2_b64 v[50:53], v67 offset0:6 offset1:7
	s_waitcnt lgkmcnt(2)
	v_fma_f64 v[18:19], -v[32:33], v[54:55], v[18:19]
	ds_read_b64 v[54:55], v67 offset:80
	v_fma_f64 v[20:21], -v[32:33], v[56:57], v[20:21]
	s_waitcnt vmcnt(2) lgkmcnt(2)
	v_fma_f64 v[40:41], -v[32:33], v[58:59], v[40:41]
	s_waitcnt lgkmcnt(1)
	v_fma_f64 v[22:23], -v[32:33], v[50:51], v[22:23]
	v_fma_f64 v[24:25], -v[32:33], v[52:53], v[24:25]
	s_waitcnt vmcnt(1)
	v_fma_f64 v[42:43], -v[32:33], v[60:61], v[42:43]
	s_waitcnt vmcnt(0) lgkmcnt(0)
	v_fma_f64 v[44:45], -v[32:33], v[54:55], v[44:45]
.LBB21_11:
	s_or_b64 exec, exec, s[2:3]
	v_cmp_eq_u32_e32 vcc, 2, v68
	s_waitcnt lgkmcnt(0)
	s_barrier
	s_and_saveexec_b64 s[2:3], vcc
	s_cbranch_execz .LBB21_14
; %bb.12:
	s_waitcnt vmcnt(4)
	ds_write_b64 v66, v[34:35]
	s_waitcnt vmcnt(3)
	ds_write2_b64 v67, v[36:37], v[18:19] offset0:3 offset1:4
	ds_write2_b64 v67, v[20:21], v[22:23] offset0:5 offset1:6
	s_waitcnt vmcnt(2)
	ds_write2_b64 v67, v[24:25], v[40:41] offset0:7 offset1:8
	s_waitcnt vmcnt(0)
	ds_write2_b64 v67, v[42:43], v[44:45] offset0:9 offset1:10
	ds_read_b64 v[50:51], v66
	s_waitcnt lgkmcnt(0)
	v_cmp_neq_f64_e32 vcc, 0, v[50:51]
	s_and_b64 exec, exec, vcc
	s_cbranch_execz .LBB21_14
; %bb.13:
	v_div_scale_f64 v[52:53], s[6:7], v[50:51], v[50:51], 1.0
	v_rcp_f64_e32 v[54:55], v[52:53]
	v_div_scale_f64 v[56:57], vcc, 1.0, v[50:51], 1.0
	v_fma_f64 v[58:59], -v[52:53], v[54:55], 1.0
	v_fmac_f64_e32 v[54:55], v[54:55], v[58:59]
	v_fma_f64 v[58:59], -v[52:53], v[54:55], 1.0
	v_fmac_f64_e32 v[54:55], v[54:55], v[58:59]
	v_mul_f64 v[58:59], v[56:57], v[54:55]
	v_fma_f64 v[52:53], -v[52:53], v[58:59], v[56:57]
	v_div_fmas_f64 v[52:53], v[52:53], v[54:55], v[58:59]
	v_div_fixup_f64 v[50:51], v[52:53], v[50:51], 1.0
	ds_write_b64 v66, v[50:51]
.LBB21_14:
	s_or_b64 exec, exec, s[2:3]
	s_waitcnt lgkmcnt(0)
	s_barrier
	ds_read_b64 v[50:51], v66
	v_cmp_lt_u32_e32 vcc, 2, v68
	s_and_saveexec_b64 s[2:3], vcc
	s_cbranch_execz .LBB21_16
; %bb.15:
	ds_read2_b64 v[52:55], v67 offset0:3 offset1:4
	ds_read2_b64 v[56:59], v67 offset0:5 offset1:6
	s_waitcnt vmcnt(4) lgkmcnt(2)
	v_mul_f64 v[34:35], v[34:35], v[50:51]
	ds_read2_b64 v[60:63], v67 offset0:7 offset1:8
	s_waitcnt vmcnt(3) lgkmcnt(2)
	v_fma_f64 v[36:37], -v[34:35], v[52:53], v[36:37]
	v_fma_f64 v[18:19], -v[34:35], v[54:55], v[18:19]
	ds_read2_b64 v[52:55], v67 offset0:9 offset1:10
	s_waitcnt lgkmcnt(2)
	v_fma_f64 v[20:21], -v[34:35], v[56:57], v[20:21]
	v_fma_f64 v[22:23], -v[34:35], v[58:59], v[22:23]
	s_waitcnt lgkmcnt(1)
	v_fma_f64 v[24:25], -v[34:35], v[60:61], v[24:25]
	s_waitcnt vmcnt(2)
	v_fma_f64 v[40:41], -v[34:35], v[62:63], v[40:41]
	s_waitcnt vmcnt(1) lgkmcnt(0)
	v_fma_f64 v[42:43], -v[34:35], v[52:53], v[42:43]
	s_waitcnt vmcnt(0)
	v_fma_f64 v[44:45], -v[34:35], v[54:55], v[44:45]
.LBB21_16:
	s_or_b64 exec, exec, s[2:3]
	v_cmp_eq_u32_e32 vcc, 3, v68
	s_waitcnt lgkmcnt(0)
	s_barrier
	s_and_saveexec_b64 s[2:3], vcc
	s_cbranch_execz .LBB21_19
; %bb.17:
	s_waitcnt vmcnt(3)
	ds_write_b64 v66, v[36:37]
	ds_write2_b64 v67, v[18:19], v[20:21] offset0:4 offset1:5
	ds_write2_b64 v67, v[22:23], v[24:25] offset0:6 offset1:7
	s_waitcnt vmcnt(1)
	ds_write2_b64 v67, v[40:41], v[42:43] offset0:8 offset1:9
	s_waitcnt vmcnt(0)
	ds_write_b64 v67, v[44:45] offset:80
	ds_read_b64 v[52:53], v66
	s_waitcnt lgkmcnt(0)
	v_cmp_neq_f64_e32 vcc, 0, v[52:53]
	s_and_b64 exec, exec, vcc
	s_cbranch_execz .LBB21_19
; %bb.18:
	v_div_scale_f64 v[54:55], s[6:7], v[52:53], v[52:53], 1.0
	v_rcp_f64_e32 v[56:57], v[54:55]
	v_div_scale_f64 v[58:59], vcc, 1.0, v[52:53], 1.0
	v_fma_f64 v[60:61], -v[54:55], v[56:57], 1.0
	v_fmac_f64_e32 v[56:57], v[56:57], v[60:61]
	v_fma_f64 v[60:61], -v[54:55], v[56:57], 1.0
	v_fmac_f64_e32 v[56:57], v[56:57], v[60:61]
	v_mul_f64 v[60:61], v[58:59], v[56:57]
	v_fma_f64 v[54:55], -v[54:55], v[60:61], v[58:59]
	v_div_fmas_f64 v[54:55], v[54:55], v[56:57], v[60:61]
	v_div_fixup_f64 v[52:53], v[54:55], v[52:53], 1.0
	ds_write_b64 v66, v[52:53]
.LBB21_19:
	s_or_b64 exec, exec, s[2:3]
	s_waitcnt lgkmcnt(0)
	s_barrier
	ds_read_b64 v[52:53], v66
	v_cmp_lt_u32_e32 vcc, 3, v68
	s_and_saveexec_b64 s[2:3], vcc
	s_cbranch_execz .LBB21_21
; %bb.20:
	ds_read2_b64 v[54:57], v67 offset0:4 offset1:5
	ds_read2_b64 v[58:61], v67 offset0:6 offset1:7
	s_waitcnt vmcnt(3) lgkmcnt(2)
	v_mul_f64 v[36:37], v[36:37], v[52:53]
	ds_read2_b64 v[62:65], v67 offset0:8 offset1:9
	s_waitcnt lgkmcnt(2)
	v_fma_f64 v[18:19], -v[36:37], v[54:55], v[18:19]
	ds_read_b64 v[54:55], v67 offset:80
	v_fma_f64 v[20:21], -v[36:37], v[56:57], v[20:21]
	s_waitcnt lgkmcnt(2)
	v_fma_f64 v[22:23], -v[36:37], v[58:59], v[22:23]
	v_fma_f64 v[24:25], -v[36:37], v[60:61], v[24:25]
	s_waitcnt vmcnt(2) lgkmcnt(1)
	v_fma_f64 v[40:41], -v[36:37], v[62:63], v[40:41]
	s_waitcnt vmcnt(1)
	v_fma_f64 v[42:43], -v[36:37], v[64:65], v[42:43]
	s_waitcnt vmcnt(0) lgkmcnt(0)
	v_fma_f64 v[44:45], -v[36:37], v[54:55], v[44:45]
.LBB21_21:
	s_or_b64 exec, exec, s[2:3]
	v_cmp_eq_u32_e32 vcc, 4, v68
	s_waitcnt lgkmcnt(0)
	s_barrier
	s_and_saveexec_b64 s[2:3], vcc
	s_cbranch_execz .LBB21_24
; %bb.22:
	s_waitcnt vmcnt(10)
	ds_write_b64 v66, v[18:19]
	s_waitcnt vmcnt(8)
	ds_write2_b64 v67, v[20:21], v[22:23] offset0:5 offset1:6
	s_waitcnt vmcnt(2)
	ds_write2_b64 v67, v[24:25], v[40:41] offset0:7 offset1:8
	;; [unrolled: 2-line block ×3, first 2 shown]
	ds_read_b64 v[54:55], v66
	s_waitcnt lgkmcnt(0)
	v_cmp_neq_f64_e32 vcc, 0, v[54:55]
	s_and_b64 exec, exec, vcc
	s_cbranch_execz .LBB21_24
; %bb.23:
	v_div_scale_f64 v[56:57], s[6:7], v[54:55], v[54:55], 1.0
	v_rcp_f64_e32 v[58:59], v[56:57]
	v_div_scale_f64 v[60:61], vcc, 1.0, v[54:55], 1.0
	v_fma_f64 v[62:63], -v[56:57], v[58:59], 1.0
	v_fmac_f64_e32 v[58:59], v[58:59], v[62:63]
	v_fma_f64 v[62:63], -v[56:57], v[58:59], 1.0
	v_fmac_f64_e32 v[58:59], v[58:59], v[62:63]
	v_mul_f64 v[62:63], v[60:61], v[58:59]
	v_fma_f64 v[56:57], -v[56:57], v[62:63], v[60:61]
	v_div_fmas_f64 v[56:57], v[56:57], v[58:59], v[62:63]
	v_div_fixup_f64 v[54:55], v[56:57], v[54:55], 1.0
	ds_write_b64 v66, v[54:55]
.LBB21_24:
	s_or_b64 exec, exec, s[2:3]
	s_waitcnt lgkmcnt(0)
	s_barrier
	ds_read_b64 v[54:55], v66
	v_cmp_lt_u32_e32 vcc, 4, v68
	s_and_saveexec_b64 s[2:3], vcc
	s_cbranch_execz .LBB21_26
; %bb.25:
	ds_read2_b64 v[56:59], v67 offset0:5 offset1:6
	ds_read2_b64 v[60:63], v67 offset0:7 offset1:8
	;; [unrolled: 1-line block ×3, first 2 shown]
	s_waitcnt vmcnt(10) lgkmcnt(3)
	v_mul_f64 v[18:19], v[18:19], v[54:55]
	s_waitcnt vmcnt(9) lgkmcnt(2)
	v_fma_f64 v[20:21], -v[18:19], v[56:57], v[20:21]
	s_waitcnt vmcnt(8)
	v_fma_f64 v[22:23], -v[18:19], v[58:59], v[22:23]
	s_waitcnt vmcnt(7) lgkmcnt(1)
	v_fma_f64 v[24:25], -v[18:19], v[60:61], v[24:25]
	s_waitcnt vmcnt(2)
	v_fma_f64 v[40:41], -v[18:19], v[62:63], v[40:41]
	;; [unrolled: 4-line block ×3, first 2 shown]
.LBB21_26:
	s_or_b64 exec, exec, s[2:3]
	v_cmp_eq_u32_e32 vcc, 5, v68
	s_waitcnt lgkmcnt(0)
	s_barrier
	s_and_saveexec_b64 s[2:3], vcc
	s_cbranch_execz .LBB21_29
; %bb.27:
	s_waitcnt vmcnt(9)
	ds_write_b64 v66, v[20:21]
	s_waitcnt vmcnt(7)
	ds_write2_b64 v67, v[22:23], v[24:25] offset0:6 offset1:7
	s_waitcnt vmcnt(1)
	ds_write2_b64 v67, v[40:41], v[42:43] offset0:8 offset1:9
	s_waitcnt vmcnt(0)
	ds_write_b64 v67, v[44:45] offset:80
	ds_read_b64 v[56:57], v66
	s_waitcnt lgkmcnt(0)
	v_cmp_neq_f64_e32 vcc, 0, v[56:57]
	s_and_b64 exec, exec, vcc
	s_cbranch_execz .LBB21_29
; %bb.28:
	v_div_scale_f64 v[58:59], s[6:7], v[56:57], v[56:57], 1.0
	v_rcp_f64_e32 v[60:61], v[58:59]
	v_div_scale_f64 v[62:63], vcc, 1.0, v[56:57], 1.0
	v_fma_f64 v[64:65], -v[58:59], v[60:61], 1.0
	v_fmac_f64_e32 v[60:61], v[60:61], v[64:65]
	v_fma_f64 v[64:65], -v[58:59], v[60:61], 1.0
	v_fmac_f64_e32 v[60:61], v[60:61], v[64:65]
	v_mul_f64 v[64:65], v[62:63], v[60:61]
	v_fma_f64 v[58:59], -v[58:59], v[64:65], v[62:63]
	v_div_fmas_f64 v[58:59], v[58:59], v[60:61], v[64:65]
	v_div_fixup_f64 v[56:57], v[58:59], v[56:57], 1.0
	ds_write_b64 v66, v[56:57]
.LBB21_29:
	s_or_b64 exec, exec, s[2:3]
	s_waitcnt lgkmcnt(0)
	s_barrier
	ds_read_b64 v[56:57], v66
	v_cmp_lt_u32_e32 vcc, 5, v68
	s_and_saveexec_b64 s[2:3], vcc
	s_cbranch_execz .LBB21_31
; %bb.30:
	ds_read2_b64 v[58:61], v67 offset0:6 offset1:7
	ds_read2_b64 v[62:65], v67 offset0:8 offset1:9
	ds_read_b64 v[70:71], v67 offset:80
	s_waitcnt vmcnt(9) lgkmcnt(3)
	v_mul_f64 v[20:21], v[20:21], v[56:57]
	s_waitcnt vmcnt(8) lgkmcnt(2)
	v_fma_f64 v[22:23], -v[20:21], v[58:59], v[22:23]
	s_waitcnt vmcnt(7)
	v_fma_f64 v[24:25], -v[20:21], v[60:61], v[24:25]
	s_waitcnt vmcnt(2) lgkmcnt(1)
	v_fma_f64 v[40:41], -v[20:21], v[62:63], v[40:41]
	s_waitcnt vmcnt(1)
	v_fma_f64 v[42:43], -v[20:21], v[64:65], v[42:43]
	s_waitcnt vmcnt(0) lgkmcnt(0)
	v_fma_f64 v[44:45], -v[20:21], v[70:71], v[44:45]
.LBB21_31:
	s_or_b64 exec, exec, s[2:3]
	v_cmp_eq_u32_e32 vcc, 6, v68
	s_waitcnt lgkmcnt(0)
	s_barrier
	s_and_saveexec_b64 s[2:3], vcc
	s_cbranch_execz .LBB21_34
; %bb.32:
	s_waitcnt vmcnt(8)
	ds_write_b64 v66, v[22:23]
	s_waitcnt vmcnt(2)
	ds_write2_b64 v67, v[24:25], v[40:41] offset0:7 offset1:8
	s_waitcnt vmcnt(0)
	ds_write2_b64 v67, v[42:43], v[44:45] offset0:9 offset1:10
	ds_read_b64 v[58:59], v66
	s_waitcnt lgkmcnt(0)
	v_cmp_neq_f64_e32 vcc, 0, v[58:59]
	s_and_b64 exec, exec, vcc
	s_cbranch_execz .LBB21_34
; %bb.33:
	v_div_scale_f64 v[60:61], s[6:7], v[58:59], v[58:59], 1.0
	v_rcp_f64_e32 v[62:63], v[60:61]
	v_div_scale_f64 v[64:65], vcc, 1.0, v[58:59], 1.0
	v_fma_f64 v[70:71], -v[60:61], v[62:63], 1.0
	v_fmac_f64_e32 v[62:63], v[62:63], v[70:71]
	v_fma_f64 v[70:71], -v[60:61], v[62:63], 1.0
	v_fmac_f64_e32 v[62:63], v[62:63], v[70:71]
	v_mul_f64 v[70:71], v[64:65], v[62:63]
	v_fma_f64 v[60:61], -v[60:61], v[70:71], v[64:65]
	v_div_fmas_f64 v[60:61], v[60:61], v[62:63], v[70:71]
	v_div_fixup_f64 v[58:59], v[60:61], v[58:59], 1.0
	ds_write_b64 v66, v[58:59]
.LBB21_34:
	s_or_b64 exec, exec, s[2:3]
	s_waitcnt lgkmcnt(0)
	s_barrier
	ds_read_b64 v[58:59], v66
	v_cmp_lt_u32_e32 vcc, 6, v68
	s_and_saveexec_b64 s[2:3], vcc
	s_cbranch_execz .LBB21_36
; %bb.35:
	ds_read2_b64 v[60:63], v67 offset0:7 offset1:8
	ds_read2_b64 v[70:73], v67 offset0:9 offset1:10
	s_waitcnt vmcnt(8) lgkmcnt(2)
	v_mul_f64 v[22:23], v[22:23], v[58:59]
	s_waitcnt vmcnt(7) lgkmcnt(1)
	v_fma_f64 v[24:25], -v[22:23], v[60:61], v[24:25]
	s_waitcnt vmcnt(2)
	v_fma_f64 v[40:41], -v[22:23], v[62:63], v[40:41]
	s_waitcnt vmcnt(1) lgkmcnt(0)
	v_fma_f64 v[42:43], -v[22:23], v[70:71], v[42:43]
	s_waitcnt vmcnt(0)
	v_fma_f64 v[44:45], -v[22:23], v[72:73], v[44:45]
.LBB21_36:
	s_or_b64 exec, exec, s[2:3]
	v_cmp_eq_u32_e32 vcc, 7, v68
	s_waitcnt lgkmcnt(0)
	s_barrier
	s_and_saveexec_b64 s[2:3], vcc
	s_cbranch_execz .LBB21_39
; %bb.37:
	s_waitcnt vmcnt(7)
	ds_write_b64 v66, v[24:25]
	s_waitcnt vmcnt(1)
	ds_write2_b64 v67, v[40:41], v[42:43] offset0:8 offset1:9
	s_waitcnt vmcnt(0)
	ds_write_b64 v67, v[44:45] offset:80
	ds_read_b64 v[60:61], v66
	s_waitcnt lgkmcnt(0)
	v_cmp_neq_f64_e32 vcc, 0, v[60:61]
	s_and_b64 exec, exec, vcc
	s_cbranch_execz .LBB21_39
; %bb.38:
	v_div_scale_f64 v[62:63], s[6:7], v[60:61], v[60:61], 1.0
	v_rcp_f64_e32 v[64:65], v[62:63]
	v_div_scale_f64 v[70:71], vcc, 1.0, v[60:61], 1.0
	v_fma_f64 v[72:73], -v[62:63], v[64:65], 1.0
	v_fmac_f64_e32 v[64:65], v[64:65], v[72:73]
	v_fma_f64 v[72:73], -v[62:63], v[64:65], 1.0
	v_fmac_f64_e32 v[64:65], v[64:65], v[72:73]
	v_mul_f64 v[72:73], v[70:71], v[64:65]
	v_fma_f64 v[62:63], -v[62:63], v[72:73], v[70:71]
	v_div_fmas_f64 v[62:63], v[62:63], v[64:65], v[72:73]
	v_div_fixup_f64 v[60:61], v[62:63], v[60:61], 1.0
	ds_write_b64 v66, v[60:61]
.LBB21_39:
	s_or_b64 exec, exec, s[2:3]
	s_waitcnt lgkmcnt(0)
	s_barrier
	ds_read_b64 v[60:61], v66
	v_cmp_lt_u32_e32 vcc, 7, v68
	s_and_saveexec_b64 s[2:3], vcc
	s_cbranch_execz .LBB21_41
; %bb.40:
	ds_read2_b64 v[62:65], v67 offset0:8 offset1:9
	ds_read_b64 v[70:71], v67 offset:80
	s_waitcnt vmcnt(7) lgkmcnt(2)
	v_mul_f64 v[24:25], v[24:25], v[60:61]
	s_waitcnt vmcnt(2) lgkmcnt(1)
	v_fma_f64 v[40:41], -v[24:25], v[62:63], v[40:41]
	s_waitcnt vmcnt(1)
	v_fma_f64 v[42:43], -v[24:25], v[64:65], v[42:43]
	s_waitcnt vmcnt(0) lgkmcnt(0)
	v_fma_f64 v[44:45], -v[24:25], v[70:71], v[44:45]
.LBB21_41:
	s_or_b64 exec, exec, s[2:3]
	v_cmp_eq_u32_e32 vcc, 8, v68
	s_waitcnt lgkmcnt(0)
	s_barrier
	s_and_saveexec_b64 s[2:3], vcc
	s_cbranch_execz .LBB21_44
; %bb.42:
	s_waitcnt vmcnt(2)
	ds_write_b64 v66, v[40:41]
	s_waitcnt vmcnt(0)
	ds_write2_b64 v67, v[42:43], v[44:45] offset0:9 offset1:10
	ds_read_b64 v[62:63], v66
	s_waitcnt lgkmcnt(0)
	v_cmp_neq_f64_e32 vcc, 0, v[62:63]
	s_and_b64 exec, exec, vcc
	s_cbranch_execz .LBB21_44
; %bb.43:
	v_div_scale_f64 v[64:65], s[6:7], v[62:63], v[62:63], 1.0
	v_rcp_f64_e32 v[70:71], v[64:65]
	v_div_scale_f64 v[72:73], vcc, 1.0, v[62:63], 1.0
	v_fma_f64 v[74:75], -v[64:65], v[70:71], 1.0
	v_fmac_f64_e32 v[70:71], v[70:71], v[74:75]
	v_fma_f64 v[74:75], -v[64:65], v[70:71], 1.0
	v_fmac_f64_e32 v[70:71], v[70:71], v[74:75]
	v_mul_f64 v[74:75], v[72:73], v[70:71]
	v_fma_f64 v[64:65], -v[64:65], v[74:75], v[72:73]
	v_div_fmas_f64 v[64:65], v[64:65], v[70:71], v[74:75]
	v_div_fixup_f64 v[62:63], v[64:65], v[62:63], 1.0
	ds_write_b64 v66, v[62:63]
.LBB21_44:
	s_or_b64 exec, exec, s[2:3]
	s_waitcnt lgkmcnt(0)
	s_barrier
	ds_read_b64 v[62:63], v66
	v_cmp_lt_u32_e32 vcc, 8, v68
	s_and_saveexec_b64 s[2:3], vcc
	s_cbranch_execz .LBB21_46
; %bb.45:
	ds_read2_b64 v[70:73], v67 offset0:9 offset1:10
	s_waitcnt vmcnt(2) lgkmcnt(1)
	v_mul_f64 v[40:41], v[40:41], v[62:63]
	s_waitcnt vmcnt(1) lgkmcnt(0)
	v_fma_f64 v[42:43], -v[40:41], v[70:71], v[42:43]
	s_waitcnt vmcnt(0)
	v_fma_f64 v[44:45], -v[40:41], v[72:73], v[44:45]
.LBB21_46:
	s_or_b64 exec, exec, s[2:3]
	v_cmp_eq_u32_e32 vcc, 9, v68
	s_waitcnt lgkmcnt(0)
	s_barrier
	s_and_saveexec_b64 s[2:3], vcc
	s_cbranch_execz .LBB21_49
; %bb.47:
	s_waitcnt vmcnt(1)
	ds_write_b64 v66, v[42:43]
	s_waitcnt vmcnt(0)
	ds_write_b64 v67, v[44:45] offset:80
	ds_read_b64 v[64:65], v66
	s_waitcnt lgkmcnt(0)
	v_cmp_neq_f64_e32 vcc, 0, v[64:65]
	s_and_b64 exec, exec, vcc
	s_cbranch_execz .LBB21_49
; %bb.48:
	v_div_scale_f64 v[70:71], s[6:7], v[64:65], v[64:65], 1.0
	v_rcp_f64_e32 v[72:73], v[70:71]
	v_div_scale_f64 v[74:75], vcc, 1.0, v[64:65], 1.0
	v_fma_f64 v[76:77], -v[70:71], v[72:73], 1.0
	v_fmac_f64_e32 v[72:73], v[72:73], v[76:77]
	v_fma_f64 v[76:77], -v[70:71], v[72:73], 1.0
	v_fmac_f64_e32 v[72:73], v[72:73], v[76:77]
	v_mul_f64 v[76:77], v[74:75], v[72:73]
	v_fma_f64 v[70:71], -v[70:71], v[76:77], v[74:75]
	v_div_fmas_f64 v[70:71], v[70:71], v[72:73], v[76:77]
	v_div_fixup_f64 v[64:65], v[70:71], v[64:65], 1.0
	ds_write_b64 v66, v[64:65]
.LBB21_49:
	s_or_b64 exec, exec, s[2:3]
	s_waitcnt lgkmcnt(0)
	s_barrier
	ds_read_b64 v[64:65], v66
	v_cmp_lt_u32_e32 vcc, 9, v68
	s_and_saveexec_b64 s[2:3], vcc
	s_cbranch_execz .LBB21_51
; %bb.50:
	ds_read_b64 v[70:71], v67 offset:80
	s_waitcnt vmcnt(1) lgkmcnt(1)
	v_mul_f64 v[42:43], v[42:43], v[64:65]
	s_waitcnt vmcnt(0) lgkmcnt(0)
	v_fma_f64 v[44:45], -v[42:43], v[70:71], v[44:45]
.LBB21_51:
	s_or_b64 exec, exec, s[2:3]
	v_cmp_ne_u32_e32 vcc, 10, v68
	s_waitcnt lgkmcnt(0)
	s_barrier
	s_and_saveexec_b64 s[2:3], vcc
	s_xor_b64 s[2:3], exec, s[2:3]
	s_andn2_saveexec_b64 s[2:3], s[2:3]
	s_cbranch_execz .LBB21_55
; %bb.52:
	s_waitcnt vmcnt(0)
	v_cmp_neq_f64_e32 vcc, 0, v[44:45]
	ds_write_b64 v66, v[44:45]
	s_and_saveexec_b64 s[6:7], vcc
	s_cbranch_execz .LBB21_54
; %bb.53:
	v_div_scale_f64 v[70:71], s[8:9], v[44:45], v[44:45], 1.0
	v_rcp_f64_e32 v[72:73], v[70:71]
	v_div_scale_f64 v[74:75], vcc, 1.0, v[44:45], 1.0
	v_fma_f64 v[76:77], -v[70:71], v[72:73], 1.0
	v_fmac_f64_e32 v[72:73], v[72:73], v[76:77]
	v_fma_f64 v[76:77], -v[70:71], v[72:73], 1.0
	v_fmac_f64_e32 v[72:73], v[72:73], v[76:77]
	v_mul_f64 v[76:77], v[74:75], v[72:73]
	v_fma_f64 v[70:71], -v[70:71], v[76:77], v[74:75]
	v_div_fmas_f64 v[70:71], v[70:71], v[72:73], v[76:77]
	v_div_fixup_f64 v[70:71], v[70:71], v[44:45], 1.0
	ds_write_b64 v66, v[70:71]
.LBB21_54:
	s_or_b64 exec, exec, s[6:7]
.LBB21_55:
	s_or_b64 exec, exec, s[2:3]
	s_waitcnt lgkmcnt(0)
	s_barrier
	ds_read_b64 v[66:67], v66
	s_waitcnt lgkmcnt(0)
	s_barrier
	s_and_saveexec_b64 s[22:23], s[0:1]
	s_cbranch_execz .LBB21_58
; %bb.56:
	s_load_dwordx2 s[0:1], s[4:5], 0x28
	v_lshlrev_b64 v[2:3], 2, v[2:3]
	v_cmp_eq_f64_e64 s[2:3], 0, v[50:51]
	v_cmp_eq_f64_e64 s[4:5], 0, v[52:53]
	;; [unrolled: 1-line block ×3, first 2 shown]
	s_waitcnt lgkmcnt(0)
	v_mov_b32_e32 v69, s1
	v_add_co_u32_e32 v2, vcc, s0, v2
	v_addc_co_u32_e32 v3, vcc, v69, v3, vcc
	global_load_dword v69, v[2:3], off
	v_cmp_eq_f64_e32 vcc, 0, v[46:47]
	v_cmp_neq_f64_e64 s[0:1], 0, v[48:49]
	v_cndmask_b32_e64 v46, 0, 1, vcc
	s_or_b64 vcc, s[0:1], vcc
	v_cndmask_b32_e32 v46, 2, v46, vcc
	v_cmp_eq_u32_e32 vcc, 0, v46
	s_and_b64 s[0:1], s[2:3], vcc
	v_cndmask_b32_e64 v46, v46, 3, s[0:1]
	v_cmp_eq_u32_e32 vcc, 0, v46
	s_and_b64 s[0:1], s[4:5], vcc
	v_cndmask_b32_e64 v46, v46, 4, s[0:1]
	;; [unrolled: 3-line block ×3, first 2 shown]
	v_cmp_eq_f64_e64 s[8:9], 0, v[56:57]
	v_cmp_eq_u32_e32 vcc, 0, v46
	s_and_b64 s[0:1], s[8:9], vcc
	v_cndmask_b32_e64 v46, v46, 6, s[0:1]
	v_cmp_eq_f64_e64 s[10:11], 0, v[58:59]
	v_cmp_eq_u32_e32 vcc, 0, v46
	s_and_b64 s[0:1], s[10:11], vcc
	v_cndmask_b32_e64 v46, v46, 7, s[0:1]
	;; [unrolled: 4-line block ×6, first 2 shown]
	v_cmp_ne_u32_e64 s[0:1], 0, v46
	s_waitcnt vmcnt(0)
	v_cmp_eq_u32_e32 vcc, 0, v69
	s_and_b64 s[0:1], vcc, s[0:1]
	s_and_b64 exec, exec, s[0:1]
	s_cbranch_execz .LBB21_58
; %bb.57:
	v_add_u32_e32 v46, s21, v46
	global_store_dword v[2:3], v46, off
.LBB21_58:
	s_or_b64 exec, exec, s[22:23]
	s_waitcnt vmcnt(0)
	v_mul_f64 v[2:3], v[44:45], v[66:67]
	v_cmp_lt_u32_e32 vcc, 10, v68
	v_cndmask_b32_e32 v3, v45, v3, vcc
	v_cndmask_b32_e32 v2, v44, v2, vcc
	global_store_dwordx2 v[0:1], v[30:31], off
	global_store_dwordx2 v[26:27], v[32:33], off
	;; [unrolled: 1-line block ×11, first 2 shown]
.LBB21_59:
	s_endpgm
	.section	.rodata,"a",@progbits
	.p2align	6, 0x0
	.amdhsa_kernel _ZN9rocsolver6v33100L23getf2_npvt_small_kernelILi11EdiiPKPdEEvT1_T3_lS5_lPT2_S5_S5_
		.amdhsa_group_segment_fixed_size 0
		.amdhsa_private_segment_fixed_size 0
		.amdhsa_kernarg_size 312
		.amdhsa_user_sgpr_count 6
		.amdhsa_user_sgpr_private_segment_buffer 1
		.amdhsa_user_sgpr_dispatch_ptr 0
		.amdhsa_user_sgpr_queue_ptr 0
		.amdhsa_user_sgpr_kernarg_segment_ptr 1
		.amdhsa_user_sgpr_dispatch_id 0
		.amdhsa_user_sgpr_flat_scratch_init 0
		.amdhsa_user_sgpr_kernarg_preload_length 0
		.amdhsa_user_sgpr_kernarg_preload_offset 0
		.amdhsa_user_sgpr_private_segment_size 0
		.amdhsa_uses_dynamic_stack 0
		.amdhsa_system_sgpr_private_segment_wavefront_offset 0
		.amdhsa_system_sgpr_workgroup_id_x 1
		.amdhsa_system_sgpr_workgroup_id_y 1
		.amdhsa_system_sgpr_workgroup_id_z 0
		.amdhsa_system_sgpr_workgroup_info 0
		.amdhsa_system_vgpr_workitem_id 1
		.amdhsa_next_free_vgpr 78
		.amdhsa_next_free_sgpr 24
		.amdhsa_accum_offset 80
		.amdhsa_reserve_vcc 1
		.amdhsa_reserve_flat_scratch 0
		.amdhsa_float_round_mode_32 0
		.amdhsa_float_round_mode_16_64 0
		.amdhsa_float_denorm_mode_32 3
		.amdhsa_float_denorm_mode_16_64 3
		.amdhsa_dx10_clamp 1
		.amdhsa_ieee_mode 1
		.amdhsa_fp16_overflow 0
		.amdhsa_tg_split 0
		.amdhsa_exception_fp_ieee_invalid_op 0
		.amdhsa_exception_fp_denorm_src 0
		.amdhsa_exception_fp_ieee_div_zero 0
		.amdhsa_exception_fp_ieee_overflow 0
		.amdhsa_exception_fp_ieee_underflow 0
		.amdhsa_exception_fp_ieee_inexact 0
		.amdhsa_exception_int_div_zero 0
	.end_amdhsa_kernel
	.section	.text._ZN9rocsolver6v33100L23getf2_npvt_small_kernelILi11EdiiPKPdEEvT1_T3_lS5_lPT2_S5_S5_,"axG",@progbits,_ZN9rocsolver6v33100L23getf2_npvt_small_kernelILi11EdiiPKPdEEvT1_T3_lS5_lPT2_S5_S5_,comdat
.Lfunc_end21:
	.size	_ZN9rocsolver6v33100L23getf2_npvt_small_kernelILi11EdiiPKPdEEvT1_T3_lS5_lPT2_S5_S5_, .Lfunc_end21-_ZN9rocsolver6v33100L23getf2_npvt_small_kernelILi11EdiiPKPdEEvT1_T3_lS5_lPT2_S5_S5_
                                        ; -- End function
	.section	.AMDGPU.csdata,"",@progbits
; Kernel info:
; codeLenInByte = 4204
; NumSgprs: 28
; NumVgprs: 78
; NumAgprs: 0
; TotalNumVgprs: 78
; ScratchSize: 0
; MemoryBound: 0
; FloatMode: 240
; IeeeMode: 1
; LDSByteSize: 0 bytes/workgroup (compile time only)
; SGPRBlocks: 3
; VGPRBlocks: 9
; NumSGPRsForWavesPerEU: 28
; NumVGPRsForWavesPerEU: 78
; AccumOffset: 80
; Occupancy: 6
; WaveLimiterHint : 1
; COMPUTE_PGM_RSRC2:SCRATCH_EN: 0
; COMPUTE_PGM_RSRC2:USER_SGPR: 6
; COMPUTE_PGM_RSRC2:TRAP_HANDLER: 0
; COMPUTE_PGM_RSRC2:TGID_X_EN: 1
; COMPUTE_PGM_RSRC2:TGID_Y_EN: 1
; COMPUTE_PGM_RSRC2:TGID_Z_EN: 0
; COMPUTE_PGM_RSRC2:TIDIG_COMP_CNT: 1
; COMPUTE_PGM_RSRC3_GFX90A:ACCUM_OFFSET: 19
; COMPUTE_PGM_RSRC3_GFX90A:TG_SPLIT: 0
	.section	.text._ZN9rocsolver6v33100L18getf2_small_kernelILi12EdiiPKPdEEvT1_T3_lS5_lPS5_llPT2_S5_S5_S7_l,"axG",@progbits,_ZN9rocsolver6v33100L18getf2_small_kernelILi12EdiiPKPdEEvT1_T3_lS5_lPS5_llPT2_S5_S5_S7_l,comdat
	.globl	_ZN9rocsolver6v33100L18getf2_small_kernelILi12EdiiPKPdEEvT1_T3_lS5_lPS5_llPT2_S5_S5_S7_l ; -- Begin function _ZN9rocsolver6v33100L18getf2_small_kernelILi12EdiiPKPdEEvT1_T3_lS5_lPS5_llPT2_S5_S5_S7_l
	.p2align	8
	.type	_ZN9rocsolver6v33100L18getf2_small_kernelILi12EdiiPKPdEEvT1_T3_lS5_lPS5_llPT2_S5_S5_S7_l,@function
_ZN9rocsolver6v33100L18getf2_small_kernelILi12EdiiPKPdEEvT1_T3_lS5_lPS5_llPT2_S5_S5_S7_l: ; @_ZN9rocsolver6v33100L18getf2_small_kernelILi12EdiiPKPdEEvT1_T3_lS5_lPS5_llPT2_S5_S5_S7_l
; %bb.0:
	s_load_dword s0, s[4:5], 0x6c
	s_load_dwordx2 s[12:13], s[4:5], 0x48
	v_bfe_u32 v28, v0, 10, 10
	s_waitcnt lgkmcnt(0)
	s_lshr_b32 s0, s0, 16
	s_mul_i32 s7, s7, s0
	v_add_u32_e32 v2, s7, v28
	v_cmp_gt_i32_e32 vcc, s12, v2
	s_and_saveexec_b64 s[0:1], vcc
	s_cbranch_execz .LBB22_201
; %bb.1:
	s_load_dwordx4 s[0:3], s[4:5], 0x8
	s_load_dwordx4 s[8:11], s[4:5], 0x50
	v_ashrrev_i32_e32 v3, 31, v2
	v_lshlrev_b64 v[4:5], 3, v[2:3]
	v_pk_mov_b32 v[24:25], 0, 0
	s_waitcnt lgkmcnt(0)
	v_mov_b32_e32 v1, s1
	v_add_co_u32_e32 v4, vcc, s0, v4
	v_addc_co_u32_e32 v5, vcc, v1, v5, vcc
	global_load_dwordx2 v[4:5], v[4:5], off
	s_cmp_eq_u64 s[8:9], 0
	s_cselect_b64 s[6:7], -1, 0
	s_and_b64 vcc, exec, s[6:7]
	s_cbranch_vccnz .LBB22_3
; %bb.2:
	v_mul_lo_u32 v1, v3, s10
	v_mul_lo_u32 v8, v2, s11
	v_mad_u64_u32 v[6:7], s[0:1], v2, s10, 0
	v_add3_u32 v7, v7, v8, v1
	v_lshlrev_b64 v[6:7], 2, v[6:7]
	v_mov_b32_e32 v1, s9
	v_add_co_u32_e32 v24, vcc, s8, v6
	v_addc_co_u32_e32 v25, vcc, v1, v7, vcc
.LBB22_3:
	s_load_dword s8, s[4:5], 0x18
	s_load_dword s12, s[4:5], 0x0
	s_lshl_b64 s[0:1], s[2:3], 3
	v_mov_b32_e32 v1, s1
	s_waitcnt vmcnt(0)
	v_add_co_u32_e32 v34, vcc, s0, v4
	v_and_b32_e32 v37, 0x3ff, v0
	v_addc_co_u32_e32 v35, vcc, v5, v1, vcc
	v_lshlrev_b32_e32 v29, 3, v37
	v_add_co_u32_e32 v6, vcc, v34, v29
	s_waitcnt lgkmcnt(0)
	s_ashr_i32 s9, s8, 31
	v_addc_co_u32_e32 v7, vcc, 0, v35, vcc
	s_lshl_b64 s[10:11], s[8:9], 3
	v_mov_b32_e32 v0, s11
	v_add_co_u32_e32 v8, vcc, s10, v6
	s_add_i32 s9, s8, s8
	v_addc_co_u32_e32 v9, vcc, v7, v0, vcc
	v_add_u32_e32 v0, s9, v37
	v_ashrrev_i32_e32 v1, 31, v0
	v_lshlrev_b64 v[4:5], 3, v[0:1]
	v_add_u32_e32 v16, s8, v0
	v_add_co_u32_e32 v12, vcc, v34, v4
	v_ashrrev_i32_e32 v17, 31, v16
	v_addc_co_u32_e32 v13, vcc, v35, v5, vcc
	v_lshlrev_b64 v[0:1], 3, v[16:17]
	v_add_co_u32_e32 v18, vcc, v34, v0
	v_addc_co_u32_e32 v19, vcc, v35, v1, vcc
	global_load_dwordx2 v[14:15], v[6:7], off
	global_load_dwordx2 v[10:11], v[8:9], off
	;; [unrolled: 1-line block ×4, first 2 shown]
	v_add_u32_e32 v6, s8, v16
	v_ashrrev_i32_e32 v7, 31, v6
	v_lshlrev_b64 v[8:9], 3, v[6:7]
	v_add_u32_e32 v6, s8, v6
	v_add_co_u32_e32 v12, vcc, v34, v8
	v_ashrrev_i32_e32 v7, 31, v6
	v_addc_co_u32_e32 v13, vcc, v35, v9, vcc
	v_lshlrev_b64 v[8:9], 3, v[6:7]
	v_add_u32_e32 v6, s8, v6
	v_add_co_u32_e32 v18, vcc, v34, v8
	v_ashrrev_i32_e32 v7, 31, v6
	v_addc_co_u32_e32 v19, vcc, v35, v9, vcc
	;; [unrolled: 5-line block ×3, first 2 shown]
	v_lshlrev_b64 v[6:7], 3, v[26:27]
	v_add_co_u32_e32 v30, vcc, v34, v6
	v_addc_co_u32_e32 v31, vcc, v35, v7, vcc
	global_load_dwordx2 v[20:21], v[12:13], off
	global_load_dwordx2 v[16:17], v[18:19], off
	;; [unrolled: 1-line block ×4, first 2 shown]
	v_add_u32_e32 v12, s8, v26
	v_ashrrev_i32_e32 v13, 31, v12
	v_lshlrev_b64 v[18:19], 3, v[12:13]
	v_add_u32_e32 v12, s8, v12
	v_add_co_u32_e32 v30, vcc, v34, v18
	v_ashrrev_i32_e32 v13, 31, v12
	v_addc_co_u32_e32 v31, vcc, v35, v19, vcc
	v_lshlrev_b64 v[18:19], 3, v[12:13]
	v_add_u32_e32 v12, s8, v12
	v_add_co_u32_e32 v32, vcc, v34, v18
	v_ashrrev_i32_e32 v13, 31, v12
	v_addc_co_u32_e32 v33, vcc, v35, v19, vcc
	;; [unrolled: 5-line block ×3, first 2 shown]
	v_lshlrev_b64 v[12:13], 3, v[12:13]
	v_add_co_u32_e32 v40, vcc, v34, v12
	v_addc_co_u32_e32 v41, vcc, v35, v13, vcc
	global_load_dwordx2 v[22:23], v[30:31], off
	global_load_dwordx2 v[18:19], v[32:33], off
	;; [unrolled: 1-line block ×4, first 2 shown]
	s_max_i32 s0, s12, 12
	v_mul_lo_u32 v31, s0, v28
	v_lshl_add_u32 v33, v31, 3, 0
	v_add_u32_e32 v28, v33, v29
	v_mov_b32_e32 v30, 0
	s_cmp_lt_i32 s12, 2
	v_lshlrev_b32_e32 v32, 3, v31
	s_waitcnt vmcnt(11)
	ds_write_b64 v28, v[14:15]
	s_waitcnt lgkmcnt(0)
	s_barrier
	ds_read_b64 v[28:29], v33
	s_cbranch_scc1 .LBB22_6
; %bb.4:
	v_add3_u32 v31, v32, 0, 8
	s_mov_b32 s0, 1
	v_mov_b32_e32 v30, 0
.LBB22_5:                               ; =>This Inner Loop Header: Depth=1
	ds_read_b64 v[38:39], v31
	v_mov_b32_e32 v36, s0
	s_add_i32 s0, s0, 1
	v_add_u32_e32 v31, 8, v31
	s_cmp_eq_u32 s12, s0
	s_waitcnt lgkmcnt(0)
	v_cmp_lt_f64_e64 vcc, |v[28:29]|, |v[38:39]|
	v_cndmask_b32_e32 v29, v29, v39, vcc
	v_cndmask_b32_e32 v28, v28, v38, vcc
	;; [unrolled: 1-line block ×3, first 2 shown]
	s_cbranch_scc0 .LBB22_5
.LBB22_6:
	v_cmp_ne_u32_e32 vcc, v37, v30
                                        ; implicit-def: $vgpr31
	s_and_saveexec_b64 s[0:1], vcc
	s_xor_b64 s[0:1], exec, s[0:1]
	s_cbranch_execz .LBB22_12
; %bb.7:
	v_cmp_eq_u32_e32 vcc, 0, v37
	s_and_saveexec_b64 s[2:3], vcc
	s_cbranch_execz .LBB22_11
; %bb.8:
	v_cmp_ne_u32_e32 vcc, 0, v30
	s_xor_b64 s[14:15], s[6:7], -1
	s_and_b64 s[16:17], s[14:15], vcc
	s_and_saveexec_b64 s[14:15], s[16:17]
	s_cbranch_execz .LBB22_10
; %bb.9:
	v_ashrrev_i32_e32 v31, 31, v30
	v_lshlrev_b64 v[36:37], 2, v[30:31]
	v_add_co_u32_e32 v36, vcc, v24, v36
	v_addc_co_u32_e32 v37, vcc, v25, v37, vcc
	flat_load_dword v31, v[36:37]
	flat_load_dword v38, v[24:25]
	s_waitcnt vmcnt(0) lgkmcnt(0)
	flat_store_dword v[24:25], v31
	flat_store_dword v[36:37], v38
.LBB22_10:
	s_or_b64 exec, exec, s[14:15]
	v_mov_b32_e32 v37, v30
.LBB22_11:
	s_or_b64 exec, exec, s[2:3]
	v_mov_b32_e32 v31, v37
                                        ; implicit-def: $vgpr37
.LBB22_12:
	s_or_saveexec_b64 s[0:1], s[0:1]
	v_mov_b32_e32 v36, v31
	s_xor_b64 exec, exec, s[0:1]
	s_cbranch_execz .LBB22_14
; %bb.13:
	v_mov_b32_e32 v31, 0
	v_mov_b32_e32 v36, v37
	s_waitcnt vmcnt(0)
	ds_write2_b64 v33, v[10:11], v[4:5] offset0:1 offset1:2
	ds_write2_b64 v33, v[0:1], v[20:21] offset0:3 offset1:4
	;; [unrolled: 1-line block ×5, first 2 shown]
	ds_write_b64 v33, v[26:27] offset:88
.LBB22_14:
	s_or_b64 exec, exec, s[0:1]
	s_waitcnt lgkmcnt(0)
	v_cmp_eq_f64_e64 s[0:1], 0, v[28:29]
	v_cmp_lt_i32_e32 vcc, 0, v31
	s_barrier
	s_and_saveexec_b64 s[2:3], vcc
	s_cbranch_execz .LBB22_16
; %bb.15:
	v_div_scale_f64 v[38:39], s[14:15], v[28:29], v[28:29], 1.0
	v_rcp_f64_e32 v[40:41], v[38:39]
	v_div_scale_f64 v[42:43], vcc, 1.0, v[28:29], 1.0
	ds_read2_b64 v[46:49], v33 offset0:5 offset1:6
	v_fma_f64 v[44:45], -v[38:39], v[40:41], 1.0
	v_fmac_f64_e32 v[40:41], v[40:41], v[44:45]
	v_fma_f64 v[44:45], -v[38:39], v[40:41], 1.0
	v_fmac_f64_e32 v[40:41], v[40:41], v[44:45]
	v_mul_f64 v[44:45], v[42:43], v[40:41]
	v_fma_f64 v[38:39], -v[38:39], v[44:45], v[42:43]
	v_div_fmas_f64 v[38:39], v[38:39], v[40:41], v[44:45]
	v_div_fixup_f64 v[42:43], v[38:39], v[28:29], 1.0
	ds_read2_b64 v[38:41], v33 offset0:1 offset1:2
	v_cndmask_b32_e64 v29, v43, v29, s[0:1]
	v_cndmask_b32_e64 v28, v42, v28, s[0:1]
	ds_read2_b64 v[42:45], v33 offset0:3 offset1:4
	v_mul_f64 v[14:15], v[14:15], v[28:29]
	s_waitcnt vmcnt(0) lgkmcnt(0)
	v_fma_f64 v[10:11], -v[14:15], v[38:39], v[10:11]
	v_fma_f64 v[4:5], -v[14:15], v[40:41], v[4:5]
	ds_read2_b64 v[38:41], v33 offset0:7 offset1:8
	v_fma_f64 v[0:1], -v[14:15], v[42:43], v[0:1]
	v_fma_f64 v[20:21], -v[14:15], v[44:45], v[20:21]
	ds_read2_b64 v[42:45], v33 offset0:9 offset1:10
	ds_read_b64 v[28:29], v33 offset:88
	v_fma_f64 v[16:17], -v[14:15], v[46:47], v[16:17]
	v_fma_f64 v[8:9], -v[14:15], v[48:49], v[8:9]
	s_waitcnt lgkmcnt(2)
	v_fma_f64 v[6:7], -v[14:15], v[38:39], v[6:7]
	v_fma_f64 v[22:23], -v[14:15], v[40:41], v[22:23]
	s_waitcnt lgkmcnt(1)
	;; [unrolled: 3-line block ×3, first 2 shown]
	v_fma_f64 v[26:27], -v[14:15], v[28:29], v[26:27]
.LBB22_16:
	s_or_b64 exec, exec, s[2:3]
	v_lshl_add_u32 v28, v31, 3, v33
	s_barrier
	s_waitcnt vmcnt(0)
	ds_write_b64 v28, v[10:11]
	s_waitcnt lgkmcnt(0)
	s_barrier
	ds_read_b64 v[28:29], v33 offset:8
	s_cmp_lt_i32 s12, 3
	v_mov_b32_e32 v30, 1
	s_cbranch_scc1 .LBB22_19
; %bb.17:
	v_add3_u32 v37, v32, 0, 16
	s_mov_b32 s2, 2
	v_mov_b32_e32 v30, 1
.LBB22_18:                              ; =>This Inner Loop Header: Depth=1
	ds_read_b64 v[38:39], v37
	v_mov_b32_e32 v40, s2
	s_add_i32 s2, s2, 1
	v_add_u32_e32 v37, 8, v37
	s_cmp_lg_u32 s12, s2
	s_waitcnt lgkmcnt(0)
	v_cmp_lt_f64_e64 vcc, |v[28:29]|, |v[38:39]|
	v_cndmask_b32_e32 v29, v29, v39, vcc
	v_cndmask_b32_e32 v28, v28, v38, vcc
	;; [unrolled: 1-line block ×3, first 2 shown]
	s_cbranch_scc1 .LBB22_18
.LBB22_19:
	v_cmp_ne_u32_e32 vcc, v31, v30
	s_and_saveexec_b64 s[2:3], vcc
	s_xor_b64 s[2:3], exec, s[2:3]
	s_cbranch_execz .LBB22_25
; %bb.20:
	v_cmp_eq_u32_e32 vcc, 1, v31
	s_and_saveexec_b64 s[14:15], vcc
	s_cbranch_execz .LBB22_24
; %bb.21:
	v_cmp_ne_u32_e32 vcc, 1, v30
	s_xor_b64 s[16:17], s[6:7], -1
	s_and_b64 s[18:19], s[16:17], vcc
	s_and_saveexec_b64 s[16:17], s[18:19]
	s_cbranch_execz .LBB22_23
; %bb.22:
	v_ashrrev_i32_e32 v31, 31, v30
	v_lshlrev_b64 v[36:37], 2, v[30:31]
	v_add_co_u32_e32 v36, vcc, v24, v36
	v_addc_co_u32_e32 v37, vcc, v25, v37, vcc
	flat_load_dword v31, v[36:37]
	flat_load_dword v38, v[24:25] offset:4
	s_waitcnt vmcnt(0) lgkmcnt(0)
	flat_store_dword v[24:25], v31 offset:4
	flat_store_dword v[36:37], v38
.LBB22_23:
	s_or_b64 exec, exec, s[16:17]
	v_mov_b32_e32 v36, v30
	v_mov_b32_e32 v31, v30
.LBB22_24:
	s_or_b64 exec, exec, s[14:15]
.LBB22_25:
	s_andn2_saveexec_b64 s[2:3], s[2:3]
	s_cbranch_execz .LBB22_27
; %bb.26:
	v_mov_b32_e32 v31, 1
	ds_write2_b64 v33, v[4:5], v[0:1] offset0:2 offset1:3
	ds_write2_b64 v33, v[20:21], v[16:17] offset0:4 offset1:5
	;; [unrolled: 1-line block ×5, first 2 shown]
.LBB22_27:
	s_or_b64 exec, exec, s[2:3]
	s_waitcnt lgkmcnt(0)
	v_cmp_neq_f64_e64 s[2:3], 0, v[28:29]
	v_cmp_lt_i32_e32 vcc, 1, v31
	s_barrier
	s_and_saveexec_b64 s[14:15], vcc
	s_cbranch_execz .LBB22_29
; %bb.28:
	v_div_scale_f64 v[38:39], s[16:17], v[28:29], v[28:29], 1.0
	v_rcp_f64_e32 v[40:41], v[38:39]
	v_div_scale_f64 v[42:43], vcc, 1.0, v[28:29], 1.0
	ds_read2_b64 v[46:49], v33 offset0:8 offset1:9
	v_fma_f64 v[44:45], -v[38:39], v[40:41], 1.0
	v_fmac_f64_e32 v[40:41], v[40:41], v[44:45]
	v_fma_f64 v[44:45], -v[38:39], v[40:41], 1.0
	v_fmac_f64_e32 v[40:41], v[40:41], v[44:45]
	v_mul_f64 v[44:45], v[42:43], v[40:41]
	v_fma_f64 v[38:39], -v[38:39], v[44:45], v[42:43]
	v_div_fmas_f64 v[38:39], v[38:39], v[40:41], v[44:45]
	v_div_fixup_f64 v[42:43], v[38:39], v[28:29], 1.0
	ds_read2_b64 v[38:41], v33 offset0:2 offset1:3
	v_cndmask_b32_e64 v29, v29, v43, s[2:3]
	v_cndmask_b32_e64 v28, v28, v42, s[2:3]
	ds_read2_b64 v[42:45], v33 offset0:4 offset1:5
	v_mul_f64 v[10:11], v[10:11], v[28:29]
	s_waitcnt lgkmcnt(0)
	v_fma_f64 v[4:5], -v[10:11], v[38:39], v[4:5]
	v_fma_f64 v[0:1], -v[10:11], v[40:41], v[0:1]
	ds_read2_b64 v[38:41], v33 offset0:6 offset1:7
	v_fma_f64 v[20:21], -v[10:11], v[42:43], v[20:21]
	v_fma_f64 v[16:17], -v[10:11], v[44:45], v[16:17]
	ds_read2_b64 v[42:45], v33 offset0:10 offset1:11
	v_fma_f64 v[22:23], -v[10:11], v[46:47], v[22:23]
	s_waitcnt lgkmcnt(0)
	v_fma_f64 v[8:9], -v[10:11], v[38:39], v[8:9]
	v_fma_f64 v[6:7], -v[10:11], v[40:41], v[6:7]
	;; [unrolled: 1-line block ×5, first 2 shown]
.LBB22_29:
	s_or_b64 exec, exec, s[14:15]
	v_lshl_add_u32 v28, v31, 3, v33
	s_barrier
	ds_write_b64 v28, v[4:5]
	s_waitcnt lgkmcnt(0)
	s_barrier
	ds_read_b64 v[28:29], v33 offset:16
	s_mov_b32 s14, 3
	s_cmp_lt_i32 s12, 4
	v_mov_b32_e32 v30, 2
	s_cbranch_scc1 .LBB22_32
; %bb.30:
	v_add3_u32 v37, v32, 0, 24
	v_mov_b32_e32 v30, 2
.LBB22_31:                              ; =>This Inner Loop Header: Depth=1
	ds_read_b64 v[38:39], v37
	v_mov_b32_e32 v40, s14
	s_add_i32 s14, s14, 1
	v_add_u32_e32 v37, 8, v37
	s_cmp_lg_u32 s12, s14
	s_waitcnt lgkmcnt(0)
	v_cmp_lt_f64_e64 vcc, |v[28:29]|, |v[38:39]|
	v_cndmask_b32_e32 v29, v29, v39, vcc
	v_cndmask_b32_e32 v28, v28, v38, vcc
	;; [unrolled: 1-line block ×3, first 2 shown]
	s_cbranch_scc1 .LBB22_31
.LBB22_32:
	v_cndmask_b32_e64 v37, 2, 1, s[0:1]
	v_cndmask_b32_e64 v38, 0, 1, s[0:1]
	;; [unrolled: 1-line block ×3, first 2 shown]
	s_waitcnt lgkmcnt(0)
	v_cmp_eq_f64_e32 vcc, 0, v[28:29]
	s_and_saveexec_b64 s[0:1], vcc
	s_xor_b64 s[0:1], exec, s[0:1]
; %bb.33:
	v_cmp_ne_u32_e32 vcc, 0, v37
	v_cndmask_b32_e32 v37, 3, v37, vcc
; %bb.34:
	s_andn2_saveexec_b64 s[0:1], s[0:1]
; %bb.35:
	v_div_scale_f64 v[38:39], s[2:3], v[28:29], v[28:29], 1.0
	v_rcp_f64_e32 v[40:41], v[38:39]
	v_div_scale_f64 v[42:43], vcc, 1.0, v[28:29], 1.0
	v_fma_f64 v[44:45], -v[38:39], v[40:41], 1.0
	v_fmac_f64_e32 v[40:41], v[40:41], v[44:45]
	v_fma_f64 v[44:45], -v[38:39], v[40:41], 1.0
	v_fmac_f64_e32 v[40:41], v[40:41], v[44:45]
	v_mul_f64 v[44:45], v[42:43], v[40:41]
	v_fma_f64 v[38:39], -v[38:39], v[44:45], v[42:43]
	v_div_fmas_f64 v[38:39], v[38:39], v[40:41], v[44:45]
	v_div_fixup_f64 v[28:29], v[38:39], v[28:29], 1.0
; %bb.36:
	s_or_b64 exec, exec, s[0:1]
	v_cmp_ne_u32_e32 vcc, v31, v30
	s_and_saveexec_b64 s[0:1], vcc
	s_xor_b64 s[0:1], exec, s[0:1]
	s_cbranch_execz .LBB22_42
; %bb.37:
	v_cmp_eq_u32_e32 vcc, 2, v31
	s_and_saveexec_b64 s[2:3], vcc
	s_cbranch_execz .LBB22_41
; %bb.38:
	v_cmp_ne_u32_e32 vcc, 2, v30
	s_xor_b64 s[14:15], s[6:7], -1
	s_and_b64 s[16:17], s[14:15], vcc
	s_and_saveexec_b64 s[14:15], s[16:17]
	s_cbranch_execz .LBB22_40
; %bb.39:
	v_ashrrev_i32_e32 v31, 31, v30
	v_lshlrev_b64 v[38:39], 2, v[30:31]
	v_add_co_u32_e32 v38, vcc, v24, v38
	v_addc_co_u32_e32 v39, vcc, v25, v39, vcc
	flat_load_dword v31, v[38:39]
	flat_load_dword v36, v[24:25] offset:8
	s_waitcnt vmcnt(0) lgkmcnt(0)
	flat_store_dword v[24:25], v31 offset:8
	flat_store_dword v[38:39], v36
.LBB22_40:
	s_or_b64 exec, exec, s[14:15]
	v_mov_b32_e32 v36, v30
	v_mov_b32_e32 v31, v30
.LBB22_41:
	s_or_b64 exec, exec, s[2:3]
.LBB22_42:
	s_andn2_saveexec_b64 s[0:1], s[0:1]
	s_cbranch_execz .LBB22_44
; %bb.43:
	v_mov_b32_e32 v31, 2
	ds_write2_b64 v33, v[0:1], v[20:21] offset0:3 offset1:4
	ds_write2_b64 v33, v[16:17], v[8:9] offset0:5 offset1:6
	;; [unrolled: 1-line block ×4, first 2 shown]
	ds_write_b64 v33, v[26:27] offset:88
.LBB22_44:
	s_or_b64 exec, exec, s[0:1]
	v_cmp_lt_i32_e32 vcc, 2, v31
	s_waitcnt lgkmcnt(0)
	s_barrier
	s_and_saveexec_b64 s[0:1], vcc
	s_cbranch_execz .LBB22_46
; %bb.45:
	ds_read2_b64 v[38:41], v33 offset0:3 offset1:4
	ds_read2_b64 v[42:45], v33 offset0:5 offset1:6
	v_mul_f64 v[4:5], v[4:5], v[28:29]
	ds_read_b64 v[28:29], v33 offset:88
	ds_read2_b64 v[46:49], v33 offset0:9 offset1:10
	s_waitcnt lgkmcnt(0)
	v_fma_f64 v[0:1], -v[4:5], v[38:39], v[0:1]
	v_fma_f64 v[20:21], -v[4:5], v[40:41], v[20:21]
	ds_read2_b64 v[38:41], v33 offset0:7 offset1:8
	v_fma_f64 v[16:17], -v[4:5], v[42:43], v[16:17]
	v_fma_f64 v[8:9], -v[4:5], v[44:45], v[8:9]
	;; [unrolled: 1-line block ×4, first 2 shown]
	s_waitcnt lgkmcnt(0)
	v_fma_f64 v[6:7], -v[4:5], v[38:39], v[6:7]
	v_fma_f64 v[22:23], -v[4:5], v[40:41], v[22:23]
	;; [unrolled: 1-line block ×3, first 2 shown]
.LBB22_46:
	s_or_b64 exec, exec, s[0:1]
	v_lshl_add_u32 v28, v31, 3, v33
	s_barrier
	ds_write_b64 v28, v[0:1]
	s_waitcnt lgkmcnt(0)
	s_barrier
	ds_read_b64 v[28:29], v33 offset:24
	s_cmp_lt_i32 s12, 5
	v_mov_b32_e32 v30, 3
	s_cbranch_scc1 .LBB22_49
; %bb.47:
	v_add3_u32 v38, v32, 0, 32
	s_mov_b32 s0, 4
	v_mov_b32_e32 v30, 3
.LBB22_48:                              ; =>This Inner Loop Header: Depth=1
	ds_read_b64 v[40:41], v38
	v_mov_b32_e32 v39, s0
	s_add_i32 s0, s0, 1
	v_add_u32_e32 v38, 8, v38
	s_cmp_lg_u32 s12, s0
	s_waitcnt lgkmcnt(0)
	v_cmp_lt_f64_e64 vcc, |v[28:29]|, |v[40:41]|
	v_cndmask_b32_e32 v29, v29, v41, vcc
	v_cndmask_b32_e32 v28, v28, v40, vcc
	;; [unrolled: 1-line block ×3, first 2 shown]
	s_cbranch_scc1 .LBB22_48
.LBB22_49:
	s_waitcnt lgkmcnt(0)
	v_cmp_eq_f64_e32 vcc, 0, v[28:29]
	s_and_saveexec_b64 s[0:1], vcc
	s_xor_b64 s[0:1], exec, s[0:1]
; %bb.50:
	v_cmp_ne_u32_e32 vcc, 0, v37
	v_cndmask_b32_e32 v37, 4, v37, vcc
; %bb.51:
	s_andn2_saveexec_b64 s[0:1], s[0:1]
; %bb.52:
	v_div_scale_f64 v[38:39], s[2:3], v[28:29], v[28:29], 1.0
	v_rcp_f64_e32 v[40:41], v[38:39]
	v_div_scale_f64 v[42:43], vcc, 1.0, v[28:29], 1.0
	v_fma_f64 v[44:45], -v[38:39], v[40:41], 1.0
	v_fmac_f64_e32 v[40:41], v[40:41], v[44:45]
	v_fma_f64 v[44:45], -v[38:39], v[40:41], 1.0
	v_fmac_f64_e32 v[40:41], v[40:41], v[44:45]
	v_mul_f64 v[44:45], v[42:43], v[40:41]
	v_fma_f64 v[38:39], -v[38:39], v[44:45], v[42:43]
	v_div_fmas_f64 v[38:39], v[38:39], v[40:41], v[44:45]
	v_div_fixup_f64 v[28:29], v[38:39], v[28:29], 1.0
; %bb.53:
	s_or_b64 exec, exec, s[0:1]
	v_cmp_ne_u32_e32 vcc, v31, v30
	s_and_saveexec_b64 s[0:1], vcc
	s_xor_b64 s[0:1], exec, s[0:1]
	s_cbranch_execz .LBB22_59
; %bb.54:
	v_cmp_eq_u32_e32 vcc, 3, v31
	s_and_saveexec_b64 s[2:3], vcc
	s_cbranch_execz .LBB22_58
; %bb.55:
	v_cmp_ne_u32_e32 vcc, 3, v30
	s_xor_b64 s[14:15], s[6:7], -1
	s_and_b64 s[16:17], s[14:15], vcc
	s_and_saveexec_b64 s[14:15], s[16:17]
	s_cbranch_execz .LBB22_57
; %bb.56:
	v_ashrrev_i32_e32 v31, 31, v30
	v_lshlrev_b64 v[38:39], 2, v[30:31]
	v_add_co_u32_e32 v38, vcc, v24, v38
	v_addc_co_u32_e32 v39, vcc, v25, v39, vcc
	flat_load_dword v31, v[38:39]
	flat_load_dword v36, v[24:25] offset:12
	s_waitcnt vmcnt(0) lgkmcnt(0)
	flat_store_dword v[24:25], v31 offset:12
	flat_store_dword v[38:39], v36
.LBB22_57:
	s_or_b64 exec, exec, s[14:15]
	v_mov_b32_e32 v36, v30
	v_mov_b32_e32 v31, v30
.LBB22_58:
	s_or_b64 exec, exec, s[2:3]
.LBB22_59:
	s_andn2_saveexec_b64 s[0:1], s[0:1]
	s_cbranch_execz .LBB22_61
; %bb.60:
	v_mov_b32_e32 v31, 3
	ds_write2_b64 v33, v[20:21], v[16:17] offset0:4 offset1:5
	ds_write2_b64 v33, v[8:9], v[6:7] offset0:6 offset1:7
	;; [unrolled: 1-line block ×4, first 2 shown]
.LBB22_61:
	s_or_b64 exec, exec, s[0:1]
	v_cmp_lt_i32_e32 vcc, 3, v31
	s_waitcnt lgkmcnt(0)
	s_barrier
	s_and_saveexec_b64 s[0:1], vcc
	s_cbranch_execz .LBB22_63
; %bb.62:
	ds_read2_b64 v[38:41], v33 offset0:4 offset1:5
	ds_read2_b64 v[42:45], v33 offset0:6 offset1:7
	v_mul_f64 v[0:1], v[0:1], v[28:29]
	ds_read2_b64 v[46:49], v33 offset0:8 offset1:9
	s_waitcnt lgkmcnt(0)
	v_fma_f64 v[20:21], -v[0:1], v[38:39], v[20:21]
	v_fma_f64 v[16:17], -v[0:1], v[40:41], v[16:17]
	ds_read2_b64 v[38:41], v33 offset0:10 offset1:11
	v_fma_f64 v[8:9], -v[0:1], v[42:43], v[8:9]
	v_fma_f64 v[6:7], -v[0:1], v[44:45], v[6:7]
	;; [unrolled: 1-line block ×4, first 2 shown]
	s_waitcnt lgkmcnt(0)
	v_fma_f64 v[12:13], -v[0:1], v[38:39], v[12:13]
	v_fma_f64 v[26:27], -v[0:1], v[40:41], v[26:27]
.LBB22_63:
	s_or_b64 exec, exec, s[0:1]
	v_lshl_add_u32 v28, v31, 3, v33
	s_barrier
	ds_write_b64 v28, v[20:21]
	s_waitcnt lgkmcnt(0)
	s_barrier
	ds_read_b64 v[28:29], v33 offset:32
	s_cmp_lt_i32 s12, 6
	v_mov_b32_e32 v30, 4
	s_cbranch_scc1 .LBB22_66
; %bb.64:
	v_add3_u32 v38, v32, 0, 40
	s_mov_b32 s0, 5
	v_mov_b32_e32 v30, 4
.LBB22_65:                              ; =>This Inner Loop Header: Depth=1
	ds_read_b64 v[40:41], v38
	v_mov_b32_e32 v39, s0
	s_add_i32 s0, s0, 1
	v_add_u32_e32 v38, 8, v38
	s_cmp_lg_u32 s12, s0
	s_waitcnt lgkmcnt(0)
	v_cmp_lt_f64_e64 vcc, |v[28:29]|, |v[40:41]|
	v_cndmask_b32_e32 v29, v29, v41, vcc
	v_cndmask_b32_e32 v28, v28, v40, vcc
	;; [unrolled: 1-line block ×3, first 2 shown]
	s_cbranch_scc1 .LBB22_65
.LBB22_66:
	s_waitcnt lgkmcnt(0)
	v_cmp_eq_f64_e32 vcc, 0, v[28:29]
	s_and_saveexec_b64 s[0:1], vcc
	s_xor_b64 s[0:1], exec, s[0:1]
; %bb.67:
	v_cmp_ne_u32_e32 vcc, 0, v37
	v_cndmask_b32_e32 v37, 5, v37, vcc
; %bb.68:
	s_andn2_saveexec_b64 s[0:1], s[0:1]
; %bb.69:
	v_div_scale_f64 v[38:39], s[2:3], v[28:29], v[28:29], 1.0
	v_rcp_f64_e32 v[40:41], v[38:39]
	v_div_scale_f64 v[42:43], vcc, 1.0, v[28:29], 1.0
	v_fma_f64 v[44:45], -v[38:39], v[40:41], 1.0
	v_fmac_f64_e32 v[40:41], v[40:41], v[44:45]
	v_fma_f64 v[44:45], -v[38:39], v[40:41], 1.0
	v_fmac_f64_e32 v[40:41], v[40:41], v[44:45]
	v_mul_f64 v[44:45], v[42:43], v[40:41]
	v_fma_f64 v[38:39], -v[38:39], v[44:45], v[42:43]
	v_div_fmas_f64 v[38:39], v[38:39], v[40:41], v[44:45]
	v_div_fixup_f64 v[28:29], v[38:39], v[28:29], 1.0
; %bb.70:
	s_or_b64 exec, exec, s[0:1]
	v_cmp_ne_u32_e32 vcc, v31, v30
	s_and_saveexec_b64 s[0:1], vcc
	s_xor_b64 s[0:1], exec, s[0:1]
	s_cbranch_execz .LBB22_76
; %bb.71:
	v_cmp_eq_u32_e32 vcc, 4, v31
	s_and_saveexec_b64 s[2:3], vcc
	s_cbranch_execz .LBB22_75
; %bb.72:
	v_cmp_ne_u32_e32 vcc, 4, v30
	s_xor_b64 s[14:15], s[6:7], -1
	s_and_b64 s[16:17], s[14:15], vcc
	s_and_saveexec_b64 s[14:15], s[16:17]
	s_cbranch_execz .LBB22_74
; %bb.73:
	v_ashrrev_i32_e32 v31, 31, v30
	v_lshlrev_b64 v[38:39], 2, v[30:31]
	v_add_co_u32_e32 v38, vcc, v24, v38
	v_addc_co_u32_e32 v39, vcc, v25, v39, vcc
	flat_load_dword v31, v[38:39]
	flat_load_dword v36, v[24:25] offset:16
	s_waitcnt vmcnt(0) lgkmcnt(0)
	flat_store_dword v[24:25], v31 offset:16
	flat_store_dword v[38:39], v36
.LBB22_74:
	s_or_b64 exec, exec, s[14:15]
	v_mov_b32_e32 v36, v30
	v_mov_b32_e32 v31, v30
.LBB22_75:
	s_or_b64 exec, exec, s[2:3]
.LBB22_76:
	s_andn2_saveexec_b64 s[0:1], s[0:1]
	s_cbranch_execz .LBB22_78
; %bb.77:
	v_mov_b32_e32 v31, 4
	ds_write2_b64 v33, v[16:17], v[8:9] offset0:5 offset1:6
	ds_write2_b64 v33, v[6:7], v[22:23] offset0:7 offset1:8
	;; [unrolled: 1-line block ×3, first 2 shown]
	ds_write_b64 v33, v[26:27] offset:88
.LBB22_78:
	s_or_b64 exec, exec, s[0:1]
	v_cmp_lt_i32_e32 vcc, 4, v31
	s_waitcnt lgkmcnt(0)
	s_barrier
	s_and_saveexec_b64 s[0:1], vcc
	s_cbranch_execz .LBB22_80
; %bb.79:
	ds_read2_b64 v[38:41], v33 offset0:5 offset1:6
	ds_read2_b64 v[42:45], v33 offset0:7 offset1:8
	v_mul_f64 v[20:21], v[20:21], v[28:29]
	ds_read2_b64 v[46:49], v33 offset0:9 offset1:10
	ds_read_b64 v[28:29], v33 offset:88
	s_waitcnt lgkmcnt(0)
	v_fma_f64 v[16:17], -v[20:21], v[38:39], v[16:17]
	v_fma_f64 v[8:9], -v[20:21], v[40:41], v[8:9]
	;; [unrolled: 1-line block ×7, first 2 shown]
.LBB22_80:
	s_or_b64 exec, exec, s[0:1]
	v_lshl_add_u32 v28, v31, 3, v33
	s_barrier
	ds_write_b64 v28, v[16:17]
	s_waitcnt lgkmcnt(0)
	s_barrier
	ds_read_b64 v[28:29], v33 offset:40
	s_cmp_lt_i32 s12, 7
	v_mov_b32_e32 v30, 5
	s_cbranch_scc1 .LBB22_83
; %bb.81:
	v_add3_u32 v38, v32, 0, 48
	s_mov_b32 s0, 6
	v_mov_b32_e32 v30, 5
.LBB22_82:                              ; =>This Inner Loop Header: Depth=1
	ds_read_b64 v[40:41], v38
	v_mov_b32_e32 v39, s0
	s_add_i32 s0, s0, 1
	v_add_u32_e32 v38, 8, v38
	s_cmp_lg_u32 s12, s0
	s_waitcnt lgkmcnt(0)
	v_cmp_lt_f64_e64 vcc, |v[28:29]|, |v[40:41]|
	v_cndmask_b32_e32 v29, v29, v41, vcc
	v_cndmask_b32_e32 v28, v28, v40, vcc
	;; [unrolled: 1-line block ×3, first 2 shown]
	s_cbranch_scc1 .LBB22_82
.LBB22_83:
	s_waitcnt lgkmcnt(0)
	v_cmp_eq_f64_e32 vcc, 0, v[28:29]
	s_and_saveexec_b64 s[0:1], vcc
	s_xor_b64 s[0:1], exec, s[0:1]
; %bb.84:
	v_cmp_ne_u32_e32 vcc, 0, v37
	v_cndmask_b32_e32 v37, 6, v37, vcc
; %bb.85:
	s_andn2_saveexec_b64 s[0:1], s[0:1]
; %bb.86:
	v_div_scale_f64 v[38:39], s[2:3], v[28:29], v[28:29], 1.0
	v_rcp_f64_e32 v[40:41], v[38:39]
	v_div_scale_f64 v[42:43], vcc, 1.0, v[28:29], 1.0
	v_fma_f64 v[44:45], -v[38:39], v[40:41], 1.0
	v_fmac_f64_e32 v[40:41], v[40:41], v[44:45]
	v_fma_f64 v[44:45], -v[38:39], v[40:41], 1.0
	v_fmac_f64_e32 v[40:41], v[40:41], v[44:45]
	v_mul_f64 v[44:45], v[42:43], v[40:41]
	v_fma_f64 v[38:39], -v[38:39], v[44:45], v[42:43]
	v_div_fmas_f64 v[38:39], v[38:39], v[40:41], v[44:45]
	v_div_fixup_f64 v[28:29], v[38:39], v[28:29], 1.0
; %bb.87:
	s_or_b64 exec, exec, s[0:1]
	v_cmp_ne_u32_e32 vcc, v31, v30
	s_and_saveexec_b64 s[0:1], vcc
	s_xor_b64 s[0:1], exec, s[0:1]
	s_cbranch_execz .LBB22_93
; %bb.88:
	v_cmp_eq_u32_e32 vcc, 5, v31
	s_and_saveexec_b64 s[2:3], vcc
	s_cbranch_execz .LBB22_92
; %bb.89:
	v_cmp_ne_u32_e32 vcc, 5, v30
	s_xor_b64 s[14:15], s[6:7], -1
	s_and_b64 s[16:17], s[14:15], vcc
	s_and_saveexec_b64 s[14:15], s[16:17]
	s_cbranch_execz .LBB22_91
; %bb.90:
	v_ashrrev_i32_e32 v31, 31, v30
	v_lshlrev_b64 v[38:39], 2, v[30:31]
	v_add_co_u32_e32 v38, vcc, v24, v38
	v_addc_co_u32_e32 v39, vcc, v25, v39, vcc
	flat_load_dword v31, v[38:39]
	flat_load_dword v36, v[24:25] offset:20
	s_waitcnt vmcnt(0) lgkmcnt(0)
	flat_store_dword v[24:25], v31 offset:20
	flat_store_dword v[38:39], v36
.LBB22_91:
	s_or_b64 exec, exec, s[14:15]
	v_mov_b32_e32 v36, v30
	v_mov_b32_e32 v31, v30
.LBB22_92:
	s_or_b64 exec, exec, s[2:3]
.LBB22_93:
	s_andn2_saveexec_b64 s[0:1], s[0:1]
	s_cbranch_execz .LBB22_95
; %bb.94:
	v_mov_b32_e32 v31, 5
	ds_write2_b64 v33, v[8:9], v[6:7] offset0:6 offset1:7
	ds_write2_b64 v33, v[22:23], v[18:19] offset0:8 offset1:9
	;; [unrolled: 1-line block ×3, first 2 shown]
.LBB22_95:
	s_or_b64 exec, exec, s[0:1]
	v_cmp_lt_i32_e32 vcc, 5, v31
	s_waitcnt lgkmcnt(0)
	s_barrier
	s_and_saveexec_b64 s[0:1], vcc
	s_cbranch_execz .LBB22_97
; %bb.96:
	ds_read2_b64 v[38:41], v33 offset0:6 offset1:7
	ds_read2_b64 v[42:45], v33 offset0:8 offset1:9
	;; [unrolled: 1-line block ×3, first 2 shown]
	v_mul_f64 v[16:17], v[16:17], v[28:29]
	s_waitcnt lgkmcnt(0)
	v_fma_f64 v[8:9], -v[16:17], v[38:39], v[8:9]
	v_fma_f64 v[6:7], -v[16:17], v[40:41], v[6:7]
	;; [unrolled: 1-line block ×6, first 2 shown]
.LBB22_97:
	s_or_b64 exec, exec, s[0:1]
	v_lshl_add_u32 v28, v31, 3, v33
	s_barrier
	ds_write_b64 v28, v[8:9]
	s_waitcnt lgkmcnt(0)
	s_barrier
	ds_read_b64 v[28:29], v33 offset:48
	s_cmp_lt_i32 s12, 8
	v_mov_b32_e32 v30, 6
	s_cbranch_scc1 .LBB22_100
; %bb.98:
	v_add3_u32 v38, v32, 0, 56
	s_mov_b32 s0, 7
	v_mov_b32_e32 v30, 6
.LBB22_99:                              ; =>This Inner Loop Header: Depth=1
	ds_read_b64 v[40:41], v38
	v_mov_b32_e32 v39, s0
	s_add_i32 s0, s0, 1
	v_add_u32_e32 v38, 8, v38
	s_cmp_lg_u32 s12, s0
	s_waitcnt lgkmcnt(0)
	v_cmp_lt_f64_e64 vcc, |v[28:29]|, |v[40:41]|
	v_cndmask_b32_e32 v29, v29, v41, vcc
	v_cndmask_b32_e32 v28, v28, v40, vcc
	;; [unrolled: 1-line block ×3, first 2 shown]
	s_cbranch_scc1 .LBB22_99
.LBB22_100:
	s_waitcnt lgkmcnt(0)
	v_cmp_eq_f64_e32 vcc, 0, v[28:29]
	s_and_saveexec_b64 s[0:1], vcc
	s_xor_b64 s[0:1], exec, s[0:1]
; %bb.101:
	v_cmp_ne_u32_e32 vcc, 0, v37
	v_cndmask_b32_e32 v37, 7, v37, vcc
; %bb.102:
	s_andn2_saveexec_b64 s[0:1], s[0:1]
; %bb.103:
	v_div_scale_f64 v[38:39], s[2:3], v[28:29], v[28:29], 1.0
	v_rcp_f64_e32 v[40:41], v[38:39]
	v_div_scale_f64 v[42:43], vcc, 1.0, v[28:29], 1.0
	v_fma_f64 v[44:45], -v[38:39], v[40:41], 1.0
	v_fmac_f64_e32 v[40:41], v[40:41], v[44:45]
	v_fma_f64 v[44:45], -v[38:39], v[40:41], 1.0
	v_fmac_f64_e32 v[40:41], v[40:41], v[44:45]
	v_mul_f64 v[44:45], v[42:43], v[40:41]
	v_fma_f64 v[38:39], -v[38:39], v[44:45], v[42:43]
	v_div_fmas_f64 v[38:39], v[38:39], v[40:41], v[44:45]
	v_div_fixup_f64 v[28:29], v[38:39], v[28:29], 1.0
; %bb.104:
	s_or_b64 exec, exec, s[0:1]
	v_cmp_ne_u32_e32 vcc, v31, v30
	s_and_saveexec_b64 s[0:1], vcc
	s_xor_b64 s[0:1], exec, s[0:1]
	s_cbranch_execz .LBB22_110
; %bb.105:
	v_cmp_eq_u32_e32 vcc, 6, v31
	s_and_saveexec_b64 s[2:3], vcc
	s_cbranch_execz .LBB22_109
; %bb.106:
	v_cmp_ne_u32_e32 vcc, 6, v30
	s_xor_b64 s[14:15], s[6:7], -1
	s_and_b64 s[16:17], s[14:15], vcc
	s_and_saveexec_b64 s[14:15], s[16:17]
	s_cbranch_execz .LBB22_108
; %bb.107:
	v_ashrrev_i32_e32 v31, 31, v30
	v_lshlrev_b64 v[38:39], 2, v[30:31]
	v_add_co_u32_e32 v38, vcc, v24, v38
	v_addc_co_u32_e32 v39, vcc, v25, v39, vcc
	flat_load_dword v31, v[38:39]
	flat_load_dword v36, v[24:25] offset:24
	s_waitcnt vmcnt(0) lgkmcnt(0)
	flat_store_dword v[24:25], v31 offset:24
	flat_store_dword v[38:39], v36
.LBB22_108:
	s_or_b64 exec, exec, s[14:15]
	v_mov_b32_e32 v36, v30
	v_mov_b32_e32 v31, v30
.LBB22_109:
	s_or_b64 exec, exec, s[2:3]
.LBB22_110:
	s_andn2_saveexec_b64 s[0:1], s[0:1]
	s_cbranch_execz .LBB22_112
; %bb.111:
	v_mov_b32_e32 v31, 6
	ds_write2_b64 v33, v[6:7], v[22:23] offset0:7 offset1:8
	ds_write2_b64 v33, v[18:19], v[12:13] offset0:9 offset1:10
	ds_write_b64 v33, v[26:27] offset:88
.LBB22_112:
	s_or_b64 exec, exec, s[0:1]
	v_cmp_lt_i32_e32 vcc, 6, v31
	s_waitcnt lgkmcnt(0)
	s_barrier
	s_and_saveexec_b64 s[0:1], vcc
	s_cbranch_execz .LBB22_114
; %bb.113:
	ds_read2_b64 v[38:41], v33 offset0:7 offset1:8
	ds_read2_b64 v[42:45], v33 offset0:9 offset1:10
	v_mul_f64 v[8:9], v[8:9], v[28:29]
	ds_read_b64 v[28:29], v33 offset:88
	s_waitcnt lgkmcnt(0)
	v_fma_f64 v[6:7], -v[8:9], v[38:39], v[6:7]
	v_fma_f64 v[22:23], -v[8:9], v[40:41], v[22:23]
	;; [unrolled: 1-line block ×5, first 2 shown]
.LBB22_114:
	s_or_b64 exec, exec, s[0:1]
	v_lshl_add_u32 v28, v31, 3, v33
	s_barrier
	ds_write_b64 v28, v[6:7]
	s_waitcnt lgkmcnt(0)
	s_barrier
	ds_read_b64 v[28:29], v33 offset:56
	s_cmp_lt_i32 s12, 9
	v_mov_b32_e32 v30, 7
	s_cbranch_scc1 .LBB22_117
; %bb.115:
	v_add3_u32 v32, v32, 0, 64
	s_mov_b32 s0, 8
	v_mov_b32_e32 v30, 7
.LBB22_116:                             ; =>This Inner Loop Header: Depth=1
	ds_read_b64 v[38:39], v32
	v_mov_b32_e32 v40, s0
	s_add_i32 s0, s0, 1
	v_add_u32_e32 v32, 8, v32
	s_cmp_lg_u32 s12, s0
	s_waitcnt lgkmcnt(0)
	v_cmp_lt_f64_e64 vcc, |v[28:29]|, |v[38:39]|
	v_cndmask_b32_e32 v29, v29, v39, vcc
	v_cndmask_b32_e32 v28, v28, v38, vcc
	v_cndmask_b32_e32 v30, v30, v40, vcc
	s_cbranch_scc1 .LBB22_116
.LBB22_117:
	s_waitcnt lgkmcnt(0)
	v_cmp_eq_f64_e32 vcc, 0, v[28:29]
	s_and_saveexec_b64 s[0:1], vcc
	s_xor_b64 s[0:1], exec, s[0:1]
; %bb.118:
	v_cmp_ne_u32_e32 vcc, 0, v37
	v_cndmask_b32_e32 v37, 8, v37, vcc
; %bb.119:
	s_andn2_saveexec_b64 s[0:1], s[0:1]
; %bb.120:
	v_div_scale_f64 v[38:39], s[2:3], v[28:29], v[28:29], 1.0
	v_rcp_f64_e32 v[40:41], v[38:39]
	v_div_scale_f64 v[42:43], vcc, 1.0, v[28:29], 1.0
	v_fma_f64 v[44:45], -v[38:39], v[40:41], 1.0
	v_fmac_f64_e32 v[40:41], v[40:41], v[44:45]
	v_fma_f64 v[44:45], -v[38:39], v[40:41], 1.0
	v_fmac_f64_e32 v[40:41], v[40:41], v[44:45]
	v_mul_f64 v[44:45], v[42:43], v[40:41]
	v_fma_f64 v[38:39], -v[38:39], v[44:45], v[42:43]
	v_div_fmas_f64 v[38:39], v[38:39], v[40:41], v[44:45]
	v_div_fixup_f64 v[28:29], v[38:39], v[28:29], 1.0
; %bb.121:
	s_or_b64 exec, exec, s[0:1]
	v_cmp_ne_u32_e32 vcc, v31, v30
	s_and_saveexec_b64 s[0:1], vcc
	s_xor_b64 s[0:1], exec, s[0:1]
	s_cbranch_execz .LBB22_127
; %bb.122:
	v_cmp_eq_u32_e32 vcc, 7, v31
	s_and_saveexec_b64 s[2:3], vcc
	s_cbranch_execz .LBB22_126
; %bb.123:
	v_cmp_ne_u32_e32 vcc, 7, v30
	s_xor_b64 s[14:15], s[6:7], -1
	s_and_b64 s[16:17], s[14:15], vcc
	s_and_saveexec_b64 s[14:15], s[16:17]
	s_cbranch_execz .LBB22_125
; %bb.124:
	v_ashrrev_i32_e32 v31, 31, v30
	v_lshlrev_b64 v[38:39], 2, v[30:31]
	v_add_co_u32_e32 v38, vcc, v24, v38
	v_addc_co_u32_e32 v39, vcc, v25, v39, vcc
	flat_load_dword v31, v[38:39]
	flat_load_dword v32, v[24:25] offset:28
	s_waitcnt vmcnt(0) lgkmcnt(0)
	flat_store_dword v[24:25], v31 offset:28
	flat_store_dword v[38:39], v32
.LBB22_125:
	s_or_b64 exec, exec, s[14:15]
	v_mov_b32_e32 v36, v30
	v_mov_b32_e32 v31, v30
.LBB22_126:
	s_or_b64 exec, exec, s[2:3]
.LBB22_127:
	s_andn2_saveexec_b64 s[0:1], s[0:1]
	s_cbranch_execz .LBB22_129
; %bb.128:
	v_mov_b32_e32 v31, 7
	ds_write2_b64 v33, v[22:23], v[18:19] offset0:8 offset1:9
	ds_write2_b64 v33, v[12:13], v[26:27] offset0:10 offset1:11
.LBB22_129:
	s_or_b64 exec, exec, s[0:1]
	v_cmp_lt_i32_e32 vcc, 7, v31
	s_waitcnt lgkmcnt(0)
	s_barrier
	s_and_saveexec_b64 s[0:1], vcc
	s_cbranch_execz .LBB22_131
; %bb.130:
	ds_read2_b64 v[38:41], v33 offset0:8 offset1:9
	ds_read2_b64 v[42:45], v33 offset0:10 offset1:11
	v_mul_f64 v[6:7], v[6:7], v[28:29]
	s_waitcnt lgkmcnt(0)
	v_fma_f64 v[22:23], -v[6:7], v[38:39], v[22:23]
	v_fma_f64 v[18:19], -v[6:7], v[40:41], v[18:19]
	;; [unrolled: 1-line block ×4, first 2 shown]
.LBB22_131:
	s_or_b64 exec, exec, s[0:1]
	v_lshl_add_u32 v28, v31, 3, v33
	s_barrier
	ds_write_b64 v28, v[22:23]
	s_waitcnt lgkmcnt(0)
	s_barrier
	ds_read_b64 v[28:29], v33 offset:64
	s_cmp_lt_i32 s12, 10
	v_mov_b32_e32 v30, 8
	s_cbranch_scc1 .LBB22_134
; %bb.132:
	v_add_u32_e32 v32, 0x48, v33
	s_mov_b32 s0, 9
	v_mov_b32_e32 v30, 8
.LBB22_133:                             ; =>This Inner Loop Header: Depth=1
	ds_read_b64 v[38:39], v32
	v_mov_b32_e32 v40, s0
	s_add_i32 s0, s0, 1
	v_add_u32_e32 v32, 8, v32
	s_cmp_lg_u32 s12, s0
	s_waitcnt lgkmcnt(0)
	v_cmp_lt_f64_e64 vcc, |v[28:29]|, |v[38:39]|
	v_cndmask_b32_e32 v29, v29, v39, vcc
	v_cndmask_b32_e32 v28, v28, v38, vcc
	;; [unrolled: 1-line block ×3, first 2 shown]
	s_cbranch_scc1 .LBB22_133
.LBB22_134:
	s_waitcnt lgkmcnt(0)
	v_cmp_eq_f64_e32 vcc, 0, v[28:29]
	s_and_saveexec_b64 s[0:1], vcc
	s_xor_b64 s[0:1], exec, s[0:1]
; %bb.135:
	v_cmp_ne_u32_e32 vcc, 0, v37
	v_cndmask_b32_e32 v37, 9, v37, vcc
; %bb.136:
	s_andn2_saveexec_b64 s[0:1], s[0:1]
; %bb.137:
	v_div_scale_f64 v[38:39], s[2:3], v[28:29], v[28:29], 1.0
	v_rcp_f64_e32 v[40:41], v[38:39]
	v_div_scale_f64 v[42:43], vcc, 1.0, v[28:29], 1.0
	v_fma_f64 v[44:45], -v[38:39], v[40:41], 1.0
	v_fmac_f64_e32 v[40:41], v[40:41], v[44:45]
	v_fma_f64 v[44:45], -v[38:39], v[40:41], 1.0
	v_fmac_f64_e32 v[40:41], v[40:41], v[44:45]
	v_mul_f64 v[44:45], v[42:43], v[40:41]
	v_fma_f64 v[38:39], -v[38:39], v[44:45], v[42:43]
	v_div_fmas_f64 v[38:39], v[38:39], v[40:41], v[44:45]
	v_div_fixup_f64 v[28:29], v[38:39], v[28:29], 1.0
; %bb.138:
	s_or_b64 exec, exec, s[0:1]
	v_cmp_ne_u32_e32 vcc, v31, v30
	s_and_saveexec_b64 s[0:1], vcc
	s_xor_b64 s[0:1], exec, s[0:1]
	s_cbranch_execz .LBB22_144
; %bb.139:
	v_cmp_eq_u32_e32 vcc, 8, v31
	s_and_saveexec_b64 s[2:3], vcc
	s_cbranch_execz .LBB22_143
; %bb.140:
	v_cmp_ne_u32_e32 vcc, 8, v30
	s_xor_b64 s[14:15], s[6:7], -1
	s_and_b64 s[16:17], s[14:15], vcc
	s_and_saveexec_b64 s[14:15], s[16:17]
	s_cbranch_execz .LBB22_142
; %bb.141:
	v_ashrrev_i32_e32 v31, 31, v30
	v_lshlrev_b64 v[38:39], 2, v[30:31]
	v_add_co_u32_e32 v38, vcc, v24, v38
	v_addc_co_u32_e32 v39, vcc, v25, v39, vcc
	flat_load_dword v31, v[38:39]
	flat_load_dword v32, v[24:25] offset:32
	s_waitcnt vmcnt(0) lgkmcnt(0)
	flat_store_dword v[24:25], v31 offset:32
	flat_store_dword v[38:39], v32
.LBB22_142:
	s_or_b64 exec, exec, s[14:15]
	v_mov_b32_e32 v36, v30
	v_mov_b32_e32 v31, v30
.LBB22_143:
	s_or_b64 exec, exec, s[2:3]
.LBB22_144:
	s_andn2_saveexec_b64 s[0:1], s[0:1]
	s_cbranch_execz .LBB22_146
; %bb.145:
	v_mov_b32_e32 v31, 8
	ds_write2_b64 v33, v[18:19], v[12:13] offset0:9 offset1:10
	ds_write_b64 v33, v[26:27] offset:88
.LBB22_146:
	s_or_b64 exec, exec, s[0:1]
	v_cmp_lt_i32_e32 vcc, 8, v31
	s_waitcnt lgkmcnt(0)
	s_barrier
	s_and_saveexec_b64 s[0:1], vcc
	s_cbranch_execz .LBB22_148
; %bb.147:
	ds_read2_b64 v[38:41], v33 offset0:9 offset1:10
	ds_read_b64 v[42:43], v33 offset:88
	v_mul_f64 v[22:23], v[22:23], v[28:29]
	s_waitcnt lgkmcnt(0)
	v_fma_f64 v[18:19], -v[22:23], v[38:39], v[18:19]
	v_fma_f64 v[12:13], -v[22:23], v[40:41], v[12:13]
	;; [unrolled: 1-line block ×3, first 2 shown]
.LBB22_148:
	s_or_b64 exec, exec, s[0:1]
	v_lshl_add_u32 v28, v31, 3, v33
	s_barrier
	ds_write_b64 v28, v[18:19]
	s_waitcnt lgkmcnt(0)
	s_barrier
	ds_read_b64 v[28:29], v33 offset:72
	s_cmp_lt_i32 s12, 11
	v_mov_b32_e32 v30, 9
	s_cbranch_scc1 .LBB22_151
; %bb.149:
	v_add_u32_e32 v32, 0x50, v33
	s_mov_b32 s0, 10
	v_mov_b32_e32 v30, 9
.LBB22_150:                             ; =>This Inner Loop Header: Depth=1
	ds_read_b64 v[38:39], v32
	v_mov_b32_e32 v40, s0
	s_add_i32 s0, s0, 1
	v_add_u32_e32 v32, 8, v32
	s_cmp_lg_u32 s12, s0
	s_waitcnt lgkmcnt(0)
	v_cmp_lt_f64_e64 vcc, |v[28:29]|, |v[38:39]|
	v_cndmask_b32_e32 v29, v29, v39, vcc
	v_cndmask_b32_e32 v28, v28, v38, vcc
	v_cndmask_b32_e32 v30, v30, v40, vcc
	s_cbranch_scc1 .LBB22_150
.LBB22_151:
	s_waitcnt lgkmcnt(0)
	v_cmp_eq_f64_e32 vcc, 0, v[28:29]
	s_and_saveexec_b64 s[0:1], vcc
	s_xor_b64 s[0:1], exec, s[0:1]
; %bb.152:
	v_cmp_ne_u32_e32 vcc, 0, v37
	v_cndmask_b32_e32 v37, 10, v37, vcc
; %bb.153:
	s_andn2_saveexec_b64 s[0:1], s[0:1]
; %bb.154:
	v_div_scale_f64 v[38:39], s[2:3], v[28:29], v[28:29], 1.0
	v_rcp_f64_e32 v[40:41], v[38:39]
	v_div_scale_f64 v[42:43], vcc, 1.0, v[28:29], 1.0
	v_fma_f64 v[44:45], -v[38:39], v[40:41], 1.0
	v_fmac_f64_e32 v[40:41], v[40:41], v[44:45]
	v_fma_f64 v[44:45], -v[38:39], v[40:41], 1.0
	v_fmac_f64_e32 v[40:41], v[40:41], v[44:45]
	v_mul_f64 v[44:45], v[42:43], v[40:41]
	v_fma_f64 v[38:39], -v[38:39], v[44:45], v[42:43]
	v_div_fmas_f64 v[38:39], v[38:39], v[40:41], v[44:45]
	v_div_fixup_f64 v[28:29], v[38:39], v[28:29], 1.0
; %bb.155:
	s_or_b64 exec, exec, s[0:1]
	v_cmp_ne_u32_e32 vcc, v31, v30
	s_and_saveexec_b64 s[0:1], vcc
	s_xor_b64 s[0:1], exec, s[0:1]
	s_cbranch_execz .LBB22_161
; %bb.156:
	v_cmp_eq_u32_e32 vcc, 9, v31
	s_and_saveexec_b64 s[2:3], vcc
	s_cbranch_execz .LBB22_160
; %bb.157:
	v_cmp_ne_u32_e32 vcc, 9, v30
	s_xor_b64 s[14:15], s[6:7], -1
	s_and_b64 s[16:17], s[14:15], vcc
	s_and_saveexec_b64 s[14:15], s[16:17]
	s_cbranch_execz .LBB22_159
; %bb.158:
	v_ashrrev_i32_e32 v31, 31, v30
	v_lshlrev_b64 v[38:39], 2, v[30:31]
	v_add_co_u32_e32 v38, vcc, v24, v38
	v_addc_co_u32_e32 v39, vcc, v25, v39, vcc
	flat_load_dword v31, v[38:39]
	flat_load_dword v32, v[24:25] offset:36
	s_waitcnt vmcnt(0) lgkmcnt(0)
	flat_store_dword v[24:25], v31 offset:36
	flat_store_dword v[38:39], v32
.LBB22_159:
	s_or_b64 exec, exec, s[14:15]
	v_mov_b32_e32 v36, v30
	v_mov_b32_e32 v31, v30
.LBB22_160:
	s_or_b64 exec, exec, s[2:3]
.LBB22_161:
	s_andn2_saveexec_b64 s[0:1], s[0:1]
	s_cbranch_execz .LBB22_163
; %bb.162:
	v_mov_b32_e32 v31, 9
	ds_write2_b64 v33, v[12:13], v[26:27] offset0:10 offset1:11
.LBB22_163:
	s_or_b64 exec, exec, s[0:1]
	v_cmp_lt_i32_e32 vcc, 9, v31
	s_waitcnt lgkmcnt(0)
	s_barrier
	s_and_saveexec_b64 s[0:1], vcc
	s_cbranch_execz .LBB22_165
; %bb.164:
	ds_read2_b64 v[38:41], v33 offset0:10 offset1:11
	v_mul_f64 v[18:19], v[18:19], v[28:29]
	s_waitcnt lgkmcnt(0)
	v_fma_f64 v[12:13], -v[18:19], v[38:39], v[12:13]
	v_fma_f64 v[26:27], -v[18:19], v[40:41], v[26:27]
.LBB22_165:
	s_or_b64 exec, exec, s[0:1]
	v_lshl_add_u32 v28, v31, 3, v33
	s_barrier
	ds_write_b64 v28, v[12:13]
	s_waitcnt lgkmcnt(0)
	s_barrier
	ds_read_b64 v[28:29], v33 offset:80
	s_cmp_lt_i32 s12, 12
	v_mov_b32_e32 v30, 10
	s_cbranch_scc1 .LBB22_168
; %bb.166:
	v_add_u32_e32 v32, 0x58, v33
	s_mov_b32 s0, 11
	v_mov_b32_e32 v30, 10
.LBB22_167:                             ; =>This Inner Loop Header: Depth=1
	ds_read_b64 v[38:39], v32
	v_mov_b32_e32 v40, s0
	s_add_i32 s0, s0, 1
	v_add_u32_e32 v32, 8, v32
	s_cmp_lg_u32 s12, s0
	s_waitcnt lgkmcnt(0)
	v_cmp_lt_f64_e64 vcc, |v[28:29]|, |v[38:39]|
	v_cndmask_b32_e32 v29, v29, v39, vcc
	v_cndmask_b32_e32 v28, v28, v38, vcc
	;; [unrolled: 1-line block ×3, first 2 shown]
	s_cbranch_scc1 .LBB22_167
.LBB22_168:
	s_waitcnt lgkmcnt(0)
	v_cmp_eq_f64_e32 vcc, 0, v[28:29]
	s_and_saveexec_b64 s[0:1], vcc
	s_xor_b64 s[0:1], exec, s[0:1]
; %bb.169:
	v_cmp_ne_u32_e32 vcc, 0, v37
	v_cndmask_b32_e32 v37, 11, v37, vcc
; %bb.170:
	s_andn2_saveexec_b64 s[0:1], s[0:1]
; %bb.171:
	v_div_scale_f64 v[38:39], s[2:3], v[28:29], v[28:29], 1.0
	v_rcp_f64_e32 v[40:41], v[38:39]
	v_div_scale_f64 v[42:43], vcc, 1.0, v[28:29], 1.0
	v_fma_f64 v[44:45], -v[38:39], v[40:41], 1.0
	v_fmac_f64_e32 v[40:41], v[40:41], v[44:45]
	v_fma_f64 v[44:45], -v[38:39], v[40:41], 1.0
	v_fmac_f64_e32 v[40:41], v[40:41], v[44:45]
	v_mul_f64 v[44:45], v[42:43], v[40:41]
	v_fma_f64 v[38:39], -v[38:39], v[44:45], v[42:43]
	v_div_fmas_f64 v[38:39], v[38:39], v[40:41], v[44:45]
	v_div_fixup_f64 v[28:29], v[38:39], v[28:29], 1.0
; %bb.172:
	s_or_b64 exec, exec, s[0:1]
	v_cmp_ne_u32_e32 vcc, v31, v30
	s_and_saveexec_b64 s[0:1], vcc
	s_xor_b64 s[0:1], exec, s[0:1]
	s_cbranch_execz .LBB22_178
; %bb.173:
	v_cmp_eq_u32_e32 vcc, 10, v31
	s_and_saveexec_b64 s[2:3], vcc
	s_cbranch_execz .LBB22_177
; %bb.174:
	v_cmp_ne_u32_e32 vcc, 10, v30
	s_xor_b64 s[14:15], s[6:7], -1
	s_and_b64 s[16:17], s[14:15], vcc
	s_and_saveexec_b64 s[14:15], s[16:17]
	s_cbranch_execz .LBB22_176
; %bb.175:
	v_ashrrev_i32_e32 v31, 31, v30
	v_lshlrev_b64 v[38:39], 2, v[30:31]
	v_add_co_u32_e32 v38, vcc, v24, v38
	v_addc_co_u32_e32 v39, vcc, v25, v39, vcc
	flat_load_dword v31, v[38:39]
	flat_load_dword v32, v[24:25] offset:40
	s_waitcnt vmcnt(0) lgkmcnt(0)
	flat_store_dword v[24:25], v31 offset:40
	flat_store_dword v[38:39], v32
.LBB22_176:
	s_or_b64 exec, exec, s[14:15]
	v_mov_b32_e32 v36, v30
	v_mov_b32_e32 v31, v30
.LBB22_177:
	s_or_b64 exec, exec, s[2:3]
.LBB22_178:
	s_andn2_saveexec_b64 s[0:1], s[0:1]
	s_cbranch_execz .LBB22_180
; %bb.179:
	v_mov_b32_e32 v31, 10
	ds_write_b64 v33, v[26:27] offset:88
.LBB22_180:
	s_or_b64 exec, exec, s[0:1]
	v_cmp_lt_i32_e32 vcc, 10, v31
	s_waitcnt lgkmcnt(0)
	s_barrier
	s_and_saveexec_b64 s[0:1], vcc
	s_cbranch_execz .LBB22_182
; %bb.181:
	ds_read_b64 v[38:39], v33 offset:88
	v_mul_f64 v[12:13], v[12:13], v[28:29]
	s_waitcnt lgkmcnt(0)
	v_fma_f64 v[26:27], -v[12:13], v[38:39], v[26:27]
.LBB22_182:
	s_or_b64 exec, exec, s[0:1]
	v_lshl_add_u32 v28, v31, 3, v33
	s_barrier
	ds_write_b64 v28, v[26:27]
	s_waitcnt lgkmcnt(0)
	s_barrier
	ds_read_b64 v[28:29], v33 offset:88
	s_cmp_lt_i32 s12, 13
	v_mov_b32_e32 v32, 11
	s_cbranch_scc1 .LBB22_185
; %bb.183:
	v_add_u32_e32 v30, 0x60, v33
	s_mov_b32 s0, 12
	v_mov_b32_e32 v32, 11
.LBB22_184:                             ; =>This Inner Loop Header: Depth=1
	ds_read_b64 v[38:39], v30
	v_mov_b32_e32 v33, s0
	s_add_i32 s0, s0, 1
	v_add_u32_e32 v30, 8, v30
	s_cmp_lg_u32 s12, s0
	s_waitcnt lgkmcnt(0)
	v_cmp_lt_f64_e64 vcc, |v[28:29]|, |v[38:39]|
	v_cndmask_b32_e32 v29, v29, v39, vcc
	v_cndmask_b32_e32 v28, v28, v38, vcc
	v_cndmask_b32_e32 v32, v32, v33, vcc
	s_cbranch_scc1 .LBB22_184
.LBB22_185:
	s_waitcnt lgkmcnt(0)
	v_cmp_eq_f64_e32 vcc, 0, v[28:29]
	s_and_saveexec_b64 s[0:1], vcc
	s_xor_b64 s[0:1], exec, s[0:1]
; %bb.186:
	v_cmp_ne_u32_e32 vcc, 0, v37
	v_cndmask_b32_e32 v37, 12, v37, vcc
; %bb.187:
	s_andn2_saveexec_b64 s[0:1], s[0:1]
; %bb.188:
	v_div_scale_f64 v[38:39], s[2:3], v[28:29], v[28:29], 1.0
	v_rcp_f64_e32 v[40:41], v[38:39]
	v_div_scale_f64 v[42:43], vcc, 1.0, v[28:29], 1.0
	v_fma_f64 v[44:45], -v[38:39], v[40:41], 1.0
	v_fmac_f64_e32 v[40:41], v[40:41], v[44:45]
	v_fma_f64 v[44:45], -v[38:39], v[40:41], 1.0
	v_fmac_f64_e32 v[40:41], v[40:41], v[44:45]
	v_mul_f64 v[44:45], v[42:43], v[40:41]
	v_fma_f64 v[38:39], -v[38:39], v[44:45], v[42:43]
	v_div_fmas_f64 v[38:39], v[38:39], v[40:41], v[44:45]
	v_div_fixup_f64 v[28:29], v[38:39], v[28:29], 1.0
; %bb.189:
	s_or_b64 exec, exec, s[0:1]
	v_cmp_ne_u32_e32 vcc, v31, v32
	v_mov_b32_e32 v30, 11
	s_and_saveexec_b64 s[0:1], vcc
	s_cbranch_execz .LBB22_195
; %bb.190:
	v_cmp_eq_u32_e32 vcc, 11, v31
	s_and_saveexec_b64 s[2:3], vcc
	s_cbranch_execz .LBB22_194
; %bb.191:
	v_cmp_ne_u32_e32 vcc, 11, v32
	s_xor_b64 s[6:7], s[6:7], -1
	s_and_b64 s[14:15], s[6:7], vcc
	s_and_saveexec_b64 s[6:7], s[14:15]
	s_cbranch_execz .LBB22_193
; %bb.192:
	v_ashrrev_i32_e32 v33, 31, v32
	v_lshlrev_b64 v[30:31], 2, v[32:33]
	v_add_co_u32_e32 v30, vcc, v24, v30
	v_addc_co_u32_e32 v31, vcc, v25, v31, vcc
	flat_load_dword v33, v[30:31]
	flat_load_dword v36, v[24:25] offset:44
	s_waitcnt vmcnt(0) lgkmcnt(0)
	flat_store_dword v[24:25], v33 offset:44
	flat_store_dword v[30:31], v36
.LBB22_193:
	s_or_b64 exec, exec, s[6:7]
	v_mov_b32_e32 v36, v32
	v_mov_b32_e32 v31, v32
.LBB22_194:
	s_or_b64 exec, exec, s[2:3]
	v_mov_b32_e32 v30, v31
.LBB22_195:
	s_or_b64 exec, exec, s[0:1]
	s_load_dwordx8 s[0:7], s[4:5], 0x28
	v_cmp_gt_i32_e32 vcc, 12, v30
	v_ashrrev_i32_e32 v31, 31, v30
	s_waitcnt lgkmcnt(0)
	s_barrier
	s_barrier
	s_and_saveexec_b64 s[14:15], vcc
	s_cbranch_execz .LBB22_197
; %bb.196:
	v_mul_lo_u32 v32, v3, s4
	v_mul_lo_u32 v33, v2, s5
	v_mad_u64_u32 v[24:25], s[4:5], v2, s4, 0
	s_lshl_b64 s[2:3], s[2:3], 2
	v_add3_u32 v25, v25, v33, v32
	s_add_u32 s0, s2, s0
	v_lshlrev_b64 v[24:25], 2, v[24:25]
	s_addc_u32 s1, s3, s1
	v_mov_b32_e32 v32, s1
	v_add_co_u32_e32 v33, vcc, s0, v24
	v_addc_co_u32_e32 v32, vcc, v32, v25, vcc
	v_lshlrev_b64 v[24:25], 2, v[30:31]
	v_add_co_u32_e32 v24, vcc, v33, v24
	v_addc_co_u32_e32 v25, vcc, v32, v25, vcc
	v_add3_u32 v32, v36, s13, 1
	global_store_dword v[24:25], v32, off
.LBB22_197:
	s_or_b64 exec, exec, s[14:15]
	v_cmp_eq_u32_e32 vcc, 0, v30
	s_and_saveexec_b64 s[2:3], vcc
	s_cbranch_execz .LBB22_200
; %bb.198:
	v_lshlrev_b64 v[2:3], 2, v[2:3]
	v_mov_b32_e32 v24, s7
	v_add_co_u32_e32 v2, vcc, s6, v2
	v_addc_co_u32_e32 v3, vcc, v24, v3, vcc
	global_load_dword v24, v[2:3], off
	v_cmp_lt_i32_e64 s[0:1], 0, v37
	s_waitcnt vmcnt(0)
	v_cmp_eq_u32_e32 vcc, 0, v24
	s_and_b64 s[0:1], vcc, s[0:1]
	s_and_b64 exec, exec, s[0:1]
	s_cbranch_execz .LBB22_200
; %bb.199:
	v_add_u32_e32 v24, s13, v37
	global_store_dword v[2:3], v24, off
.LBB22_200:
	s_or_b64 exec, exec, s[2:3]
	v_mul_f64 v[2:3], v[26:27], v[28:29]
	v_cmp_lt_i32_e32 vcc, 11, v30
	v_lshlrev_b64 v[24:25], 3, v[30:31]
	v_cndmask_b32_e32 v3, v27, v3, vcc
	v_cndmask_b32_e32 v2, v26, v2, vcc
	v_add_co_u32_e32 v24, vcc, v34, v24
	v_addc_co_u32_e32 v25, vcc, v35, v25, vcc
	global_store_dwordx2 v[24:25], v[14:15], off
	v_mov_b32_e32 v15, s11
	v_add_co_u32_e32 v14, vcc, s10, v24
	v_addc_co_u32_e32 v15, vcc, v25, v15, vcc
	global_store_dwordx2 v[14:15], v[10:11], off
	v_add_u32_e32 v10, s9, v30
	v_ashrrev_i32_e32 v11, 31, v10
	v_lshlrev_b64 v[14:15], 3, v[10:11]
	v_add_co_u32_e32 v14, vcc, v34, v14
	v_addc_co_u32_e32 v15, vcc, v35, v15, vcc
	global_store_dwordx2 v[14:15], v[4:5], off
	v_add_u32_e32 v4, s8, v10
	v_ashrrev_i32_e32 v5, 31, v4
	v_lshlrev_b64 v[10:11], 3, v[4:5]
	;; [unrolled: 6-line block ×3, first 2 shown]
	v_add_co_u32_e32 v4, vcc, v34, v4
	v_add_u32_e32 v0, s8, v0
	v_addc_co_u32_e32 v5, vcc, v35, v5, vcc
	v_ashrrev_i32_e32 v1, 31, v0
	global_store_dwordx2 v[4:5], v[20:21], off
	v_lshlrev_b64 v[4:5], 3, v[0:1]
	v_add_co_u32_e32 v4, vcc, v34, v4
	v_add_u32_e32 v0, s8, v0
	v_addc_co_u32_e32 v5, vcc, v35, v5, vcc
	v_ashrrev_i32_e32 v1, 31, v0
	global_store_dwordx2 v[4:5], v[16:17], off
	v_lshlrev_b64 v[4:5], 3, v[0:1]
	;; [unrolled: 6-line block ×6, first 2 shown]
	v_add_u32_e32 v0, s8, v0
	v_add_co_u32_e32 v4, vcc, v34, v4
	v_ashrrev_i32_e32 v1, 31, v0
	v_addc_co_u32_e32 v5, vcc, v35, v5, vcc
	v_lshlrev_b64 v[0:1], 3, v[0:1]
	v_add_co_u32_e32 v0, vcc, v34, v0
	v_addc_co_u32_e32 v1, vcc, v35, v1, vcc
	global_store_dwordx2 v[4:5], v[12:13], off
	global_store_dwordx2 v[0:1], v[2:3], off
.LBB22_201:
	s_endpgm
	.section	.rodata,"a",@progbits
	.p2align	6, 0x0
	.amdhsa_kernel _ZN9rocsolver6v33100L18getf2_small_kernelILi12EdiiPKPdEEvT1_T3_lS5_lPS5_llPT2_S5_S5_S7_l
		.amdhsa_group_segment_fixed_size 0
		.amdhsa_private_segment_fixed_size 0
		.amdhsa_kernarg_size 352
		.amdhsa_user_sgpr_count 6
		.amdhsa_user_sgpr_private_segment_buffer 1
		.amdhsa_user_sgpr_dispatch_ptr 0
		.amdhsa_user_sgpr_queue_ptr 0
		.amdhsa_user_sgpr_kernarg_segment_ptr 1
		.amdhsa_user_sgpr_dispatch_id 0
		.amdhsa_user_sgpr_flat_scratch_init 0
		.amdhsa_user_sgpr_kernarg_preload_length 0
		.amdhsa_user_sgpr_kernarg_preload_offset 0
		.amdhsa_user_sgpr_private_segment_size 0
		.amdhsa_uses_dynamic_stack 0
		.amdhsa_system_sgpr_private_segment_wavefront_offset 0
		.amdhsa_system_sgpr_workgroup_id_x 1
		.amdhsa_system_sgpr_workgroup_id_y 1
		.amdhsa_system_sgpr_workgroup_id_z 0
		.amdhsa_system_sgpr_workgroup_info 0
		.amdhsa_system_vgpr_workitem_id 1
		.amdhsa_next_free_vgpr 50
		.amdhsa_next_free_sgpr 20
		.amdhsa_accum_offset 52
		.amdhsa_reserve_vcc 1
		.amdhsa_reserve_flat_scratch 0
		.amdhsa_float_round_mode_32 0
		.amdhsa_float_round_mode_16_64 0
		.amdhsa_float_denorm_mode_32 3
		.amdhsa_float_denorm_mode_16_64 3
		.amdhsa_dx10_clamp 1
		.amdhsa_ieee_mode 1
		.amdhsa_fp16_overflow 0
		.amdhsa_tg_split 0
		.amdhsa_exception_fp_ieee_invalid_op 0
		.amdhsa_exception_fp_denorm_src 0
		.amdhsa_exception_fp_ieee_div_zero 0
		.amdhsa_exception_fp_ieee_overflow 0
		.amdhsa_exception_fp_ieee_underflow 0
		.amdhsa_exception_fp_ieee_inexact 0
		.amdhsa_exception_int_div_zero 0
	.end_amdhsa_kernel
	.section	.text._ZN9rocsolver6v33100L18getf2_small_kernelILi12EdiiPKPdEEvT1_T3_lS5_lPS5_llPT2_S5_S5_S7_l,"axG",@progbits,_ZN9rocsolver6v33100L18getf2_small_kernelILi12EdiiPKPdEEvT1_T3_lS5_lPS5_llPT2_S5_S5_S7_l,comdat
.Lfunc_end22:
	.size	_ZN9rocsolver6v33100L18getf2_small_kernelILi12EdiiPKPdEEvT1_T3_lS5_lPS5_llPT2_S5_S5_S7_l, .Lfunc_end22-_ZN9rocsolver6v33100L18getf2_small_kernelILi12EdiiPKPdEEvT1_T3_lS5_lPS5_llPT2_S5_S5_S7_l
                                        ; -- End function
	.section	.AMDGPU.csdata,"",@progbits
; Kernel info:
; codeLenInByte = 7092
; NumSgprs: 24
; NumVgprs: 50
; NumAgprs: 0
; TotalNumVgprs: 50
; ScratchSize: 0
; MemoryBound: 0
; FloatMode: 240
; IeeeMode: 1
; LDSByteSize: 0 bytes/workgroup (compile time only)
; SGPRBlocks: 2
; VGPRBlocks: 6
; NumSGPRsForWavesPerEU: 24
; NumVGPRsForWavesPerEU: 50
; AccumOffset: 52
; Occupancy: 8
; WaveLimiterHint : 1
; COMPUTE_PGM_RSRC2:SCRATCH_EN: 0
; COMPUTE_PGM_RSRC2:USER_SGPR: 6
; COMPUTE_PGM_RSRC2:TRAP_HANDLER: 0
; COMPUTE_PGM_RSRC2:TGID_X_EN: 1
; COMPUTE_PGM_RSRC2:TGID_Y_EN: 1
; COMPUTE_PGM_RSRC2:TGID_Z_EN: 0
; COMPUTE_PGM_RSRC2:TIDIG_COMP_CNT: 1
; COMPUTE_PGM_RSRC3_GFX90A:ACCUM_OFFSET: 12
; COMPUTE_PGM_RSRC3_GFX90A:TG_SPLIT: 0
	.section	.text._ZN9rocsolver6v33100L23getf2_npvt_small_kernelILi12EdiiPKPdEEvT1_T3_lS5_lPT2_S5_S5_,"axG",@progbits,_ZN9rocsolver6v33100L23getf2_npvt_small_kernelILi12EdiiPKPdEEvT1_T3_lS5_lPT2_S5_S5_,comdat
	.globl	_ZN9rocsolver6v33100L23getf2_npvt_small_kernelILi12EdiiPKPdEEvT1_T3_lS5_lPT2_S5_S5_ ; -- Begin function _ZN9rocsolver6v33100L23getf2_npvt_small_kernelILi12EdiiPKPdEEvT1_T3_lS5_lPT2_S5_S5_
	.p2align	8
	.type	_ZN9rocsolver6v33100L23getf2_npvt_small_kernelILi12EdiiPKPdEEvT1_T3_lS5_lPT2_S5_S5_,@function
_ZN9rocsolver6v33100L23getf2_npvt_small_kernelILi12EdiiPKPdEEvT1_T3_lS5_lPT2_S5_S5_: ; @_ZN9rocsolver6v33100L23getf2_npvt_small_kernelILi12EdiiPKPdEEvT1_T3_lS5_lPT2_S5_S5_
; %bb.0:
	s_load_dword s0, s[4:5], 0x44
	s_load_dwordx2 s[22:23], s[4:5], 0x30
	v_bfe_u32 v50, v0, 10, 10
	s_waitcnt lgkmcnt(0)
	s_lshr_b32 s8, s0, 16
	s_mul_i32 s7, s7, s8
	v_add_u32_e32 v2, s7, v50
	v_cmp_gt_i32_e32 vcc, s22, v2
	s_and_saveexec_b64 s[0:1], vcc
	s_cbranch_execz .LBB23_64
; %bb.1:
	s_load_dwordx4 s[12:15], s[4:5], 0x8
	s_load_dword s0, s[4:5], 0x18
	v_ashrrev_i32_e32 v3, 31, v2
	v_lshlrev_b64 v[4:5], 3, v[2:3]
	v_and_b32_e32 v74, 0x3ff, v0
	s_waitcnt lgkmcnt(0)
	v_mov_b32_e32 v1, s13
	v_add_co_u32_e32 v4, vcc, s12, v4
	v_addc_co_u32_e32 v5, vcc, v1, v5, vcc
	global_load_dwordx2 v[4:5], v[4:5], off
	s_add_i32 s9, s0, s0
	v_add_u32_e32 v0, s9, v74
	v_ashrrev_i32_e32 v1, 31, v0
	v_add_u32_e32 v6, s0, v0
	v_lshlrev_b64 v[8:9], 3, v[0:1]
	v_add_u32_e32 v0, s0, v6
	v_ashrrev_i32_e32 v1, 31, v0
	v_add_u32_e32 v10, s0, v0
	v_lshlrev_b64 v[12:13], 3, v[0:1]
	v_add_u32_e32 v0, s0, v10
	s_lshl_b64 s[6:7], s[14:15], 3
	v_ashrrev_i32_e32 v1, 31, v0
	v_add_u32_e32 v14, s0, v0
	v_mov_b32_e32 v21, s7
	v_lshlrev_b64 v[16:17], 3, v[0:1]
	v_add_u32_e32 v0, s0, v14
	v_lshlrev_b32_e32 v20, 3, v74
	v_ashrrev_i32_e32 v1, 31, v0
	v_add_u32_e32 v38, s0, v0
	v_lshlrev_b64 v[18:19], 3, v[0:1]
	v_ashrrev_i32_e32 v7, 31, v6
	v_lshlrev_b64 v[6:7], 3, v[6:7]
	v_ashrrev_i32_e32 v11, 31, v10
	;; [unrolled: 2-line block ×3, first 2 shown]
	v_lshlrev_b64 v[14:15], 3, v[14:15]
	s_ashr_i32 s1, s0, 31
	s_lshl_b64 s[2:3], s[0:1], 3
	v_mov_b32_e32 v22, s3
	v_ashrrev_i32_e32 v39, 31, v38
	v_lshlrev_b64 v[28:29], 3, v[38:39]
	v_add_u32_e32 v40, s0, v38
	v_ashrrev_i32_e32 v41, 31, v40
	v_lshlrev_b64 v[38:39], 3, v[40:41]
	v_add_u32_e32 v40, s0, v40
	v_ashrrev_i32_e32 v41, 31, v40
	v_lshlrev_b64 v[40:41], 3, v[40:41]
	s_mulk_i32 s8, 0x60
	s_movk_i32 s0, 0x60
	s_add_i32 s1, s8, 0
	v_mad_u32_u24 v73, v50, s0, 0
	v_lshl_add_u32 v72, v50, 3, s1
	v_cmp_eq_u32_e64 s[0:1], 0, v74
	s_waitcnt vmcnt(0)
	v_add_co_u32_e32 v42, vcc, s6, v4
	v_addc_co_u32_e32 v43, vcc, v5, v21, vcc
	v_add_co_u32_e32 v0, vcc, v42, v20
	v_addc_co_u32_e32 v1, vcc, 0, v43, vcc
	;; [unrolled: 2-line block ×10, first 2 shown]
	v_add_co_u32_e32 v28, vcc, v42, v28
	global_load_dwordx2 v[18:19], v[8:9], off
	global_load_dwordx2 v[20:21], v[10:11], off
	;; [unrolled: 1-line block ×8, first 2 shown]
	v_addc_co_u32_e32 v29, vcc, v43, v29, vcc
	v_add_co_u32_e32 v38, vcc, v42, v38
	v_addc_co_u32_e32 v39, vcc, v43, v39, vcc
	v_add_co_u32_e32 v40, vcc, v42, v40
	v_addc_co_u32_e32 v41, vcc, v43, v41, vcc
	global_load_dwordx2 v[42:43], v[16:17], off
	global_load_dwordx2 v[44:45], v[28:29], off
	;; [unrolled: 1-line block ×4, first 2 shown]
	v_cmp_ne_u32_e64 s[2:3], 0, v74
	s_and_saveexec_b64 s[6:7], s[0:1]
	s_cbranch_execz .LBB23_4
; %bb.2:
	s_waitcnt vmcnt(7)
	ds_write_b64 v72, v[30:31]
	s_waitcnt vmcnt(5)
	ds_write2_b64 v73, v[32:33], v[34:35] offset0:1 offset1:2
	s_waitcnt vmcnt(4)
	ds_write2_b64 v73, v[36:37], v[18:19] offset0:3 offset1:4
	ds_write2_b64 v73, v[20:21], v[22:23] offset0:5 offset1:6
	s_waitcnt vmcnt(3)
	ds_write2_b64 v73, v[24:25], v[42:43] offset0:7 offset1:8
	s_waitcnt vmcnt(1)
	;; [unrolled: 2-line block ×3, first 2 shown]
	ds_write_b64 v73, v[48:49] offset:88
	ds_read_b64 v[50:51], v72
	s_waitcnt lgkmcnt(0)
	v_cmp_neq_f64_e32 vcc, 0, v[50:51]
	s_and_b64 exec, exec, vcc
	s_cbranch_execz .LBB23_4
; %bb.3:
	v_div_scale_f64 v[52:53], s[8:9], v[50:51], v[50:51], 1.0
	v_rcp_f64_e32 v[54:55], v[52:53]
	v_div_scale_f64 v[56:57], vcc, 1.0, v[50:51], 1.0
	v_fma_f64 v[58:59], -v[52:53], v[54:55], 1.0
	v_fmac_f64_e32 v[54:55], v[54:55], v[58:59]
	v_fma_f64 v[58:59], -v[52:53], v[54:55], 1.0
	v_fmac_f64_e32 v[54:55], v[54:55], v[58:59]
	v_mul_f64 v[58:59], v[56:57], v[54:55]
	v_fma_f64 v[52:53], -v[52:53], v[58:59], v[56:57]
	v_div_fmas_f64 v[52:53], v[52:53], v[54:55], v[58:59]
	v_div_fixup_f64 v[50:51], v[52:53], v[50:51], 1.0
	ds_write_b64 v72, v[50:51]
.LBB23_4:
	s_or_b64 exec, exec, s[6:7]
	s_waitcnt lgkmcnt(0)
	s_barrier
	ds_read_b64 v[50:51], v72
	s_and_saveexec_b64 s[6:7], s[2:3]
	s_cbranch_execz .LBB23_6
; %bb.5:
	ds_read2_b64 v[52:55], v73 offset0:1 offset1:2
	ds_read2_b64 v[56:59], v73 offset0:3 offset1:4
	;; [unrolled: 1-line block ×3, first 2 shown]
	s_waitcnt vmcnt(7) lgkmcnt(3)
	v_mul_f64 v[30:31], v[30:31], v[50:51]
	s_waitcnt vmcnt(6) lgkmcnt(2)
	v_fma_f64 v[32:33], -v[30:31], v[52:53], v[32:33]
	s_waitcnt vmcnt(5)
	v_fma_f64 v[34:35], -v[30:31], v[54:55], v[34:35]
	ds_read2_b64 v[52:55], v73 offset0:7 offset1:8
	s_waitcnt vmcnt(4) lgkmcnt(2)
	v_fma_f64 v[36:37], -v[30:31], v[56:57], v[36:37]
	v_fma_f64 v[18:19], -v[30:31], v[58:59], v[18:19]
	s_waitcnt lgkmcnt(1)
	v_fma_f64 v[20:21], -v[30:31], v[60:61], v[20:21]
	ds_read2_b64 v[56:59], v73 offset0:9 offset1:10
	ds_read_b64 v[60:61], v73 offset:88
	v_fma_f64 v[22:23], -v[30:31], v[62:63], v[22:23]
	s_waitcnt lgkmcnt(2)
	v_fma_f64 v[24:25], -v[30:31], v[52:53], v[24:25]
	s_waitcnt vmcnt(3)
	v_fma_f64 v[42:43], -v[30:31], v[54:55], v[42:43]
	s_waitcnt vmcnt(2) lgkmcnt(1)
	v_fma_f64 v[44:45], -v[30:31], v[56:57], v[44:45]
	s_waitcnt vmcnt(1)
	v_fma_f64 v[46:47], -v[30:31], v[58:59], v[46:47]
	s_waitcnt vmcnt(0) lgkmcnt(0)
	v_fma_f64 v[48:49], -v[30:31], v[60:61], v[48:49]
.LBB23_6:
	s_or_b64 exec, exec, s[6:7]
	v_cmp_eq_u32_e32 vcc, 1, v74
	s_waitcnt lgkmcnt(0)
	s_barrier
	s_and_saveexec_b64 s[2:3], vcc
	s_cbranch_execz .LBB23_9
; %bb.7:
	s_waitcnt vmcnt(6)
	ds_write_b64 v72, v[32:33]
	s_waitcnt vmcnt(4)
	ds_write2_b64 v73, v[34:35], v[36:37] offset0:2 offset1:3
	ds_write2_b64 v73, v[18:19], v[20:21] offset0:4 offset1:5
	;; [unrolled: 1-line block ×3, first 2 shown]
	s_waitcnt vmcnt(2)
	ds_write2_b64 v73, v[42:43], v[44:45] offset0:8 offset1:9
	s_waitcnt vmcnt(0)
	ds_write2_b64 v73, v[46:47], v[48:49] offset0:10 offset1:11
	ds_read_b64 v[52:53], v72
	s_waitcnt lgkmcnt(0)
	v_cmp_neq_f64_e32 vcc, 0, v[52:53]
	s_and_b64 exec, exec, vcc
	s_cbranch_execz .LBB23_9
; %bb.8:
	v_div_scale_f64 v[54:55], s[6:7], v[52:53], v[52:53], 1.0
	v_rcp_f64_e32 v[56:57], v[54:55]
	v_div_scale_f64 v[58:59], vcc, 1.0, v[52:53], 1.0
	v_fma_f64 v[60:61], -v[54:55], v[56:57], 1.0
	v_fmac_f64_e32 v[56:57], v[56:57], v[60:61]
	v_fma_f64 v[60:61], -v[54:55], v[56:57], 1.0
	v_fmac_f64_e32 v[56:57], v[56:57], v[60:61]
	v_mul_f64 v[60:61], v[58:59], v[56:57]
	v_fma_f64 v[54:55], -v[54:55], v[60:61], v[58:59]
	v_div_fmas_f64 v[54:55], v[54:55], v[56:57], v[60:61]
	v_div_fixup_f64 v[52:53], v[54:55], v[52:53], 1.0
	ds_write_b64 v72, v[52:53]
.LBB23_9:
	s_or_b64 exec, exec, s[2:3]
	s_waitcnt lgkmcnt(0)
	s_barrier
	ds_read_b64 v[52:53], v72
	v_cmp_lt_u32_e32 vcc, 1, v74
	s_and_saveexec_b64 s[2:3], vcc
	s_cbranch_execz .LBB23_11
; %bb.10:
	ds_read2_b64 v[54:57], v73 offset0:2 offset1:3
	ds_read2_b64 v[58:61], v73 offset0:4 offset1:5
	s_waitcnt vmcnt(6) lgkmcnt(2)
	v_mul_f64 v[32:33], v[32:33], v[52:53]
	ds_read2_b64 v[62:65], v73 offset0:8 offset1:9
	s_waitcnt vmcnt(5) lgkmcnt(2)
	v_fma_f64 v[34:35], -v[32:33], v[54:55], v[34:35]
	s_waitcnt vmcnt(4)
	v_fma_f64 v[36:37], -v[32:33], v[56:57], v[36:37]
	ds_read2_b64 v[54:57], v73 offset0:6 offset1:7
	s_waitcnt lgkmcnt(2)
	v_fma_f64 v[18:19], -v[32:33], v[58:59], v[18:19]
	v_fma_f64 v[20:21], -v[32:33], v[60:61], v[20:21]
	ds_read2_b64 v[58:61], v73 offset0:10 offset1:11
	s_waitcnt vmcnt(3) lgkmcnt(2)
	v_fma_f64 v[42:43], -v[32:33], v[62:63], v[42:43]
	s_waitcnt lgkmcnt(1)
	v_fma_f64 v[22:23], -v[32:33], v[54:55], v[22:23]
	v_fma_f64 v[24:25], -v[32:33], v[56:57], v[24:25]
	s_waitcnt vmcnt(2)
	v_fma_f64 v[44:45], -v[32:33], v[64:65], v[44:45]
	s_waitcnt vmcnt(1) lgkmcnt(0)
	v_fma_f64 v[46:47], -v[32:33], v[58:59], v[46:47]
	s_waitcnt vmcnt(0)
	v_fma_f64 v[48:49], -v[32:33], v[60:61], v[48:49]
.LBB23_11:
	s_or_b64 exec, exec, s[2:3]
	v_cmp_eq_u32_e32 vcc, 2, v74
	s_waitcnt lgkmcnt(0)
	s_barrier
	s_and_saveexec_b64 s[2:3], vcc
	s_cbranch_execz .LBB23_14
; %bb.12:
	s_waitcnt vmcnt(5)
	ds_write_b64 v72, v[34:35]
	s_waitcnt vmcnt(4)
	ds_write2_b64 v73, v[36:37], v[18:19] offset0:3 offset1:4
	ds_write2_b64 v73, v[20:21], v[22:23] offset0:5 offset1:6
	s_waitcnt vmcnt(3)
	ds_write2_b64 v73, v[24:25], v[42:43] offset0:7 offset1:8
	s_waitcnt vmcnt(1)
	;; [unrolled: 2-line block ×3, first 2 shown]
	ds_write_b64 v73, v[48:49] offset:88
	ds_read_b64 v[54:55], v72
	s_waitcnt lgkmcnt(0)
	v_cmp_neq_f64_e32 vcc, 0, v[54:55]
	s_and_b64 exec, exec, vcc
	s_cbranch_execz .LBB23_14
; %bb.13:
	v_div_scale_f64 v[56:57], s[6:7], v[54:55], v[54:55], 1.0
	v_rcp_f64_e32 v[58:59], v[56:57]
	v_div_scale_f64 v[60:61], vcc, 1.0, v[54:55], 1.0
	v_fma_f64 v[62:63], -v[56:57], v[58:59], 1.0
	v_fmac_f64_e32 v[58:59], v[58:59], v[62:63]
	v_fma_f64 v[62:63], -v[56:57], v[58:59], 1.0
	v_fmac_f64_e32 v[58:59], v[58:59], v[62:63]
	v_mul_f64 v[62:63], v[60:61], v[58:59]
	v_fma_f64 v[56:57], -v[56:57], v[62:63], v[60:61]
	v_div_fmas_f64 v[56:57], v[56:57], v[58:59], v[62:63]
	v_div_fixup_f64 v[54:55], v[56:57], v[54:55], 1.0
	ds_write_b64 v72, v[54:55]
.LBB23_14:
	s_or_b64 exec, exec, s[2:3]
	s_waitcnt lgkmcnt(0)
	s_barrier
	ds_read_b64 v[54:55], v72
	v_cmp_lt_u32_e32 vcc, 2, v74
	s_and_saveexec_b64 s[2:3], vcc
	s_cbranch_execz .LBB23_16
; %bb.15:
	ds_read2_b64 v[56:59], v73 offset0:3 offset1:4
	ds_read2_b64 v[60:63], v73 offset0:5 offset1:6
	s_waitcnt vmcnt(5) lgkmcnt(2)
	v_mul_f64 v[34:35], v[34:35], v[54:55]
	ds_read2_b64 v[64:67], v73 offset0:9 offset1:10
	s_waitcnt vmcnt(4) lgkmcnt(2)
	v_fma_f64 v[36:37], -v[34:35], v[56:57], v[36:37]
	v_fma_f64 v[18:19], -v[34:35], v[58:59], v[18:19]
	ds_read2_b64 v[56:59], v73 offset0:7 offset1:8
	s_waitcnt lgkmcnt(2)
	v_fma_f64 v[20:21], -v[34:35], v[60:61], v[20:21]
	ds_read_b64 v[60:61], v73 offset:88
	v_fma_f64 v[22:23], -v[34:35], v[62:63], v[22:23]
	s_waitcnt vmcnt(2) lgkmcnt(2)
	v_fma_f64 v[44:45], -v[34:35], v[64:65], v[44:45]
	s_waitcnt lgkmcnt(1)
	v_fma_f64 v[24:25], -v[34:35], v[56:57], v[24:25]
	v_fma_f64 v[42:43], -v[34:35], v[58:59], v[42:43]
	s_waitcnt vmcnt(1)
	v_fma_f64 v[46:47], -v[34:35], v[66:67], v[46:47]
	s_waitcnt vmcnt(0) lgkmcnt(0)
	v_fma_f64 v[48:49], -v[34:35], v[60:61], v[48:49]
.LBB23_16:
	s_or_b64 exec, exec, s[2:3]
	v_cmp_eq_u32_e32 vcc, 3, v74
	s_waitcnt lgkmcnt(0)
	s_barrier
	s_and_saveexec_b64 s[2:3], vcc
	s_cbranch_execz .LBB23_19
; %bb.17:
	s_waitcnt vmcnt(4)
	ds_write_b64 v72, v[36:37]
	ds_write2_b64 v73, v[18:19], v[20:21] offset0:4 offset1:5
	ds_write2_b64 v73, v[22:23], v[24:25] offset0:6 offset1:7
	s_waitcnt vmcnt(2)
	ds_write2_b64 v73, v[42:43], v[44:45] offset0:8 offset1:9
	s_waitcnt vmcnt(0)
	ds_write2_b64 v73, v[46:47], v[48:49] offset0:10 offset1:11
	ds_read_b64 v[56:57], v72
	s_waitcnt lgkmcnt(0)
	v_cmp_neq_f64_e32 vcc, 0, v[56:57]
	s_and_b64 exec, exec, vcc
	s_cbranch_execz .LBB23_19
; %bb.18:
	v_div_scale_f64 v[58:59], s[6:7], v[56:57], v[56:57], 1.0
	v_rcp_f64_e32 v[60:61], v[58:59]
	v_div_scale_f64 v[62:63], vcc, 1.0, v[56:57], 1.0
	v_fma_f64 v[64:65], -v[58:59], v[60:61], 1.0
	v_fmac_f64_e32 v[60:61], v[60:61], v[64:65]
	v_fma_f64 v[64:65], -v[58:59], v[60:61], 1.0
	v_fmac_f64_e32 v[60:61], v[60:61], v[64:65]
	v_mul_f64 v[64:65], v[62:63], v[60:61]
	v_fma_f64 v[58:59], -v[58:59], v[64:65], v[62:63]
	v_div_fmas_f64 v[58:59], v[58:59], v[60:61], v[64:65]
	v_div_fixup_f64 v[56:57], v[58:59], v[56:57], 1.0
	ds_write_b64 v72, v[56:57]
.LBB23_19:
	s_or_b64 exec, exec, s[2:3]
	s_waitcnt lgkmcnt(0)
	s_barrier
	ds_read_b64 v[56:57], v72
	v_cmp_lt_u32_e32 vcc, 3, v74
	s_and_saveexec_b64 s[2:3], vcc
	s_cbranch_execz .LBB23_21
; %bb.20:
	ds_read2_b64 v[58:61], v73 offset0:4 offset1:5
	ds_read2_b64 v[62:65], v73 offset0:6 offset1:7
	s_waitcnt vmcnt(4) lgkmcnt(2)
	v_mul_f64 v[36:37], v[36:37], v[56:57]
	ds_read2_b64 v[66:69], v73 offset0:8 offset1:9
	s_waitcnt lgkmcnt(2)
	v_fma_f64 v[18:19], -v[36:37], v[58:59], v[18:19]
	v_fma_f64 v[20:21], -v[36:37], v[60:61], v[20:21]
	ds_read2_b64 v[58:61], v73 offset0:10 offset1:11
	s_waitcnt lgkmcnt(2)
	v_fma_f64 v[22:23], -v[36:37], v[62:63], v[22:23]
	v_fma_f64 v[24:25], -v[36:37], v[64:65], v[24:25]
	s_waitcnt vmcnt(3) lgkmcnt(1)
	v_fma_f64 v[42:43], -v[36:37], v[66:67], v[42:43]
	s_waitcnt vmcnt(2)
	v_fma_f64 v[44:45], -v[36:37], v[68:69], v[44:45]
	s_waitcnt vmcnt(1) lgkmcnt(0)
	v_fma_f64 v[46:47], -v[36:37], v[58:59], v[46:47]
	s_waitcnt vmcnt(0)
	v_fma_f64 v[48:49], -v[36:37], v[60:61], v[48:49]
.LBB23_21:
	s_or_b64 exec, exec, s[2:3]
	v_cmp_eq_u32_e32 vcc, 4, v74
	s_waitcnt lgkmcnt(0)
	s_barrier
	s_and_saveexec_b64 s[2:3], vcc
	s_cbranch_execz .LBB23_24
; %bb.22:
	s_waitcnt vmcnt(11)
	ds_write_b64 v72, v[18:19]
	s_waitcnt vmcnt(9)
	ds_write2_b64 v73, v[20:21], v[22:23] offset0:5 offset1:6
	s_waitcnt vmcnt(3)
	ds_write2_b64 v73, v[24:25], v[42:43] offset0:7 offset1:8
	;; [unrolled: 2-line block ×3, first 2 shown]
	s_waitcnt vmcnt(0)
	ds_write_b64 v73, v[48:49] offset:88
	ds_read_b64 v[58:59], v72
	s_waitcnt lgkmcnt(0)
	v_cmp_neq_f64_e32 vcc, 0, v[58:59]
	s_and_b64 exec, exec, vcc
	s_cbranch_execz .LBB23_24
; %bb.23:
	v_div_scale_f64 v[60:61], s[6:7], v[58:59], v[58:59], 1.0
	v_rcp_f64_e32 v[62:63], v[60:61]
	v_div_scale_f64 v[64:65], vcc, 1.0, v[58:59], 1.0
	v_fma_f64 v[66:67], -v[60:61], v[62:63], 1.0
	v_fmac_f64_e32 v[62:63], v[62:63], v[66:67]
	v_fma_f64 v[66:67], -v[60:61], v[62:63], 1.0
	v_fmac_f64_e32 v[62:63], v[62:63], v[66:67]
	v_mul_f64 v[66:67], v[64:65], v[62:63]
	v_fma_f64 v[60:61], -v[60:61], v[66:67], v[64:65]
	v_div_fmas_f64 v[60:61], v[60:61], v[62:63], v[66:67]
	v_div_fixup_f64 v[58:59], v[60:61], v[58:59], 1.0
	ds_write_b64 v72, v[58:59]
.LBB23_24:
	s_or_b64 exec, exec, s[2:3]
	s_waitcnt lgkmcnt(0)
	s_barrier
	ds_read_b64 v[58:59], v72
	v_cmp_lt_u32_e32 vcc, 4, v74
	s_and_saveexec_b64 s[2:3], vcc
	s_cbranch_execz .LBB23_26
; %bb.25:
	ds_read2_b64 v[60:63], v73 offset0:5 offset1:6
	ds_read2_b64 v[64:67], v73 offset0:7 offset1:8
	s_waitcnt vmcnt(11) lgkmcnt(2)
	v_mul_f64 v[18:19], v[18:19], v[58:59]
	ds_read2_b64 v[68:71], v73 offset0:9 offset1:10
	s_waitcnt vmcnt(10) lgkmcnt(2)
	v_fma_f64 v[20:21], -v[18:19], v[60:61], v[20:21]
	ds_read_b64 v[60:61], v73 offset:88
	s_waitcnt vmcnt(9)
	v_fma_f64 v[22:23], -v[18:19], v[62:63], v[22:23]
	s_waitcnt vmcnt(8) lgkmcnt(2)
	v_fma_f64 v[24:25], -v[18:19], v[64:65], v[24:25]
	s_waitcnt vmcnt(3)
	v_fma_f64 v[42:43], -v[18:19], v[66:67], v[42:43]
	s_waitcnt vmcnt(2) lgkmcnt(1)
	v_fma_f64 v[44:45], -v[18:19], v[68:69], v[44:45]
	s_waitcnt vmcnt(1)
	v_fma_f64 v[46:47], -v[18:19], v[70:71], v[46:47]
	s_waitcnt vmcnt(0) lgkmcnt(0)
	v_fma_f64 v[48:49], -v[18:19], v[60:61], v[48:49]
.LBB23_26:
	s_or_b64 exec, exec, s[2:3]
	v_cmp_eq_u32_e32 vcc, 5, v74
	s_waitcnt lgkmcnt(0)
	s_barrier
	s_and_saveexec_b64 s[2:3], vcc
	s_cbranch_execz .LBB23_29
; %bb.27:
	s_waitcnt vmcnt(10)
	ds_write_b64 v72, v[20:21]
	s_waitcnt vmcnt(8)
	ds_write2_b64 v73, v[22:23], v[24:25] offset0:6 offset1:7
	s_waitcnt vmcnt(2)
	ds_write2_b64 v73, v[42:43], v[44:45] offset0:8 offset1:9
	;; [unrolled: 2-line block ×3, first 2 shown]
	ds_read_b64 v[60:61], v72
	s_waitcnt lgkmcnt(0)
	v_cmp_neq_f64_e32 vcc, 0, v[60:61]
	s_and_b64 exec, exec, vcc
	s_cbranch_execz .LBB23_29
; %bb.28:
	v_div_scale_f64 v[62:63], s[6:7], v[60:61], v[60:61], 1.0
	v_rcp_f64_e32 v[64:65], v[62:63]
	v_div_scale_f64 v[66:67], vcc, 1.0, v[60:61], 1.0
	v_fma_f64 v[68:69], -v[62:63], v[64:65], 1.0
	v_fmac_f64_e32 v[64:65], v[64:65], v[68:69]
	v_fma_f64 v[68:69], -v[62:63], v[64:65], 1.0
	v_fmac_f64_e32 v[64:65], v[64:65], v[68:69]
	v_mul_f64 v[68:69], v[66:67], v[64:65]
	v_fma_f64 v[62:63], -v[62:63], v[68:69], v[66:67]
	v_div_fmas_f64 v[62:63], v[62:63], v[64:65], v[68:69]
	v_div_fixup_f64 v[60:61], v[62:63], v[60:61], 1.0
	ds_write_b64 v72, v[60:61]
.LBB23_29:
	s_or_b64 exec, exec, s[2:3]
	s_waitcnt lgkmcnt(0)
	s_barrier
	ds_read_b64 v[60:61], v72
	v_cmp_lt_u32_e32 vcc, 5, v74
	s_and_saveexec_b64 s[2:3], vcc
	s_cbranch_execz .LBB23_31
; %bb.30:
	ds_read2_b64 v[62:65], v73 offset0:6 offset1:7
	ds_read2_b64 v[66:69], v73 offset0:8 offset1:9
	ds_read2_b64 v[76:79], v73 offset0:10 offset1:11
	s_waitcnt vmcnt(10) lgkmcnt(3)
	v_mul_f64 v[20:21], v[20:21], v[60:61]
	s_waitcnt vmcnt(9) lgkmcnt(2)
	v_fma_f64 v[22:23], -v[20:21], v[62:63], v[22:23]
	s_waitcnt vmcnt(8)
	v_fma_f64 v[24:25], -v[20:21], v[64:65], v[24:25]
	s_waitcnt vmcnt(3) lgkmcnt(1)
	v_fma_f64 v[42:43], -v[20:21], v[66:67], v[42:43]
	s_waitcnt vmcnt(2)
	v_fma_f64 v[44:45], -v[20:21], v[68:69], v[44:45]
	;; [unrolled: 4-line block ×3, first 2 shown]
.LBB23_31:
	s_or_b64 exec, exec, s[2:3]
	v_cmp_eq_u32_e32 vcc, 6, v74
	s_waitcnt lgkmcnt(0)
	s_barrier
	s_and_saveexec_b64 s[2:3], vcc
	s_cbranch_execz .LBB23_34
; %bb.32:
	s_waitcnt vmcnt(9)
	ds_write_b64 v72, v[22:23]
	s_waitcnt vmcnt(3)
	ds_write2_b64 v73, v[24:25], v[42:43] offset0:7 offset1:8
	s_waitcnt vmcnt(1)
	ds_write2_b64 v73, v[44:45], v[46:47] offset0:9 offset1:10
	s_waitcnt vmcnt(0)
	ds_write_b64 v73, v[48:49] offset:88
	ds_read_b64 v[62:63], v72
	s_waitcnt lgkmcnt(0)
	v_cmp_neq_f64_e32 vcc, 0, v[62:63]
	s_and_b64 exec, exec, vcc
	s_cbranch_execz .LBB23_34
; %bb.33:
	v_div_scale_f64 v[64:65], s[6:7], v[62:63], v[62:63], 1.0
	v_rcp_f64_e32 v[66:67], v[64:65]
	v_div_scale_f64 v[68:69], vcc, 1.0, v[62:63], 1.0
	v_fma_f64 v[70:71], -v[64:65], v[66:67], 1.0
	v_fmac_f64_e32 v[66:67], v[66:67], v[70:71]
	v_fma_f64 v[70:71], -v[64:65], v[66:67], 1.0
	v_fmac_f64_e32 v[66:67], v[66:67], v[70:71]
	v_mul_f64 v[70:71], v[68:69], v[66:67]
	v_fma_f64 v[64:65], -v[64:65], v[70:71], v[68:69]
	v_div_fmas_f64 v[64:65], v[64:65], v[66:67], v[70:71]
	v_div_fixup_f64 v[62:63], v[64:65], v[62:63], 1.0
	ds_write_b64 v72, v[62:63]
.LBB23_34:
	s_or_b64 exec, exec, s[2:3]
	s_waitcnt lgkmcnt(0)
	s_barrier
	ds_read_b64 v[62:63], v72
	v_cmp_lt_u32_e32 vcc, 6, v74
	s_and_saveexec_b64 s[2:3], vcc
	s_cbranch_execz .LBB23_36
; %bb.35:
	ds_read2_b64 v[64:67], v73 offset0:7 offset1:8
	ds_read2_b64 v[68:71], v73 offset0:9 offset1:10
	ds_read_b64 v[76:77], v73 offset:88
	s_waitcnt vmcnt(9) lgkmcnt(3)
	v_mul_f64 v[22:23], v[22:23], v[62:63]
	s_waitcnt vmcnt(8) lgkmcnt(2)
	v_fma_f64 v[24:25], -v[22:23], v[64:65], v[24:25]
	s_waitcnt vmcnt(3)
	v_fma_f64 v[42:43], -v[22:23], v[66:67], v[42:43]
	s_waitcnt vmcnt(2) lgkmcnt(1)
	v_fma_f64 v[44:45], -v[22:23], v[68:69], v[44:45]
	s_waitcnt vmcnt(1)
	v_fma_f64 v[46:47], -v[22:23], v[70:71], v[46:47]
	s_waitcnt vmcnt(0) lgkmcnt(0)
	v_fma_f64 v[48:49], -v[22:23], v[76:77], v[48:49]
.LBB23_36:
	s_or_b64 exec, exec, s[2:3]
	v_cmp_eq_u32_e32 vcc, 7, v74
	s_waitcnt lgkmcnt(0)
	s_barrier
	s_and_saveexec_b64 s[2:3], vcc
	s_cbranch_execz .LBB23_39
; %bb.37:
	s_waitcnt vmcnt(8)
	ds_write_b64 v72, v[24:25]
	s_waitcnt vmcnt(2)
	ds_write2_b64 v73, v[42:43], v[44:45] offset0:8 offset1:9
	s_waitcnt vmcnt(0)
	ds_write2_b64 v73, v[46:47], v[48:49] offset0:10 offset1:11
	ds_read_b64 v[64:65], v72
	s_waitcnt lgkmcnt(0)
	v_cmp_neq_f64_e32 vcc, 0, v[64:65]
	s_and_b64 exec, exec, vcc
	s_cbranch_execz .LBB23_39
; %bb.38:
	v_div_scale_f64 v[66:67], s[6:7], v[64:65], v[64:65], 1.0
	v_rcp_f64_e32 v[68:69], v[66:67]
	v_div_scale_f64 v[70:71], vcc, 1.0, v[64:65], 1.0
	v_fma_f64 v[76:77], -v[66:67], v[68:69], 1.0
	v_fmac_f64_e32 v[68:69], v[68:69], v[76:77]
	v_fma_f64 v[76:77], -v[66:67], v[68:69], 1.0
	v_fmac_f64_e32 v[68:69], v[68:69], v[76:77]
	v_mul_f64 v[76:77], v[70:71], v[68:69]
	v_fma_f64 v[66:67], -v[66:67], v[76:77], v[70:71]
	v_div_fmas_f64 v[66:67], v[66:67], v[68:69], v[76:77]
	v_div_fixup_f64 v[64:65], v[66:67], v[64:65], 1.0
	ds_write_b64 v72, v[64:65]
.LBB23_39:
	s_or_b64 exec, exec, s[2:3]
	s_waitcnt lgkmcnt(0)
	s_barrier
	ds_read_b64 v[64:65], v72
	v_cmp_lt_u32_e32 vcc, 7, v74
	s_and_saveexec_b64 s[2:3], vcc
	s_cbranch_execz .LBB23_41
; %bb.40:
	ds_read2_b64 v[66:69], v73 offset0:8 offset1:9
	ds_read2_b64 v[76:79], v73 offset0:10 offset1:11
	s_waitcnt vmcnt(8) lgkmcnt(2)
	v_mul_f64 v[24:25], v[24:25], v[64:65]
	s_waitcnt vmcnt(3) lgkmcnt(1)
	v_fma_f64 v[42:43], -v[24:25], v[66:67], v[42:43]
	s_waitcnt vmcnt(2)
	v_fma_f64 v[44:45], -v[24:25], v[68:69], v[44:45]
	s_waitcnt vmcnt(1) lgkmcnt(0)
	v_fma_f64 v[46:47], -v[24:25], v[76:77], v[46:47]
	s_waitcnt vmcnt(0)
	v_fma_f64 v[48:49], -v[24:25], v[78:79], v[48:49]
.LBB23_41:
	s_or_b64 exec, exec, s[2:3]
	v_cmp_eq_u32_e32 vcc, 8, v74
	s_waitcnt lgkmcnt(0)
	s_barrier
	s_and_saveexec_b64 s[2:3], vcc
	s_cbranch_execz .LBB23_44
; %bb.42:
	s_waitcnt vmcnt(3)
	ds_write_b64 v72, v[42:43]
	s_waitcnt vmcnt(1)
	ds_write2_b64 v73, v[44:45], v[46:47] offset0:9 offset1:10
	s_waitcnt vmcnt(0)
	ds_write_b64 v73, v[48:49] offset:88
	ds_read_b64 v[66:67], v72
	s_waitcnt lgkmcnt(0)
	v_cmp_neq_f64_e32 vcc, 0, v[66:67]
	s_and_b64 exec, exec, vcc
	s_cbranch_execz .LBB23_44
; %bb.43:
	v_div_scale_f64 v[68:69], s[6:7], v[66:67], v[66:67], 1.0
	v_rcp_f64_e32 v[70:71], v[68:69]
	v_div_scale_f64 v[76:77], vcc, 1.0, v[66:67], 1.0
	v_fma_f64 v[78:79], -v[68:69], v[70:71], 1.0
	v_fmac_f64_e32 v[70:71], v[70:71], v[78:79]
	v_fma_f64 v[78:79], -v[68:69], v[70:71], 1.0
	v_fmac_f64_e32 v[70:71], v[70:71], v[78:79]
	v_mul_f64 v[78:79], v[76:77], v[70:71]
	v_fma_f64 v[68:69], -v[68:69], v[78:79], v[76:77]
	v_div_fmas_f64 v[68:69], v[68:69], v[70:71], v[78:79]
	v_div_fixup_f64 v[66:67], v[68:69], v[66:67], 1.0
	ds_write_b64 v72, v[66:67]
.LBB23_44:
	s_or_b64 exec, exec, s[2:3]
	s_waitcnt lgkmcnt(0)
	s_barrier
	ds_read_b64 v[66:67], v72
	v_cmp_lt_u32_e32 vcc, 8, v74
	s_and_saveexec_b64 s[2:3], vcc
	s_cbranch_execz .LBB23_46
; %bb.45:
	ds_read2_b64 v[68:71], v73 offset0:9 offset1:10
	ds_read_b64 v[76:77], v73 offset:88
	s_waitcnt vmcnt(3) lgkmcnt(2)
	v_mul_f64 v[42:43], v[42:43], v[66:67]
	s_waitcnt vmcnt(2) lgkmcnt(1)
	v_fma_f64 v[44:45], -v[42:43], v[68:69], v[44:45]
	s_waitcnt vmcnt(1)
	v_fma_f64 v[46:47], -v[42:43], v[70:71], v[46:47]
	s_waitcnt vmcnt(0) lgkmcnt(0)
	v_fma_f64 v[48:49], -v[42:43], v[76:77], v[48:49]
.LBB23_46:
	s_or_b64 exec, exec, s[2:3]
	v_cmp_eq_u32_e32 vcc, 9, v74
	s_waitcnt lgkmcnt(0)
	s_barrier
	s_and_saveexec_b64 s[2:3], vcc
	s_cbranch_execz .LBB23_49
; %bb.47:
	s_waitcnt vmcnt(2)
	ds_write_b64 v72, v[44:45]
	s_waitcnt vmcnt(0)
	ds_write2_b64 v73, v[46:47], v[48:49] offset0:10 offset1:11
	ds_read_b64 v[68:69], v72
	s_waitcnt lgkmcnt(0)
	v_cmp_neq_f64_e32 vcc, 0, v[68:69]
	s_and_b64 exec, exec, vcc
	s_cbranch_execz .LBB23_49
; %bb.48:
	v_div_scale_f64 v[70:71], s[6:7], v[68:69], v[68:69], 1.0
	v_rcp_f64_e32 v[76:77], v[70:71]
	v_div_scale_f64 v[78:79], vcc, 1.0, v[68:69], 1.0
	v_fma_f64 v[80:81], -v[70:71], v[76:77], 1.0
	v_fmac_f64_e32 v[76:77], v[76:77], v[80:81]
	v_fma_f64 v[80:81], -v[70:71], v[76:77], 1.0
	v_fmac_f64_e32 v[76:77], v[76:77], v[80:81]
	v_mul_f64 v[80:81], v[78:79], v[76:77]
	v_fma_f64 v[70:71], -v[70:71], v[80:81], v[78:79]
	v_div_fmas_f64 v[70:71], v[70:71], v[76:77], v[80:81]
	v_div_fixup_f64 v[68:69], v[70:71], v[68:69], 1.0
	ds_write_b64 v72, v[68:69]
.LBB23_49:
	s_or_b64 exec, exec, s[2:3]
	s_waitcnt lgkmcnt(0)
	s_barrier
	ds_read_b64 v[68:69], v72
	v_cmp_lt_u32_e32 vcc, 9, v74
	s_and_saveexec_b64 s[2:3], vcc
	s_cbranch_execz .LBB23_51
; %bb.50:
	ds_read2_b64 v[76:79], v73 offset0:10 offset1:11
	s_waitcnt vmcnt(2) lgkmcnt(1)
	v_mul_f64 v[44:45], v[44:45], v[68:69]
	s_waitcnt vmcnt(1) lgkmcnt(0)
	v_fma_f64 v[46:47], -v[44:45], v[76:77], v[46:47]
	s_waitcnt vmcnt(0)
	v_fma_f64 v[48:49], -v[44:45], v[78:79], v[48:49]
.LBB23_51:
	s_or_b64 exec, exec, s[2:3]
	v_cmp_eq_u32_e32 vcc, 10, v74
	s_waitcnt lgkmcnt(0)
	s_barrier
	s_and_saveexec_b64 s[2:3], vcc
	s_cbranch_execz .LBB23_54
; %bb.52:
	s_waitcnt vmcnt(1)
	ds_write_b64 v72, v[46:47]
	s_waitcnt vmcnt(0)
	ds_write_b64 v73, v[48:49] offset:88
	ds_read_b64 v[70:71], v72
	s_waitcnt lgkmcnt(0)
	v_cmp_neq_f64_e32 vcc, 0, v[70:71]
	s_and_b64 exec, exec, vcc
	s_cbranch_execz .LBB23_54
; %bb.53:
	v_div_scale_f64 v[76:77], s[6:7], v[70:71], v[70:71], 1.0
	v_rcp_f64_e32 v[78:79], v[76:77]
	v_div_scale_f64 v[80:81], vcc, 1.0, v[70:71], 1.0
	v_fma_f64 v[82:83], -v[76:77], v[78:79], 1.0
	v_fmac_f64_e32 v[78:79], v[78:79], v[82:83]
	v_fma_f64 v[82:83], -v[76:77], v[78:79], 1.0
	v_fmac_f64_e32 v[78:79], v[78:79], v[82:83]
	v_mul_f64 v[82:83], v[80:81], v[78:79]
	v_fma_f64 v[76:77], -v[76:77], v[82:83], v[80:81]
	v_div_fmas_f64 v[76:77], v[76:77], v[78:79], v[82:83]
	v_div_fixup_f64 v[70:71], v[76:77], v[70:71], 1.0
	ds_write_b64 v72, v[70:71]
.LBB23_54:
	s_or_b64 exec, exec, s[2:3]
	s_waitcnt lgkmcnt(0)
	s_barrier
	ds_read_b64 v[70:71], v72
	v_cmp_lt_u32_e32 vcc, 10, v74
	s_and_saveexec_b64 s[2:3], vcc
	s_cbranch_execz .LBB23_56
; %bb.55:
	ds_read_b64 v[76:77], v73 offset:88
	s_waitcnt vmcnt(1) lgkmcnt(1)
	v_mul_f64 v[46:47], v[46:47], v[70:71]
	s_waitcnt vmcnt(0) lgkmcnt(0)
	v_fma_f64 v[48:49], -v[46:47], v[76:77], v[48:49]
.LBB23_56:
	s_or_b64 exec, exec, s[2:3]
	v_cmp_ne_u32_e32 vcc, 11, v74
	s_waitcnt lgkmcnt(0)
	s_barrier
	s_and_saveexec_b64 s[2:3], vcc
	s_xor_b64 s[2:3], exec, s[2:3]
	s_andn2_saveexec_b64 s[2:3], s[2:3]
	s_cbranch_execz .LBB23_60
; %bb.57:
	s_waitcnt vmcnt(0)
	v_cmp_neq_f64_e32 vcc, 0, v[48:49]
	ds_write_b64 v72, v[48:49]
	s_and_saveexec_b64 s[6:7], vcc
	s_cbranch_execz .LBB23_59
; %bb.58:
	v_div_scale_f64 v[76:77], s[8:9], v[48:49], v[48:49], 1.0
	v_rcp_f64_e32 v[78:79], v[76:77]
	v_div_scale_f64 v[80:81], vcc, 1.0, v[48:49], 1.0
	v_fma_f64 v[82:83], -v[76:77], v[78:79], 1.0
	v_fmac_f64_e32 v[78:79], v[78:79], v[82:83]
	v_fma_f64 v[82:83], -v[76:77], v[78:79], 1.0
	v_fmac_f64_e32 v[78:79], v[78:79], v[82:83]
	v_mul_f64 v[82:83], v[80:81], v[78:79]
	v_fma_f64 v[76:77], -v[76:77], v[82:83], v[80:81]
	v_div_fmas_f64 v[76:77], v[76:77], v[78:79], v[82:83]
	v_div_fixup_f64 v[76:77], v[76:77], v[48:49], 1.0
	ds_write_b64 v72, v[76:77]
.LBB23_59:
	s_or_b64 exec, exec, s[6:7]
.LBB23_60:
	s_or_b64 exec, exec, s[2:3]
	s_waitcnt lgkmcnt(0)
	s_barrier
	ds_read_b64 v[72:73], v72
	s_waitcnt lgkmcnt(0)
	s_barrier
	s_and_saveexec_b64 s[24:25], s[0:1]
	s_cbranch_execz .LBB23_63
; %bb.61:
	s_load_dwordx2 s[0:1], s[4:5], 0x28
	v_lshlrev_b64 v[2:3], 2, v[2:3]
	v_cmp_eq_f64_e64 s[2:3], 0, v[54:55]
	v_cmp_eq_f64_e64 s[4:5], 0, v[56:57]
	;; [unrolled: 1-line block ×3, first 2 shown]
	s_waitcnt lgkmcnt(0)
	v_mov_b32_e32 v75, s1
	v_add_co_u32_e32 v2, vcc, s0, v2
	v_addc_co_u32_e32 v3, vcc, v75, v3, vcc
	global_load_dword v75, v[2:3], off
	v_cmp_eq_f64_e32 vcc, 0, v[50:51]
	v_cmp_neq_f64_e64 s[0:1], 0, v[52:53]
	v_cndmask_b32_e64 v50, 0, 1, vcc
	s_or_b64 vcc, s[0:1], vcc
	v_cndmask_b32_e32 v50, 2, v50, vcc
	v_cmp_eq_u32_e32 vcc, 0, v50
	s_and_b64 s[0:1], s[2:3], vcc
	v_cndmask_b32_e64 v50, v50, 3, s[0:1]
	v_cmp_eq_u32_e32 vcc, 0, v50
	s_and_b64 s[0:1], s[4:5], vcc
	v_cndmask_b32_e64 v50, v50, 4, s[0:1]
	;; [unrolled: 3-line block ×3, first 2 shown]
	v_cmp_eq_f64_e64 s[8:9], 0, v[60:61]
	v_cmp_eq_u32_e32 vcc, 0, v50
	s_and_b64 s[0:1], s[8:9], vcc
	v_cndmask_b32_e64 v50, v50, 6, s[0:1]
	v_cmp_eq_f64_e64 s[10:11], 0, v[62:63]
	v_cmp_eq_u32_e32 vcc, 0, v50
	s_and_b64 s[0:1], s[10:11], vcc
	v_cndmask_b32_e64 v50, v50, 7, s[0:1]
	;; [unrolled: 4-line block ×7, first 2 shown]
	v_cmp_ne_u32_e64 s[0:1], 0, v50
	s_waitcnt vmcnt(0)
	v_cmp_eq_u32_e32 vcc, 0, v75
	s_and_b64 s[0:1], vcc, s[0:1]
	s_and_b64 exec, exec, s[0:1]
	s_cbranch_execz .LBB23_63
; %bb.62:
	v_add_u32_e32 v50, s23, v50
	global_store_dword v[2:3], v50, off
.LBB23_63:
	s_or_b64 exec, exec, s[24:25]
	s_waitcnt vmcnt(0)
	v_mul_f64 v[2:3], v[48:49], v[72:73]
	v_cmp_lt_u32_e32 vcc, 11, v74
	v_cndmask_b32_e32 v3, v49, v3, vcc
	v_cndmask_b32_e32 v2, v48, v2, vcc
	global_store_dwordx2 v[0:1], v[30:31], off
	global_store_dwordx2 v[26:27], v[32:33], off
	;; [unrolled: 1-line block ×12, first 2 shown]
.LBB23_64:
	s_endpgm
	.section	.rodata,"a",@progbits
	.p2align	6, 0x0
	.amdhsa_kernel _ZN9rocsolver6v33100L23getf2_npvt_small_kernelILi12EdiiPKPdEEvT1_T3_lS5_lPT2_S5_S5_
		.amdhsa_group_segment_fixed_size 0
		.amdhsa_private_segment_fixed_size 0
		.amdhsa_kernarg_size 312
		.amdhsa_user_sgpr_count 6
		.amdhsa_user_sgpr_private_segment_buffer 1
		.amdhsa_user_sgpr_dispatch_ptr 0
		.amdhsa_user_sgpr_queue_ptr 0
		.amdhsa_user_sgpr_kernarg_segment_ptr 1
		.amdhsa_user_sgpr_dispatch_id 0
		.amdhsa_user_sgpr_flat_scratch_init 0
		.amdhsa_user_sgpr_kernarg_preload_length 0
		.amdhsa_user_sgpr_kernarg_preload_offset 0
		.amdhsa_user_sgpr_private_segment_size 0
		.amdhsa_uses_dynamic_stack 0
		.amdhsa_system_sgpr_private_segment_wavefront_offset 0
		.amdhsa_system_sgpr_workgroup_id_x 1
		.amdhsa_system_sgpr_workgroup_id_y 1
		.amdhsa_system_sgpr_workgroup_id_z 0
		.amdhsa_system_sgpr_workgroup_info 0
		.amdhsa_system_vgpr_workitem_id 1
		.amdhsa_next_free_vgpr 84
		.amdhsa_next_free_sgpr 26
		.amdhsa_accum_offset 84
		.amdhsa_reserve_vcc 1
		.amdhsa_reserve_flat_scratch 0
		.amdhsa_float_round_mode_32 0
		.amdhsa_float_round_mode_16_64 0
		.amdhsa_float_denorm_mode_32 3
		.amdhsa_float_denorm_mode_16_64 3
		.amdhsa_dx10_clamp 1
		.amdhsa_ieee_mode 1
		.amdhsa_fp16_overflow 0
		.amdhsa_tg_split 0
		.amdhsa_exception_fp_ieee_invalid_op 0
		.amdhsa_exception_fp_denorm_src 0
		.amdhsa_exception_fp_ieee_div_zero 0
		.amdhsa_exception_fp_ieee_overflow 0
		.amdhsa_exception_fp_ieee_underflow 0
		.amdhsa_exception_fp_ieee_inexact 0
		.amdhsa_exception_int_div_zero 0
	.end_amdhsa_kernel
	.section	.text._ZN9rocsolver6v33100L23getf2_npvt_small_kernelILi12EdiiPKPdEEvT1_T3_lS5_lPT2_S5_S5_,"axG",@progbits,_ZN9rocsolver6v33100L23getf2_npvt_small_kernelILi12EdiiPKPdEEvT1_T3_lS5_lPT2_S5_S5_,comdat
.Lfunc_end23:
	.size	_ZN9rocsolver6v33100L23getf2_npvt_small_kernelILi12EdiiPKPdEEvT1_T3_lS5_lPT2_S5_S5_, .Lfunc_end23-_ZN9rocsolver6v33100L23getf2_npvt_small_kernelILi12EdiiPKPdEEvT1_T3_lS5_lPT2_S5_S5_
                                        ; -- End function
	.section	.AMDGPU.csdata,"",@progbits
; Kernel info:
; codeLenInByte = 4704
; NumSgprs: 30
; NumVgprs: 84
; NumAgprs: 0
; TotalNumVgprs: 84
; ScratchSize: 0
; MemoryBound: 0
; FloatMode: 240
; IeeeMode: 1
; LDSByteSize: 0 bytes/workgroup (compile time only)
; SGPRBlocks: 3
; VGPRBlocks: 10
; NumSGPRsForWavesPerEU: 30
; NumVGPRsForWavesPerEU: 84
; AccumOffset: 84
; Occupancy: 5
; WaveLimiterHint : 1
; COMPUTE_PGM_RSRC2:SCRATCH_EN: 0
; COMPUTE_PGM_RSRC2:USER_SGPR: 6
; COMPUTE_PGM_RSRC2:TRAP_HANDLER: 0
; COMPUTE_PGM_RSRC2:TGID_X_EN: 1
; COMPUTE_PGM_RSRC2:TGID_Y_EN: 1
; COMPUTE_PGM_RSRC2:TGID_Z_EN: 0
; COMPUTE_PGM_RSRC2:TIDIG_COMP_CNT: 1
; COMPUTE_PGM_RSRC3_GFX90A:ACCUM_OFFSET: 20
; COMPUTE_PGM_RSRC3_GFX90A:TG_SPLIT: 0
	.section	.text._ZN9rocsolver6v33100L18getf2_small_kernelILi13EdiiPKPdEEvT1_T3_lS5_lPS5_llPT2_S5_S5_S7_l,"axG",@progbits,_ZN9rocsolver6v33100L18getf2_small_kernelILi13EdiiPKPdEEvT1_T3_lS5_lPS5_llPT2_S5_S5_S7_l,comdat
	.globl	_ZN9rocsolver6v33100L18getf2_small_kernelILi13EdiiPKPdEEvT1_T3_lS5_lPS5_llPT2_S5_S5_S7_l ; -- Begin function _ZN9rocsolver6v33100L18getf2_small_kernelILi13EdiiPKPdEEvT1_T3_lS5_lPS5_llPT2_S5_S5_S7_l
	.p2align	8
	.type	_ZN9rocsolver6v33100L18getf2_small_kernelILi13EdiiPKPdEEvT1_T3_lS5_lPS5_llPT2_S5_S5_S7_l,@function
_ZN9rocsolver6v33100L18getf2_small_kernelILi13EdiiPKPdEEvT1_T3_lS5_lPS5_llPT2_S5_S5_S7_l: ; @_ZN9rocsolver6v33100L18getf2_small_kernelILi13EdiiPKPdEEvT1_T3_lS5_lPS5_llPT2_S5_S5_S7_l
; %bb.0:
	s_load_dword s0, s[4:5], 0x6c
	s_load_dwordx2 s[12:13], s[4:5], 0x48
	v_bfe_u32 v30, v0, 10, 10
	s_waitcnt lgkmcnt(0)
	s_lshr_b32 s0, s0, 16
	s_mul_i32 s7, s7, s0
	v_add_u32_e32 v2, s7, v30
	v_cmp_gt_i32_e32 vcc, s12, v2
	s_and_saveexec_b64 s[0:1], vcc
	s_cbranch_execz .LBB24_218
; %bb.1:
	s_load_dwordx4 s[0:3], s[4:5], 0x8
	s_load_dwordx4 s[8:11], s[4:5], 0x50
	v_ashrrev_i32_e32 v3, 31, v2
	v_lshlrev_b64 v[4:5], 3, v[2:3]
	v_pk_mov_b32 v[26:27], 0, 0
	s_waitcnt lgkmcnt(0)
	v_mov_b32_e32 v1, s1
	v_add_co_u32_e32 v4, vcc, s0, v4
	v_addc_co_u32_e32 v5, vcc, v1, v5, vcc
	global_load_dwordx2 v[4:5], v[4:5], off
	s_cmp_eq_u64 s[8:9], 0
	s_cselect_b64 s[6:7], -1, 0
	s_and_b64 vcc, exec, s[6:7]
	s_cbranch_vccnz .LBB24_3
; %bb.2:
	v_mul_lo_u32 v1, v3, s10
	v_mul_lo_u32 v8, v2, s11
	v_mad_u64_u32 v[6:7], s[0:1], v2, s10, 0
	v_add3_u32 v7, v7, v8, v1
	v_lshlrev_b64 v[6:7], 2, v[6:7]
	v_mov_b32_e32 v1, s9
	v_add_co_u32_e32 v26, vcc, s8, v6
	v_addc_co_u32_e32 v27, vcc, v1, v7, vcc
.LBB24_3:
	s_load_dword s8, s[4:5], 0x18
	s_load_dword s12, s[4:5], 0x0
	s_lshl_b64 s[0:1], s[2:3], 3
	v_mov_b32_e32 v1, s1
	s_waitcnt vmcnt(0)
	v_add_co_u32_e32 v36, vcc, s0, v4
	v_and_b32_e32 v39, 0x3ff, v0
	v_addc_co_u32_e32 v37, vcc, v5, v1, vcc
	v_lshlrev_b32_e32 v31, 3, v39
	v_add_co_u32_e32 v6, vcc, v36, v31
	s_waitcnt lgkmcnt(0)
	s_ashr_i32 s9, s8, 31
	v_addc_co_u32_e32 v7, vcc, 0, v37, vcc
	s_lshl_b64 s[10:11], s[8:9], 3
	v_mov_b32_e32 v0, s11
	v_add_co_u32_e32 v8, vcc, s10, v6
	s_add_i32 s9, s8, s8
	v_addc_co_u32_e32 v9, vcc, v7, v0, vcc
	v_add_u32_e32 v0, s9, v39
	v_ashrrev_i32_e32 v1, 31, v0
	v_lshlrev_b64 v[4:5], 3, v[0:1]
	v_add_u32_e32 v14, s8, v0
	v_add_co_u32_e32 v10, vcc, v36, v4
	v_ashrrev_i32_e32 v15, 31, v14
	v_addc_co_u32_e32 v11, vcc, v37, v5, vcc
	v_lshlrev_b64 v[0:1], 3, v[14:15]
	v_add_co_u32_e32 v18, vcc, v36, v0
	v_addc_co_u32_e32 v19, vcc, v37, v1, vcc
	global_load_dwordx2 v[16:17], v[6:7], off
	global_load_dwordx2 v[12:13], v[8:9], off
	;; [unrolled: 1-line block ×4, first 2 shown]
	v_add_u32_e32 v6, s8, v14
	v_ashrrev_i32_e32 v7, 31, v6
	v_lshlrev_b64 v[8:9], 3, v[6:7]
	v_add_u32_e32 v6, s8, v6
	v_add_co_u32_e32 v10, vcc, v36, v8
	v_ashrrev_i32_e32 v7, 31, v6
	v_addc_co_u32_e32 v11, vcc, v37, v9, vcc
	v_lshlrev_b64 v[8:9], 3, v[6:7]
	v_add_u32_e32 v6, s8, v6
	v_add_co_u32_e32 v14, vcc, v36, v8
	v_ashrrev_i32_e32 v7, 31, v6
	v_addc_co_u32_e32 v15, vcc, v37, v9, vcc
	;; [unrolled: 5-line block ×3, first 2 shown]
	v_lshlrev_b64 v[6:7], 3, v[24:25]
	v_add_co_u32_e32 v28, vcc, v36, v6
	v_addc_co_u32_e32 v29, vcc, v37, v7, vcc
	global_load_dwordx2 v[22:23], v[10:11], off
	global_load_dwordx2 v[18:19], v[14:15], off
	;; [unrolled: 1-line block ×4, first 2 shown]
	v_add_u32_e32 v10, s8, v24
	v_ashrrev_i32_e32 v11, 31, v10
	v_lshlrev_b64 v[14:15], 3, v[10:11]
	v_add_u32_e32 v10, s8, v10
	v_add_co_u32_e32 v28, vcc, v36, v14
	v_ashrrev_i32_e32 v11, 31, v10
	v_addc_co_u32_e32 v29, vcc, v37, v15, vcc
	v_lshlrev_b64 v[14:15], 3, v[10:11]
	v_add_u32_e32 v10, s8, v10
	v_add_co_u32_e32 v32, vcc, v36, v14
	v_ashrrev_i32_e32 v11, 31, v10
	v_addc_co_u32_e32 v33, vcc, v37, v15, vcc
	;; [unrolled: 5-line block ×3, first 2 shown]
	v_lshlrev_b64 v[10:11], 3, v[40:41]
	v_add_co_u32_e32 v42, vcc, v36, v10
	v_addc_co_u32_e32 v43, vcc, v37, v11, vcc
	global_load_dwordx2 v[24:25], v[28:29], off
	global_load_dwordx2 v[20:21], v[32:33], off
	;; [unrolled: 1-line block ×4, first 2 shown]
	v_add_u32_e32 v28, s8, v40
	v_ashrrev_i32_e32 v29, 31, v28
	v_lshlrev_b64 v[28:29], 3, v[28:29]
	v_add_co_u32_e32 v28, vcc, v36, v28
	v_addc_co_u32_e32 v29, vcc, v37, v29, vcc
	global_load_dwordx2 v[28:29], v[28:29], off
	s_max_i32 s0, s12, 13
	v_mul_lo_u32 v33, s0, v30
	v_lshl_add_u32 v35, v33, 3, 0
	v_add_u32_e32 v30, v35, v31
	v_mov_b32_e32 v32, 0
	s_cmp_lt_i32 s12, 2
	v_lshlrev_b32_e32 v34, 3, v33
	s_waitcnt vmcnt(12)
	ds_write_b64 v30, v[16:17]
	s_waitcnt lgkmcnt(0)
	s_barrier
	ds_read_b64 v[30:31], v35
	s_cbranch_scc1 .LBB24_6
; %bb.4:
	v_add3_u32 v33, v34, 0, 8
	s_mov_b32 s0, 1
	v_mov_b32_e32 v32, 0
.LBB24_5:                               ; =>This Inner Loop Header: Depth=1
	ds_read_b64 v[40:41], v33
	v_mov_b32_e32 v38, s0
	s_add_i32 s0, s0, 1
	v_add_u32_e32 v33, 8, v33
	s_cmp_eq_u32 s12, s0
	s_waitcnt lgkmcnt(0)
	v_cmp_lt_f64_e64 vcc, |v[30:31]|, |v[40:41]|
	v_cndmask_b32_e32 v31, v31, v41, vcc
	v_cndmask_b32_e32 v30, v30, v40, vcc
	;; [unrolled: 1-line block ×3, first 2 shown]
	s_cbranch_scc0 .LBB24_5
.LBB24_6:
	v_cmp_ne_u32_e32 vcc, v39, v32
                                        ; implicit-def: $vgpr33
	s_and_saveexec_b64 s[0:1], vcc
	s_xor_b64 s[0:1], exec, s[0:1]
	s_cbranch_execz .LBB24_12
; %bb.7:
	v_cmp_eq_u32_e32 vcc, 0, v39
	s_and_saveexec_b64 s[2:3], vcc
	s_cbranch_execz .LBB24_11
; %bb.8:
	v_cmp_ne_u32_e32 vcc, 0, v32
	s_xor_b64 s[14:15], s[6:7], -1
	s_and_b64 s[16:17], s[14:15], vcc
	s_and_saveexec_b64 s[14:15], s[16:17]
	s_cbranch_execz .LBB24_10
; %bb.9:
	v_ashrrev_i32_e32 v33, 31, v32
	v_lshlrev_b64 v[38:39], 2, v[32:33]
	v_add_co_u32_e32 v38, vcc, v26, v38
	v_addc_co_u32_e32 v39, vcc, v27, v39, vcc
	flat_load_dword v33, v[38:39]
	flat_load_dword v40, v[26:27]
	s_waitcnt vmcnt(0) lgkmcnt(0)
	flat_store_dword v[26:27], v33
	flat_store_dword v[38:39], v40
.LBB24_10:
	s_or_b64 exec, exec, s[14:15]
	v_mov_b32_e32 v39, v32
.LBB24_11:
	s_or_b64 exec, exec, s[2:3]
	v_mov_b32_e32 v33, v39
                                        ; implicit-def: $vgpr39
.LBB24_12:
	s_or_saveexec_b64 s[0:1], s[0:1]
	v_mov_b32_e32 v38, v33
	s_xor_b64 exec, exec, s[0:1]
	s_cbranch_execz .LBB24_14
; %bb.13:
	v_mov_b32_e32 v33, 0
	v_mov_b32_e32 v38, v39
	s_waitcnt vmcnt(0)
	ds_write2_b64 v35, v[12:13], v[4:5] offset0:1 offset1:2
	ds_write2_b64 v35, v[0:1], v[22:23] offset0:3 offset1:4
	;; [unrolled: 1-line block ×6, first 2 shown]
.LBB24_14:
	s_or_b64 exec, exec, s[0:1]
	s_waitcnt lgkmcnt(0)
	v_cmp_eq_f64_e64 s[0:1], 0, v[30:31]
	v_cmp_lt_i32_e32 vcc, 0, v33
	s_barrier
	s_and_saveexec_b64 s[2:3], vcc
	s_cbranch_execz .LBB24_16
; %bb.15:
	v_div_scale_f64 v[40:41], s[14:15], v[30:31], v[30:31], 1.0
	v_rcp_f64_e32 v[42:43], v[40:41]
	v_div_scale_f64 v[44:45], vcc, 1.0, v[30:31], 1.0
	ds_read2_b64 v[48:51], v35 offset0:5 offset1:6
	v_fma_f64 v[46:47], -v[40:41], v[42:43], 1.0
	v_fmac_f64_e32 v[42:43], v[42:43], v[46:47]
	v_fma_f64 v[46:47], -v[40:41], v[42:43], 1.0
	v_fmac_f64_e32 v[42:43], v[42:43], v[46:47]
	v_mul_f64 v[46:47], v[44:45], v[42:43]
	v_fma_f64 v[40:41], -v[40:41], v[46:47], v[44:45]
	v_div_fmas_f64 v[40:41], v[40:41], v[42:43], v[46:47]
	v_div_fixup_f64 v[44:45], v[40:41], v[30:31], 1.0
	ds_read2_b64 v[40:43], v35 offset0:1 offset1:2
	v_cndmask_b32_e64 v31, v45, v31, s[0:1]
	v_cndmask_b32_e64 v30, v44, v30, s[0:1]
	ds_read2_b64 v[44:47], v35 offset0:3 offset1:4
	v_mul_f64 v[16:17], v[16:17], v[30:31]
	s_waitcnt vmcnt(0) lgkmcnt(0)
	v_fma_f64 v[12:13], -v[16:17], v[40:41], v[12:13]
	v_fma_f64 v[4:5], -v[16:17], v[42:43], v[4:5]
	ds_read2_b64 v[40:43], v35 offset0:7 offset1:8
	v_fma_f64 v[0:1], -v[16:17], v[44:45], v[0:1]
	v_fma_f64 v[22:23], -v[16:17], v[46:47], v[22:23]
	;; [unrolled: 1-line block ×3, first 2 shown]
	ds_read2_b64 v[44:47], v35 offset0:9 offset1:10
	v_fma_f64 v[8:9], -v[16:17], v[50:51], v[8:9]
	ds_read2_b64 v[48:51], v35 offset0:11 offset1:12
	s_waitcnt lgkmcnt(2)
	v_fma_f64 v[6:7], -v[16:17], v[40:41], v[6:7]
	v_fma_f64 v[24:25], -v[16:17], v[42:43], v[24:25]
	s_waitcnt lgkmcnt(1)
	v_fma_f64 v[20:21], -v[16:17], v[44:45], v[20:21]
	v_fma_f64 v[14:15], -v[16:17], v[46:47], v[14:15]
	;; [unrolled: 3-line block ×3, first 2 shown]
.LBB24_16:
	s_or_b64 exec, exec, s[2:3]
	v_lshl_add_u32 v30, v33, 3, v35
	s_barrier
	s_waitcnt vmcnt(0)
	ds_write_b64 v30, v[12:13]
	s_waitcnt lgkmcnt(0)
	s_barrier
	ds_read_b64 v[30:31], v35 offset:8
	s_cmp_lt_i32 s12, 3
	v_mov_b32_e32 v32, 1
	s_cbranch_scc1 .LBB24_19
; %bb.17:
	v_add3_u32 v39, v34, 0, 16
	s_mov_b32 s2, 2
	v_mov_b32_e32 v32, 1
.LBB24_18:                              ; =>This Inner Loop Header: Depth=1
	ds_read_b64 v[40:41], v39
	v_mov_b32_e32 v42, s2
	s_add_i32 s2, s2, 1
	v_add_u32_e32 v39, 8, v39
	s_cmp_lg_u32 s12, s2
	s_waitcnt lgkmcnt(0)
	v_cmp_lt_f64_e64 vcc, |v[30:31]|, |v[40:41]|
	v_cndmask_b32_e32 v31, v31, v41, vcc
	v_cndmask_b32_e32 v30, v30, v40, vcc
	;; [unrolled: 1-line block ×3, first 2 shown]
	s_cbranch_scc1 .LBB24_18
.LBB24_19:
	v_cmp_ne_u32_e32 vcc, v33, v32
	s_and_saveexec_b64 s[2:3], vcc
	s_xor_b64 s[2:3], exec, s[2:3]
	s_cbranch_execz .LBB24_25
; %bb.20:
	v_cmp_eq_u32_e32 vcc, 1, v33
	s_and_saveexec_b64 s[14:15], vcc
	s_cbranch_execz .LBB24_24
; %bb.21:
	v_cmp_ne_u32_e32 vcc, 1, v32
	s_xor_b64 s[16:17], s[6:7], -1
	s_and_b64 s[18:19], s[16:17], vcc
	s_and_saveexec_b64 s[16:17], s[18:19]
	s_cbranch_execz .LBB24_23
; %bb.22:
	v_ashrrev_i32_e32 v33, 31, v32
	v_lshlrev_b64 v[38:39], 2, v[32:33]
	v_add_co_u32_e32 v38, vcc, v26, v38
	v_addc_co_u32_e32 v39, vcc, v27, v39, vcc
	flat_load_dword v33, v[38:39]
	flat_load_dword v40, v[26:27] offset:4
	s_waitcnt vmcnt(0) lgkmcnt(0)
	flat_store_dword v[26:27], v33 offset:4
	flat_store_dword v[38:39], v40
.LBB24_23:
	s_or_b64 exec, exec, s[16:17]
	v_mov_b32_e32 v38, v32
	v_mov_b32_e32 v33, v32
.LBB24_24:
	s_or_b64 exec, exec, s[14:15]
.LBB24_25:
	s_andn2_saveexec_b64 s[2:3], s[2:3]
	s_cbranch_execz .LBB24_27
; %bb.26:
	v_mov_b32_e32 v33, 1
	ds_write2_b64 v35, v[4:5], v[0:1] offset0:2 offset1:3
	ds_write2_b64 v35, v[22:23], v[18:19] offset0:4 offset1:5
	;; [unrolled: 1-line block ×5, first 2 shown]
	ds_write_b64 v35, v[28:29] offset:96
.LBB24_27:
	s_or_b64 exec, exec, s[2:3]
	s_waitcnt lgkmcnt(0)
	v_cmp_neq_f64_e64 s[2:3], 0, v[30:31]
	v_cmp_lt_i32_e32 vcc, 1, v33
	s_barrier
	s_and_saveexec_b64 s[14:15], vcc
	s_cbranch_execz .LBB24_29
; %bb.28:
	v_div_scale_f64 v[40:41], s[16:17], v[30:31], v[30:31], 1.0
	v_rcp_f64_e32 v[42:43], v[40:41]
	v_div_scale_f64 v[44:45], vcc, 1.0, v[30:31], 1.0
	ds_read2_b64 v[48:51], v35 offset0:6 offset1:7
	v_fma_f64 v[46:47], -v[40:41], v[42:43], 1.0
	v_fmac_f64_e32 v[42:43], v[42:43], v[46:47]
	v_fma_f64 v[46:47], -v[40:41], v[42:43], 1.0
	v_fmac_f64_e32 v[42:43], v[42:43], v[46:47]
	v_mul_f64 v[46:47], v[44:45], v[42:43]
	v_fma_f64 v[40:41], -v[40:41], v[46:47], v[44:45]
	v_div_fmas_f64 v[40:41], v[40:41], v[42:43], v[46:47]
	v_div_fixup_f64 v[44:45], v[40:41], v[30:31], 1.0
	ds_read2_b64 v[40:43], v35 offset0:2 offset1:3
	v_cndmask_b32_e64 v31, v31, v45, s[2:3]
	v_cndmask_b32_e64 v30, v30, v44, s[2:3]
	ds_read2_b64 v[44:47], v35 offset0:4 offset1:5
	v_mul_f64 v[12:13], v[12:13], v[30:31]
	s_waitcnt lgkmcnt(0)
	v_fma_f64 v[4:5], -v[12:13], v[40:41], v[4:5]
	v_fma_f64 v[0:1], -v[12:13], v[42:43], v[0:1]
	ds_read2_b64 v[40:43], v35 offset0:8 offset1:9
	v_fma_f64 v[22:23], -v[12:13], v[44:45], v[22:23]
	v_fma_f64 v[18:19], -v[12:13], v[46:47], v[18:19]
	ds_read2_b64 v[44:47], v35 offset0:10 offset1:11
	ds_read_b64 v[30:31], v35 offset:96
	v_fma_f64 v[8:9], -v[12:13], v[48:49], v[8:9]
	v_fma_f64 v[6:7], -v[12:13], v[50:51], v[6:7]
	s_waitcnt lgkmcnt(0)
	v_fma_f64 v[24:25], -v[12:13], v[40:41], v[24:25]
	v_fma_f64 v[20:21], -v[12:13], v[42:43], v[20:21]
	v_fma_f64 v[14:15], -v[12:13], v[44:45], v[14:15]
	v_fma_f64 v[10:11], -v[12:13], v[46:47], v[10:11]
	v_fma_f64 v[28:29], -v[12:13], v[30:31], v[28:29]
.LBB24_29:
	s_or_b64 exec, exec, s[14:15]
	v_lshl_add_u32 v30, v33, 3, v35
	s_barrier
	ds_write_b64 v30, v[4:5]
	s_waitcnt lgkmcnt(0)
	s_barrier
	ds_read_b64 v[30:31], v35 offset:16
	s_mov_b32 s14, 3
	s_cmp_lt_i32 s12, 4
	v_mov_b32_e32 v32, 2
	s_cbranch_scc1 .LBB24_32
; %bb.30:
	v_add3_u32 v39, v34, 0, 24
	v_mov_b32_e32 v32, 2
.LBB24_31:                              ; =>This Inner Loop Header: Depth=1
	ds_read_b64 v[40:41], v39
	v_mov_b32_e32 v42, s14
	s_add_i32 s14, s14, 1
	v_add_u32_e32 v39, 8, v39
	s_cmp_lg_u32 s12, s14
	s_waitcnt lgkmcnt(0)
	v_cmp_lt_f64_e64 vcc, |v[30:31]|, |v[40:41]|
	v_cndmask_b32_e32 v31, v31, v41, vcc
	v_cndmask_b32_e32 v30, v30, v40, vcc
	;; [unrolled: 1-line block ×3, first 2 shown]
	s_cbranch_scc1 .LBB24_31
.LBB24_32:
	v_cndmask_b32_e64 v39, 2, 1, s[0:1]
	v_cndmask_b32_e64 v40, 0, 1, s[0:1]
	;; [unrolled: 1-line block ×3, first 2 shown]
	s_waitcnt lgkmcnt(0)
	v_cmp_eq_f64_e32 vcc, 0, v[30:31]
	s_and_saveexec_b64 s[0:1], vcc
	s_xor_b64 s[0:1], exec, s[0:1]
; %bb.33:
	v_cmp_ne_u32_e32 vcc, 0, v39
	v_cndmask_b32_e32 v39, 3, v39, vcc
; %bb.34:
	s_andn2_saveexec_b64 s[0:1], s[0:1]
; %bb.35:
	v_div_scale_f64 v[40:41], s[2:3], v[30:31], v[30:31], 1.0
	v_rcp_f64_e32 v[42:43], v[40:41]
	v_div_scale_f64 v[44:45], vcc, 1.0, v[30:31], 1.0
	v_fma_f64 v[46:47], -v[40:41], v[42:43], 1.0
	v_fmac_f64_e32 v[42:43], v[42:43], v[46:47]
	v_fma_f64 v[46:47], -v[40:41], v[42:43], 1.0
	v_fmac_f64_e32 v[42:43], v[42:43], v[46:47]
	v_mul_f64 v[46:47], v[44:45], v[42:43]
	v_fma_f64 v[40:41], -v[40:41], v[46:47], v[44:45]
	v_div_fmas_f64 v[40:41], v[40:41], v[42:43], v[46:47]
	v_div_fixup_f64 v[30:31], v[40:41], v[30:31], 1.0
; %bb.36:
	s_or_b64 exec, exec, s[0:1]
	v_cmp_ne_u32_e32 vcc, v33, v32
	s_and_saveexec_b64 s[0:1], vcc
	s_xor_b64 s[0:1], exec, s[0:1]
	s_cbranch_execz .LBB24_42
; %bb.37:
	v_cmp_eq_u32_e32 vcc, 2, v33
	s_and_saveexec_b64 s[2:3], vcc
	s_cbranch_execz .LBB24_41
; %bb.38:
	v_cmp_ne_u32_e32 vcc, 2, v32
	s_xor_b64 s[14:15], s[6:7], -1
	s_and_b64 s[16:17], s[14:15], vcc
	s_and_saveexec_b64 s[14:15], s[16:17]
	s_cbranch_execz .LBB24_40
; %bb.39:
	v_ashrrev_i32_e32 v33, 31, v32
	v_lshlrev_b64 v[40:41], 2, v[32:33]
	v_add_co_u32_e32 v40, vcc, v26, v40
	v_addc_co_u32_e32 v41, vcc, v27, v41, vcc
	flat_load_dword v33, v[40:41]
	flat_load_dword v38, v[26:27] offset:8
	s_waitcnt vmcnt(0) lgkmcnt(0)
	flat_store_dword v[26:27], v33 offset:8
	flat_store_dword v[40:41], v38
.LBB24_40:
	s_or_b64 exec, exec, s[14:15]
	v_mov_b32_e32 v38, v32
	v_mov_b32_e32 v33, v32
.LBB24_41:
	s_or_b64 exec, exec, s[2:3]
.LBB24_42:
	s_andn2_saveexec_b64 s[0:1], s[0:1]
	s_cbranch_execz .LBB24_44
; %bb.43:
	v_mov_b32_e32 v33, 2
	ds_write2_b64 v35, v[0:1], v[22:23] offset0:3 offset1:4
	ds_write2_b64 v35, v[18:19], v[8:9] offset0:5 offset1:6
	;; [unrolled: 1-line block ×5, first 2 shown]
.LBB24_44:
	s_or_b64 exec, exec, s[0:1]
	v_cmp_lt_i32_e32 vcc, 2, v33
	s_waitcnt lgkmcnt(0)
	s_barrier
	s_and_saveexec_b64 s[0:1], vcc
	s_cbranch_execz .LBB24_46
; %bb.45:
	ds_read2_b64 v[40:43], v35 offset0:3 offset1:4
	ds_read2_b64 v[44:47], v35 offset0:5 offset1:6
	v_mul_f64 v[4:5], v[4:5], v[30:31]
	ds_read2_b64 v[48:51], v35 offset0:9 offset1:10
	s_waitcnt lgkmcnt(0)
	v_fma_f64 v[0:1], -v[4:5], v[40:41], v[0:1]
	v_fma_f64 v[22:23], -v[4:5], v[42:43], v[22:23]
	ds_read2_b64 v[40:43], v35 offset0:7 offset1:8
	v_fma_f64 v[18:19], -v[4:5], v[44:45], v[18:19]
	v_fma_f64 v[8:9], -v[4:5], v[46:47], v[8:9]
	ds_read2_b64 v[44:47], v35 offset0:11 offset1:12
	v_fma_f64 v[20:21], -v[4:5], v[48:49], v[20:21]
	s_waitcnt lgkmcnt(0)
	v_fma_f64 v[6:7], -v[4:5], v[40:41], v[6:7]
	v_fma_f64 v[24:25], -v[4:5], v[42:43], v[24:25]
	;; [unrolled: 1-line block ×5, first 2 shown]
.LBB24_46:
	s_or_b64 exec, exec, s[0:1]
	v_lshl_add_u32 v30, v33, 3, v35
	s_barrier
	ds_write_b64 v30, v[0:1]
	s_waitcnt lgkmcnt(0)
	s_barrier
	ds_read_b64 v[30:31], v35 offset:24
	s_cmp_lt_i32 s12, 5
	v_mov_b32_e32 v32, 3
	s_cbranch_scc1 .LBB24_49
; %bb.47:
	v_add3_u32 v40, v34, 0, 32
	s_mov_b32 s0, 4
	v_mov_b32_e32 v32, 3
.LBB24_48:                              ; =>This Inner Loop Header: Depth=1
	ds_read_b64 v[42:43], v40
	v_mov_b32_e32 v41, s0
	s_add_i32 s0, s0, 1
	v_add_u32_e32 v40, 8, v40
	s_cmp_lg_u32 s12, s0
	s_waitcnt lgkmcnt(0)
	v_cmp_lt_f64_e64 vcc, |v[30:31]|, |v[42:43]|
	v_cndmask_b32_e32 v31, v31, v43, vcc
	v_cndmask_b32_e32 v30, v30, v42, vcc
	;; [unrolled: 1-line block ×3, first 2 shown]
	s_cbranch_scc1 .LBB24_48
.LBB24_49:
	s_waitcnt lgkmcnt(0)
	v_cmp_eq_f64_e32 vcc, 0, v[30:31]
	s_and_saveexec_b64 s[0:1], vcc
	s_xor_b64 s[0:1], exec, s[0:1]
; %bb.50:
	v_cmp_ne_u32_e32 vcc, 0, v39
	v_cndmask_b32_e32 v39, 4, v39, vcc
; %bb.51:
	s_andn2_saveexec_b64 s[0:1], s[0:1]
; %bb.52:
	v_div_scale_f64 v[40:41], s[2:3], v[30:31], v[30:31], 1.0
	v_rcp_f64_e32 v[42:43], v[40:41]
	v_div_scale_f64 v[44:45], vcc, 1.0, v[30:31], 1.0
	v_fma_f64 v[46:47], -v[40:41], v[42:43], 1.0
	v_fmac_f64_e32 v[42:43], v[42:43], v[46:47]
	v_fma_f64 v[46:47], -v[40:41], v[42:43], 1.0
	v_fmac_f64_e32 v[42:43], v[42:43], v[46:47]
	v_mul_f64 v[46:47], v[44:45], v[42:43]
	v_fma_f64 v[40:41], -v[40:41], v[46:47], v[44:45]
	v_div_fmas_f64 v[40:41], v[40:41], v[42:43], v[46:47]
	v_div_fixup_f64 v[30:31], v[40:41], v[30:31], 1.0
; %bb.53:
	s_or_b64 exec, exec, s[0:1]
	v_cmp_ne_u32_e32 vcc, v33, v32
	s_and_saveexec_b64 s[0:1], vcc
	s_xor_b64 s[0:1], exec, s[0:1]
	s_cbranch_execz .LBB24_59
; %bb.54:
	v_cmp_eq_u32_e32 vcc, 3, v33
	s_and_saveexec_b64 s[2:3], vcc
	s_cbranch_execz .LBB24_58
; %bb.55:
	v_cmp_ne_u32_e32 vcc, 3, v32
	s_xor_b64 s[14:15], s[6:7], -1
	s_and_b64 s[16:17], s[14:15], vcc
	s_and_saveexec_b64 s[14:15], s[16:17]
	s_cbranch_execz .LBB24_57
; %bb.56:
	v_ashrrev_i32_e32 v33, 31, v32
	v_lshlrev_b64 v[40:41], 2, v[32:33]
	v_add_co_u32_e32 v40, vcc, v26, v40
	v_addc_co_u32_e32 v41, vcc, v27, v41, vcc
	flat_load_dword v33, v[40:41]
	flat_load_dword v38, v[26:27] offset:12
	s_waitcnt vmcnt(0) lgkmcnt(0)
	flat_store_dword v[26:27], v33 offset:12
	flat_store_dword v[40:41], v38
.LBB24_57:
	s_or_b64 exec, exec, s[14:15]
	v_mov_b32_e32 v38, v32
	v_mov_b32_e32 v33, v32
.LBB24_58:
	s_or_b64 exec, exec, s[2:3]
.LBB24_59:
	s_andn2_saveexec_b64 s[0:1], s[0:1]
	s_cbranch_execz .LBB24_61
; %bb.60:
	v_mov_b32_e32 v33, 3
	ds_write2_b64 v35, v[22:23], v[18:19] offset0:4 offset1:5
	ds_write2_b64 v35, v[8:9], v[6:7] offset0:6 offset1:7
	ds_write2_b64 v35, v[24:25], v[20:21] offset0:8 offset1:9
	ds_write2_b64 v35, v[14:15], v[10:11] offset0:10 offset1:11
	ds_write_b64 v35, v[28:29] offset:96
.LBB24_61:
	s_or_b64 exec, exec, s[0:1]
	v_cmp_lt_i32_e32 vcc, 3, v33
	s_waitcnt lgkmcnt(0)
	s_barrier
	s_and_saveexec_b64 s[0:1], vcc
	s_cbranch_execz .LBB24_63
; %bb.62:
	ds_read2_b64 v[40:43], v35 offset0:4 offset1:5
	ds_read2_b64 v[44:47], v35 offset0:6 offset1:7
	v_mul_f64 v[0:1], v[0:1], v[30:31]
	ds_read_b64 v[30:31], v35 offset:96
	ds_read2_b64 v[48:51], v35 offset0:10 offset1:11
	s_waitcnt lgkmcnt(0)
	v_fma_f64 v[22:23], -v[0:1], v[40:41], v[22:23]
	v_fma_f64 v[18:19], -v[0:1], v[42:43], v[18:19]
	ds_read2_b64 v[40:43], v35 offset0:8 offset1:9
	v_fma_f64 v[8:9], -v[0:1], v[44:45], v[8:9]
	v_fma_f64 v[6:7], -v[0:1], v[46:47], v[6:7]
	;; [unrolled: 1-line block ×4, first 2 shown]
	s_waitcnt lgkmcnt(0)
	v_fma_f64 v[24:25], -v[0:1], v[40:41], v[24:25]
	v_fma_f64 v[20:21], -v[0:1], v[42:43], v[20:21]
	;; [unrolled: 1-line block ×3, first 2 shown]
.LBB24_63:
	s_or_b64 exec, exec, s[0:1]
	v_lshl_add_u32 v30, v33, 3, v35
	s_barrier
	ds_write_b64 v30, v[22:23]
	s_waitcnt lgkmcnt(0)
	s_barrier
	ds_read_b64 v[30:31], v35 offset:32
	s_cmp_lt_i32 s12, 6
	v_mov_b32_e32 v32, 4
	s_cbranch_scc1 .LBB24_66
; %bb.64:
	v_add3_u32 v40, v34, 0, 40
	s_mov_b32 s0, 5
	v_mov_b32_e32 v32, 4
.LBB24_65:                              ; =>This Inner Loop Header: Depth=1
	ds_read_b64 v[42:43], v40
	v_mov_b32_e32 v41, s0
	s_add_i32 s0, s0, 1
	v_add_u32_e32 v40, 8, v40
	s_cmp_lg_u32 s12, s0
	s_waitcnt lgkmcnt(0)
	v_cmp_lt_f64_e64 vcc, |v[30:31]|, |v[42:43]|
	v_cndmask_b32_e32 v31, v31, v43, vcc
	v_cndmask_b32_e32 v30, v30, v42, vcc
	;; [unrolled: 1-line block ×3, first 2 shown]
	s_cbranch_scc1 .LBB24_65
.LBB24_66:
	s_waitcnt lgkmcnt(0)
	v_cmp_eq_f64_e32 vcc, 0, v[30:31]
	s_and_saveexec_b64 s[0:1], vcc
	s_xor_b64 s[0:1], exec, s[0:1]
; %bb.67:
	v_cmp_ne_u32_e32 vcc, 0, v39
	v_cndmask_b32_e32 v39, 5, v39, vcc
; %bb.68:
	s_andn2_saveexec_b64 s[0:1], s[0:1]
; %bb.69:
	v_div_scale_f64 v[40:41], s[2:3], v[30:31], v[30:31], 1.0
	v_rcp_f64_e32 v[42:43], v[40:41]
	v_div_scale_f64 v[44:45], vcc, 1.0, v[30:31], 1.0
	v_fma_f64 v[46:47], -v[40:41], v[42:43], 1.0
	v_fmac_f64_e32 v[42:43], v[42:43], v[46:47]
	v_fma_f64 v[46:47], -v[40:41], v[42:43], 1.0
	v_fmac_f64_e32 v[42:43], v[42:43], v[46:47]
	v_mul_f64 v[46:47], v[44:45], v[42:43]
	v_fma_f64 v[40:41], -v[40:41], v[46:47], v[44:45]
	v_div_fmas_f64 v[40:41], v[40:41], v[42:43], v[46:47]
	v_div_fixup_f64 v[30:31], v[40:41], v[30:31], 1.0
; %bb.70:
	s_or_b64 exec, exec, s[0:1]
	v_cmp_ne_u32_e32 vcc, v33, v32
	s_and_saveexec_b64 s[0:1], vcc
	s_xor_b64 s[0:1], exec, s[0:1]
	s_cbranch_execz .LBB24_76
; %bb.71:
	v_cmp_eq_u32_e32 vcc, 4, v33
	s_and_saveexec_b64 s[2:3], vcc
	s_cbranch_execz .LBB24_75
; %bb.72:
	v_cmp_ne_u32_e32 vcc, 4, v32
	s_xor_b64 s[14:15], s[6:7], -1
	s_and_b64 s[16:17], s[14:15], vcc
	s_and_saveexec_b64 s[14:15], s[16:17]
	s_cbranch_execz .LBB24_74
; %bb.73:
	v_ashrrev_i32_e32 v33, 31, v32
	v_lshlrev_b64 v[40:41], 2, v[32:33]
	v_add_co_u32_e32 v40, vcc, v26, v40
	v_addc_co_u32_e32 v41, vcc, v27, v41, vcc
	flat_load_dword v33, v[40:41]
	flat_load_dword v38, v[26:27] offset:16
	s_waitcnt vmcnt(0) lgkmcnt(0)
	flat_store_dword v[26:27], v33 offset:16
	flat_store_dword v[40:41], v38
.LBB24_74:
	s_or_b64 exec, exec, s[14:15]
	v_mov_b32_e32 v38, v32
	v_mov_b32_e32 v33, v32
.LBB24_75:
	s_or_b64 exec, exec, s[2:3]
.LBB24_76:
	s_andn2_saveexec_b64 s[0:1], s[0:1]
	s_cbranch_execz .LBB24_78
; %bb.77:
	v_mov_b32_e32 v33, 4
	ds_write2_b64 v35, v[18:19], v[8:9] offset0:5 offset1:6
	ds_write2_b64 v35, v[6:7], v[24:25] offset0:7 offset1:8
	;; [unrolled: 1-line block ×4, first 2 shown]
.LBB24_78:
	s_or_b64 exec, exec, s[0:1]
	v_cmp_lt_i32_e32 vcc, 4, v33
	s_waitcnt lgkmcnt(0)
	s_barrier
	s_and_saveexec_b64 s[0:1], vcc
	s_cbranch_execz .LBB24_80
; %bb.79:
	ds_read2_b64 v[40:43], v35 offset0:5 offset1:6
	ds_read2_b64 v[44:47], v35 offset0:7 offset1:8
	v_mul_f64 v[22:23], v[22:23], v[30:31]
	ds_read2_b64 v[48:51], v35 offset0:9 offset1:10
	s_waitcnt lgkmcnt(0)
	v_fma_f64 v[18:19], -v[22:23], v[40:41], v[18:19]
	v_fma_f64 v[8:9], -v[22:23], v[42:43], v[8:9]
	ds_read2_b64 v[40:43], v35 offset0:11 offset1:12
	v_fma_f64 v[6:7], -v[22:23], v[44:45], v[6:7]
	v_fma_f64 v[24:25], -v[22:23], v[46:47], v[24:25]
	;; [unrolled: 1-line block ×4, first 2 shown]
	s_waitcnt lgkmcnt(0)
	v_fma_f64 v[10:11], -v[22:23], v[40:41], v[10:11]
	v_fma_f64 v[28:29], -v[22:23], v[42:43], v[28:29]
.LBB24_80:
	s_or_b64 exec, exec, s[0:1]
	v_lshl_add_u32 v30, v33, 3, v35
	s_barrier
	ds_write_b64 v30, v[18:19]
	s_waitcnt lgkmcnt(0)
	s_barrier
	ds_read_b64 v[30:31], v35 offset:40
	s_cmp_lt_i32 s12, 7
	v_mov_b32_e32 v32, 5
	s_cbranch_scc1 .LBB24_83
; %bb.81:
	v_add3_u32 v40, v34, 0, 48
	s_mov_b32 s0, 6
	v_mov_b32_e32 v32, 5
.LBB24_82:                              ; =>This Inner Loop Header: Depth=1
	ds_read_b64 v[42:43], v40
	v_mov_b32_e32 v41, s0
	s_add_i32 s0, s0, 1
	v_add_u32_e32 v40, 8, v40
	s_cmp_lg_u32 s12, s0
	s_waitcnt lgkmcnt(0)
	v_cmp_lt_f64_e64 vcc, |v[30:31]|, |v[42:43]|
	v_cndmask_b32_e32 v31, v31, v43, vcc
	v_cndmask_b32_e32 v30, v30, v42, vcc
	;; [unrolled: 1-line block ×3, first 2 shown]
	s_cbranch_scc1 .LBB24_82
.LBB24_83:
	s_waitcnt lgkmcnt(0)
	v_cmp_eq_f64_e32 vcc, 0, v[30:31]
	s_and_saveexec_b64 s[0:1], vcc
	s_xor_b64 s[0:1], exec, s[0:1]
; %bb.84:
	v_cmp_ne_u32_e32 vcc, 0, v39
	v_cndmask_b32_e32 v39, 6, v39, vcc
; %bb.85:
	s_andn2_saveexec_b64 s[0:1], s[0:1]
; %bb.86:
	v_div_scale_f64 v[40:41], s[2:3], v[30:31], v[30:31], 1.0
	v_rcp_f64_e32 v[42:43], v[40:41]
	v_div_scale_f64 v[44:45], vcc, 1.0, v[30:31], 1.0
	v_fma_f64 v[46:47], -v[40:41], v[42:43], 1.0
	v_fmac_f64_e32 v[42:43], v[42:43], v[46:47]
	v_fma_f64 v[46:47], -v[40:41], v[42:43], 1.0
	v_fmac_f64_e32 v[42:43], v[42:43], v[46:47]
	v_mul_f64 v[46:47], v[44:45], v[42:43]
	v_fma_f64 v[40:41], -v[40:41], v[46:47], v[44:45]
	v_div_fmas_f64 v[40:41], v[40:41], v[42:43], v[46:47]
	v_div_fixup_f64 v[30:31], v[40:41], v[30:31], 1.0
; %bb.87:
	s_or_b64 exec, exec, s[0:1]
	v_cmp_ne_u32_e32 vcc, v33, v32
	s_and_saveexec_b64 s[0:1], vcc
	s_xor_b64 s[0:1], exec, s[0:1]
	s_cbranch_execz .LBB24_93
; %bb.88:
	v_cmp_eq_u32_e32 vcc, 5, v33
	s_and_saveexec_b64 s[2:3], vcc
	s_cbranch_execz .LBB24_92
; %bb.89:
	v_cmp_ne_u32_e32 vcc, 5, v32
	s_xor_b64 s[14:15], s[6:7], -1
	s_and_b64 s[16:17], s[14:15], vcc
	s_and_saveexec_b64 s[14:15], s[16:17]
	s_cbranch_execz .LBB24_91
; %bb.90:
	v_ashrrev_i32_e32 v33, 31, v32
	v_lshlrev_b64 v[40:41], 2, v[32:33]
	v_add_co_u32_e32 v40, vcc, v26, v40
	v_addc_co_u32_e32 v41, vcc, v27, v41, vcc
	flat_load_dword v33, v[40:41]
	flat_load_dword v38, v[26:27] offset:20
	s_waitcnt vmcnt(0) lgkmcnt(0)
	flat_store_dword v[26:27], v33 offset:20
	flat_store_dword v[40:41], v38
.LBB24_91:
	s_or_b64 exec, exec, s[14:15]
	v_mov_b32_e32 v38, v32
	v_mov_b32_e32 v33, v32
.LBB24_92:
	s_or_b64 exec, exec, s[2:3]
.LBB24_93:
	s_andn2_saveexec_b64 s[0:1], s[0:1]
	s_cbranch_execz .LBB24_95
; %bb.94:
	v_mov_b32_e32 v33, 5
	ds_write2_b64 v35, v[8:9], v[6:7] offset0:6 offset1:7
	ds_write2_b64 v35, v[24:25], v[20:21] offset0:8 offset1:9
	;; [unrolled: 1-line block ×3, first 2 shown]
	ds_write_b64 v35, v[28:29] offset:96
.LBB24_95:
	s_or_b64 exec, exec, s[0:1]
	v_cmp_lt_i32_e32 vcc, 5, v33
	s_waitcnt lgkmcnt(0)
	s_barrier
	s_and_saveexec_b64 s[0:1], vcc
	s_cbranch_execz .LBB24_97
; %bb.96:
	ds_read2_b64 v[40:43], v35 offset0:6 offset1:7
	ds_read2_b64 v[44:47], v35 offset0:8 offset1:9
	v_mul_f64 v[18:19], v[18:19], v[30:31]
	ds_read2_b64 v[48:51], v35 offset0:10 offset1:11
	ds_read_b64 v[30:31], v35 offset:96
	s_waitcnt lgkmcnt(0)
	v_fma_f64 v[8:9], -v[18:19], v[40:41], v[8:9]
	v_fma_f64 v[6:7], -v[18:19], v[42:43], v[6:7]
	;; [unrolled: 1-line block ×7, first 2 shown]
.LBB24_97:
	s_or_b64 exec, exec, s[0:1]
	v_lshl_add_u32 v30, v33, 3, v35
	s_barrier
	ds_write_b64 v30, v[8:9]
	s_waitcnt lgkmcnt(0)
	s_barrier
	ds_read_b64 v[30:31], v35 offset:48
	s_cmp_lt_i32 s12, 8
	v_mov_b32_e32 v32, 6
	s_cbranch_scc1 .LBB24_100
; %bb.98:
	v_add3_u32 v40, v34, 0, 56
	s_mov_b32 s0, 7
	v_mov_b32_e32 v32, 6
.LBB24_99:                              ; =>This Inner Loop Header: Depth=1
	ds_read_b64 v[42:43], v40
	v_mov_b32_e32 v41, s0
	s_add_i32 s0, s0, 1
	v_add_u32_e32 v40, 8, v40
	s_cmp_lg_u32 s12, s0
	s_waitcnt lgkmcnt(0)
	v_cmp_lt_f64_e64 vcc, |v[30:31]|, |v[42:43]|
	v_cndmask_b32_e32 v31, v31, v43, vcc
	v_cndmask_b32_e32 v30, v30, v42, vcc
	;; [unrolled: 1-line block ×3, first 2 shown]
	s_cbranch_scc1 .LBB24_99
.LBB24_100:
	s_waitcnt lgkmcnt(0)
	v_cmp_eq_f64_e32 vcc, 0, v[30:31]
	s_and_saveexec_b64 s[0:1], vcc
	s_xor_b64 s[0:1], exec, s[0:1]
; %bb.101:
	v_cmp_ne_u32_e32 vcc, 0, v39
	v_cndmask_b32_e32 v39, 7, v39, vcc
; %bb.102:
	s_andn2_saveexec_b64 s[0:1], s[0:1]
; %bb.103:
	v_div_scale_f64 v[40:41], s[2:3], v[30:31], v[30:31], 1.0
	v_rcp_f64_e32 v[42:43], v[40:41]
	v_div_scale_f64 v[44:45], vcc, 1.0, v[30:31], 1.0
	v_fma_f64 v[46:47], -v[40:41], v[42:43], 1.0
	v_fmac_f64_e32 v[42:43], v[42:43], v[46:47]
	v_fma_f64 v[46:47], -v[40:41], v[42:43], 1.0
	v_fmac_f64_e32 v[42:43], v[42:43], v[46:47]
	v_mul_f64 v[46:47], v[44:45], v[42:43]
	v_fma_f64 v[40:41], -v[40:41], v[46:47], v[44:45]
	v_div_fmas_f64 v[40:41], v[40:41], v[42:43], v[46:47]
	v_div_fixup_f64 v[30:31], v[40:41], v[30:31], 1.0
; %bb.104:
	s_or_b64 exec, exec, s[0:1]
	v_cmp_ne_u32_e32 vcc, v33, v32
	s_and_saveexec_b64 s[0:1], vcc
	s_xor_b64 s[0:1], exec, s[0:1]
	s_cbranch_execz .LBB24_110
; %bb.105:
	v_cmp_eq_u32_e32 vcc, 6, v33
	s_and_saveexec_b64 s[2:3], vcc
	s_cbranch_execz .LBB24_109
; %bb.106:
	v_cmp_ne_u32_e32 vcc, 6, v32
	s_xor_b64 s[14:15], s[6:7], -1
	s_and_b64 s[16:17], s[14:15], vcc
	s_and_saveexec_b64 s[14:15], s[16:17]
	s_cbranch_execz .LBB24_108
; %bb.107:
	v_ashrrev_i32_e32 v33, 31, v32
	v_lshlrev_b64 v[40:41], 2, v[32:33]
	v_add_co_u32_e32 v40, vcc, v26, v40
	v_addc_co_u32_e32 v41, vcc, v27, v41, vcc
	flat_load_dword v33, v[40:41]
	flat_load_dword v38, v[26:27] offset:24
	s_waitcnt vmcnt(0) lgkmcnt(0)
	flat_store_dword v[26:27], v33 offset:24
	flat_store_dword v[40:41], v38
.LBB24_108:
	s_or_b64 exec, exec, s[14:15]
	v_mov_b32_e32 v38, v32
	v_mov_b32_e32 v33, v32
.LBB24_109:
	s_or_b64 exec, exec, s[2:3]
.LBB24_110:
	s_andn2_saveexec_b64 s[0:1], s[0:1]
	s_cbranch_execz .LBB24_112
; %bb.111:
	v_mov_b32_e32 v33, 6
	ds_write2_b64 v35, v[6:7], v[24:25] offset0:7 offset1:8
	ds_write2_b64 v35, v[20:21], v[14:15] offset0:9 offset1:10
	;; [unrolled: 1-line block ×3, first 2 shown]
.LBB24_112:
	s_or_b64 exec, exec, s[0:1]
	v_cmp_lt_i32_e32 vcc, 6, v33
	s_waitcnt lgkmcnt(0)
	s_barrier
	s_and_saveexec_b64 s[0:1], vcc
	s_cbranch_execz .LBB24_114
; %bb.113:
	ds_read2_b64 v[40:43], v35 offset0:7 offset1:8
	ds_read2_b64 v[44:47], v35 offset0:9 offset1:10
	;; [unrolled: 1-line block ×3, first 2 shown]
	v_mul_f64 v[8:9], v[8:9], v[30:31]
	s_waitcnt lgkmcnt(0)
	v_fma_f64 v[6:7], -v[8:9], v[40:41], v[6:7]
	v_fma_f64 v[24:25], -v[8:9], v[42:43], v[24:25]
	;; [unrolled: 1-line block ×6, first 2 shown]
.LBB24_114:
	s_or_b64 exec, exec, s[0:1]
	v_lshl_add_u32 v30, v33, 3, v35
	s_barrier
	ds_write_b64 v30, v[6:7]
	s_waitcnt lgkmcnt(0)
	s_barrier
	ds_read_b64 v[30:31], v35 offset:56
	s_cmp_lt_i32 s12, 9
	v_mov_b32_e32 v32, 7
	s_cbranch_scc1 .LBB24_117
; %bb.115:
	v_add3_u32 v34, v34, 0, 64
	s_mov_b32 s0, 8
	v_mov_b32_e32 v32, 7
.LBB24_116:                             ; =>This Inner Loop Header: Depth=1
	ds_read_b64 v[40:41], v34
	v_mov_b32_e32 v42, s0
	s_add_i32 s0, s0, 1
	v_add_u32_e32 v34, 8, v34
	s_cmp_lg_u32 s12, s0
	s_waitcnt lgkmcnt(0)
	v_cmp_lt_f64_e64 vcc, |v[30:31]|, |v[40:41]|
	v_cndmask_b32_e32 v31, v31, v41, vcc
	v_cndmask_b32_e32 v30, v30, v40, vcc
	;; [unrolled: 1-line block ×3, first 2 shown]
	s_cbranch_scc1 .LBB24_116
.LBB24_117:
	s_waitcnt lgkmcnt(0)
	v_cmp_eq_f64_e32 vcc, 0, v[30:31]
	s_and_saveexec_b64 s[0:1], vcc
	s_xor_b64 s[0:1], exec, s[0:1]
; %bb.118:
	v_cmp_ne_u32_e32 vcc, 0, v39
	v_cndmask_b32_e32 v39, 8, v39, vcc
; %bb.119:
	s_andn2_saveexec_b64 s[0:1], s[0:1]
; %bb.120:
	v_div_scale_f64 v[40:41], s[2:3], v[30:31], v[30:31], 1.0
	v_rcp_f64_e32 v[42:43], v[40:41]
	v_div_scale_f64 v[44:45], vcc, 1.0, v[30:31], 1.0
	v_fma_f64 v[46:47], -v[40:41], v[42:43], 1.0
	v_fmac_f64_e32 v[42:43], v[42:43], v[46:47]
	v_fma_f64 v[46:47], -v[40:41], v[42:43], 1.0
	v_fmac_f64_e32 v[42:43], v[42:43], v[46:47]
	v_mul_f64 v[46:47], v[44:45], v[42:43]
	v_fma_f64 v[40:41], -v[40:41], v[46:47], v[44:45]
	v_div_fmas_f64 v[40:41], v[40:41], v[42:43], v[46:47]
	v_div_fixup_f64 v[30:31], v[40:41], v[30:31], 1.0
; %bb.121:
	s_or_b64 exec, exec, s[0:1]
	v_cmp_ne_u32_e32 vcc, v33, v32
	s_and_saveexec_b64 s[0:1], vcc
	s_xor_b64 s[0:1], exec, s[0:1]
	s_cbranch_execz .LBB24_127
; %bb.122:
	v_cmp_eq_u32_e32 vcc, 7, v33
	s_and_saveexec_b64 s[2:3], vcc
	s_cbranch_execz .LBB24_126
; %bb.123:
	v_cmp_ne_u32_e32 vcc, 7, v32
	s_xor_b64 s[14:15], s[6:7], -1
	s_and_b64 s[16:17], s[14:15], vcc
	s_and_saveexec_b64 s[14:15], s[16:17]
	s_cbranch_execz .LBB24_125
; %bb.124:
	v_ashrrev_i32_e32 v33, 31, v32
	v_lshlrev_b64 v[40:41], 2, v[32:33]
	v_add_co_u32_e32 v40, vcc, v26, v40
	v_addc_co_u32_e32 v41, vcc, v27, v41, vcc
	flat_load_dword v33, v[40:41]
	flat_load_dword v34, v[26:27] offset:28
	s_waitcnt vmcnt(0) lgkmcnt(0)
	flat_store_dword v[26:27], v33 offset:28
	flat_store_dword v[40:41], v34
.LBB24_125:
	s_or_b64 exec, exec, s[14:15]
	v_mov_b32_e32 v38, v32
	v_mov_b32_e32 v33, v32
.LBB24_126:
	s_or_b64 exec, exec, s[2:3]
.LBB24_127:
	s_andn2_saveexec_b64 s[0:1], s[0:1]
	s_cbranch_execz .LBB24_129
; %bb.128:
	v_mov_b32_e32 v33, 7
	ds_write2_b64 v35, v[24:25], v[20:21] offset0:8 offset1:9
	ds_write2_b64 v35, v[14:15], v[10:11] offset0:10 offset1:11
	ds_write_b64 v35, v[28:29] offset:96
.LBB24_129:
	s_or_b64 exec, exec, s[0:1]
	v_cmp_lt_i32_e32 vcc, 7, v33
	s_waitcnt lgkmcnt(0)
	s_barrier
	s_and_saveexec_b64 s[0:1], vcc
	s_cbranch_execz .LBB24_131
; %bb.130:
	ds_read2_b64 v[40:43], v35 offset0:8 offset1:9
	ds_read2_b64 v[44:47], v35 offset0:10 offset1:11
	v_mul_f64 v[6:7], v[6:7], v[30:31]
	ds_read_b64 v[30:31], v35 offset:96
	s_waitcnt lgkmcnt(0)
	v_fma_f64 v[24:25], -v[6:7], v[40:41], v[24:25]
	v_fma_f64 v[20:21], -v[6:7], v[42:43], v[20:21]
	;; [unrolled: 1-line block ×5, first 2 shown]
.LBB24_131:
	s_or_b64 exec, exec, s[0:1]
	v_lshl_add_u32 v30, v33, 3, v35
	s_barrier
	ds_write_b64 v30, v[24:25]
	s_waitcnt lgkmcnt(0)
	s_barrier
	ds_read_b64 v[30:31], v35 offset:64
	s_cmp_lt_i32 s12, 10
	v_mov_b32_e32 v32, 8
	s_cbranch_scc1 .LBB24_134
; %bb.132:
	v_add_u32_e32 v34, 0x48, v35
	s_mov_b32 s0, 9
	v_mov_b32_e32 v32, 8
.LBB24_133:                             ; =>This Inner Loop Header: Depth=1
	ds_read_b64 v[40:41], v34
	v_mov_b32_e32 v42, s0
	s_add_i32 s0, s0, 1
	v_add_u32_e32 v34, 8, v34
	s_cmp_lg_u32 s12, s0
	s_waitcnt lgkmcnt(0)
	v_cmp_lt_f64_e64 vcc, |v[30:31]|, |v[40:41]|
	v_cndmask_b32_e32 v31, v31, v41, vcc
	v_cndmask_b32_e32 v30, v30, v40, vcc
	v_cndmask_b32_e32 v32, v32, v42, vcc
	s_cbranch_scc1 .LBB24_133
.LBB24_134:
	s_waitcnt lgkmcnt(0)
	v_cmp_eq_f64_e32 vcc, 0, v[30:31]
	s_and_saveexec_b64 s[0:1], vcc
	s_xor_b64 s[0:1], exec, s[0:1]
; %bb.135:
	v_cmp_ne_u32_e32 vcc, 0, v39
	v_cndmask_b32_e32 v39, 9, v39, vcc
; %bb.136:
	s_andn2_saveexec_b64 s[0:1], s[0:1]
; %bb.137:
	v_div_scale_f64 v[40:41], s[2:3], v[30:31], v[30:31], 1.0
	v_rcp_f64_e32 v[42:43], v[40:41]
	v_div_scale_f64 v[44:45], vcc, 1.0, v[30:31], 1.0
	v_fma_f64 v[46:47], -v[40:41], v[42:43], 1.0
	v_fmac_f64_e32 v[42:43], v[42:43], v[46:47]
	v_fma_f64 v[46:47], -v[40:41], v[42:43], 1.0
	v_fmac_f64_e32 v[42:43], v[42:43], v[46:47]
	v_mul_f64 v[46:47], v[44:45], v[42:43]
	v_fma_f64 v[40:41], -v[40:41], v[46:47], v[44:45]
	v_div_fmas_f64 v[40:41], v[40:41], v[42:43], v[46:47]
	v_div_fixup_f64 v[30:31], v[40:41], v[30:31], 1.0
; %bb.138:
	s_or_b64 exec, exec, s[0:1]
	v_cmp_ne_u32_e32 vcc, v33, v32
	s_and_saveexec_b64 s[0:1], vcc
	s_xor_b64 s[0:1], exec, s[0:1]
	s_cbranch_execz .LBB24_144
; %bb.139:
	v_cmp_eq_u32_e32 vcc, 8, v33
	s_and_saveexec_b64 s[2:3], vcc
	s_cbranch_execz .LBB24_143
; %bb.140:
	v_cmp_ne_u32_e32 vcc, 8, v32
	s_xor_b64 s[14:15], s[6:7], -1
	s_and_b64 s[16:17], s[14:15], vcc
	s_and_saveexec_b64 s[14:15], s[16:17]
	s_cbranch_execz .LBB24_142
; %bb.141:
	v_ashrrev_i32_e32 v33, 31, v32
	v_lshlrev_b64 v[40:41], 2, v[32:33]
	v_add_co_u32_e32 v40, vcc, v26, v40
	v_addc_co_u32_e32 v41, vcc, v27, v41, vcc
	flat_load_dword v33, v[40:41]
	flat_load_dword v34, v[26:27] offset:32
	s_waitcnt vmcnt(0) lgkmcnt(0)
	flat_store_dword v[26:27], v33 offset:32
	flat_store_dword v[40:41], v34
.LBB24_142:
	s_or_b64 exec, exec, s[14:15]
	v_mov_b32_e32 v38, v32
	v_mov_b32_e32 v33, v32
.LBB24_143:
	s_or_b64 exec, exec, s[2:3]
.LBB24_144:
	s_andn2_saveexec_b64 s[0:1], s[0:1]
	s_cbranch_execz .LBB24_146
; %bb.145:
	v_mov_b32_e32 v33, 8
	ds_write2_b64 v35, v[20:21], v[14:15] offset0:9 offset1:10
	ds_write2_b64 v35, v[10:11], v[28:29] offset0:11 offset1:12
.LBB24_146:
	s_or_b64 exec, exec, s[0:1]
	v_cmp_lt_i32_e32 vcc, 8, v33
	s_waitcnt lgkmcnt(0)
	s_barrier
	s_and_saveexec_b64 s[0:1], vcc
	s_cbranch_execz .LBB24_148
; %bb.147:
	ds_read2_b64 v[40:43], v35 offset0:9 offset1:10
	ds_read2_b64 v[44:47], v35 offset0:11 offset1:12
	v_mul_f64 v[24:25], v[24:25], v[30:31]
	s_waitcnt lgkmcnt(0)
	v_fma_f64 v[20:21], -v[24:25], v[40:41], v[20:21]
	v_fma_f64 v[14:15], -v[24:25], v[42:43], v[14:15]
	;; [unrolled: 1-line block ×4, first 2 shown]
.LBB24_148:
	s_or_b64 exec, exec, s[0:1]
	v_lshl_add_u32 v30, v33, 3, v35
	s_barrier
	ds_write_b64 v30, v[20:21]
	s_waitcnt lgkmcnt(0)
	s_barrier
	ds_read_b64 v[30:31], v35 offset:72
	s_cmp_lt_i32 s12, 11
	v_mov_b32_e32 v32, 9
	s_cbranch_scc1 .LBB24_151
; %bb.149:
	v_add_u32_e32 v34, 0x50, v35
	s_mov_b32 s0, 10
	v_mov_b32_e32 v32, 9
.LBB24_150:                             ; =>This Inner Loop Header: Depth=1
	ds_read_b64 v[40:41], v34
	v_mov_b32_e32 v42, s0
	s_add_i32 s0, s0, 1
	v_add_u32_e32 v34, 8, v34
	s_cmp_lg_u32 s12, s0
	s_waitcnt lgkmcnt(0)
	v_cmp_lt_f64_e64 vcc, |v[30:31]|, |v[40:41]|
	v_cndmask_b32_e32 v31, v31, v41, vcc
	v_cndmask_b32_e32 v30, v30, v40, vcc
	;; [unrolled: 1-line block ×3, first 2 shown]
	s_cbranch_scc1 .LBB24_150
.LBB24_151:
	s_waitcnt lgkmcnt(0)
	v_cmp_eq_f64_e32 vcc, 0, v[30:31]
	s_and_saveexec_b64 s[0:1], vcc
	s_xor_b64 s[0:1], exec, s[0:1]
; %bb.152:
	v_cmp_ne_u32_e32 vcc, 0, v39
	v_cndmask_b32_e32 v39, 10, v39, vcc
; %bb.153:
	s_andn2_saveexec_b64 s[0:1], s[0:1]
; %bb.154:
	v_div_scale_f64 v[40:41], s[2:3], v[30:31], v[30:31], 1.0
	v_rcp_f64_e32 v[42:43], v[40:41]
	v_div_scale_f64 v[44:45], vcc, 1.0, v[30:31], 1.0
	v_fma_f64 v[46:47], -v[40:41], v[42:43], 1.0
	v_fmac_f64_e32 v[42:43], v[42:43], v[46:47]
	v_fma_f64 v[46:47], -v[40:41], v[42:43], 1.0
	v_fmac_f64_e32 v[42:43], v[42:43], v[46:47]
	v_mul_f64 v[46:47], v[44:45], v[42:43]
	v_fma_f64 v[40:41], -v[40:41], v[46:47], v[44:45]
	v_div_fmas_f64 v[40:41], v[40:41], v[42:43], v[46:47]
	v_div_fixup_f64 v[30:31], v[40:41], v[30:31], 1.0
; %bb.155:
	s_or_b64 exec, exec, s[0:1]
	v_cmp_ne_u32_e32 vcc, v33, v32
	s_and_saveexec_b64 s[0:1], vcc
	s_xor_b64 s[0:1], exec, s[0:1]
	s_cbranch_execz .LBB24_161
; %bb.156:
	v_cmp_eq_u32_e32 vcc, 9, v33
	s_and_saveexec_b64 s[2:3], vcc
	s_cbranch_execz .LBB24_160
; %bb.157:
	v_cmp_ne_u32_e32 vcc, 9, v32
	s_xor_b64 s[14:15], s[6:7], -1
	s_and_b64 s[16:17], s[14:15], vcc
	s_and_saveexec_b64 s[14:15], s[16:17]
	s_cbranch_execz .LBB24_159
; %bb.158:
	v_ashrrev_i32_e32 v33, 31, v32
	v_lshlrev_b64 v[40:41], 2, v[32:33]
	v_add_co_u32_e32 v40, vcc, v26, v40
	v_addc_co_u32_e32 v41, vcc, v27, v41, vcc
	flat_load_dword v33, v[40:41]
	flat_load_dword v34, v[26:27] offset:36
	s_waitcnt vmcnt(0) lgkmcnt(0)
	flat_store_dword v[26:27], v33 offset:36
	flat_store_dword v[40:41], v34
.LBB24_159:
	s_or_b64 exec, exec, s[14:15]
	v_mov_b32_e32 v38, v32
	v_mov_b32_e32 v33, v32
.LBB24_160:
	s_or_b64 exec, exec, s[2:3]
.LBB24_161:
	s_andn2_saveexec_b64 s[0:1], s[0:1]
	s_cbranch_execz .LBB24_163
; %bb.162:
	v_mov_b32_e32 v33, 9
	ds_write2_b64 v35, v[14:15], v[10:11] offset0:10 offset1:11
	ds_write_b64 v35, v[28:29] offset:96
.LBB24_163:
	s_or_b64 exec, exec, s[0:1]
	v_cmp_lt_i32_e32 vcc, 9, v33
	s_waitcnt lgkmcnt(0)
	s_barrier
	s_and_saveexec_b64 s[0:1], vcc
	s_cbranch_execz .LBB24_165
; %bb.164:
	ds_read2_b64 v[40:43], v35 offset0:10 offset1:11
	ds_read_b64 v[44:45], v35 offset:96
	v_mul_f64 v[20:21], v[20:21], v[30:31]
	s_waitcnt lgkmcnt(0)
	v_fma_f64 v[14:15], -v[20:21], v[40:41], v[14:15]
	v_fma_f64 v[10:11], -v[20:21], v[42:43], v[10:11]
	;; [unrolled: 1-line block ×3, first 2 shown]
.LBB24_165:
	s_or_b64 exec, exec, s[0:1]
	v_lshl_add_u32 v30, v33, 3, v35
	s_barrier
	ds_write_b64 v30, v[14:15]
	s_waitcnt lgkmcnt(0)
	s_barrier
	ds_read_b64 v[30:31], v35 offset:80
	s_cmp_lt_i32 s12, 12
	v_mov_b32_e32 v32, 10
	s_cbranch_scc1 .LBB24_168
; %bb.166:
	v_add_u32_e32 v34, 0x58, v35
	s_mov_b32 s0, 11
	v_mov_b32_e32 v32, 10
.LBB24_167:                             ; =>This Inner Loop Header: Depth=1
	ds_read_b64 v[40:41], v34
	v_mov_b32_e32 v42, s0
	s_add_i32 s0, s0, 1
	v_add_u32_e32 v34, 8, v34
	s_cmp_lg_u32 s12, s0
	s_waitcnt lgkmcnt(0)
	v_cmp_lt_f64_e64 vcc, |v[30:31]|, |v[40:41]|
	v_cndmask_b32_e32 v31, v31, v41, vcc
	v_cndmask_b32_e32 v30, v30, v40, vcc
	;; [unrolled: 1-line block ×3, first 2 shown]
	s_cbranch_scc1 .LBB24_167
.LBB24_168:
	s_waitcnt lgkmcnt(0)
	v_cmp_eq_f64_e32 vcc, 0, v[30:31]
	s_and_saveexec_b64 s[0:1], vcc
	s_xor_b64 s[0:1], exec, s[0:1]
; %bb.169:
	v_cmp_ne_u32_e32 vcc, 0, v39
	v_cndmask_b32_e32 v39, 11, v39, vcc
; %bb.170:
	s_andn2_saveexec_b64 s[0:1], s[0:1]
; %bb.171:
	v_div_scale_f64 v[40:41], s[2:3], v[30:31], v[30:31], 1.0
	v_rcp_f64_e32 v[42:43], v[40:41]
	v_div_scale_f64 v[44:45], vcc, 1.0, v[30:31], 1.0
	v_fma_f64 v[46:47], -v[40:41], v[42:43], 1.0
	v_fmac_f64_e32 v[42:43], v[42:43], v[46:47]
	v_fma_f64 v[46:47], -v[40:41], v[42:43], 1.0
	v_fmac_f64_e32 v[42:43], v[42:43], v[46:47]
	v_mul_f64 v[46:47], v[44:45], v[42:43]
	v_fma_f64 v[40:41], -v[40:41], v[46:47], v[44:45]
	v_div_fmas_f64 v[40:41], v[40:41], v[42:43], v[46:47]
	v_div_fixup_f64 v[30:31], v[40:41], v[30:31], 1.0
; %bb.172:
	s_or_b64 exec, exec, s[0:1]
	v_cmp_ne_u32_e32 vcc, v33, v32
	s_and_saveexec_b64 s[0:1], vcc
	s_xor_b64 s[0:1], exec, s[0:1]
	s_cbranch_execz .LBB24_178
; %bb.173:
	v_cmp_eq_u32_e32 vcc, 10, v33
	s_and_saveexec_b64 s[2:3], vcc
	s_cbranch_execz .LBB24_177
; %bb.174:
	v_cmp_ne_u32_e32 vcc, 10, v32
	s_xor_b64 s[14:15], s[6:7], -1
	s_and_b64 s[16:17], s[14:15], vcc
	s_and_saveexec_b64 s[14:15], s[16:17]
	s_cbranch_execz .LBB24_176
; %bb.175:
	v_ashrrev_i32_e32 v33, 31, v32
	v_lshlrev_b64 v[40:41], 2, v[32:33]
	v_add_co_u32_e32 v40, vcc, v26, v40
	v_addc_co_u32_e32 v41, vcc, v27, v41, vcc
	flat_load_dword v33, v[40:41]
	flat_load_dword v34, v[26:27] offset:40
	s_waitcnt vmcnt(0) lgkmcnt(0)
	flat_store_dword v[26:27], v33 offset:40
	flat_store_dword v[40:41], v34
.LBB24_176:
	s_or_b64 exec, exec, s[14:15]
	v_mov_b32_e32 v38, v32
	v_mov_b32_e32 v33, v32
.LBB24_177:
	s_or_b64 exec, exec, s[2:3]
.LBB24_178:
	s_andn2_saveexec_b64 s[0:1], s[0:1]
	s_cbranch_execz .LBB24_180
; %bb.179:
	v_mov_b32_e32 v33, 10
	ds_write2_b64 v35, v[10:11], v[28:29] offset0:11 offset1:12
.LBB24_180:
	s_or_b64 exec, exec, s[0:1]
	v_cmp_lt_i32_e32 vcc, 10, v33
	s_waitcnt lgkmcnt(0)
	s_barrier
	s_and_saveexec_b64 s[0:1], vcc
	s_cbranch_execz .LBB24_182
; %bb.181:
	ds_read2_b64 v[40:43], v35 offset0:11 offset1:12
	v_mul_f64 v[14:15], v[14:15], v[30:31]
	s_waitcnt lgkmcnt(0)
	v_fma_f64 v[10:11], -v[14:15], v[40:41], v[10:11]
	v_fma_f64 v[28:29], -v[14:15], v[42:43], v[28:29]
.LBB24_182:
	s_or_b64 exec, exec, s[0:1]
	v_lshl_add_u32 v30, v33, 3, v35
	s_barrier
	ds_write_b64 v30, v[10:11]
	s_waitcnt lgkmcnt(0)
	s_barrier
	ds_read_b64 v[30:31], v35 offset:88
	s_cmp_lt_i32 s12, 13
	v_mov_b32_e32 v32, 11
	s_cbranch_scc1 .LBB24_185
; %bb.183:
	v_add_u32_e32 v34, 0x60, v35
	s_mov_b32 s0, 12
	v_mov_b32_e32 v32, 11
.LBB24_184:                             ; =>This Inner Loop Header: Depth=1
	ds_read_b64 v[40:41], v34
	v_mov_b32_e32 v42, s0
	s_add_i32 s0, s0, 1
	v_add_u32_e32 v34, 8, v34
	s_cmp_lg_u32 s12, s0
	s_waitcnt lgkmcnt(0)
	v_cmp_lt_f64_e64 vcc, |v[30:31]|, |v[40:41]|
	v_cndmask_b32_e32 v31, v31, v41, vcc
	v_cndmask_b32_e32 v30, v30, v40, vcc
	;; [unrolled: 1-line block ×3, first 2 shown]
	s_cbranch_scc1 .LBB24_184
.LBB24_185:
	s_waitcnt lgkmcnt(0)
	v_cmp_eq_f64_e32 vcc, 0, v[30:31]
	s_and_saveexec_b64 s[0:1], vcc
	s_xor_b64 s[0:1], exec, s[0:1]
; %bb.186:
	v_cmp_ne_u32_e32 vcc, 0, v39
	v_cndmask_b32_e32 v39, 12, v39, vcc
; %bb.187:
	s_andn2_saveexec_b64 s[0:1], s[0:1]
; %bb.188:
	v_div_scale_f64 v[40:41], s[2:3], v[30:31], v[30:31], 1.0
	v_rcp_f64_e32 v[42:43], v[40:41]
	v_div_scale_f64 v[44:45], vcc, 1.0, v[30:31], 1.0
	v_fma_f64 v[46:47], -v[40:41], v[42:43], 1.0
	v_fmac_f64_e32 v[42:43], v[42:43], v[46:47]
	v_fma_f64 v[46:47], -v[40:41], v[42:43], 1.0
	v_fmac_f64_e32 v[42:43], v[42:43], v[46:47]
	v_mul_f64 v[46:47], v[44:45], v[42:43]
	v_fma_f64 v[40:41], -v[40:41], v[46:47], v[44:45]
	v_div_fmas_f64 v[40:41], v[40:41], v[42:43], v[46:47]
	v_div_fixup_f64 v[30:31], v[40:41], v[30:31], 1.0
; %bb.189:
	s_or_b64 exec, exec, s[0:1]
	v_cmp_ne_u32_e32 vcc, v33, v32
	s_and_saveexec_b64 s[0:1], vcc
	s_xor_b64 s[0:1], exec, s[0:1]
	s_cbranch_execz .LBB24_195
; %bb.190:
	v_cmp_eq_u32_e32 vcc, 11, v33
	s_and_saveexec_b64 s[2:3], vcc
	s_cbranch_execz .LBB24_194
; %bb.191:
	v_cmp_ne_u32_e32 vcc, 11, v32
	s_xor_b64 s[14:15], s[6:7], -1
	s_and_b64 s[16:17], s[14:15], vcc
	s_and_saveexec_b64 s[14:15], s[16:17]
	s_cbranch_execz .LBB24_193
; %bb.192:
	v_ashrrev_i32_e32 v33, 31, v32
	v_lshlrev_b64 v[40:41], 2, v[32:33]
	v_add_co_u32_e32 v40, vcc, v26, v40
	v_addc_co_u32_e32 v41, vcc, v27, v41, vcc
	flat_load_dword v33, v[40:41]
	flat_load_dword v34, v[26:27] offset:44
	s_waitcnt vmcnt(0) lgkmcnt(0)
	flat_store_dword v[26:27], v33 offset:44
	flat_store_dword v[40:41], v34
.LBB24_193:
	s_or_b64 exec, exec, s[14:15]
	v_mov_b32_e32 v38, v32
	v_mov_b32_e32 v33, v32
.LBB24_194:
	s_or_b64 exec, exec, s[2:3]
.LBB24_195:
	s_andn2_saveexec_b64 s[0:1], s[0:1]
	s_cbranch_execz .LBB24_197
; %bb.196:
	v_mov_b32_e32 v33, 11
	ds_write_b64 v35, v[28:29] offset:96
.LBB24_197:
	s_or_b64 exec, exec, s[0:1]
	v_cmp_lt_i32_e32 vcc, 11, v33
	s_waitcnt lgkmcnt(0)
	s_barrier
	s_and_saveexec_b64 s[0:1], vcc
	s_cbranch_execz .LBB24_199
; %bb.198:
	ds_read_b64 v[40:41], v35 offset:96
	v_mul_f64 v[10:11], v[10:11], v[30:31]
	s_waitcnt lgkmcnt(0)
	v_fma_f64 v[28:29], -v[10:11], v[40:41], v[28:29]
.LBB24_199:
	s_or_b64 exec, exec, s[0:1]
	v_lshl_add_u32 v30, v33, 3, v35
	s_barrier
	ds_write_b64 v30, v[28:29]
	s_waitcnt lgkmcnt(0)
	s_barrier
	ds_read_b64 v[30:31], v35 offset:96
	s_cmp_lt_i32 s12, 14
	v_mov_b32_e32 v34, 12
	s_cbranch_scc1 .LBB24_202
; %bb.200:
	v_add_u32_e32 v32, 0x68, v35
	s_mov_b32 s0, 13
	v_mov_b32_e32 v34, 12
.LBB24_201:                             ; =>This Inner Loop Header: Depth=1
	ds_read_b64 v[40:41], v32
	v_mov_b32_e32 v35, s0
	s_add_i32 s0, s0, 1
	v_add_u32_e32 v32, 8, v32
	s_cmp_lg_u32 s12, s0
	s_waitcnt lgkmcnt(0)
	v_cmp_lt_f64_e64 vcc, |v[30:31]|, |v[40:41]|
	v_cndmask_b32_e32 v31, v31, v41, vcc
	v_cndmask_b32_e32 v30, v30, v40, vcc
	;; [unrolled: 1-line block ×3, first 2 shown]
	s_cbranch_scc1 .LBB24_201
.LBB24_202:
	s_waitcnt lgkmcnt(0)
	v_cmp_eq_f64_e32 vcc, 0, v[30:31]
	s_and_saveexec_b64 s[0:1], vcc
	s_xor_b64 s[0:1], exec, s[0:1]
; %bb.203:
	v_cmp_ne_u32_e32 vcc, 0, v39
	v_cndmask_b32_e32 v39, 13, v39, vcc
; %bb.204:
	s_andn2_saveexec_b64 s[0:1], s[0:1]
; %bb.205:
	v_div_scale_f64 v[40:41], s[2:3], v[30:31], v[30:31], 1.0
	v_rcp_f64_e32 v[42:43], v[40:41]
	v_div_scale_f64 v[44:45], vcc, 1.0, v[30:31], 1.0
	v_fma_f64 v[46:47], -v[40:41], v[42:43], 1.0
	v_fmac_f64_e32 v[42:43], v[42:43], v[46:47]
	v_fma_f64 v[46:47], -v[40:41], v[42:43], 1.0
	v_fmac_f64_e32 v[42:43], v[42:43], v[46:47]
	v_mul_f64 v[46:47], v[44:45], v[42:43]
	v_fma_f64 v[40:41], -v[40:41], v[46:47], v[44:45]
	v_div_fmas_f64 v[40:41], v[40:41], v[42:43], v[46:47]
	v_div_fixup_f64 v[30:31], v[40:41], v[30:31], 1.0
; %bb.206:
	s_or_b64 exec, exec, s[0:1]
	v_cmp_ne_u32_e32 vcc, v33, v34
	v_mov_b32_e32 v32, 12
	s_and_saveexec_b64 s[0:1], vcc
	s_cbranch_execz .LBB24_212
; %bb.207:
	v_cmp_eq_u32_e32 vcc, 12, v33
	s_and_saveexec_b64 s[2:3], vcc
	s_cbranch_execz .LBB24_211
; %bb.208:
	v_cmp_ne_u32_e32 vcc, 12, v34
	s_xor_b64 s[6:7], s[6:7], -1
	s_and_b64 s[14:15], s[6:7], vcc
	s_and_saveexec_b64 s[6:7], s[14:15]
	s_cbranch_execz .LBB24_210
; %bb.209:
	v_ashrrev_i32_e32 v35, 31, v34
	v_lshlrev_b64 v[32:33], 2, v[34:35]
	v_add_co_u32_e32 v32, vcc, v26, v32
	v_addc_co_u32_e32 v33, vcc, v27, v33, vcc
	flat_load_dword v35, v[32:33]
	flat_load_dword v38, v[26:27] offset:48
	s_waitcnt vmcnt(0) lgkmcnt(0)
	flat_store_dword v[26:27], v35 offset:48
	flat_store_dword v[32:33], v38
.LBB24_210:
	s_or_b64 exec, exec, s[6:7]
	v_mov_b32_e32 v38, v34
	v_mov_b32_e32 v33, v34
.LBB24_211:
	s_or_b64 exec, exec, s[2:3]
	v_mov_b32_e32 v32, v33
.LBB24_212:
	s_or_b64 exec, exec, s[0:1]
	s_load_dwordx8 s[0:7], s[4:5], 0x28
	v_cmp_gt_i32_e32 vcc, 13, v32
	v_ashrrev_i32_e32 v33, 31, v32
	s_waitcnt lgkmcnt(0)
	s_barrier
	s_barrier
	s_and_saveexec_b64 s[14:15], vcc
	s_cbranch_execz .LBB24_214
; %bb.213:
	v_mul_lo_u32 v34, v3, s4
	v_mul_lo_u32 v35, v2, s5
	v_mad_u64_u32 v[26:27], s[4:5], v2, s4, 0
	s_lshl_b64 s[2:3], s[2:3], 2
	v_add3_u32 v27, v27, v35, v34
	s_add_u32 s0, s2, s0
	v_lshlrev_b64 v[26:27], 2, v[26:27]
	s_addc_u32 s1, s3, s1
	v_mov_b32_e32 v34, s1
	v_add_co_u32_e32 v35, vcc, s0, v26
	v_addc_co_u32_e32 v34, vcc, v34, v27, vcc
	v_lshlrev_b64 v[26:27], 2, v[32:33]
	v_add_co_u32_e32 v26, vcc, v35, v26
	v_addc_co_u32_e32 v27, vcc, v34, v27, vcc
	v_add3_u32 v34, v38, s13, 1
	global_store_dword v[26:27], v34, off
.LBB24_214:
	s_or_b64 exec, exec, s[14:15]
	v_cmp_eq_u32_e32 vcc, 0, v32
	s_and_saveexec_b64 s[2:3], vcc
	s_cbranch_execz .LBB24_217
; %bb.215:
	v_lshlrev_b64 v[2:3], 2, v[2:3]
	v_mov_b32_e32 v26, s7
	v_add_co_u32_e32 v2, vcc, s6, v2
	v_addc_co_u32_e32 v3, vcc, v26, v3, vcc
	global_load_dword v26, v[2:3], off
	v_cmp_lt_i32_e64 s[0:1], 0, v39
	s_waitcnt vmcnt(0)
	v_cmp_eq_u32_e32 vcc, 0, v26
	s_and_b64 s[0:1], vcc, s[0:1]
	s_and_b64 exec, exec, s[0:1]
	s_cbranch_execz .LBB24_217
; %bb.216:
	v_add_u32_e32 v26, s13, v39
	global_store_dword v[2:3], v26, off
.LBB24_217:
	s_or_b64 exec, exec, s[2:3]
	v_mul_f64 v[2:3], v[28:29], v[30:31]
	v_cmp_lt_i32_e32 vcc, 12, v32
	v_lshlrev_b64 v[26:27], 3, v[32:33]
	v_cndmask_b32_e32 v3, v29, v3, vcc
	v_cndmask_b32_e32 v2, v28, v2, vcc
	v_add_co_u32_e32 v26, vcc, v36, v26
	v_addc_co_u32_e32 v27, vcc, v37, v27, vcc
	global_store_dwordx2 v[26:27], v[16:17], off
	v_mov_b32_e32 v17, s11
	v_add_co_u32_e32 v16, vcc, s10, v26
	v_addc_co_u32_e32 v17, vcc, v27, v17, vcc
	global_store_dwordx2 v[16:17], v[12:13], off
	v_add_u32_e32 v12, s9, v32
	v_ashrrev_i32_e32 v13, 31, v12
	v_lshlrev_b64 v[16:17], 3, v[12:13]
	v_add_co_u32_e32 v16, vcc, v36, v16
	v_addc_co_u32_e32 v17, vcc, v37, v17, vcc
	global_store_dwordx2 v[16:17], v[4:5], off
	v_add_u32_e32 v4, s8, v12
	v_ashrrev_i32_e32 v5, 31, v4
	v_lshlrev_b64 v[12:13], 3, v[4:5]
	;; [unrolled: 6-line block ×3, first 2 shown]
	v_add_co_u32_e32 v4, vcc, v36, v4
	v_add_u32_e32 v0, s8, v0
	v_addc_co_u32_e32 v5, vcc, v37, v5, vcc
	v_ashrrev_i32_e32 v1, 31, v0
	global_store_dwordx2 v[4:5], v[22:23], off
	v_lshlrev_b64 v[4:5], 3, v[0:1]
	v_add_co_u32_e32 v4, vcc, v36, v4
	v_add_u32_e32 v0, s8, v0
	v_addc_co_u32_e32 v5, vcc, v37, v5, vcc
	v_ashrrev_i32_e32 v1, 31, v0
	global_store_dwordx2 v[4:5], v[18:19], off
	v_lshlrev_b64 v[4:5], 3, v[0:1]
	;; [unrolled: 6-line block ×7, first 2 shown]
	v_add_u32_e32 v0, s8, v0
	v_add_co_u32_e32 v4, vcc, v36, v4
	v_ashrrev_i32_e32 v1, 31, v0
	v_addc_co_u32_e32 v5, vcc, v37, v5, vcc
	v_lshlrev_b64 v[0:1], 3, v[0:1]
	v_add_co_u32_e32 v0, vcc, v36, v0
	v_addc_co_u32_e32 v1, vcc, v37, v1, vcc
	global_store_dwordx2 v[4:5], v[10:11], off
	global_store_dwordx2 v[0:1], v[2:3], off
.LBB24_218:
	s_endpgm
	.section	.rodata,"a",@progbits
	.p2align	6, 0x0
	.amdhsa_kernel _ZN9rocsolver6v33100L18getf2_small_kernelILi13EdiiPKPdEEvT1_T3_lS5_lPS5_llPT2_S5_S5_S7_l
		.amdhsa_group_segment_fixed_size 0
		.amdhsa_private_segment_fixed_size 0
		.amdhsa_kernarg_size 352
		.amdhsa_user_sgpr_count 6
		.amdhsa_user_sgpr_private_segment_buffer 1
		.amdhsa_user_sgpr_dispatch_ptr 0
		.amdhsa_user_sgpr_queue_ptr 0
		.amdhsa_user_sgpr_kernarg_segment_ptr 1
		.amdhsa_user_sgpr_dispatch_id 0
		.amdhsa_user_sgpr_flat_scratch_init 0
		.amdhsa_user_sgpr_kernarg_preload_length 0
		.amdhsa_user_sgpr_kernarg_preload_offset 0
		.amdhsa_user_sgpr_private_segment_size 0
		.amdhsa_uses_dynamic_stack 0
		.amdhsa_system_sgpr_private_segment_wavefront_offset 0
		.amdhsa_system_sgpr_workgroup_id_x 1
		.amdhsa_system_sgpr_workgroup_id_y 1
		.amdhsa_system_sgpr_workgroup_id_z 0
		.amdhsa_system_sgpr_workgroup_info 0
		.amdhsa_system_vgpr_workitem_id 1
		.amdhsa_next_free_vgpr 52
		.amdhsa_next_free_sgpr 20
		.amdhsa_accum_offset 52
		.amdhsa_reserve_vcc 1
		.amdhsa_reserve_flat_scratch 0
		.amdhsa_float_round_mode_32 0
		.amdhsa_float_round_mode_16_64 0
		.amdhsa_float_denorm_mode_32 3
		.amdhsa_float_denorm_mode_16_64 3
		.amdhsa_dx10_clamp 1
		.amdhsa_ieee_mode 1
		.amdhsa_fp16_overflow 0
		.amdhsa_tg_split 0
		.amdhsa_exception_fp_ieee_invalid_op 0
		.amdhsa_exception_fp_denorm_src 0
		.amdhsa_exception_fp_ieee_div_zero 0
		.amdhsa_exception_fp_ieee_overflow 0
		.amdhsa_exception_fp_ieee_underflow 0
		.amdhsa_exception_fp_ieee_inexact 0
		.amdhsa_exception_int_div_zero 0
	.end_amdhsa_kernel
	.section	.text._ZN9rocsolver6v33100L18getf2_small_kernelILi13EdiiPKPdEEvT1_T3_lS5_lPS5_llPT2_S5_S5_S7_l,"axG",@progbits,_ZN9rocsolver6v33100L18getf2_small_kernelILi13EdiiPKPdEEvT1_T3_lS5_lPS5_llPT2_S5_S5_S7_l,comdat
.Lfunc_end24:
	.size	_ZN9rocsolver6v33100L18getf2_small_kernelILi13EdiiPKPdEEvT1_T3_lS5_lPS5_llPT2_S5_S5_S7_l, .Lfunc_end24-_ZN9rocsolver6v33100L18getf2_small_kernelILi13EdiiPKPdEEvT1_T3_lS5_lPS5_llPT2_S5_S5_S7_l
                                        ; -- End function
	.section	.AMDGPU.csdata,"",@progbits
; Kernel info:
; codeLenInByte = 7748
; NumSgprs: 24
; NumVgprs: 52
; NumAgprs: 0
; TotalNumVgprs: 52
; ScratchSize: 0
; MemoryBound: 0
; FloatMode: 240
; IeeeMode: 1
; LDSByteSize: 0 bytes/workgroup (compile time only)
; SGPRBlocks: 2
; VGPRBlocks: 6
; NumSGPRsForWavesPerEU: 24
; NumVGPRsForWavesPerEU: 52
; AccumOffset: 52
; Occupancy: 8
; WaveLimiterHint : 1
; COMPUTE_PGM_RSRC2:SCRATCH_EN: 0
; COMPUTE_PGM_RSRC2:USER_SGPR: 6
; COMPUTE_PGM_RSRC2:TRAP_HANDLER: 0
; COMPUTE_PGM_RSRC2:TGID_X_EN: 1
; COMPUTE_PGM_RSRC2:TGID_Y_EN: 1
; COMPUTE_PGM_RSRC2:TGID_Z_EN: 0
; COMPUTE_PGM_RSRC2:TIDIG_COMP_CNT: 1
; COMPUTE_PGM_RSRC3_GFX90A:ACCUM_OFFSET: 12
; COMPUTE_PGM_RSRC3_GFX90A:TG_SPLIT: 0
	.section	.text._ZN9rocsolver6v33100L23getf2_npvt_small_kernelILi13EdiiPKPdEEvT1_T3_lS5_lPT2_S5_S5_,"axG",@progbits,_ZN9rocsolver6v33100L23getf2_npvt_small_kernelILi13EdiiPKPdEEvT1_T3_lS5_lPT2_S5_S5_,comdat
	.globl	_ZN9rocsolver6v33100L23getf2_npvt_small_kernelILi13EdiiPKPdEEvT1_T3_lS5_lPT2_S5_S5_ ; -- Begin function _ZN9rocsolver6v33100L23getf2_npvt_small_kernelILi13EdiiPKPdEEvT1_T3_lS5_lPT2_S5_S5_
	.p2align	8
	.type	_ZN9rocsolver6v33100L23getf2_npvt_small_kernelILi13EdiiPKPdEEvT1_T3_lS5_lPT2_S5_S5_,@function
_ZN9rocsolver6v33100L23getf2_npvt_small_kernelILi13EdiiPKPdEEvT1_T3_lS5_lPT2_S5_S5_: ; @_ZN9rocsolver6v33100L23getf2_npvt_small_kernelILi13EdiiPKPdEEvT1_T3_lS5_lPT2_S5_S5_
; %bb.0:
	s_load_dword s0, s[4:5], 0x44
	s_load_dwordx2 s[24:25], s[4:5], 0x30
	v_bfe_u32 v54, v0, 10, 10
	s_waitcnt lgkmcnt(0)
	s_lshr_b32 s8, s0, 16
	s_mul_i32 s7, s7, s8
	v_add_u32_e32 v2, s7, v54
	v_cmp_gt_i32_e32 vcc, s24, v2
	s_and_saveexec_b64 s[0:1], vcc
	s_cbranch_execz .LBB25_69
; %bb.1:
	s_load_dwordx4 s[12:15], s[4:5], 0x8
	s_load_dword s0, s[4:5], 0x18
	v_ashrrev_i32_e32 v3, 31, v2
	v_lshlrev_b64 v[4:5], 3, v[2:3]
	v_and_b32_e32 v80, 0x3ff, v0
	s_waitcnt lgkmcnt(0)
	v_mov_b32_e32 v1, s13
	v_add_co_u32_e32 v4, vcc, s12, v4
	v_addc_co_u32_e32 v5, vcc, v1, v5, vcc
	global_load_dwordx2 v[4:5], v[4:5], off
	s_add_i32 s9, s0, s0
	v_add_u32_e32 v0, s9, v80
	v_ashrrev_i32_e32 v1, 31, v0
	v_add_u32_e32 v6, s0, v0
	v_lshlrev_b64 v[8:9], 3, v[0:1]
	v_add_u32_e32 v0, s0, v6
	v_ashrrev_i32_e32 v1, 31, v0
	v_add_u32_e32 v10, s0, v0
	v_lshlrev_b64 v[12:13], 3, v[0:1]
	v_add_u32_e32 v0, s0, v10
	s_lshl_b64 s[6:7], s[14:15], 3
	v_ashrrev_i32_e32 v1, 31, v0
	v_add_u32_e32 v14, s0, v0
	v_mov_b32_e32 v21, s7
	v_lshlrev_b64 v[16:17], 3, v[0:1]
	v_add_u32_e32 v0, s0, v14
	v_lshlrev_b32_e32 v20, 3, v80
	v_ashrrev_i32_e32 v1, 31, v0
	v_add_u32_e32 v38, s0, v0
	v_lshlrev_b64 v[18:19], 3, v[0:1]
	v_ashrrev_i32_e32 v7, 31, v6
	v_lshlrev_b64 v[6:7], 3, v[6:7]
	v_ashrrev_i32_e32 v11, 31, v10
	;; [unrolled: 2-line block ×3, first 2 shown]
	v_lshlrev_b64 v[14:15], 3, v[14:15]
	s_ashr_i32 s1, s0, 31
	s_lshl_b64 s[2:3], s[0:1], 3
	v_mov_b32_e32 v22, s3
	v_ashrrev_i32_e32 v39, 31, v38
	v_lshlrev_b64 v[28:29], 3, v[38:39]
	v_add_u32_e32 v40, s0, v38
	v_ashrrev_i32_e32 v41, 31, v40
	v_lshlrev_b64 v[38:39], 3, v[40:41]
	v_add_u32_e32 v50, s0, v40
	v_ashrrev_i32_e32 v51, 31, v50
	v_lshlrev_b64 v[40:41], 3, v[50:51]
	v_add_u32_e32 v50, s0, v50
	v_ashrrev_i32_e32 v51, 31, v50
	v_lshlrev_b64 v[50:51], 3, v[50:51]
	s_mulk_i32 s8, 0x68
	s_movk_i32 s0, 0x68
	s_add_i32 s1, s8, 0
	v_mad_u32_u24 v79, v54, s0, 0
	v_lshl_add_u32 v78, v54, 3, s1
	v_cmp_eq_u32_e64 s[0:1], 0, v80
	s_waitcnt vmcnt(0)
	v_add_co_u32_e32 v52, vcc, s6, v4
	v_addc_co_u32_e32 v53, vcc, v5, v21, vcc
	v_add_co_u32_e32 v0, vcc, v52, v20
	v_addc_co_u32_e32 v1, vcc, 0, v53, vcc
	;; [unrolled: 2-line block ×11, first 2 shown]
	global_load_dwordx2 v[18:19], v[8:9], off
	global_load_dwordx2 v[20:21], v[10:11], off
	;; [unrolled: 1-line block ×8, first 2 shown]
	v_add_co_u32_e32 v38, vcc, v52, v38
	v_addc_co_u32_e32 v39, vcc, v53, v39, vcc
	v_add_co_u32_e32 v40, vcc, v52, v40
	v_addc_co_u32_e32 v41, vcc, v53, v41, vcc
	global_load_dwordx2 v[42:43], v[16:17], off
	global_load_dwordx2 v[44:45], v[28:29], off
	;; [unrolled: 1-line block ×4, first 2 shown]
	v_add_co_u32_e32 v50, vcc, v52, v50
	v_addc_co_u32_e32 v51, vcc, v53, v51, vcc
	global_load_dwordx2 v[52:53], v[50:51], off
	v_cmp_ne_u32_e64 s[2:3], 0, v80
	s_and_saveexec_b64 s[6:7], s[0:1]
	s_cbranch_execz .LBB25_4
; %bb.2:
	s_waitcnt vmcnt(8)
	ds_write_b64 v78, v[30:31]
	s_waitcnt vmcnt(6)
	ds_write2_b64 v79, v[32:33], v[34:35] offset0:1 offset1:2
	s_waitcnt vmcnt(5)
	ds_write2_b64 v79, v[36:37], v[18:19] offset0:3 offset1:4
	ds_write2_b64 v79, v[20:21], v[22:23] offset0:5 offset1:6
	s_waitcnt vmcnt(4)
	ds_write2_b64 v79, v[24:25], v[42:43] offset0:7 offset1:8
	s_waitcnt vmcnt(2)
	;; [unrolled: 2-line block ×3, first 2 shown]
	ds_write2_b64 v79, v[48:49], v[52:53] offset0:11 offset1:12
	ds_read_b64 v[54:55], v78
	s_waitcnt lgkmcnt(0)
	v_cmp_neq_f64_e32 vcc, 0, v[54:55]
	s_and_b64 exec, exec, vcc
	s_cbranch_execz .LBB25_4
; %bb.3:
	v_div_scale_f64 v[56:57], s[8:9], v[54:55], v[54:55], 1.0
	v_rcp_f64_e32 v[58:59], v[56:57]
	v_div_scale_f64 v[60:61], vcc, 1.0, v[54:55], 1.0
	v_fma_f64 v[62:63], -v[56:57], v[58:59], 1.0
	v_fmac_f64_e32 v[58:59], v[58:59], v[62:63]
	v_fma_f64 v[62:63], -v[56:57], v[58:59], 1.0
	v_fmac_f64_e32 v[58:59], v[58:59], v[62:63]
	v_mul_f64 v[62:63], v[60:61], v[58:59]
	v_fma_f64 v[56:57], -v[56:57], v[62:63], v[60:61]
	v_div_fmas_f64 v[56:57], v[56:57], v[58:59], v[62:63]
	v_div_fixup_f64 v[54:55], v[56:57], v[54:55], 1.0
	ds_write_b64 v78, v[54:55]
.LBB25_4:
	s_or_b64 exec, exec, s[6:7]
	s_waitcnt lgkmcnt(0)
	s_barrier
	ds_read_b64 v[54:55], v78
	s_and_saveexec_b64 s[6:7], s[2:3]
	s_cbranch_execz .LBB25_6
; %bb.5:
	ds_read2_b64 v[56:59], v79 offset0:1 offset1:2
	ds_read2_b64 v[60:63], v79 offset0:3 offset1:4
	;; [unrolled: 1-line block ×3, first 2 shown]
	s_waitcnt vmcnt(8) lgkmcnt(3)
	v_mul_f64 v[30:31], v[30:31], v[54:55]
	s_waitcnt vmcnt(7) lgkmcnt(2)
	v_fma_f64 v[32:33], -v[30:31], v[56:57], v[32:33]
	s_waitcnt vmcnt(6)
	v_fma_f64 v[34:35], -v[30:31], v[58:59], v[34:35]
	ds_read2_b64 v[56:59], v79 offset0:7 offset1:8
	s_waitcnt vmcnt(5) lgkmcnt(2)
	v_fma_f64 v[36:37], -v[30:31], v[60:61], v[36:37]
	v_fma_f64 v[18:19], -v[30:31], v[62:63], v[18:19]
	s_waitcnt lgkmcnt(1)
	v_fma_f64 v[20:21], -v[30:31], v[64:65], v[20:21]
	ds_read2_b64 v[60:63], v79 offset0:9 offset1:10
	v_fma_f64 v[22:23], -v[30:31], v[66:67], v[22:23]
	ds_read2_b64 v[64:67], v79 offset0:11 offset1:12
	s_waitcnt lgkmcnt(2)
	v_fma_f64 v[24:25], -v[30:31], v[56:57], v[24:25]
	s_waitcnt vmcnt(4)
	v_fma_f64 v[42:43], -v[30:31], v[58:59], v[42:43]
	s_waitcnt vmcnt(3) lgkmcnt(1)
	v_fma_f64 v[44:45], -v[30:31], v[60:61], v[44:45]
	s_waitcnt vmcnt(2)
	v_fma_f64 v[46:47], -v[30:31], v[62:63], v[46:47]
	s_waitcnt vmcnt(1) lgkmcnt(0)
	v_fma_f64 v[48:49], -v[30:31], v[64:65], v[48:49]
	s_waitcnt vmcnt(0)
	v_fma_f64 v[52:53], -v[30:31], v[66:67], v[52:53]
.LBB25_6:
	s_or_b64 exec, exec, s[6:7]
	v_cmp_eq_u32_e32 vcc, 1, v80
	s_waitcnt lgkmcnt(0)
	s_barrier
	s_and_saveexec_b64 s[2:3], vcc
	s_cbranch_execz .LBB25_9
; %bb.7:
	s_waitcnt vmcnt(7)
	ds_write_b64 v78, v[32:33]
	s_waitcnt vmcnt(5)
	ds_write2_b64 v79, v[34:35], v[36:37] offset0:2 offset1:3
	ds_write2_b64 v79, v[18:19], v[20:21] offset0:4 offset1:5
	;; [unrolled: 1-line block ×3, first 2 shown]
	s_waitcnt vmcnt(3)
	ds_write2_b64 v79, v[42:43], v[44:45] offset0:8 offset1:9
	s_waitcnt vmcnt(1)
	ds_write2_b64 v79, v[46:47], v[48:49] offset0:10 offset1:11
	s_waitcnt vmcnt(0)
	ds_write_b64 v79, v[52:53] offset:96
	ds_read_b64 v[56:57], v78
	s_waitcnt lgkmcnt(0)
	v_cmp_neq_f64_e32 vcc, 0, v[56:57]
	s_and_b64 exec, exec, vcc
	s_cbranch_execz .LBB25_9
; %bb.8:
	v_div_scale_f64 v[58:59], s[6:7], v[56:57], v[56:57], 1.0
	v_rcp_f64_e32 v[60:61], v[58:59]
	v_div_scale_f64 v[62:63], vcc, 1.0, v[56:57], 1.0
	v_fma_f64 v[64:65], -v[58:59], v[60:61], 1.0
	v_fmac_f64_e32 v[60:61], v[60:61], v[64:65]
	v_fma_f64 v[64:65], -v[58:59], v[60:61], 1.0
	v_fmac_f64_e32 v[60:61], v[60:61], v[64:65]
	v_mul_f64 v[64:65], v[62:63], v[60:61]
	v_fma_f64 v[58:59], -v[58:59], v[64:65], v[62:63]
	v_div_fmas_f64 v[58:59], v[58:59], v[60:61], v[64:65]
	v_div_fixup_f64 v[56:57], v[58:59], v[56:57], 1.0
	ds_write_b64 v78, v[56:57]
.LBB25_9:
	s_or_b64 exec, exec, s[2:3]
	s_waitcnt lgkmcnt(0)
	s_barrier
	ds_read_b64 v[56:57], v78
	v_cmp_lt_u32_e32 vcc, 1, v80
	s_and_saveexec_b64 s[2:3], vcc
	s_cbranch_execz .LBB25_11
; %bb.10:
	ds_read2_b64 v[58:61], v79 offset0:2 offset1:3
	ds_read2_b64 v[62:65], v79 offset0:4 offset1:5
	;; [unrolled: 1-line block ×3, first 2 shown]
	s_waitcnt vmcnt(7) lgkmcnt(3)
	v_mul_f64 v[32:33], v[32:33], v[56:57]
	s_waitcnt vmcnt(6) lgkmcnt(2)
	v_fma_f64 v[34:35], -v[32:33], v[58:59], v[34:35]
	s_waitcnt vmcnt(5)
	v_fma_f64 v[36:37], -v[32:33], v[60:61], v[36:37]
	ds_read2_b64 v[58:61], v79 offset0:8 offset1:9
	s_waitcnt lgkmcnt(2)
	v_fma_f64 v[18:19], -v[32:33], v[62:63], v[18:19]
	v_fma_f64 v[20:21], -v[32:33], v[64:65], v[20:21]
	s_waitcnt lgkmcnt(1)
	v_fma_f64 v[22:23], -v[32:33], v[66:67], v[22:23]
	ds_read2_b64 v[62:65], v79 offset0:10 offset1:11
	ds_read_b64 v[66:67], v79 offset:96
	v_fma_f64 v[24:25], -v[32:33], v[68:69], v[24:25]
	s_waitcnt vmcnt(4) lgkmcnt(2)
	v_fma_f64 v[42:43], -v[32:33], v[58:59], v[42:43]
	s_waitcnt vmcnt(3)
	v_fma_f64 v[44:45], -v[32:33], v[60:61], v[44:45]
	s_waitcnt vmcnt(2) lgkmcnt(1)
	v_fma_f64 v[46:47], -v[32:33], v[62:63], v[46:47]
	s_waitcnt vmcnt(1)
	v_fma_f64 v[48:49], -v[32:33], v[64:65], v[48:49]
	s_waitcnt vmcnt(0) lgkmcnt(0)
	v_fma_f64 v[52:53], -v[32:33], v[66:67], v[52:53]
.LBB25_11:
	s_or_b64 exec, exec, s[2:3]
	v_cmp_eq_u32_e32 vcc, 2, v80
	s_waitcnt lgkmcnt(0)
	s_barrier
	s_and_saveexec_b64 s[2:3], vcc
	s_cbranch_execz .LBB25_14
; %bb.12:
	s_waitcnt vmcnt(6)
	ds_write_b64 v78, v[34:35]
	s_waitcnt vmcnt(5)
	ds_write2_b64 v79, v[36:37], v[18:19] offset0:3 offset1:4
	ds_write2_b64 v79, v[20:21], v[22:23] offset0:5 offset1:6
	s_waitcnt vmcnt(4)
	ds_write2_b64 v79, v[24:25], v[42:43] offset0:7 offset1:8
	s_waitcnt vmcnt(2)
	;; [unrolled: 2-line block ×3, first 2 shown]
	ds_write2_b64 v79, v[48:49], v[52:53] offset0:11 offset1:12
	ds_read_b64 v[58:59], v78
	s_waitcnt lgkmcnt(0)
	v_cmp_neq_f64_e32 vcc, 0, v[58:59]
	s_and_b64 exec, exec, vcc
	s_cbranch_execz .LBB25_14
; %bb.13:
	v_div_scale_f64 v[60:61], s[6:7], v[58:59], v[58:59], 1.0
	v_rcp_f64_e32 v[62:63], v[60:61]
	v_div_scale_f64 v[64:65], vcc, 1.0, v[58:59], 1.0
	v_fma_f64 v[66:67], -v[60:61], v[62:63], 1.0
	v_fmac_f64_e32 v[62:63], v[62:63], v[66:67]
	v_fma_f64 v[66:67], -v[60:61], v[62:63], 1.0
	v_fmac_f64_e32 v[62:63], v[62:63], v[66:67]
	v_mul_f64 v[66:67], v[64:65], v[62:63]
	v_fma_f64 v[60:61], -v[60:61], v[66:67], v[64:65]
	v_div_fmas_f64 v[60:61], v[60:61], v[62:63], v[66:67]
	v_div_fixup_f64 v[58:59], v[60:61], v[58:59], 1.0
	ds_write_b64 v78, v[58:59]
.LBB25_14:
	s_or_b64 exec, exec, s[2:3]
	s_waitcnt lgkmcnt(0)
	s_barrier
	ds_read_b64 v[58:59], v78
	v_cmp_lt_u32_e32 vcc, 2, v80
	s_and_saveexec_b64 s[2:3], vcc
	s_cbranch_execz .LBB25_16
; %bb.15:
	ds_read2_b64 v[60:63], v79 offset0:3 offset1:4
	ds_read2_b64 v[64:67], v79 offset0:5 offset1:6
	s_waitcnt vmcnt(6) lgkmcnt(2)
	v_mul_f64 v[34:35], v[34:35], v[58:59]
	ds_read2_b64 v[68:71], v79 offset0:9 offset1:10
	s_waitcnt vmcnt(5) lgkmcnt(2)
	v_fma_f64 v[36:37], -v[34:35], v[60:61], v[36:37]
	v_fma_f64 v[18:19], -v[34:35], v[62:63], v[18:19]
	ds_read2_b64 v[60:63], v79 offset0:7 offset1:8
	s_waitcnt lgkmcnt(2)
	v_fma_f64 v[20:21], -v[34:35], v[64:65], v[20:21]
	v_fma_f64 v[22:23], -v[34:35], v[66:67], v[22:23]
	ds_read2_b64 v[64:67], v79 offset0:11 offset1:12
	s_waitcnt vmcnt(3) lgkmcnt(2)
	v_fma_f64 v[44:45], -v[34:35], v[68:69], v[44:45]
	s_waitcnt lgkmcnt(1)
	v_fma_f64 v[24:25], -v[34:35], v[60:61], v[24:25]
	v_fma_f64 v[42:43], -v[34:35], v[62:63], v[42:43]
	s_waitcnt vmcnt(2)
	v_fma_f64 v[46:47], -v[34:35], v[70:71], v[46:47]
	s_waitcnt vmcnt(1) lgkmcnt(0)
	v_fma_f64 v[48:49], -v[34:35], v[64:65], v[48:49]
	s_waitcnt vmcnt(0)
	v_fma_f64 v[52:53], -v[34:35], v[66:67], v[52:53]
.LBB25_16:
	s_or_b64 exec, exec, s[2:3]
	v_cmp_eq_u32_e32 vcc, 3, v80
	s_waitcnt lgkmcnt(0)
	s_barrier
	s_and_saveexec_b64 s[2:3], vcc
	s_cbranch_execz .LBB25_19
; %bb.17:
	s_waitcnt vmcnt(5)
	ds_write_b64 v78, v[36:37]
	ds_write2_b64 v79, v[18:19], v[20:21] offset0:4 offset1:5
	ds_write2_b64 v79, v[22:23], v[24:25] offset0:6 offset1:7
	s_waitcnt vmcnt(3)
	ds_write2_b64 v79, v[42:43], v[44:45] offset0:8 offset1:9
	s_waitcnt vmcnt(1)
	;; [unrolled: 2-line block ×3, first 2 shown]
	ds_write_b64 v79, v[52:53] offset:96
	ds_read_b64 v[60:61], v78
	s_waitcnt lgkmcnt(0)
	v_cmp_neq_f64_e32 vcc, 0, v[60:61]
	s_and_b64 exec, exec, vcc
	s_cbranch_execz .LBB25_19
; %bb.18:
	v_div_scale_f64 v[62:63], s[6:7], v[60:61], v[60:61], 1.0
	v_rcp_f64_e32 v[64:65], v[62:63]
	v_div_scale_f64 v[66:67], vcc, 1.0, v[60:61], 1.0
	v_fma_f64 v[68:69], -v[62:63], v[64:65], 1.0
	v_fmac_f64_e32 v[64:65], v[64:65], v[68:69]
	v_fma_f64 v[68:69], -v[62:63], v[64:65], 1.0
	v_fmac_f64_e32 v[64:65], v[64:65], v[68:69]
	v_mul_f64 v[68:69], v[66:67], v[64:65]
	v_fma_f64 v[62:63], -v[62:63], v[68:69], v[66:67]
	v_div_fmas_f64 v[62:63], v[62:63], v[64:65], v[68:69]
	v_div_fixup_f64 v[60:61], v[62:63], v[60:61], 1.0
	ds_write_b64 v78, v[60:61]
.LBB25_19:
	s_or_b64 exec, exec, s[2:3]
	s_waitcnt lgkmcnt(0)
	s_barrier
	ds_read_b64 v[60:61], v78
	v_cmp_lt_u32_e32 vcc, 3, v80
	s_and_saveexec_b64 s[2:3], vcc
	s_cbranch_execz .LBB25_21
; %bb.20:
	ds_read2_b64 v[62:65], v79 offset0:4 offset1:5
	ds_read2_b64 v[66:69], v79 offset0:6 offset1:7
	s_waitcnt vmcnt(5) lgkmcnt(2)
	v_mul_f64 v[36:37], v[36:37], v[60:61]
	ds_read2_b64 v[70:73], v79 offset0:10 offset1:11
	s_waitcnt lgkmcnt(2)
	v_fma_f64 v[18:19], -v[36:37], v[62:63], v[18:19]
	v_fma_f64 v[20:21], -v[36:37], v[64:65], v[20:21]
	ds_read2_b64 v[62:65], v79 offset0:8 offset1:9
	s_waitcnt lgkmcnt(2)
	v_fma_f64 v[22:23], -v[36:37], v[66:67], v[22:23]
	ds_read_b64 v[66:67], v79 offset:96
	v_fma_f64 v[24:25], -v[36:37], v[68:69], v[24:25]
	s_waitcnt vmcnt(2) lgkmcnt(2)
	v_fma_f64 v[46:47], -v[36:37], v[70:71], v[46:47]
	s_waitcnt lgkmcnt(1)
	v_fma_f64 v[42:43], -v[36:37], v[62:63], v[42:43]
	v_fma_f64 v[44:45], -v[36:37], v[64:65], v[44:45]
	s_waitcnt vmcnt(1)
	v_fma_f64 v[48:49], -v[36:37], v[72:73], v[48:49]
	s_waitcnt vmcnt(0) lgkmcnt(0)
	v_fma_f64 v[52:53], -v[36:37], v[66:67], v[52:53]
.LBB25_21:
	s_or_b64 exec, exec, s[2:3]
	v_cmp_eq_u32_e32 vcc, 4, v80
	s_waitcnt lgkmcnt(0)
	s_barrier
	s_and_saveexec_b64 s[2:3], vcc
	s_cbranch_execz .LBB25_24
; %bb.22:
	s_waitcnt vmcnt(12)
	ds_write_b64 v78, v[18:19]
	s_waitcnt vmcnt(10)
	ds_write2_b64 v79, v[20:21], v[22:23] offset0:5 offset1:6
	s_waitcnt vmcnt(4)
	ds_write2_b64 v79, v[24:25], v[42:43] offset0:7 offset1:8
	;; [unrolled: 2-line block ×4, first 2 shown]
	ds_read_b64 v[62:63], v78
	s_waitcnt lgkmcnt(0)
	v_cmp_neq_f64_e32 vcc, 0, v[62:63]
	s_and_b64 exec, exec, vcc
	s_cbranch_execz .LBB25_24
; %bb.23:
	v_div_scale_f64 v[64:65], s[6:7], v[62:63], v[62:63], 1.0
	v_rcp_f64_e32 v[66:67], v[64:65]
	v_div_scale_f64 v[68:69], vcc, 1.0, v[62:63], 1.0
	v_fma_f64 v[70:71], -v[64:65], v[66:67], 1.0
	v_fmac_f64_e32 v[66:67], v[66:67], v[70:71]
	v_fma_f64 v[70:71], -v[64:65], v[66:67], 1.0
	v_fmac_f64_e32 v[66:67], v[66:67], v[70:71]
	v_mul_f64 v[70:71], v[68:69], v[66:67]
	v_fma_f64 v[64:65], -v[64:65], v[70:71], v[68:69]
	v_div_fmas_f64 v[64:65], v[64:65], v[66:67], v[70:71]
	v_div_fixup_f64 v[62:63], v[64:65], v[62:63], 1.0
	ds_write_b64 v78, v[62:63]
.LBB25_24:
	s_or_b64 exec, exec, s[2:3]
	s_waitcnt lgkmcnt(0)
	s_barrier
	ds_read_b64 v[62:63], v78
	v_cmp_lt_u32_e32 vcc, 4, v80
	s_and_saveexec_b64 s[2:3], vcc
	s_cbranch_execz .LBB25_26
; %bb.25:
	ds_read2_b64 v[64:67], v79 offset0:5 offset1:6
	ds_read2_b64 v[68:71], v79 offset0:7 offset1:8
	s_waitcnt vmcnt(12) lgkmcnt(2)
	v_mul_f64 v[18:19], v[18:19], v[62:63]
	ds_read2_b64 v[72:75], v79 offset0:9 offset1:10
	s_waitcnt vmcnt(11) lgkmcnt(2)
	v_fma_f64 v[20:21], -v[18:19], v[64:65], v[20:21]
	s_waitcnt vmcnt(10)
	v_fma_f64 v[22:23], -v[18:19], v[66:67], v[22:23]
	ds_read2_b64 v[64:67], v79 offset0:11 offset1:12
	s_waitcnt vmcnt(9) lgkmcnt(2)
	v_fma_f64 v[24:25], -v[18:19], v[68:69], v[24:25]
	s_waitcnt vmcnt(4)
	v_fma_f64 v[42:43], -v[18:19], v[70:71], v[42:43]
	s_waitcnt vmcnt(3) lgkmcnt(1)
	v_fma_f64 v[44:45], -v[18:19], v[72:73], v[44:45]
	s_waitcnt vmcnt(2)
	v_fma_f64 v[46:47], -v[18:19], v[74:75], v[46:47]
	;; [unrolled: 4-line block ×3, first 2 shown]
.LBB25_26:
	s_or_b64 exec, exec, s[2:3]
	v_cmp_eq_u32_e32 vcc, 5, v80
	s_waitcnt lgkmcnt(0)
	s_barrier
	s_and_saveexec_b64 s[2:3], vcc
	s_cbranch_execz .LBB25_29
; %bb.27:
	s_waitcnt vmcnt(11)
	ds_write_b64 v78, v[20:21]
	s_waitcnt vmcnt(9)
	ds_write2_b64 v79, v[22:23], v[24:25] offset0:6 offset1:7
	s_waitcnt vmcnt(3)
	ds_write2_b64 v79, v[42:43], v[44:45] offset0:8 offset1:9
	;; [unrolled: 2-line block ×3, first 2 shown]
	s_waitcnt vmcnt(0)
	ds_write_b64 v79, v[52:53] offset:96
	ds_read_b64 v[64:65], v78
	s_waitcnt lgkmcnt(0)
	v_cmp_neq_f64_e32 vcc, 0, v[64:65]
	s_and_b64 exec, exec, vcc
	s_cbranch_execz .LBB25_29
; %bb.28:
	v_div_scale_f64 v[66:67], s[6:7], v[64:65], v[64:65], 1.0
	v_rcp_f64_e32 v[68:69], v[66:67]
	v_div_scale_f64 v[70:71], vcc, 1.0, v[64:65], 1.0
	v_fma_f64 v[72:73], -v[66:67], v[68:69], 1.0
	v_fmac_f64_e32 v[68:69], v[68:69], v[72:73]
	v_fma_f64 v[72:73], -v[66:67], v[68:69], 1.0
	v_fmac_f64_e32 v[68:69], v[68:69], v[72:73]
	v_mul_f64 v[72:73], v[70:71], v[68:69]
	v_fma_f64 v[66:67], -v[66:67], v[72:73], v[70:71]
	v_div_fmas_f64 v[66:67], v[66:67], v[68:69], v[72:73]
	v_div_fixup_f64 v[64:65], v[66:67], v[64:65], 1.0
	ds_write_b64 v78, v[64:65]
.LBB25_29:
	s_or_b64 exec, exec, s[2:3]
	s_waitcnt lgkmcnt(0)
	s_barrier
	ds_read_b64 v[64:65], v78
	v_cmp_lt_u32_e32 vcc, 5, v80
	s_and_saveexec_b64 s[2:3], vcc
	s_cbranch_execz .LBB25_31
; %bb.30:
	ds_read2_b64 v[66:69], v79 offset0:6 offset1:7
	ds_read2_b64 v[70:73], v79 offset0:8 offset1:9
	s_waitcnt vmcnt(11) lgkmcnt(2)
	v_mul_f64 v[20:21], v[20:21], v[64:65]
	ds_read2_b64 v[74:77], v79 offset0:10 offset1:11
	s_waitcnt vmcnt(10) lgkmcnt(2)
	v_fma_f64 v[22:23], -v[20:21], v[66:67], v[22:23]
	ds_read_b64 v[66:67], v79 offset:96
	s_waitcnt vmcnt(9)
	v_fma_f64 v[24:25], -v[20:21], v[68:69], v[24:25]
	s_waitcnt vmcnt(4) lgkmcnt(2)
	v_fma_f64 v[42:43], -v[20:21], v[70:71], v[42:43]
	s_waitcnt vmcnt(3)
	v_fma_f64 v[44:45], -v[20:21], v[72:73], v[44:45]
	s_waitcnt vmcnt(2) lgkmcnt(1)
	v_fma_f64 v[46:47], -v[20:21], v[74:75], v[46:47]
	;; [unrolled: 4-line block ×3, first 2 shown]
.LBB25_31:
	s_or_b64 exec, exec, s[2:3]
	v_cmp_eq_u32_e32 vcc, 6, v80
	s_waitcnt lgkmcnt(0)
	s_barrier
	s_and_saveexec_b64 s[2:3], vcc
	s_cbranch_execz .LBB25_34
; %bb.32:
	s_waitcnt vmcnt(10)
	ds_write_b64 v78, v[22:23]
	s_waitcnt vmcnt(4)
	ds_write2_b64 v79, v[24:25], v[42:43] offset0:7 offset1:8
	s_waitcnt vmcnt(2)
	ds_write2_b64 v79, v[44:45], v[46:47] offset0:9 offset1:10
	;; [unrolled: 2-line block ×3, first 2 shown]
	ds_read_b64 v[66:67], v78
	s_waitcnt lgkmcnt(0)
	v_cmp_neq_f64_e32 vcc, 0, v[66:67]
	s_and_b64 exec, exec, vcc
	s_cbranch_execz .LBB25_34
; %bb.33:
	v_div_scale_f64 v[68:69], s[6:7], v[66:67], v[66:67], 1.0
	v_rcp_f64_e32 v[70:71], v[68:69]
	v_div_scale_f64 v[72:73], vcc, 1.0, v[66:67], 1.0
	v_fma_f64 v[74:75], -v[68:69], v[70:71], 1.0
	v_fmac_f64_e32 v[70:71], v[70:71], v[74:75]
	v_fma_f64 v[74:75], -v[68:69], v[70:71], 1.0
	v_fmac_f64_e32 v[70:71], v[70:71], v[74:75]
	v_mul_f64 v[74:75], v[72:73], v[70:71]
	v_fma_f64 v[68:69], -v[68:69], v[74:75], v[72:73]
	v_div_fmas_f64 v[68:69], v[68:69], v[70:71], v[74:75]
	v_div_fixup_f64 v[66:67], v[68:69], v[66:67], 1.0
	ds_write_b64 v78, v[66:67]
.LBB25_34:
	s_or_b64 exec, exec, s[2:3]
	s_waitcnt lgkmcnt(0)
	s_barrier
	ds_read_b64 v[66:67], v78
	v_cmp_lt_u32_e32 vcc, 6, v80
	s_and_saveexec_b64 s[2:3], vcc
	s_cbranch_execz .LBB25_36
; %bb.35:
	ds_read2_b64 v[68:71], v79 offset0:7 offset1:8
	ds_read2_b64 v[72:75], v79 offset0:9 offset1:10
	;; [unrolled: 1-line block ×3, first 2 shown]
	s_waitcnt vmcnt(10) lgkmcnt(3)
	v_mul_f64 v[22:23], v[22:23], v[66:67]
	s_waitcnt vmcnt(9) lgkmcnt(2)
	v_fma_f64 v[24:25], -v[22:23], v[68:69], v[24:25]
	s_waitcnt vmcnt(4)
	v_fma_f64 v[42:43], -v[22:23], v[70:71], v[42:43]
	s_waitcnt vmcnt(3) lgkmcnt(1)
	v_fma_f64 v[44:45], -v[22:23], v[72:73], v[44:45]
	s_waitcnt vmcnt(2)
	v_fma_f64 v[46:47], -v[22:23], v[74:75], v[46:47]
	;; [unrolled: 4-line block ×3, first 2 shown]
.LBB25_36:
	s_or_b64 exec, exec, s[2:3]
	v_cmp_eq_u32_e32 vcc, 7, v80
	s_waitcnt lgkmcnt(0)
	s_barrier
	s_and_saveexec_b64 s[2:3], vcc
	s_cbranch_execz .LBB25_39
; %bb.37:
	s_waitcnt vmcnt(9)
	ds_write_b64 v78, v[24:25]
	s_waitcnt vmcnt(3)
	ds_write2_b64 v79, v[42:43], v[44:45] offset0:8 offset1:9
	s_waitcnt vmcnt(1)
	ds_write2_b64 v79, v[46:47], v[48:49] offset0:10 offset1:11
	s_waitcnt vmcnt(0)
	ds_write_b64 v79, v[52:53] offset:96
	ds_read_b64 v[68:69], v78
	s_waitcnt lgkmcnt(0)
	v_cmp_neq_f64_e32 vcc, 0, v[68:69]
	s_and_b64 exec, exec, vcc
	s_cbranch_execz .LBB25_39
; %bb.38:
	v_div_scale_f64 v[70:71], s[6:7], v[68:69], v[68:69], 1.0
	v_rcp_f64_e32 v[72:73], v[70:71]
	v_div_scale_f64 v[74:75], vcc, 1.0, v[68:69], 1.0
	v_fma_f64 v[76:77], -v[70:71], v[72:73], 1.0
	v_fmac_f64_e32 v[72:73], v[72:73], v[76:77]
	v_fma_f64 v[76:77], -v[70:71], v[72:73], 1.0
	v_fmac_f64_e32 v[72:73], v[72:73], v[76:77]
	v_mul_f64 v[76:77], v[74:75], v[72:73]
	v_fma_f64 v[70:71], -v[70:71], v[76:77], v[74:75]
	v_div_fmas_f64 v[70:71], v[70:71], v[72:73], v[76:77]
	v_div_fixup_f64 v[68:69], v[70:71], v[68:69], 1.0
	ds_write_b64 v78, v[68:69]
.LBB25_39:
	s_or_b64 exec, exec, s[2:3]
	s_waitcnt lgkmcnt(0)
	s_barrier
	ds_read_b64 v[68:69], v78
	v_cmp_lt_u32_e32 vcc, 7, v80
	s_and_saveexec_b64 s[2:3], vcc
	s_cbranch_execz .LBB25_41
; %bb.40:
	ds_read2_b64 v[70:73], v79 offset0:8 offset1:9
	ds_read2_b64 v[74:77], v79 offset0:10 offset1:11
	ds_read_b64 v[82:83], v79 offset:96
	s_waitcnt vmcnt(9) lgkmcnt(3)
	v_mul_f64 v[24:25], v[24:25], v[68:69]
	s_waitcnt vmcnt(4) lgkmcnt(2)
	v_fma_f64 v[42:43], -v[24:25], v[70:71], v[42:43]
	s_waitcnt vmcnt(3)
	v_fma_f64 v[44:45], -v[24:25], v[72:73], v[44:45]
	s_waitcnt vmcnt(2) lgkmcnt(1)
	v_fma_f64 v[46:47], -v[24:25], v[74:75], v[46:47]
	s_waitcnt vmcnt(1)
	v_fma_f64 v[48:49], -v[24:25], v[76:77], v[48:49]
	s_waitcnt vmcnt(0) lgkmcnt(0)
	v_fma_f64 v[52:53], -v[24:25], v[82:83], v[52:53]
.LBB25_41:
	s_or_b64 exec, exec, s[2:3]
	v_cmp_eq_u32_e32 vcc, 8, v80
	s_waitcnt lgkmcnt(0)
	s_barrier
	s_and_saveexec_b64 s[2:3], vcc
	s_cbranch_execz .LBB25_44
; %bb.42:
	s_waitcnt vmcnt(4)
	ds_write_b64 v78, v[42:43]
	s_waitcnt vmcnt(2)
	ds_write2_b64 v79, v[44:45], v[46:47] offset0:9 offset1:10
	s_waitcnt vmcnt(0)
	ds_write2_b64 v79, v[48:49], v[52:53] offset0:11 offset1:12
	ds_read_b64 v[70:71], v78
	s_waitcnt lgkmcnt(0)
	v_cmp_neq_f64_e32 vcc, 0, v[70:71]
	s_and_b64 exec, exec, vcc
	s_cbranch_execz .LBB25_44
; %bb.43:
	v_div_scale_f64 v[72:73], s[6:7], v[70:71], v[70:71], 1.0
	v_rcp_f64_e32 v[74:75], v[72:73]
	v_div_scale_f64 v[76:77], vcc, 1.0, v[70:71], 1.0
	v_fma_f64 v[82:83], -v[72:73], v[74:75], 1.0
	v_fmac_f64_e32 v[74:75], v[74:75], v[82:83]
	v_fma_f64 v[82:83], -v[72:73], v[74:75], 1.0
	v_fmac_f64_e32 v[74:75], v[74:75], v[82:83]
	v_mul_f64 v[82:83], v[76:77], v[74:75]
	v_fma_f64 v[72:73], -v[72:73], v[82:83], v[76:77]
	v_div_fmas_f64 v[72:73], v[72:73], v[74:75], v[82:83]
	v_div_fixup_f64 v[70:71], v[72:73], v[70:71], 1.0
	ds_write_b64 v78, v[70:71]
.LBB25_44:
	s_or_b64 exec, exec, s[2:3]
	s_waitcnt lgkmcnt(0)
	s_barrier
	ds_read_b64 v[70:71], v78
	v_cmp_lt_u32_e32 vcc, 8, v80
	s_and_saveexec_b64 s[2:3], vcc
	s_cbranch_execz .LBB25_46
; %bb.45:
	ds_read2_b64 v[72:75], v79 offset0:9 offset1:10
	ds_read2_b64 v[82:85], v79 offset0:11 offset1:12
	s_waitcnt vmcnt(4) lgkmcnt(2)
	v_mul_f64 v[42:43], v[42:43], v[70:71]
	s_waitcnt vmcnt(3) lgkmcnt(1)
	v_fma_f64 v[44:45], -v[42:43], v[72:73], v[44:45]
	s_waitcnt vmcnt(2)
	v_fma_f64 v[46:47], -v[42:43], v[74:75], v[46:47]
	s_waitcnt vmcnt(1) lgkmcnt(0)
	v_fma_f64 v[48:49], -v[42:43], v[82:83], v[48:49]
	s_waitcnt vmcnt(0)
	v_fma_f64 v[52:53], -v[42:43], v[84:85], v[52:53]
.LBB25_46:
	s_or_b64 exec, exec, s[2:3]
	v_cmp_eq_u32_e32 vcc, 9, v80
	s_waitcnt lgkmcnt(0)
	s_barrier
	s_and_saveexec_b64 s[2:3], vcc
	s_cbranch_execz .LBB25_49
; %bb.47:
	s_waitcnt vmcnt(3)
	ds_write_b64 v78, v[44:45]
	s_waitcnt vmcnt(1)
	ds_write2_b64 v79, v[46:47], v[48:49] offset0:10 offset1:11
	s_waitcnt vmcnt(0)
	ds_write_b64 v79, v[52:53] offset:96
	ds_read_b64 v[72:73], v78
	s_waitcnt lgkmcnt(0)
	v_cmp_neq_f64_e32 vcc, 0, v[72:73]
	s_and_b64 exec, exec, vcc
	s_cbranch_execz .LBB25_49
; %bb.48:
	v_div_scale_f64 v[74:75], s[6:7], v[72:73], v[72:73], 1.0
	v_rcp_f64_e32 v[76:77], v[74:75]
	v_div_scale_f64 v[82:83], vcc, 1.0, v[72:73], 1.0
	v_fma_f64 v[84:85], -v[74:75], v[76:77], 1.0
	v_fmac_f64_e32 v[76:77], v[76:77], v[84:85]
	v_fma_f64 v[84:85], -v[74:75], v[76:77], 1.0
	v_fmac_f64_e32 v[76:77], v[76:77], v[84:85]
	v_mul_f64 v[84:85], v[82:83], v[76:77]
	v_fma_f64 v[74:75], -v[74:75], v[84:85], v[82:83]
	v_div_fmas_f64 v[74:75], v[74:75], v[76:77], v[84:85]
	v_div_fixup_f64 v[72:73], v[74:75], v[72:73], 1.0
	ds_write_b64 v78, v[72:73]
.LBB25_49:
	s_or_b64 exec, exec, s[2:3]
	s_waitcnt lgkmcnt(0)
	s_barrier
	ds_read_b64 v[72:73], v78
	v_cmp_lt_u32_e32 vcc, 9, v80
	s_and_saveexec_b64 s[2:3], vcc
	s_cbranch_execz .LBB25_51
; %bb.50:
	ds_read2_b64 v[74:77], v79 offset0:10 offset1:11
	ds_read_b64 v[82:83], v79 offset:96
	s_waitcnt vmcnt(3) lgkmcnt(2)
	v_mul_f64 v[44:45], v[44:45], v[72:73]
	s_waitcnt vmcnt(2) lgkmcnt(1)
	v_fma_f64 v[46:47], -v[44:45], v[74:75], v[46:47]
	s_waitcnt vmcnt(1)
	v_fma_f64 v[48:49], -v[44:45], v[76:77], v[48:49]
	s_waitcnt vmcnt(0) lgkmcnt(0)
	v_fma_f64 v[52:53], -v[44:45], v[82:83], v[52:53]
.LBB25_51:
	s_or_b64 exec, exec, s[2:3]
	v_cmp_eq_u32_e32 vcc, 10, v80
	s_waitcnt lgkmcnt(0)
	s_barrier
	s_and_saveexec_b64 s[2:3], vcc
	s_cbranch_execz .LBB25_54
; %bb.52:
	s_waitcnt vmcnt(2)
	ds_write_b64 v78, v[46:47]
	s_waitcnt vmcnt(0)
	ds_write2_b64 v79, v[48:49], v[52:53] offset0:11 offset1:12
	ds_read_b64 v[74:75], v78
	s_waitcnt lgkmcnt(0)
	v_cmp_neq_f64_e32 vcc, 0, v[74:75]
	s_and_b64 exec, exec, vcc
	s_cbranch_execz .LBB25_54
; %bb.53:
	v_div_scale_f64 v[76:77], s[6:7], v[74:75], v[74:75], 1.0
	v_rcp_f64_e32 v[82:83], v[76:77]
	v_div_scale_f64 v[84:85], vcc, 1.0, v[74:75], 1.0
	v_fma_f64 v[86:87], -v[76:77], v[82:83], 1.0
	v_fmac_f64_e32 v[82:83], v[82:83], v[86:87]
	v_fma_f64 v[86:87], -v[76:77], v[82:83], 1.0
	v_fmac_f64_e32 v[82:83], v[82:83], v[86:87]
	v_mul_f64 v[86:87], v[84:85], v[82:83]
	v_fma_f64 v[76:77], -v[76:77], v[86:87], v[84:85]
	v_div_fmas_f64 v[76:77], v[76:77], v[82:83], v[86:87]
	v_div_fixup_f64 v[74:75], v[76:77], v[74:75], 1.0
	ds_write_b64 v78, v[74:75]
.LBB25_54:
	s_or_b64 exec, exec, s[2:3]
	s_waitcnt lgkmcnt(0)
	s_barrier
	ds_read_b64 v[74:75], v78
	v_cmp_lt_u32_e32 vcc, 10, v80
	s_and_saveexec_b64 s[2:3], vcc
	s_cbranch_execz .LBB25_56
; %bb.55:
	ds_read2_b64 v[82:85], v79 offset0:11 offset1:12
	s_waitcnt vmcnt(2) lgkmcnt(1)
	v_mul_f64 v[46:47], v[46:47], v[74:75]
	s_waitcnt vmcnt(1) lgkmcnt(0)
	v_fma_f64 v[48:49], -v[46:47], v[82:83], v[48:49]
	s_waitcnt vmcnt(0)
	v_fma_f64 v[52:53], -v[46:47], v[84:85], v[52:53]
.LBB25_56:
	s_or_b64 exec, exec, s[2:3]
	v_cmp_eq_u32_e32 vcc, 11, v80
	s_waitcnt lgkmcnt(0)
	s_barrier
	s_and_saveexec_b64 s[2:3], vcc
	s_cbranch_execz .LBB25_59
; %bb.57:
	s_waitcnt vmcnt(1)
	ds_write_b64 v78, v[48:49]
	s_waitcnt vmcnt(0)
	ds_write_b64 v79, v[52:53] offset:96
	ds_read_b64 v[76:77], v78
	s_waitcnt lgkmcnt(0)
	v_cmp_neq_f64_e32 vcc, 0, v[76:77]
	s_and_b64 exec, exec, vcc
	s_cbranch_execz .LBB25_59
; %bb.58:
	v_div_scale_f64 v[82:83], s[6:7], v[76:77], v[76:77], 1.0
	v_rcp_f64_e32 v[84:85], v[82:83]
	v_div_scale_f64 v[86:87], vcc, 1.0, v[76:77], 1.0
	v_fma_f64 v[88:89], -v[82:83], v[84:85], 1.0
	v_fmac_f64_e32 v[84:85], v[84:85], v[88:89]
	v_fma_f64 v[88:89], -v[82:83], v[84:85], 1.0
	v_fmac_f64_e32 v[84:85], v[84:85], v[88:89]
	v_mul_f64 v[88:89], v[86:87], v[84:85]
	v_fma_f64 v[82:83], -v[82:83], v[88:89], v[86:87]
	v_div_fmas_f64 v[82:83], v[82:83], v[84:85], v[88:89]
	v_div_fixup_f64 v[76:77], v[82:83], v[76:77], 1.0
	ds_write_b64 v78, v[76:77]
.LBB25_59:
	s_or_b64 exec, exec, s[2:3]
	s_waitcnt lgkmcnt(0)
	s_barrier
	ds_read_b64 v[76:77], v78
	v_cmp_lt_u32_e32 vcc, 11, v80
	s_and_saveexec_b64 s[2:3], vcc
	s_cbranch_execz .LBB25_61
; %bb.60:
	ds_read_b64 v[82:83], v79 offset:96
	s_waitcnt vmcnt(1) lgkmcnt(1)
	v_mul_f64 v[48:49], v[48:49], v[76:77]
	s_waitcnt vmcnt(0) lgkmcnt(0)
	v_fma_f64 v[52:53], -v[48:49], v[82:83], v[52:53]
.LBB25_61:
	s_or_b64 exec, exec, s[2:3]
	v_cmp_ne_u32_e32 vcc, 12, v80
	s_waitcnt lgkmcnt(0)
	s_barrier
	s_and_saveexec_b64 s[2:3], vcc
	s_xor_b64 s[2:3], exec, s[2:3]
	s_andn2_saveexec_b64 s[2:3], s[2:3]
	s_cbranch_execz .LBB25_65
; %bb.62:
	s_waitcnt vmcnt(0)
	v_cmp_neq_f64_e32 vcc, 0, v[52:53]
	ds_write_b64 v78, v[52:53]
	s_and_saveexec_b64 s[6:7], vcc
	s_cbranch_execz .LBB25_64
; %bb.63:
	v_div_scale_f64 v[82:83], s[8:9], v[52:53], v[52:53], 1.0
	v_rcp_f64_e32 v[84:85], v[82:83]
	v_div_scale_f64 v[86:87], vcc, 1.0, v[52:53], 1.0
	v_fma_f64 v[88:89], -v[82:83], v[84:85], 1.0
	v_fmac_f64_e32 v[84:85], v[84:85], v[88:89]
	v_fma_f64 v[88:89], -v[82:83], v[84:85], 1.0
	v_fmac_f64_e32 v[84:85], v[84:85], v[88:89]
	v_mul_f64 v[88:89], v[86:87], v[84:85]
	v_fma_f64 v[82:83], -v[82:83], v[88:89], v[86:87]
	v_div_fmas_f64 v[82:83], v[82:83], v[84:85], v[88:89]
	v_div_fixup_f64 v[82:83], v[82:83], v[52:53], 1.0
	ds_write_b64 v78, v[82:83]
.LBB25_64:
	s_or_b64 exec, exec, s[6:7]
.LBB25_65:
	s_or_b64 exec, exec, s[2:3]
	s_waitcnt lgkmcnt(0)
	s_barrier
	ds_read_b64 v[78:79], v78
	s_waitcnt lgkmcnt(0)
	s_barrier
	s_and_saveexec_b64 s[26:27], s[0:1]
	s_cbranch_execz .LBB25_68
; %bb.66:
	s_load_dwordx2 s[0:1], s[4:5], 0x28
	v_lshlrev_b64 v[2:3], 2, v[2:3]
	v_cmp_eq_f64_e64 s[2:3], 0, v[58:59]
	v_cmp_eq_f64_e64 s[4:5], 0, v[60:61]
	;; [unrolled: 1-line block ×3, first 2 shown]
	s_waitcnt lgkmcnt(0)
	v_mov_b32_e32 v81, s1
	v_add_co_u32_e32 v2, vcc, s0, v2
	v_addc_co_u32_e32 v3, vcc, v81, v3, vcc
	global_load_dword v81, v[2:3], off
	v_cmp_eq_f64_e32 vcc, 0, v[54:55]
	v_cmp_neq_f64_e64 s[0:1], 0, v[56:57]
	v_cndmask_b32_e64 v54, 0, 1, vcc
	s_or_b64 vcc, s[0:1], vcc
	v_cndmask_b32_e32 v54, 2, v54, vcc
	v_cmp_eq_u32_e32 vcc, 0, v54
	s_and_b64 s[0:1], s[2:3], vcc
	v_cndmask_b32_e64 v54, v54, 3, s[0:1]
	v_cmp_eq_u32_e32 vcc, 0, v54
	s_and_b64 s[0:1], s[4:5], vcc
	v_cndmask_b32_e64 v54, v54, 4, s[0:1]
	;; [unrolled: 3-line block ×3, first 2 shown]
	v_cmp_eq_f64_e64 s[8:9], 0, v[64:65]
	v_cmp_eq_u32_e32 vcc, 0, v54
	s_and_b64 s[0:1], s[8:9], vcc
	v_cndmask_b32_e64 v54, v54, 6, s[0:1]
	v_cmp_eq_f64_e64 s[10:11], 0, v[66:67]
	v_cmp_eq_u32_e32 vcc, 0, v54
	s_and_b64 s[0:1], s[10:11], vcc
	v_cndmask_b32_e64 v54, v54, 7, s[0:1]
	;; [unrolled: 4-line block ×8, first 2 shown]
	v_cmp_ne_u32_e64 s[0:1], 0, v54
	s_waitcnt vmcnt(0)
	v_cmp_eq_u32_e32 vcc, 0, v81
	s_and_b64 s[0:1], vcc, s[0:1]
	s_and_b64 exec, exec, s[0:1]
	s_cbranch_execz .LBB25_68
; %bb.67:
	v_add_u32_e32 v54, s25, v54
	global_store_dword v[2:3], v54, off
.LBB25_68:
	s_or_b64 exec, exec, s[26:27]
	s_waitcnt vmcnt(0)
	v_mul_f64 v[2:3], v[52:53], v[78:79]
	v_cmp_lt_u32_e32 vcc, 12, v80
	v_cndmask_b32_e32 v3, v53, v3, vcc
	v_cndmask_b32_e32 v2, v52, v2, vcc
	global_store_dwordx2 v[0:1], v[30:31], off
	global_store_dwordx2 v[26:27], v[32:33], off
	;; [unrolled: 1-line block ×13, first 2 shown]
.LBB25_69:
	s_endpgm
	.section	.rodata,"a",@progbits
	.p2align	6, 0x0
	.amdhsa_kernel _ZN9rocsolver6v33100L23getf2_npvt_small_kernelILi13EdiiPKPdEEvT1_T3_lS5_lPT2_S5_S5_
		.amdhsa_group_segment_fixed_size 0
		.amdhsa_private_segment_fixed_size 0
		.amdhsa_kernarg_size 312
		.amdhsa_user_sgpr_count 6
		.amdhsa_user_sgpr_private_segment_buffer 1
		.amdhsa_user_sgpr_dispatch_ptr 0
		.amdhsa_user_sgpr_queue_ptr 0
		.amdhsa_user_sgpr_kernarg_segment_ptr 1
		.amdhsa_user_sgpr_dispatch_id 0
		.amdhsa_user_sgpr_flat_scratch_init 0
		.amdhsa_user_sgpr_kernarg_preload_length 0
		.amdhsa_user_sgpr_kernarg_preload_offset 0
		.amdhsa_user_sgpr_private_segment_size 0
		.amdhsa_uses_dynamic_stack 0
		.amdhsa_system_sgpr_private_segment_wavefront_offset 0
		.amdhsa_system_sgpr_workgroup_id_x 1
		.amdhsa_system_sgpr_workgroup_id_y 1
		.amdhsa_system_sgpr_workgroup_id_z 0
		.amdhsa_system_sgpr_workgroup_info 0
		.amdhsa_system_vgpr_workitem_id 1
		.amdhsa_next_free_vgpr 90
		.amdhsa_next_free_sgpr 28
		.amdhsa_accum_offset 92
		.amdhsa_reserve_vcc 1
		.amdhsa_reserve_flat_scratch 0
		.amdhsa_float_round_mode_32 0
		.amdhsa_float_round_mode_16_64 0
		.amdhsa_float_denorm_mode_32 3
		.amdhsa_float_denorm_mode_16_64 3
		.amdhsa_dx10_clamp 1
		.amdhsa_ieee_mode 1
		.amdhsa_fp16_overflow 0
		.amdhsa_tg_split 0
		.amdhsa_exception_fp_ieee_invalid_op 0
		.amdhsa_exception_fp_denorm_src 0
		.amdhsa_exception_fp_ieee_div_zero 0
		.amdhsa_exception_fp_ieee_overflow 0
		.amdhsa_exception_fp_ieee_underflow 0
		.amdhsa_exception_fp_ieee_inexact 0
		.amdhsa_exception_int_div_zero 0
	.end_amdhsa_kernel
	.section	.text._ZN9rocsolver6v33100L23getf2_npvt_small_kernelILi13EdiiPKPdEEvT1_T3_lS5_lPT2_S5_S5_,"axG",@progbits,_ZN9rocsolver6v33100L23getf2_npvt_small_kernelILi13EdiiPKPdEEvT1_T3_lS5_lPT2_S5_S5_,comdat
.Lfunc_end25:
	.size	_ZN9rocsolver6v33100L23getf2_npvt_small_kernelILi13EdiiPKPdEEvT1_T3_lS5_lPT2_S5_S5_, .Lfunc_end25-_ZN9rocsolver6v33100L23getf2_npvt_small_kernelILi13EdiiPKPdEEvT1_T3_lS5_lPT2_S5_S5_
                                        ; -- End function
	.section	.AMDGPU.csdata,"",@progbits
; Kernel info:
; codeLenInByte = 5216
; NumSgprs: 32
; NumVgprs: 90
; NumAgprs: 0
; TotalNumVgprs: 90
; ScratchSize: 0
; MemoryBound: 0
; FloatMode: 240
; IeeeMode: 1
; LDSByteSize: 0 bytes/workgroup (compile time only)
; SGPRBlocks: 3
; VGPRBlocks: 11
; NumSGPRsForWavesPerEU: 32
; NumVGPRsForWavesPerEU: 90
; AccumOffset: 92
; Occupancy: 5
; WaveLimiterHint : 1
; COMPUTE_PGM_RSRC2:SCRATCH_EN: 0
; COMPUTE_PGM_RSRC2:USER_SGPR: 6
; COMPUTE_PGM_RSRC2:TRAP_HANDLER: 0
; COMPUTE_PGM_RSRC2:TGID_X_EN: 1
; COMPUTE_PGM_RSRC2:TGID_Y_EN: 1
; COMPUTE_PGM_RSRC2:TGID_Z_EN: 0
; COMPUTE_PGM_RSRC2:TIDIG_COMP_CNT: 1
; COMPUTE_PGM_RSRC3_GFX90A:ACCUM_OFFSET: 22
; COMPUTE_PGM_RSRC3_GFX90A:TG_SPLIT: 0
	.section	.text._ZN9rocsolver6v33100L18getf2_small_kernelILi14EdiiPKPdEEvT1_T3_lS5_lPS5_llPT2_S5_S5_S7_l,"axG",@progbits,_ZN9rocsolver6v33100L18getf2_small_kernelILi14EdiiPKPdEEvT1_T3_lS5_lPS5_llPT2_S5_S5_S7_l,comdat
	.globl	_ZN9rocsolver6v33100L18getf2_small_kernelILi14EdiiPKPdEEvT1_T3_lS5_lPS5_llPT2_S5_S5_S7_l ; -- Begin function _ZN9rocsolver6v33100L18getf2_small_kernelILi14EdiiPKPdEEvT1_T3_lS5_lPS5_llPT2_S5_S5_S7_l
	.p2align	8
	.type	_ZN9rocsolver6v33100L18getf2_small_kernelILi14EdiiPKPdEEvT1_T3_lS5_lPS5_llPT2_S5_S5_S7_l,@function
_ZN9rocsolver6v33100L18getf2_small_kernelILi14EdiiPKPdEEvT1_T3_lS5_lPS5_llPT2_S5_S5_S7_l: ; @_ZN9rocsolver6v33100L18getf2_small_kernelILi14EdiiPKPdEEvT1_T3_lS5_lPS5_llPT2_S5_S5_S7_l
; %bb.0:
	s_load_dword s0, s[4:5], 0x6c
	s_load_dwordx2 s[12:13], s[4:5], 0x48
	v_bfe_u32 v32, v0, 10, 10
	s_waitcnt lgkmcnt(0)
	s_lshr_b32 s0, s0, 16
	s_mul_i32 s7, s7, s0
	v_add_u32_e32 v2, s7, v32
	v_cmp_gt_i32_e32 vcc, s12, v2
	s_and_saveexec_b64 s[0:1], vcc
	s_cbranch_execz .LBB26_235
; %bb.1:
	s_load_dwordx4 s[0:3], s[4:5], 0x8
	s_load_dwordx4 s[8:11], s[4:5], 0x50
	v_ashrrev_i32_e32 v3, 31, v2
	v_lshlrev_b64 v[4:5], 3, v[2:3]
	v_pk_mov_b32 v[28:29], 0, 0
	s_waitcnt lgkmcnt(0)
	v_mov_b32_e32 v1, s1
	v_add_co_u32_e32 v4, vcc, s0, v4
	v_addc_co_u32_e32 v5, vcc, v1, v5, vcc
	global_load_dwordx2 v[4:5], v[4:5], off
	s_cmp_eq_u64 s[8:9], 0
	s_cselect_b64 s[6:7], -1, 0
	s_and_b64 vcc, exec, s[6:7]
	s_cbranch_vccnz .LBB26_3
; %bb.2:
	v_mul_lo_u32 v1, v3, s10
	v_mul_lo_u32 v8, v2, s11
	v_mad_u64_u32 v[6:7], s[0:1], v2, s10, 0
	v_add3_u32 v7, v7, v8, v1
	v_lshlrev_b64 v[6:7], 2, v[6:7]
	v_mov_b32_e32 v1, s9
	v_add_co_u32_e32 v28, vcc, s8, v6
	v_addc_co_u32_e32 v29, vcc, v1, v7, vcc
.LBB26_3:
	s_load_dword s8, s[4:5], 0x18
	s_load_dword s12, s[4:5], 0x0
	s_lshl_b64 s[0:1], s[2:3], 3
	v_mov_b32_e32 v1, s1
	s_waitcnt vmcnt(0)
	v_add_co_u32_e32 v38, vcc, s0, v4
	v_and_b32_e32 v41, 0x3ff, v0
	v_addc_co_u32_e32 v39, vcc, v5, v1, vcc
	v_lshlrev_b32_e32 v33, 3, v41
	v_add_co_u32_e32 v6, vcc, v38, v33
	s_waitcnt lgkmcnt(0)
	s_ashr_i32 s9, s8, 31
	v_addc_co_u32_e32 v7, vcc, 0, v39, vcc
	s_lshl_b64 s[10:11], s[8:9], 3
	v_mov_b32_e32 v0, s11
	v_add_co_u32_e32 v8, vcc, s10, v6
	s_add_i32 s9, s8, s8
	v_addc_co_u32_e32 v9, vcc, v7, v0, vcc
	v_add_u32_e32 v0, s9, v41
	v_ashrrev_i32_e32 v1, 31, v0
	v_lshlrev_b64 v[4:5], 3, v[0:1]
	v_add_u32_e32 v14, s8, v0
	v_add_co_u32_e32 v10, vcc, v38, v4
	v_ashrrev_i32_e32 v15, 31, v14
	v_addc_co_u32_e32 v11, vcc, v39, v5, vcc
	v_lshlrev_b64 v[0:1], 3, v[14:15]
	v_add_co_u32_e32 v18, vcc, v38, v0
	v_addc_co_u32_e32 v19, vcc, v39, v1, vcc
	global_load_dwordx2 v[16:17], v[6:7], off
	global_load_dwordx2 v[12:13], v[8:9], off
	;; [unrolled: 1-line block ×4, first 2 shown]
	v_add_u32_e32 v6, s8, v14
	v_ashrrev_i32_e32 v7, 31, v6
	v_lshlrev_b64 v[8:9], 3, v[6:7]
	v_add_u32_e32 v6, s8, v6
	v_add_co_u32_e32 v10, vcc, v38, v8
	v_ashrrev_i32_e32 v7, 31, v6
	v_addc_co_u32_e32 v11, vcc, v39, v9, vcc
	v_lshlrev_b64 v[8:9], 3, v[6:7]
	v_add_u32_e32 v6, s8, v6
	v_add_co_u32_e32 v14, vcc, v38, v8
	v_ashrrev_i32_e32 v7, 31, v6
	v_addc_co_u32_e32 v15, vcc, v39, v9, vcc
	;; [unrolled: 5-line block ×3, first 2 shown]
	v_lshlrev_b64 v[6:7], 3, v[22:23]
	v_add_co_u32_e32 v26, vcc, v38, v6
	v_addc_co_u32_e32 v27, vcc, v39, v7, vcc
	global_load_dwordx2 v[24:25], v[10:11], off
	global_load_dwordx2 v[18:19], v[14:15], off
	;; [unrolled: 1-line block ×4, first 2 shown]
	v_add_u32_e32 v10, s8, v22
	v_ashrrev_i32_e32 v11, 31, v10
	v_lshlrev_b64 v[14:15], 3, v[10:11]
	v_add_u32_e32 v10, s8, v10
	v_add_co_u32_e32 v20, vcc, v38, v14
	v_ashrrev_i32_e32 v11, 31, v10
	v_addc_co_u32_e32 v21, vcc, v39, v15, vcc
	v_lshlrev_b64 v[14:15], 3, v[10:11]
	v_add_u32_e32 v10, s8, v10
	v_add_co_u32_e32 v30, vcc, v38, v14
	v_ashrrev_i32_e32 v11, 31, v10
	v_addc_co_u32_e32 v31, vcc, v39, v15, vcc
	;; [unrolled: 5-line block ×3, first 2 shown]
	v_lshlrev_b64 v[10:11], 3, v[36:37]
	v_add_co_u32_e32 v42, vcc, v38, v10
	v_addc_co_u32_e32 v43, vcc, v39, v11, vcc
	global_load_dwordx2 v[26:27], v[20:21], off
	global_load_dwordx2 v[22:23], v[30:31], off
	;; [unrolled: 1-line block ×4, first 2 shown]
	v_add_u32_e32 v20, s8, v36
	v_ashrrev_i32_e32 v21, 31, v20
	v_lshlrev_b64 v[30:31], 3, v[20:21]
	v_add_u32_e32 v20, s8, v20
	v_add_co_u32_e32 v34, vcc, v38, v30
	v_ashrrev_i32_e32 v21, 31, v20
	v_addc_co_u32_e32 v35, vcc, v39, v31, vcc
	v_lshlrev_b64 v[20:21], 3, v[20:21]
	v_add_co_u32_e32 v36, vcc, v38, v20
	v_addc_co_u32_e32 v37, vcc, v39, v21, vcc
	global_load_dwordx2 v[20:21], v[34:35], off
	global_load_dwordx2 v[30:31], v[36:37], off
	s_max_i32 s0, s12, 14
	v_mul_lo_u32 v35, s0, v32
	v_lshl_add_u32 v37, v35, 3, 0
	v_add_u32_e32 v32, v37, v33
	s_waitcnt vmcnt(13)
	ds_write_b64 v32, v[16:17]
	s_waitcnt lgkmcnt(0)
	s_barrier
	ds_read_b64 v[32:33], v37
	v_mov_b32_e32 v34, 0
	s_cmp_lt_i32 s12, 2
	v_lshlrev_b32_e32 v36, 3, v35
	s_cbranch_scc1 .LBB26_6
; %bb.4:
	v_add3_u32 v35, v36, 0, 8
	s_mov_b32 s0, 1
	v_mov_b32_e32 v34, 0
.LBB26_5:                               ; =>This Inner Loop Header: Depth=1
	ds_read_b64 v[42:43], v35
	v_mov_b32_e32 v40, s0
	s_add_i32 s0, s0, 1
	v_add_u32_e32 v35, 8, v35
	s_cmp_eq_u32 s12, s0
	s_waitcnt lgkmcnt(0)
	v_cmp_lt_f64_e64 vcc, |v[32:33]|, |v[42:43]|
	v_cndmask_b32_e32 v33, v33, v43, vcc
	v_cndmask_b32_e32 v32, v32, v42, vcc
	;; [unrolled: 1-line block ×3, first 2 shown]
	s_cbranch_scc0 .LBB26_5
.LBB26_6:
	v_cmp_ne_u32_e32 vcc, v41, v34
                                        ; implicit-def: $vgpr35
	s_and_saveexec_b64 s[0:1], vcc
	s_xor_b64 s[0:1], exec, s[0:1]
	s_cbranch_execz .LBB26_12
; %bb.7:
	v_cmp_eq_u32_e32 vcc, 0, v41
	s_and_saveexec_b64 s[2:3], vcc
	s_cbranch_execz .LBB26_11
; %bb.8:
	v_cmp_ne_u32_e32 vcc, 0, v34
	s_xor_b64 s[14:15], s[6:7], -1
	s_and_b64 s[16:17], s[14:15], vcc
	s_and_saveexec_b64 s[14:15], s[16:17]
	s_cbranch_execz .LBB26_10
; %bb.9:
	v_ashrrev_i32_e32 v35, 31, v34
	v_lshlrev_b64 v[40:41], 2, v[34:35]
	v_add_co_u32_e32 v40, vcc, v28, v40
	v_addc_co_u32_e32 v41, vcc, v29, v41, vcc
	flat_load_dword v35, v[40:41]
	flat_load_dword v42, v[28:29]
	s_waitcnt vmcnt(0) lgkmcnt(0)
	flat_store_dword v[28:29], v35
	flat_store_dword v[40:41], v42
.LBB26_10:
	s_or_b64 exec, exec, s[14:15]
	v_mov_b32_e32 v41, v34
.LBB26_11:
	s_or_b64 exec, exec, s[2:3]
	v_mov_b32_e32 v35, v41
                                        ; implicit-def: $vgpr41
.LBB26_12:
	s_or_saveexec_b64 s[0:1], s[0:1]
	v_mov_b32_e32 v40, v35
	s_xor_b64 exec, exec, s[0:1]
	s_cbranch_execz .LBB26_14
; %bb.13:
	v_mov_b32_e32 v35, 0
	v_mov_b32_e32 v40, v41
	s_waitcnt vmcnt(0)
	ds_write2_b64 v37, v[12:13], v[4:5] offset0:1 offset1:2
	ds_write2_b64 v37, v[0:1], v[24:25] offset0:3 offset1:4
	;; [unrolled: 1-line block ×6, first 2 shown]
	ds_write_b64 v37, v[30:31] offset:104
.LBB26_14:
	s_or_b64 exec, exec, s[0:1]
	s_waitcnt lgkmcnt(0)
	v_cmp_eq_f64_e64 s[0:1], 0, v[32:33]
	v_cmp_lt_i32_e32 vcc, 0, v35
	s_barrier
	s_and_saveexec_b64 s[2:3], vcc
	s_cbranch_execz .LBB26_16
; %bb.15:
	v_div_scale_f64 v[42:43], s[14:15], v[32:33], v[32:33], 1.0
	v_rcp_f64_e32 v[44:45], v[42:43]
	v_div_scale_f64 v[46:47], vcc, 1.0, v[32:33], 1.0
	ds_read2_b64 v[50:53], v37 offset0:5 offset1:6
	v_fma_f64 v[48:49], -v[42:43], v[44:45], 1.0
	v_fmac_f64_e32 v[44:45], v[44:45], v[48:49]
	v_fma_f64 v[48:49], -v[42:43], v[44:45], 1.0
	v_fmac_f64_e32 v[44:45], v[44:45], v[48:49]
	v_mul_f64 v[48:49], v[46:47], v[44:45]
	v_fma_f64 v[42:43], -v[42:43], v[48:49], v[46:47]
	v_div_fmas_f64 v[42:43], v[42:43], v[44:45], v[48:49]
	v_div_fixup_f64 v[46:47], v[42:43], v[32:33], 1.0
	ds_read2_b64 v[42:45], v37 offset0:1 offset1:2
	v_cndmask_b32_e64 v33, v47, v33, s[0:1]
	v_cndmask_b32_e64 v32, v46, v32, s[0:1]
	ds_read2_b64 v[46:49], v37 offset0:3 offset1:4
	v_mul_f64 v[16:17], v[16:17], v[32:33]
	s_waitcnt vmcnt(0) lgkmcnt(0)
	v_fma_f64 v[12:13], -v[16:17], v[42:43], v[12:13]
	v_fma_f64 v[4:5], -v[16:17], v[44:45], v[4:5]
	ds_read2_b64 v[42:45], v37 offset0:7 offset1:8
	v_fma_f64 v[0:1], -v[16:17], v[46:47], v[0:1]
	v_fma_f64 v[24:25], -v[16:17], v[48:49], v[24:25]
	;; [unrolled: 1-line block ×4, first 2 shown]
	ds_read2_b64 v[46:49], v37 offset0:9 offset1:10
	ds_read2_b64 v[50:53], v37 offset0:11 offset1:12
	ds_read_b64 v[32:33], v37 offset:104
	s_waitcnt lgkmcnt(3)
	v_fma_f64 v[6:7], -v[16:17], v[42:43], v[6:7]
	v_fma_f64 v[26:27], -v[16:17], v[44:45], v[26:27]
	s_waitcnt lgkmcnt(2)
	v_fma_f64 v[22:23], -v[16:17], v[46:47], v[22:23]
	v_fma_f64 v[14:15], -v[16:17], v[48:49], v[14:15]
	;; [unrolled: 3-line block ×3, first 2 shown]
	s_waitcnt lgkmcnt(0)
	v_fma_f64 v[30:31], -v[16:17], v[32:33], v[30:31]
.LBB26_16:
	s_or_b64 exec, exec, s[2:3]
	v_lshl_add_u32 v32, v35, 3, v37
	s_barrier
	s_waitcnt vmcnt(0)
	ds_write_b64 v32, v[12:13]
	s_waitcnt lgkmcnt(0)
	s_barrier
	ds_read_b64 v[32:33], v37 offset:8
	s_cmp_lt_i32 s12, 3
	v_mov_b32_e32 v34, 1
	s_cbranch_scc1 .LBB26_19
; %bb.17:
	v_add3_u32 v41, v36, 0, 16
	s_mov_b32 s2, 2
	v_mov_b32_e32 v34, 1
.LBB26_18:                              ; =>This Inner Loop Header: Depth=1
	ds_read_b64 v[42:43], v41
	v_mov_b32_e32 v44, s2
	s_add_i32 s2, s2, 1
	v_add_u32_e32 v41, 8, v41
	s_cmp_lg_u32 s12, s2
	s_waitcnt lgkmcnt(0)
	v_cmp_lt_f64_e64 vcc, |v[32:33]|, |v[42:43]|
	v_cndmask_b32_e32 v33, v33, v43, vcc
	v_cndmask_b32_e32 v32, v32, v42, vcc
	v_cndmask_b32_e32 v34, v34, v44, vcc
	s_cbranch_scc1 .LBB26_18
.LBB26_19:
	v_cmp_ne_u32_e32 vcc, v35, v34
	s_and_saveexec_b64 s[2:3], vcc
	s_xor_b64 s[2:3], exec, s[2:3]
	s_cbranch_execz .LBB26_25
; %bb.20:
	v_cmp_eq_u32_e32 vcc, 1, v35
	s_and_saveexec_b64 s[14:15], vcc
	s_cbranch_execz .LBB26_24
; %bb.21:
	v_cmp_ne_u32_e32 vcc, 1, v34
	s_xor_b64 s[16:17], s[6:7], -1
	s_and_b64 s[18:19], s[16:17], vcc
	s_and_saveexec_b64 s[16:17], s[18:19]
	s_cbranch_execz .LBB26_23
; %bb.22:
	v_ashrrev_i32_e32 v35, 31, v34
	v_lshlrev_b64 v[40:41], 2, v[34:35]
	v_add_co_u32_e32 v40, vcc, v28, v40
	v_addc_co_u32_e32 v41, vcc, v29, v41, vcc
	flat_load_dword v35, v[40:41]
	flat_load_dword v42, v[28:29] offset:4
	s_waitcnt vmcnt(0) lgkmcnt(0)
	flat_store_dword v[28:29], v35 offset:4
	flat_store_dword v[40:41], v42
.LBB26_23:
	s_or_b64 exec, exec, s[16:17]
	v_mov_b32_e32 v40, v34
	v_mov_b32_e32 v35, v34
.LBB26_24:
	s_or_b64 exec, exec, s[14:15]
.LBB26_25:
	s_andn2_saveexec_b64 s[2:3], s[2:3]
	s_cbranch_execz .LBB26_27
; %bb.26:
	v_mov_b32_e32 v35, 1
	ds_write2_b64 v37, v[4:5], v[0:1] offset0:2 offset1:3
	ds_write2_b64 v37, v[24:25], v[18:19] offset0:4 offset1:5
	ds_write2_b64 v37, v[8:9], v[6:7] offset0:6 offset1:7
	ds_write2_b64 v37, v[26:27], v[22:23] offset0:8 offset1:9
	ds_write2_b64 v37, v[14:15], v[10:11] offset0:10 offset1:11
	ds_write2_b64 v37, v[20:21], v[30:31] offset0:12 offset1:13
.LBB26_27:
	s_or_b64 exec, exec, s[2:3]
	s_waitcnt lgkmcnt(0)
	v_cmp_neq_f64_e64 s[2:3], 0, v[32:33]
	v_cmp_lt_i32_e32 vcc, 1, v35
	s_barrier
	s_and_saveexec_b64 s[14:15], vcc
	s_cbranch_execz .LBB26_29
; %bb.28:
	v_div_scale_f64 v[42:43], s[16:17], v[32:33], v[32:33], 1.0
	v_rcp_f64_e32 v[44:45], v[42:43]
	v_div_scale_f64 v[46:47], vcc, 1.0, v[32:33], 1.0
	ds_read2_b64 v[50:53], v37 offset0:6 offset1:7
	v_fma_f64 v[48:49], -v[42:43], v[44:45], 1.0
	v_fmac_f64_e32 v[44:45], v[44:45], v[48:49]
	v_fma_f64 v[48:49], -v[42:43], v[44:45], 1.0
	v_fmac_f64_e32 v[44:45], v[44:45], v[48:49]
	v_mul_f64 v[48:49], v[46:47], v[44:45]
	v_fma_f64 v[42:43], -v[42:43], v[48:49], v[46:47]
	v_div_fmas_f64 v[42:43], v[42:43], v[44:45], v[48:49]
	v_div_fixup_f64 v[46:47], v[42:43], v[32:33], 1.0
	ds_read2_b64 v[42:45], v37 offset0:2 offset1:3
	v_cndmask_b32_e64 v33, v33, v47, s[2:3]
	v_cndmask_b32_e64 v32, v32, v46, s[2:3]
	ds_read2_b64 v[46:49], v37 offset0:4 offset1:5
	v_mul_f64 v[12:13], v[12:13], v[32:33]
	s_waitcnt lgkmcnt(0)
	v_fma_f64 v[4:5], -v[12:13], v[42:43], v[4:5]
	v_fma_f64 v[0:1], -v[12:13], v[44:45], v[0:1]
	ds_read2_b64 v[42:45], v37 offset0:8 offset1:9
	v_fma_f64 v[24:25], -v[12:13], v[46:47], v[24:25]
	v_fma_f64 v[18:19], -v[12:13], v[48:49], v[18:19]
	;; [unrolled: 1-line block ×3, first 2 shown]
	ds_read2_b64 v[46:49], v37 offset0:10 offset1:11
	v_fma_f64 v[6:7], -v[12:13], v[52:53], v[6:7]
	ds_read2_b64 v[50:53], v37 offset0:12 offset1:13
	s_waitcnt lgkmcnt(0)
	v_fma_f64 v[26:27], -v[12:13], v[42:43], v[26:27]
	v_fma_f64 v[22:23], -v[12:13], v[44:45], v[22:23]
	;; [unrolled: 1-line block ×6, first 2 shown]
.LBB26_29:
	s_or_b64 exec, exec, s[14:15]
	v_lshl_add_u32 v32, v35, 3, v37
	s_barrier
	ds_write_b64 v32, v[4:5]
	s_waitcnt lgkmcnt(0)
	s_barrier
	ds_read_b64 v[32:33], v37 offset:16
	s_mov_b32 s14, 3
	s_cmp_lt_i32 s12, 4
	v_mov_b32_e32 v34, 2
	s_cbranch_scc1 .LBB26_32
; %bb.30:
	v_add3_u32 v41, v36, 0, 24
	v_mov_b32_e32 v34, 2
.LBB26_31:                              ; =>This Inner Loop Header: Depth=1
	ds_read_b64 v[42:43], v41
	v_mov_b32_e32 v44, s14
	s_add_i32 s14, s14, 1
	v_add_u32_e32 v41, 8, v41
	s_cmp_lg_u32 s12, s14
	s_waitcnt lgkmcnt(0)
	v_cmp_lt_f64_e64 vcc, |v[32:33]|, |v[42:43]|
	v_cndmask_b32_e32 v33, v33, v43, vcc
	v_cndmask_b32_e32 v32, v32, v42, vcc
	;; [unrolled: 1-line block ×3, first 2 shown]
	s_cbranch_scc1 .LBB26_31
.LBB26_32:
	v_cndmask_b32_e64 v41, 2, 1, s[0:1]
	v_cndmask_b32_e64 v42, 0, 1, s[0:1]
	;; [unrolled: 1-line block ×3, first 2 shown]
	s_waitcnt lgkmcnt(0)
	v_cmp_eq_f64_e32 vcc, 0, v[32:33]
	s_and_saveexec_b64 s[0:1], vcc
	s_xor_b64 s[0:1], exec, s[0:1]
; %bb.33:
	v_cmp_ne_u32_e32 vcc, 0, v41
	v_cndmask_b32_e32 v41, 3, v41, vcc
; %bb.34:
	s_andn2_saveexec_b64 s[0:1], s[0:1]
; %bb.35:
	v_div_scale_f64 v[42:43], s[2:3], v[32:33], v[32:33], 1.0
	v_rcp_f64_e32 v[44:45], v[42:43]
	v_div_scale_f64 v[46:47], vcc, 1.0, v[32:33], 1.0
	v_fma_f64 v[48:49], -v[42:43], v[44:45], 1.0
	v_fmac_f64_e32 v[44:45], v[44:45], v[48:49]
	v_fma_f64 v[48:49], -v[42:43], v[44:45], 1.0
	v_fmac_f64_e32 v[44:45], v[44:45], v[48:49]
	v_mul_f64 v[48:49], v[46:47], v[44:45]
	v_fma_f64 v[42:43], -v[42:43], v[48:49], v[46:47]
	v_div_fmas_f64 v[42:43], v[42:43], v[44:45], v[48:49]
	v_div_fixup_f64 v[32:33], v[42:43], v[32:33], 1.0
; %bb.36:
	s_or_b64 exec, exec, s[0:1]
	v_cmp_ne_u32_e32 vcc, v35, v34
	s_and_saveexec_b64 s[0:1], vcc
	s_xor_b64 s[0:1], exec, s[0:1]
	s_cbranch_execz .LBB26_42
; %bb.37:
	v_cmp_eq_u32_e32 vcc, 2, v35
	s_and_saveexec_b64 s[2:3], vcc
	s_cbranch_execz .LBB26_41
; %bb.38:
	v_cmp_ne_u32_e32 vcc, 2, v34
	s_xor_b64 s[14:15], s[6:7], -1
	s_and_b64 s[16:17], s[14:15], vcc
	s_and_saveexec_b64 s[14:15], s[16:17]
	s_cbranch_execz .LBB26_40
; %bb.39:
	v_ashrrev_i32_e32 v35, 31, v34
	v_lshlrev_b64 v[42:43], 2, v[34:35]
	v_add_co_u32_e32 v42, vcc, v28, v42
	v_addc_co_u32_e32 v43, vcc, v29, v43, vcc
	flat_load_dword v35, v[42:43]
	flat_load_dword v40, v[28:29] offset:8
	s_waitcnt vmcnt(0) lgkmcnt(0)
	flat_store_dword v[28:29], v35 offset:8
	flat_store_dword v[42:43], v40
.LBB26_40:
	s_or_b64 exec, exec, s[14:15]
	v_mov_b32_e32 v40, v34
	v_mov_b32_e32 v35, v34
.LBB26_41:
	s_or_b64 exec, exec, s[2:3]
.LBB26_42:
	s_andn2_saveexec_b64 s[0:1], s[0:1]
	s_cbranch_execz .LBB26_44
; %bb.43:
	v_mov_b32_e32 v35, 2
	ds_write2_b64 v37, v[0:1], v[24:25] offset0:3 offset1:4
	ds_write2_b64 v37, v[18:19], v[8:9] offset0:5 offset1:6
	;; [unrolled: 1-line block ×5, first 2 shown]
	ds_write_b64 v37, v[30:31] offset:104
.LBB26_44:
	s_or_b64 exec, exec, s[0:1]
	v_cmp_lt_i32_e32 vcc, 2, v35
	s_waitcnt lgkmcnt(0)
	s_barrier
	s_and_saveexec_b64 s[0:1], vcc
	s_cbranch_execz .LBB26_46
; %bb.45:
	ds_read2_b64 v[42:45], v37 offset0:3 offset1:4
	ds_read2_b64 v[46:49], v37 offset0:5 offset1:6
	v_mul_f64 v[4:5], v[4:5], v[32:33]
	ds_read2_b64 v[50:53], v37 offset0:7 offset1:8
	ds_read_b64 v[32:33], v37 offset:104
	s_waitcnt lgkmcnt(0)
	v_fma_f64 v[0:1], -v[4:5], v[42:43], v[0:1]
	v_fma_f64 v[24:25], -v[4:5], v[44:45], v[24:25]
	ds_read2_b64 v[42:45], v37 offset0:9 offset1:10
	v_fma_f64 v[18:19], -v[4:5], v[46:47], v[18:19]
	v_fma_f64 v[8:9], -v[4:5], v[48:49], v[8:9]
	ds_read2_b64 v[46:49], v37 offset0:11 offset1:12
	v_fma_f64 v[6:7], -v[4:5], v[50:51], v[6:7]
	v_fma_f64 v[26:27], -v[4:5], v[52:53], v[26:27]
	s_waitcnt lgkmcnt(0)
	v_fma_f64 v[22:23], -v[4:5], v[42:43], v[22:23]
	v_fma_f64 v[14:15], -v[4:5], v[44:45], v[14:15]
	v_fma_f64 v[10:11], -v[4:5], v[46:47], v[10:11]
	v_fma_f64 v[20:21], -v[4:5], v[48:49], v[20:21]
	v_fma_f64 v[30:31], -v[4:5], v[32:33], v[30:31]
.LBB26_46:
	s_or_b64 exec, exec, s[0:1]
	v_lshl_add_u32 v32, v35, 3, v37
	s_barrier
	ds_write_b64 v32, v[0:1]
	s_waitcnt lgkmcnt(0)
	s_barrier
	ds_read_b64 v[32:33], v37 offset:24
	s_cmp_lt_i32 s12, 5
	v_mov_b32_e32 v34, 3
	s_cbranch_scc1 .LBB26_49
; %bb.47:
	v_add3_u32 v42, v36, 0, 32
	s_mov_b32 s0, 4
	v_mov_b32_e32 v34, 3
.LBB26_48:                              ; =>This Inner Loop Header: Depth=1
	ds_read_b64 v[44:45], v42
	v_mov_b32_e32 v43, s0
	s_add_i32 s0, s0, 1
	v_add_u32_e32 v42, 8, v42
	s_cmp_lg_u32 s12, s0
	s_waitcnt lgkmcnt(0)
	v_cmp_lt_f64_e64 vcc, |v[32:33]|, |v[44:45]|
	v_cndmask_b32_e32 v33, v33, v45, vcc
	v_cndmask_b32_e32 v32, v32, v44, vcc
	;; [unrolled: 1-line block ×3, first 2 shown]
	s_cbranch_scc1 .LBB26_48
.LBB26_49:
	s_waitcnt lgkmcnt(0)
	v_cmp_eq_f64_e32 vcc, 0, v[32:33]
	s_and_saveexec_b64 s[0:1], vcc
	s_xor_b64 s[0:1], exec, s[0:1]
; %bb.50:
	v_cmp_ne_u32_e32 vcc, 0, v41
	v_cndmask_b32_e32 v41, 4, v41, vcc
; %bb.51:
	s_andn2_saveexec_b64 s[0:1], s[0:1]
; %bb.52:
	v_div_scale_f64 v[42:43], s[2:3], v[32:33], v[32:33], 1.0
	v_rcp_f64_e32 v[44:45], v[42:43]
	v_div_scale_f64 v[46:47], vcc, 1.0, v[32:33], 1.0
	v_fma_f64 v[48:49], -v[42:43], v[44:45], 1.0
	v_fmac_f64_e32 v[44:45], v[44:45], v[48:49]
	v_fma_f64 v[48:49], -v[42:43], v[44:45], 1.0
	v_fmac_f64_e32 v[44:45], v[44:45], v[48:49]
	v_mul_f64 v[48:49], v[46:47], v[44:45]
	v_fma_f64 v[42:43], -v[42:43], v[48:49], v[46:47]
	v_div_fmas_f64 v[42:43], v[42:43], v[44:45], v[48:49]
	v_div_fixup_f64 v[32:33], v[42:43], v[32:33], 1.0
; %bb.53:
	s_or_b64 exec, exec, s[0:1]
	v_cmp_ne_u32_e32 vcc, v35, v34
	s_and_saveexec_b64 s[0:1], vcc
	s_xor_b64 s[0:1], exec, s[0:1]
	s_cbranch_execz .LBB26_59
; %bb.54:
	v_cmp_eq_u32_e32 vcc, 3, v35
	s_and_saveexec_b64 s[2:3], vcc
	s_cbranch_execz .LBB26_58
; %bb.55:
	v_cmp_ne_u32_e32 vcc, 3, v34
	s_xor_b64 s[14:15], s[6:7], -1
	s_and_b64 s[16:17], s[14:15], vcc
	s_and_saveexec_b64 s[14:15], s[16:17]
	s_cbranch_execz .LBB26_57
; %bb.56:
	v_ashrrev_i32_e32 v35, 31, v34
	v_lshlrev_b64 v[42:43], 2, v[34:35]
	v_add_co_u32_e32 v42, vcc, v28, v42
	v_addc_co_u32_e32 v43, vcc, v29, v43, vcc
	flat_load_dword v35, v[42:43]
	flat_load_dword v40, v[28:29] offset:12
	s_waitcnt vmcnt(0) lgkmcnt(0)
	flat_store_dword v[28:29], v35 offset:12
	flat_store_dword v[42:43], v40
.LBB26_57:
	s_or_b64 exec, exec, s[14:15]
	v_mov_b32_e32 v40, v34
	v_mov_b32_e32 v35, v34
.LBB26_58:
	s_or_b64 exec, exec, s[2:3]
.LBB26_59:
	s_andn2_saveexec_b64 s[0:1], s[0:1]
	s_cbranch_execz .LBB26_61
; %bb.60:
	v_mov_b32_e32 v35, 3
	ds_write2_b64 v37, v[24:25], v[18:19] offset0:4 offset1:5
	ds_write2_b64 v37, v[8:9], v[6:7] offset0:6 offset1:7
	;; [unrolled: 1-line block ×5, first 2 shown]
.LBB26_61:
	s_or_b64 exec, exec, s[0:1]
	v_cmp_lt_i32_e32 vcc, 3, v35
	s_waitcnt lgkmcnt(0)
	s_barrier
	s_and_saveexec_b64 s[0:1], vcc
	s_cbranch_execz .LBB26_63
; %bb.62:
	ds_read2_b64 v[42:45], v37 offset0:4 offset1:5
	ds_read2_b64 v[46:49], v37 offset0:6 offset1:7
	v_mul_f64 v[0:1], v[0:1], v[32:33]
	ds_read2_b64 v[50:53], v37 offset0:10 offset1:11
	s_waitcnt lgkmcnt(0)
	v_fma_f64 v[24:25], -v[0:1], v[42:43], v[24:25]
	v_fma_f64 v[18:19], -v[0:1], v[44:45], v[18:19]
	ds_read2_b64 v[42:45], v37 offset0:8 offset1:9
	v_fma_f64 v[8:9], -v[0:1], v[46:47], v[8:9]
	v_fma_f64 v[6:7], -v[0:1], v[48:49], v[6:7]
	ds_read2_b64 v[46:49], v37 offset0:12 offset1:13
	v_fma_f64 v[14:15], -v[0:1], v[50:51], v[14:15]
	s_waitcnt lgkmcnt(0)
	v_fma_f64 v[26:27], -v[0:1], v[42:43], v[26:27]
	v_fma_f64 v[22:23], -v[0:1], v[44:45], v[22:23]
	v_fma_f64 v[10:11], -v[0:1], v[52:53], v[10:11]
	v_fma_f64 v[20:21], -v[0:1], v[46:47], v[20:21]
	v_fma_f64 v[30:31], -v[0:1], v[48:49], v[30:31]
.LBB26_63:
	s_or_b64 exec, exec, s[0:1]
	v_lshl_add_u32 v32, v35, 3, v37
	s_barrier
	ds_write_b64 v32, v[24:25]
	s_waitcnt lgkmcnt(0)
	s_barrier
	ds_read_b64 v[32:33], v37 offset:32
	s_cmp_lt_i32 s12, 6
	v_mov_b32_e32 v34, 4
	s_cbranch_scc1 .LBB26_66
; %bb.64:
	v_add3_u32 v42, v36, 0, 40
	s_mov_b32 s0, 5
	v_mov_b32_e32 v34, 4
.LBB26_65:                              ; =>This Inner Loop Header: Depth=1
	ds_read_b64 v[44:45], v42
	v_mov_b32_e32 v43, s0
	s_add_i32 s0, s0, 1
	v_add_u32_e32 v42, 8, v42
	s_cmp_lg_u32 s12, s0
	s_waitcnt lgkmcnt(0)
	v_cmp_lt_f64_e64 vcc, |v[32:33]|, |v[44:45]|
	v_cndmask_b32_e32 v33, v33, v45, vcc
	v_cndmask_b32_e32 v32, v32, v44, vcc
	;; [unrolled: 1-line block ×3, first 2 shown]
	s_cbranch_scc1 .LBB26_65
.LBB26_66:
	s_waitcnt lgkmcnt(0)
	v_cmp_eq_f64_e32 vcc, 0, v[32:33]
	s_and_saveexec_b64 s[0:1], vcc
	s_xor_b64 s[0:1], exec, s[0:1]
; %bb.67:
	v_cmp_ne_u32_e32 vcc, 0, v41
	v_cndmask_b32_e32 v41, 5, v41, vcc
; %bb.68:
	s_andn2_saveexec_b64 s[0:1], s[0:1]
; %bb.69:
	v_div_scale_f64 v[42:43], s[2:3], v[32:33], v[32:33], 1.0
	v_rcp_f64_e32 v[44:45], v[42:43]
	v_div_scale_f64 v[46:47], vcc, 1.0, v[32:33], 1.0
	v_fma_f64 v[48:49], -v[42:43], v[44:45], 1.0
	v_fmac_f64_e32 v[44:45], v[44:45], v[48:49]
	v_fma_f64 v[48:49], -v[42:43], v[44:45], 1.0
	v_fmac_f64_e32 v[44:45], v[44:45], v[48:49]
	v_mul_f64 v[48:49], v[46:47], v[44:45]
	v_fma_f64 v[42:43], -v[42:43], v[48:49], v[46:47]
	v_div_fmas_f64 v[42:43], v[42:43], v[44:45], v[48:49]
	v_div_fixup_f64 v[32:33], v[42:43], v[32:33], 1.0
; %bb.70:
	s_or_b64 exec, exec, s[0:1]
	v_cmp_ne_u32_e32 vcc, v35, v34
	s_and_saveexec_b64 s[0:1], vcc
	s_xor_b64 s[0:1], exec, s[0:1]
	s_cbranch_execz .LBB26_76
; %bb.71:
	v_cmp_eq_u32_e32 vcc, 4, v35
	s_and_saveexec_b64 s[2:3], vcc
	s_cbranch_execz .LBB26_75
; %bb.72:
	v_cmp_ne_u32_e32 vcc, 4, v34
	s_xor_b64 s[14:15], s[6:7], -1
	s_and_b64 s[16:17], s[14:15], vcc
	s_and_saveexec_b64 s[14:15], s[16:17]
	s_cbranch_execz .LBB26_74
; %bb.73:
	v_ashrrev_i32_e32 v35, 31, v34
	v_lshlrev_b64 v[42:43], 2, v[34:35]
	v_add_co_u32_e32 v42, vcc, v28, v42
	v_addc_co_u32_e32 v43, vcc, v29, v43, vcc
	flat_load_dword v35, v[42:43]
	flat_load_dword v40, v[28:29] offset:16
	s_waitcnt vmcnt(0) lgkmcnt(0)
	flat_store_dword v[28:29], v35 offset:16
	flat_store_dword v[42:43], v40
.LBB26_74:
	s_or_b64 exec, exec, s[14:15]
	v_mov_b32_e32 v40, v34
	v_mov_b32_e32 v35, v34
.LBB26_75:
	s_or_b64 exec, exec, s[2:3]
.LBB26_76:
	s_andn2_saveexec_b64 s[0:1], s[0:1]
	s_cbranch_execz .LBB26_78
; %bb.77:
	v_mov_b32_e32 v35, 4
	ds_write2_b64 v37, v[18:19], v[8:9] offset0:5 offset1:6
	ds_write2_b64 v37, v[6:7], v[26:27] offset0:7 offset1:8
	;; [unrolled: 1-line block ×4, first 2 shown]
	ds_write_b64 v37, v[30:31] offset:104
.LBB26_78:
	s_or_b64 exec, exec, s[0:1]
	v_cmp_lt_i32_e32 vcc, 4, v35
	s_waitcnt lgkmcnt(0)
	s_barrier
	s_and_saveexec_b64 s[0:1], vcc
	s_cbranch_execz .LBB26_80
; %bb.79:
	ds_read2_b64 v[42:45], v37 offset0:5 offset1:6
	ds_read2_b64 v[46:49], v37 offset0:7 offset1:8
	v_mul_f64 v[24:25], v[24:25], v[32:33]
	ds_read_b64 v[32:33], v37 offset:104
	ds_read2_b64 v[50:53], v37 offset0:11 offset1:12
	s_waitcnt lgkmcnt(0)
	v_fma_f64 v[18:19], -v[24:25], v[42:43], v[18:19]
	v_fma_f64 v[8:9], -v[24:25], v[44:45], v[8:9]
	ds_read2_b64 v[42:45], v37 offset0:9 offset1:10
	v_fma_f64 v[6:7], -v[24:25], v[46:47], v[6:7]
	v_fma_f64 v[26:27], -v[24:25], v[48:49], v[26:27]
	;; [unrolled: 1-line block ×4, first 2 shown]
	s_waitcnt lgkmcnt(0)
	v_fma_f64 v[22:23], -v[24:25], v[42:43], v[22:23]
	v_fma_f64 v[14:15], -v[24:25], v[44:45], v[14:15]
	;; [unrolled: 1-line block ×3, first 2 shown]
.LBB26_80:
	s_or_b64 exec, exec, s[0:1]
	v_lshl_add_u32 v32, v35, 3, v37
	s_barrier
	ds_write_b64 v32, v[18:19]
	s_waitcnt lgkmcnt(0)
	s_barrier
	ds_read_b64 v[32:33], v37 offset:40
	s_cmp_lt_i32 s12, 7
	v_mov_b32_e32 v34, 5
	s_cbranch_scc1 .LBB26_83
; %bb.81:
	v_add3_u32 v42, v36, 0, 48
	s_mov_b32 s0, 6
	v_mov_b32_e32 v34, 5
.LBB26_82:                              ; =>This Inner Loop Header: Depth=1
	ds_read_b64 v[44:45], v42
	v_mov_b32_e32 v43, s0
	s_add_i32 s0, s0, 1
	v_add_u32_e32 v42, 8, v42
	s_cmp_lg_u32 s12, s0
	s_waitcnt lgkmcnt(0)
	v_cmp_lt_f64_e64 vcc, |v[32:33]|, |v[44:45]|
	v_cndmask_b32_e32 v33, v33, v45, vcc
	v_cndmask_b32_e32 v32, v32, v44, vcc
	;; [unrolled: 1-line block ×3, first 2 shown]
	s_cbranch_scc1 .LBB26_82
.LBB26_83:
	s_waitcnt lgkmcnt(0)
	v_cmp_eq_f64_e32 vcc, 0, v[32:33]
	s_and_saveexec_b64 s[0:1], vcc
	s_xor_b64 s[0:1], exec, s[0:1]
; %bb.84:
	v_cmp_ne_u32_e32 vcc, 0, v41
	v_cndmask_b32_e32 v41, 6, v41, vcc
; %bb.85:
	s_andn2_saveexec_b64 s[0:1], s[0:1]
; %bb.86:
	v_div_scale_f64 v[42:43], s[2:3], v[32:33], v[32:33], 1.0
	v_rcp_f64_e32 v[44:45], v[42:43]
	v_div_scale_f64 v[46:47], vcc, 1.0, v[32:33], 1.0
	v_fma_f64 v[48:49], -v[42:43], v[44:45], 1.0
	v_fmac_f64_e32 v[44:45], v[44:45], v[48:49]
	v_fma_f64 v[48:49], -v[42:43], v[44:45], 1.0
	v_fmac_f64_e32 v[44:45], v[44:45], v[48:49]
	v_mul_f64 v[48:49], v[46:47], v[44:45]
	v_fma_f64 v[42:43], -v[42:43], v[48:49], v[46:47]
	v_div_fmas_f64 v[42:43], v[42:43], v[44:45], v[48:49]
	v_div_fixup_f64 v[32:33], v[42:43], v[32:33], 1.0
; %bb.87:
	s_or_b64 exec, exec, s[0:1]
	v_cmp_ne_u32_e32 vcc, v35, v34
	s_and_saveexec_b64 s[0:1], vcc
	s_xor_b64 s[0:1], exec, s[0:1]
	s_cbranch_execz .LBB26_93
; %bb.88:
	v_cmp_eq_u32_e32 vcc, 5, v35
	s_and_saveexec_b64 s[2:3], vcc
	s_cbranch_execz .LBB26_92
; %bb.89:
	v_cmp_ne_u32_e32 vcc, 5, v34
	s_xor_b64 s[14:15], s[6:7], -1
	s_and_b64 s[16:17], s[14:15], vcc
	s_and_saveexec_b64 s[14:15], s[16:17]
	s_cbranch_execz .LBB26_91
; %bb.90:
	v_ashrrev_i32_e32 v35, 31, v34
	v_lshlrev_b64 v[42:43], 2, v[34:35]
	v_add_co_u32_e32 v42, vcc, v28, v42
	v_addc_co_u32_e32 v43, vcc, v29, v43, vcc
	flat_load_dword v35, v[42:43]
	flat_load_dword v40, v[28:29] offset:20
	s_waitcnt vmcnt(0) lgkmcnt(0)
	flat_store_dword v[28:29], v35 offset:20
	flat_store_dword v[42:43], v40
.LBB26_91:
	s_or_b64 exec, exec, s[14:15]
	v_mov_b32_e32 v40, v34
	v_mov_b32_e32 v35, v34
.LBB26_92:
	s_or_b64 exec, exec, s[2:3]
.LBB26_93:
	s_andn2_saveexec_b64 s[0:1], s[0:1]
	s_cbranch_execz .LBB26_95
; %bb.94:
	v_mov_b32_e32 v35, 5
	ds_write2_b64 v37, v[8:9], v[6:7] offset0:6 offset1:7
	ds_write2_b64 v37, v[26:27], v[22:23] offset0:8 offset1:9
	;; [unrolled: 1-line block ×4, first 2 shown]
.LBB26_95:
	s_or_b64 exec, exec, s[0:1]
	v_cmp_lt_i32_e32 vcc, 5, v35
	s_waitcnt lgkmcnt(0)
	s_barrier
	s_and_saveexec_b64 s[0:1], vcc
	s_cbranch_execz .LBB26_97
; %bb.96:
	ds_read2_b64 v[42:45], v37 offset0:6 offset1:7
	ds_read2_b64 v[46:49], v37 offset0:8 offset1:9
	v_mul_f64 v[18:19], v[18:19], v[32:33]
	ds_read2_b64 v[50:53], v37 offset0:10 offset1:11
	s_waitcnt lgkmcnt(0)
	v_fma_f64 v[8:9], -v[18:19], v[42:43], v[8:9]
	v_fma_f64 v[6:7], -v[18:19], v[44:45], v[6:7]
	ds_read2_b64 v[42:45], v37 offset0:12 offset1:13
	v_fma_f64 v[26:27], -v[18:19], v[46:47], v[26:27]
	v_fma_f64 v[22:23], -v[18:19], v[48:49], v[22:23]
	;; [unrolled: 1-line block ×4, first 2 shown]
	s_waitcnt lgkmcnt(0)
	v_fma_f64 v[20:21], -v[18:19], v[42:43], v[20:21]
	v_fma_f64 v[30:31], -v[18:19], v[44:45], v[30:31]
.LBB26_97:
	s_or_b64 exec, exec, s[0:1]
	v_lshl_add_u32 v32, v35, 3, v37
	s_barrier
	ds_write_b64 v32, v[8:9]
	s_waitcnt lgkmcnt(0)
	s_barrier
	ds_read_b64 v[32:33], v37 offset:48
	s_cmp_lt_i32 s12, 8
	v_mov_b32_e32 v34, 6
	s_cbranch_scc1 .LBB26_100
; %bb.98:
	v_add3_u32 v42, v36, 0, 56
	s_mov_b32 s0, 7
	v_mov_b32_e32 v34, 6
.LBB26_99:                              ; =>This Inner Loop Header: Depth=1
	ds_read_b64 v[44:45], v42
	v_mov_b32_e32 v43, s0
	s_add_i32 s0, s0, 1
	v_add_u32_e32 v42, 8, v42
	s_cmp_lg_u32 s12, s0
	s_waitcnt lgkmcnt(0)
	v_cmp_lt_f64_e64 vcc, |v[32:33]|, |v[44:45]|
	v_cndmask_b32_e32 v33, v33, v45, vcc
	v_cndmask_b32_e32 v32, v32, v44, vcc
	;; [unrolled: 1-line block ×3, first 2 shown]
	s_cbranch_scc1 .LBB26_99
.LBB26_100:
	s_waitcnt lgkmcnt(0)
	v_cmp_eq_f64_e32 vcc, 0, v[32:33]
	s_and_saveexec_b64 s[0:1], vcc
	s_xor_b64 s[0:1], exec, s[0:1]
; %bb.101:
	v_cmp_ne_u32_e32 vcc, 0, v41
	v_cndmask_b32_e32 v41, 7, v41, vcc
; %bb.102:
	s_andn2_saveexec_b64 s[0:1], s[0:1]
; %bb.103:
	v_div_scale_f64 v[42:43], s[2:3], v[32:33], v[32:33], 1.0
	v_rcp_f64_e32 v[44:45], v[42:43]
	v_div_scale_f64 v[46:47], vcc, 1.0, v[32:33], 1.0
	v_fma_f64 v[48:49], -v[42:43], v[44:45], 1.0
	v_fmac_f64_e32 v[44:45], v[44:45], v[48:49]
	v_fma_f64 v[48:49], -v[42:43], v[44:45], 1.0
	v_fmac_f64_e32 v[44:45], v[44:45], v[48:49]
	v_mul_f64 v[48:49], v[46:47], v[44:45]
	v_fma_f64 v[42:43], -v[42:43], v[48:49], v[46:47]
	v_div_fmas_f64 v[42:43], v[42:43], v[44:45], v[48:49]
	v_div_fixup_f64 v[32:33], v[42:43], v[32:33], 1.0
; %bb.104:
	s_or_b64 exec, exec, s[0:1]
	v_cmp_ne_u32_e32 vcc, v35, v34
	s_and_saveexec_b64 s[0:1], vcc
	s_xor_b64 s[0:1], exec, s[0:1]
	s_cbranch_execz .LBB26_110
; %bb.105:
	v_cmp_eq_u32_e32 vcc, 6, v35
	s_and_saveexec_b64 s[2:3], vcc
	s_cbranch_execz .LBB26_109
; %bb.106:
	v_cmp_ne_u32_e32 vcc, 6, v34
	s_xor_b64 s[14:15], s[6:7], -1
	s_and_b64 s[16:17], s[14:15], vcc
	s_and_saveexec_b64 s[14:15], s[16:17]
	s_cbranch_execz .LBB26_108
; %bb.107:
	v_ashrrev_i32_e32 v35, 31, v34
	v_lshlrev_b64 v[42:43], 2, v[34:35]
	v_add_co_u32_e32 v42, vcc, v28, v42
	v_addc_co_u32_e32 v43, vcc, v29, v43, vcc
	flat_load_dword v35, v[42:43]
	flat_load_dword v40, v[28:29] offset:24
	s_waitcnt vmcnt(0) lgkmcnt(0)
	flat_store_dword v[28:29], v35 offset:24
	flat_store_dword v[42:43], v40
.LBB26_108:
	s_or_b64 exec, exec, s[14:15]
	v_mov_b32_e32 v40, v34
	v_mov_b32_e32 v35, v34
.LBB26_109:
	s_or_b64 exec, exec, s[2:3]
.LBB26_110:
	s_andn2_saveexec_b64 s[0:1], s[0:1]
	s_cbranch_execz .LBB26_112
; %bb.111:
	v_mov_b32_e32 v35, 6
	ds_write2_b64 v37, v[6:7], v[26:27] offset0:7 offset1:8
	ds_write2_b64 v37, v[22:23], v[14:15] offset0:9 offset1:10
	;; [unrolled: 1-line block ×3, first 2 shown]
	ds_write_b64 v37, v[30:31] offset:104
.LBB26_112:
	s_or_b64 exec, exec, s[0:1]
	v_cmp_lt_i32_e32 vcc, 6, v35
	s_waitcnt lgkmcnt(0)
	s_barrier
	s_and_saveexec_b64 s[0:1], vcc
	s_cbranch_execz .LBB26_114
; %bb.113:
	ds_read2_b64 v[42:45], v37 offset0:7 offset1:8
	ds_read2_b64 v[46:49], v37 offset0:9 offset1:10
	v_mul_f64 v[8:9], v[8:9], v[32:33]
	ds_read2_b64 v[50:53], v37 offset0:11 offset1:12
	ds_read_b64 v[32:33], v37 offset:104
	s_waitcnt lgkmcnt(0)
	v_fma_f64 v[6:7], -v[8:9], v[42:43], v[6:7]
	v_fma_f64 v[26:27], -v[8:9], v[44:45], v[26:27]
	;; [unrolled: 1-line block ×7, first 2 shown]
.LBB26_114:
	s_or_b64 exec, exec, s[0:1]
	v_lshl_add_u32 v32, v35, 3, v37
	s_barrier
	ds_write_b64 v32, v[6:7]
	s_waitcnt lgkmcnt(0)
	s_barrier
	ds_read_b64 v[32:33], v37 offset:56
	s_cmp_lt_i32 s12, 9
	v_mov_b32_e32 v34, 7
	s_cbranch_scc1 .LBB26_117
; %bb.115:
	v_add3_u32 v36, v36, 0, 64
	s_mov_b32 s0, 8
	v_mov_b32_e32 v34, 7
.LBB26_116:                             ; =>This Inner Loop Header: Depth=1
	ds_read_b64 v[42:43], v36
	v_mov_b32_e32 v44, s0
	s_add_i32 s0, s0, 1
	v_add_u32_e32 v36, 8, v36
	s_cmp_lg_u32 s12, s0
	s_waitcnt lgkmcnt(0)
	v_cmp_lt_f64_e64 vcc, |v[32:33]|, |v[42:43]|
	v_cndmask_b32_e32 v33, v33, v43, vcc
	v_cndmask_b32_e32 v32, v32, v42, vcc
	;; [unrolled: 1-line block ×3, first 2 shown]
	s_cbranch_scc1 .LBB26_116
.LBB26_117:
	s_waitcnt lgkmcnt(0)
	v_cmp_eq_f64_e32 vcc, 0, v[32:33]
	s_and_saveexec_b64 s[0:1], vcc
	s_xor_b64 s[0:1], exec, s[0:1]
; %bb.118:
	v_cmp_ne_u32_e32 vcc, 0, v41
	v_cndmask_b32_e32 v41, 8, v41, vcc
; %bb.119:
	s_andn2_saveexec_b64 s[0:1], s[0:1]
; %bb.120:
	v_div_scale_f64 v[42:43], s[2:3], v[32:33], v[32:33], 1.0
	v_rcp_f64_e32 v[44:45], v[42:43]
	v_div_scale_f64 v[46:47], vcc, 1.0, v[32:33], 1.0
	v_fma_f64 v[48:49], -v[42:43], v[44:45], 1.0
	v_fmac_f64_e32 v[44:45], v[44:45], v[48:49]
	v_fma_f64 v[48:49], -v[42:43], v[44:45], 1.0
	v_fmac_f64_e32 v[44:45], v[44:45], v[48:49]
	v_mul_f64 v[48:49], v[46:47], v[44:45]
	v_fma_f64 v[42:43], -v[42:43], v[48:49], v[46:47]
	v_div_fmas_f64 v[42:43], v[42:43], v[44:45], v[48:49]
	v_div_fixup_f64 v[32:33], v[42:43], v[32:33], 1.0
; %bb.121:
	s_or_b64 exec, exec, s[0:1]
	v_cmp_ne_u32_e32 vcc, v35, v34
	s_and_saveexec_b64 s[0:1], vcc
	s_xor_b64 s[0:1], exec, s[0:1]
	s_cbranch_execz .LBB26_127
; %bb.122:
	v_cmp_eq_u32_e32 vcc, 7, v35
	s_and_saveexec_b64 s[2:3], vcc
	s_cbranch_execz .LBB26_126
; %bb.123:
	v_cmp_ne_u32_e32 vcc, 7, v34
	s_xor_b64 s[14:15], s[6:7], -1
	s_and_b64 s[16:17], s[14:15], vcc
	s_and_saveexec_b64 s[14:15], s[16:17]
	s_cbranch_execz .LBB26_125
; %bb.124:
	v_ashrrev_i32_e32 v35, 31, v34
	v_lshlrev_b64 v[42:43], 2, v[34:35]
	v_add_co_u32_e32 v42, vcc, v28, v42
	v_addc_co_u32_e32 v43, vcc, v29, v43, vcc
	flat_load_dword v35, v[42:43]
	flat_load_dword v36, v[28:29] offset:28
	s_waitcnt vmcnt(0) lgkmcnt(0)
	flat_store_dword v[28:29], v35 offset:28
	flat_store_dword v[42:43], v36
.LBB26_125:
	s_or_b64 exec, exec, s[14:15]
	v_mov_b32_e32 v40, v34
	v_mov_b32_e32 v35, v34
.LBB26_126:
	s_or_b64 exec, exec, s[2:3]
.LBB26_127:
	s_andn2_saveexec_b64 s[0:1], s[0:1]
	s_cbranch_execz .LBB26_129
; %bb.128:
	v_mov_b32_e32 v35, 7
	ds_write2_b64 v37, v[26:27], v[22:23] offset0:8 offset1:9
	ds_write2_b64 v37, v[14:15], v[10:11] offset0:10 offset1:11
	;; [unrolled: 1-line block ×3, first 2 shown]
.LBB26_129:
	s_or_b64 exec, exec, s[0:1]
	v_cmp_lt_i32_e32 vcc, 7, v35
	s_waitcnt lgkmcnt(0)
	s_barrier
	s_and_saveexec_b64 s[0:1], vcc
	s_cbranch_execz .LBB26_131
; %bb.130:
	ds_read2_b64 v[42:45], v37 offset0:8 offset1:9
	ds_read2_b64 v[46:49], v37 offset0:10 offset1:11
	;; [unrolled: 1-line block ×3, first 2 shown]
	v_mul_f64 v[6:7], v[6:7], v[32:33]
	s_waitcnt lgkmcnt(0)
	v_fma_f64 v[26:27], -v[6:7], v[42:43], v[26:27]
	v_fma_f64 v[22:23], -v[6:7], v[44:45], v[22:23]
	;; [unrolled: 1-line block ×6, first 2 shown]
.LBB26_131:
	s_or_b64 exec, exec, s[0:1]
	v_lshl_add_u32 v32, v35, 3, v37
	s_barrier
	ds_write_b64 v32, v[26:27]
	s_waitcnt lgkmcnt(0)
	s_barrier
	ds_read_b64 v[32:33], v37 offset:64
	s_cmp_lt_i32 s12, 10
	v_mov_b32_e32 v34, 8
	s_cbranch_scc1 .LBB26_134
; %bb.132:
	v_add_u32_e32 v36, 0x48, v37
	s_mov_b32 s0, 9
	v_mov_b32_e32 v34, 8
.LBB26_133:                             ; =>This Inner Loop Header: Depth=1
	ds_read_b64 v[42:43], v36
	v_mov_b32_e32 v44, s0
	s_add_i32 s0, s0, 1
	v_add_u32_e32 v36, 8, v36
	s_cmp_lg_u32 s12, s0
	s_waitcnt lgkmcnt(0)
	v_cmp_lt_f64_e64 vcc, |v[32:33]|, |v[42:43]|
	v_cndmask_b32_e32 v33, v33, v43, vcc
	v_cndmask_b32_e32 v32, v32, v42, vcc
	v_cndmask_b32_e32 v34, v34, v44, vcc
	s_cbranch_scc1 .LBB26_133
.LBB26_134:
	s_waitcnt lgkmcnt(0)
	v_cmp_eq_f64_e32 vcc, 0, v[32:33]
	s_and_saveexec_b64 s[0:1], vcc
	s_xor_b64 s[0:1], exec, s[0:1]
; %bb.135:
	v_cmp_ne_u32_e32 vcc, 0, v41
	v_cndmask_b32_e32 v41, 9, v41, vcc
; %bb.136:
	s_andn2_saveexec_b64 s[0:1], s[0:1]
; %bb.137:
	v_div_scale_f64 v[42:43], s[2:3], v[32:33], v[32:33], 1.0
	v_rcp_f64_e32 v[44:45], v[42:43]
	v_div_scale_f64 v[46:47], vcc, 1.0, v[32:33], 1.0
	v_fma_f64 v[48:49], -v[42:43], v[44:45], 1.0
	v_fmac_f64_e32 v[44:45], v[44:45], v[48:49]
	v_fma_f64 v[48:49], -v[42:43], v[44:45], 1.0
	v_fmac_f64_e32 v[44:45], v[44:45], v[48:49]
	v_mul_f64 v[48:49], v[46:47], v[44:45]
	v_fma_f64 v[42:43], -v[42:43], v[48:49], v[46:47]
	v_div_fmas_f64 v[42:43], v[42:43], v[44:45], v[48:49]
	v_div_fixup_f64 v[32:33], v[42:43], v[32:33], 1.0
; %bb.138:
	s_or_b64 exec, exec, s[0:1]
	v_cmp_ne_u32_e32 vcc, v35, v34
	s_and_saveexec_b64 s[0:1], vcc
	s_xor_b64 s[0:1], exec, s[0:1]
	s_cbranch_execz .LBB26_144
; %bb.139:
	v_cmp_eq_u32_e32 vcc, 8, v35
	s_and_saveexec_b64 s[2:3], vcc
	s_cbranch_execz .LBB26_143
; %bb.140:
	v_cmp_ne_u32_e32 vcc, 8, v34
	s_xor_b64 s[14:15], s[6:7], -1
	s_and_b64 s[16:17], s[14:15], vcc
	s_and_saveexec_b64 s[14:15], s[16:17]
	s_cbranch_execz .LBB26_142
; %bb.141:
	v_ashrrev_i32_e32 v35, 31, v34
	v_lshlrev_b64 v[42:43], 2, v[34:35]
	v_add_co_u32_e32 v42, vcc, v28, v42
	v_addc_co_u32_e32 v43, vcc, v29, v43, vcc
	flat_load_dword v35, v[42:43]
	flat_load_dword v36, v[28:29] offset:32
	s_waitcnt vmcnt(0) lgkmcnt(0)
	flat_store_dword v[28:29], v35 offset:32
	flat_store_dword v[42:43], v36
.LBB26_142:
	s_or_b64 exec, exec, s[14:15]
	v_mov_b32_e32 v40, v34
	v_mov_b32_e32 v35, v34
.LBB26_143:
	s_or_b64 exec, exec, s[2:3]
.LBB26_144:
	s_andn2_saveexec_b64 s[0:1], s[0:1]
	s_cbranch_execz .LBB26_146
; %bb.145:
	v_mov_b32_e32 v35, 8
	ds_write2_b64 v37, v[22:23], v[14:15] offset0:9 offset1:10
	ds_write2_b64 v37, v[10:11], v[20:21] offset0:11 offset1:12
	ds_write_b64 v37, v[30:31] offset:104
.LBB26_146:
	s_or_b64 exec, exec, s[0:1]
	v_cmp_lt_i32_e32 vcc, 8, v35
	s_waitcnt lgkmcnt(0)
	s_barrier
	s_and_saveexec_b64 s[0:1], vcc
	s_cbranch_execz .LBB26_148
; %bb.147:
	ds_read2_b64 v[42:45], v37 offset0:9 offset1:10
	ds_read2_b64 v[46:49], v37 offset0:11 offset1:12
	v_mul_f64 v[26:27], v[26:27], v[32:33]
	ds_read_b64 v[32:33], v37 offset:104
	s_waitcnt lgkmcnt(0)
	v_fma_f64 v[22:23], -v[26:27], v[42:43], v[22:23]
	v_fma_f64 v[14:15], -v[26:27], v[44:45], v[14:15]
	;; [unrolled: 1-line block ×5, first 2 shown]
.LBB26_148:
	s_or_b64 exec, exec, s[0:1]
	v_lshl_add_u32 v32, v35, 3, v37
	s_barrier
	ds_write_b64 v32, v[22:23]
	s_waitcnt lgkmcnt(0)
	s_barrier
	ds_read_b64 v[32:33], v37 offset:72
	s_cmp_lt_i32 s12, 11
	v_mov_b32_e32 v34, 9
	s_cbranch_scc1 .LBB26_151
; %bb.149:
	v_add_u32_e32 v36, 0x50, v37
	s_mov_b32 s0, 10
	v_mov_b32_e32 v34, 9
.LBB26_150:                             ; =>This Inner Loop Header: Depth=1
	ds_read_b64 v[42:43], v36
	v_mov_b32_e32 v44, s0
	s_add_i32 s0, s0, 1
	v_add_u32_e32 v36, 8, v36
	s_cmp_lg_u32 s12, s0
	s_waitcnt lgkmcnt(0)
	v_cmp_lt_f64_e64 vcc, |v[32:33]|, |v[42:43]|
	v_cndmask_b32_e32 v33, v33, v43, vcc
	v_cndmask_b32_e32 v32, v32, v42, vcc
	;; [unrolled: 1-line block ×3, first 2 shown]
	s_cbranch_scc1 .LBB26_150
.LBB26_151:
	s_waitcnt lgkmcnt(0)
	v_cmp_eq_f64_e32 vcc, 0, v[32:33]
	s_and_saveexec_b64 s[0:1], vcc
	s_xor_b64 s[0:1], exec, s[0:1]
; %bb.152:
	v_cmp_ne_u32_e32 vcc, 0, v41
	v_cndmask_b32_e32 v41, 10, v41, vcc
; %bb.153:
	s_andn2_saveexec_b64 s[0:1], s[0:1]
; %bb.154:
	v_div_scale_f64 v[42:43], s[2:3], v[32:33], v[32:33], 1.0
	v_rcp_f64_e32 v[44:45], v[42:43]
	v_div_scale_f64 v[46:47], vcc, 1.0, v[32:33], 1.0
	v_fma_f64 v[48:49], -v[42:43], v[44:45], 1.0
	v_fmac_f64_e32 v[44:45], v[44:45], v[48:49]
	v_fma_f64 v[48:49], -v[42:43], v[44:45], 1.0
	v_fmac_f64_e32 v[44:45], v[44:45], v[48:49]
	v_mul_f64 v[48:49], v[46:47], v[44:45]
	v_fma_f64 v[42:43], -v[42:43], v[48:49], v[46:47]
	v_div_fmas_f64 v[42:43], v[42:43], v[44:45], v[48:49]
	v_div_fixup_f64 v[32:33], v[42:43], v[32:33], 1.0
; %bb.155:
	s_or_b64 exec, exec, s[0:1]
	v_cmp_ne_u32_e32 vcc, v35, v34
	s_and_saveexec_b64 s[0:1], vcc
	s_xor_b64 s[0:1], exec, s[0:1]
	s_cbranch_execz .LBB26_161
; %bb.156:
	v_cmp_eq_u32_e32 vcc, 9, v35
	s_and_saveexec_b64 s[2:3], vcc
	s_cbranch_execz .LBB26_160
; %bb.157:
	v_cmp_ne_u32_e32 vcc, 9, v34
	s_xor_b64 s[14:15], s[6:7], -1
	s_and_b64 s[16:17], s[14:15], vcc
	s_and_saveexec_b64 s[14:15], s[16:17]
	s_cbranch_execz .LBB26_159
; %bb.158:
	v_ashrrev_i32_e32 v35, 31, v34
	v_lshlrev_b64 v[42:43], 2, v[34:35]
	v_add_co_u32_e32 v42, vcc, v28, v42
	v_addc_co_u32_e32 v43, vcc, v29, v43, vcc
	flat_load_dword v35, v[42:43]
	flat_load_dword v36, v[28:29] offset:36
	s_waitcnt vmcnt(0) lgkmcnt(0)
	flat_store_dword v[28:29], v35 offset:36
	flat_store_dword v[42:43], v36
.LBB26_159:
	s_or_b64 exec, exec, s[14:15]
	v_mov_b32_e32 v40, v34
	v_mov_b32_e32 v35, v34
.LBB26_160:
	s_or_b64 exec, exec, s[2:3]
.LBB26_161:
	s_andn2_saveexec_b64 s[0:1], s[0:1]
	s_cbranch_execz .LBB26_163
; %bb.162:
	v_mov_b32_e32 v35, 9
	ds_write2_b64 v37, v[14:15], v[10:11] offset0:10 offset1:11
	ds_write2_b64 v37, v[20:21], v[30:31] offset0:12 offset1:13
.LBB26_163:
	s_or_b64 exec, exec, s[0:1]
	v_cmp_lt_i32_e32 vcc, 9, v35
	s_waitcnt lgkmcnt(0)
	s_barrier
	s_and_saveexec_b64 s[0:1], vcc
	s_cbranch_execz .LBB26_165
; %bb.164:
	ds_read2_b64 v[42:45], v37 offset0:10 offset1:11
	ds_read2_b64 v[46:49], v37 offset0:12 offset1:13
	v_mul_f64 v[22:23], v[22:23], v[32:33]
	s_waitcnt lgkmcnt(0)
	v_fma_f64 v[14:15], -v[22:23], v[42:43], v[14:15]
	v_fma_f64 v[10:11], -v[22:23], v[44:45], v[10:11]
	;; [unrolled: 1-line block ×4, first 2 shown]
.LBB26_165:
	s_or_b64 exec, exec, s[0:1]
	v_lshl_add_u32 v32, v35, 3, v37
	s_barrier
	ds_write_b64 v32, v[14:15]
	s_waitcnt lgkmcnt(0)
	s_barrier
	ds_read_b64 v[32:33], v37 offset:80
	s_cmp_lt_i32 s12, 12
	v_mov_b32_e32 v34, 10
	s_cbranch_scc1 .LBB26_168
; %bb.166:
	v_add_u32_e32 v36, 0x58, v37
	s_mov_b32 s0, 11
	v_mov_b32_e32 v34, 10
.LBB26_167:                             ; =>This Inner Loop Header: Depth=1
	ds_read_b64 v[42:43], v36
	v_mov_b32_e32 v44, s0
	s_add_i32 s0, s0, 1
	v_add_u32_e32 v36, 8, v36
	s_cmp_lg_u32 s12, s0
	s_waitcnt lgkmcnt(0)
	v_cmp_lt_f64_e64 vcc, |v[32:33]|, |v[42:43]|
	v_cndmask_b32_e32 v33, v33, v43, vcc
	v_cndmask_b32_e32 v32, v32, v42, vcc
	;; [unrolled: 1-line block ×3, first 2 shown]
	s_cbranch_scc1 .LBB26_167
.LBB26_168:
	s_waitcnt lgkmcnt(0)
	v_cmp_eq_f64_e32 vcc, 0, v[32:33]
	s_and_saveexec_b64 s[0:1], vcc
	s_xor_b64 s[0:1], exec, s[0:1]
; %bb.169:
	v_cmp_ne_u32_e32 vcc, 0, v41
	v_cndmask_b32_e32 v41, 11, v41, vcc
; %bb.170:
	s_andn2_saveexec_b64 s[0:1], s[0:1]
; %bb.171:
	v_div_scale_f64 v[42:43], s[2:3], v[32:33], v[32:33], 1.0
	v_rcp_f64_e32 v[44:45], v[42:43]
	v_div_scale_f64 v[46:47], vcc, 1.0, v[32:33], 1.0
	v_fma_f64 v[48:49], -v[42:43], v[44:45], 1.0
	v_fmac_f64_e32 v[44:45], v[44:45], v[48:49]
	v_fma_f64 v[48:49], -v[42:43], v[44:45], 1.0
	v_fmac_f64_e32 v[44:45], v[44:45], v[48:49]
	v_mul_f64 v[48:49], v[46:47], v[44:45]
	v_fma_f64 v[42:43], -v[42:43], v[48:49], v[46:47]
	v_div_fmas_f64 v[42:43], v[42:43], v[44:45], v[48:49]
	v_div_fixup_f64 v[32:33], v[42:43], v[32:33], 1.0
; %bb.172:
	s_or_b64 exec, exec, s[0:1]
	v_cmp_ne_u32_e32 vcc, v35, v34
	s_and_saveexec_b64 s[0:1], vcc
	s_xor_b64 s[0:1], exec, s[0:1]
	s_cbranch_execz .LBB26_178
; %bb.173:
	v_cmp_eq_u32_e32 vcc, 10, v35
	s_and_saveexec_b64 s[2:3], vcc
	s_cbranch_execz .LBB26_177
; %bb.174:
	v_cmp_ne_u32_e32 vcc, 10, v34
	s_xor_b64 s[14:15], s[6:7], -1
	s_and_b64 s[16:17], s[14:15], vcc
	s_and_saveexec_b64 s[14:15], s[16:17]
	s_cbranch_execz .LBB26_176
; %bb.175:
	v_ashrrev_i32_e32 v35, 31, v34
	v_lshlrev_b64 v[42:43], 2, v[34:35]
	v_add_co_u32_e32 v42, vcc, v28, v42
	v_addc_co_u32_e32 v43, vcc, v29, v43, vcc
	flat_load_dword v35, v[42:43]
	flat_load_dword v36, v[28:29] offset:40
	s_waitcnt vmcnt(0) lgkmcnt(0)
	flat_store_dword v[28:29], v35 offset:40
	flat_store_dword v[42:43], v36
.LBB26_176:
	s_or_b64 exec, exec, s[14:15]
	v_mov_b32_e32 v40, v34
	v_mov_b32_e32 v35, v34
.LBB26_177:
	s_or_b64 exec, exec, s[2:3]
.LBB26_178:
	s_andn2_saveexec_b64 s[0:1], s[0:1]
	s_cbranch_execz .LBB26_180
; %bb.179:
	v_mov_b32_e32 v35, 10
	ds_write2_b64 v37, v[10:11], v[20:21] offset0:11 offset1:12
	ds_write_b64 v37, v[30:31] offset:104
.LBB26_180:
	s_or_b64 exec, exec, s[0:1]
	v_cmp_lt_i32_e32 vcc, 10, v35
	s_waitcnt lgkmcnt(0)
	s_barrier
	s_and_saveexec_b64 s[0:1], vcc
	s_cbranch_execz .LBB26_182
; %bb.181:
	ds_read2_b64 v[42:45], v37 offset0:11 offset1:12
	ds_read_b64 v[46:47], v37 offset:104
	v_mul_f64 v[14:15], v[14:15], v[32:33]
	s_waitcnt lgkmcnt(0)
	v_fma_f64 v[10:11], -v[14:15], v[42:43], v[10:11]
	v_fma_f64 v[20:21], -v[14:15], v[44:45], v[20:21]
	;; [unrolled: 1-line block ×3, first 2 shown]
.LBB26_182:
	s_or_b64 exec, exec, s[0:1]
	v_lshl_add_u32 v32, v35, 3, v37
	s_barrier
	ds_write_b64 v32, v[10:11]
	s_waitcnt lgkmcnt(0)
	s_barrier
	ds_read_b64 v[32:33], v37 offset:88
	s_cmp_lt_i32 s12, 13
	v_mov_b32_e32 v34, 11
	s_cbranch_scc1 .LBB26_185
; %bb.183:
	v_add_u32_e32 v36, 0x60, v37
	s_mov_b32 s0, 12
	v_mov_b32_e32 v34, 11
.LBB26_184:                             ; =>This Inner Loop Header: Depth=1
	ds_read_b64 v[42:43], v36
	v_mov_b32_e32 v44, s0
	s_add_i32 s0, s0, 1
	v_add_u32_e32 v36, 8, v36
	s_cmp_lg_u32 s12, s0
	s_waitcnt lgkmcnt(0)
	v_cmp_lt_f64_e64 vcc, |v[32:33]|, |v[42:43]|
	v_cndmask_b32_e32 v33, v33, v43, vcc
	v_cndmask_b32_e32 v32, v32, v42, vcc
	v_cndmask_b32_e32 v34, v34, v44, vcc
	s_cbranch_scc1 .LBB26_184
.LBB26_185:
	s_waitcnt lgkmcnt(0)
	v_cmp_eq_f64_e32 vcc, 0, v[32:33]
	s_and_saveexec_b64 s[0:1], vcc
	s_xor_b64 s[0:1], exec, s[0:1]
; %bb.186:
	v_cmp_ne_u32_e32 vcc, 0, v41
	v_cndmask_b32_e32 v41, 12, v41, vcc
; %bb.187:
	s_andn2_saveexec_b64 s[0:1], s[0:1]
; %bb.188:
	v_div_scale_f64 v[42:43], s[2:3], v[32:33], v[32:33], 1.0
	v_rcp_f64_e32 v[44:45], v[42:43]
	v_div_scale_f64 v[46:47], vcc, 1.0, v[32:33], 1.0
	v_fma_f64 v[48:49], -v[42:43], v[44:45], 1.0
	v_fmac_f64_e32 v[44:45], v[44:45], v[48:49]
	v_fma_f64 v[48:49], -v[42:43], v[44:45], 1.0
	v_fmac_f64_e32 v[44:45], v[44:45], v[48:49]
	v_mul_f64 v[48:49], v[46:47], v[44:45]
	v_fma_f64 v[42:43], -v[42:43], v[48:49], v[46:47]
	v_div_fmas_f64 v[42:43], v[42:43], v[44:45], v[48:49]
	v_div_fixup_f64 v[32:33], v[42:43], v[32:33], 1.0
; %bb.189:
	s_or_b64 exec, exec, s[0:1]
	v_cmp_ne_u32_e32 vcc, v35, v34
	s_and_saveexec_b64 s[0:1], vcc
	s_xor_b64 s[0:1], exec, s[0:1]
	s_cbranch_execz .LBB26_195
; %bb.190:
	v_cmp_eq_u32_e32 vcc, 11, v35
	s_and_saveexec_b64 s[2:3], vcc
	s_cbranch_execz .LBB26_194
; %bb.191:
	v_cmp_ne_u32_e32 vcc, 11, v34
	s_xor_b64 s[14:15], s[6:7], -1
	s_and_b64 s[16:17], s[14:15], vcc
	s_and_saveexec_b64 s[14:15], s[16:17]
	s_cbranch_execz .LBB26_193
; %bb.192:
	v_ashrrev_i32_e32 v35, 31, v34
	v_lshlrev_b64 v[42:43], 2, v[34:35]
	v_add_co_u32_e32 v42, vcc, v28, v42
	v_addc_co_u32_e32 v43, vcc, v29, v43, vcc
	flat_load_dword v35, v[42:43]
	flat_load_dword v36, v[28:29] offset:44
	s_waitcnt vmcnt(0) lgkmcnt(0)
	flat_store_dword v[28:29], v35 offset:44
	flat_store_dword v[42:43], v36
.LBB26_193:
	s_or_b64 exec, exec, s[14:15]
	v_mov_b32_e32 v40, v34
	v_mov_b32_e32 v35, v34
.LBB26_194:
	s_or_b64 exec, exec, s[2:3]
.LBB26_195:
	s_andn2_saveexec_b64 s[0:1], s[0:1]
	s_cbranch_execz .LBB26_197
; %bb.196:
	v_mov_b32_e32 v35, 11
	ds_write2_b64 v37, v[20:21], v[30:31] offset0:12 offset1:13
.LBB26_197:
	s_or_b64 exec, exec, s[0:1]
	v_cmp_lt_i32_e32 vcc, 11, v35
	s_waitcnt lgkmcnt(0)
	s_barrier
	s_and_saveexec_b64 s[0:1], vcc
	s_cbranch_execz .LBB26_199
; %bb.198:
	ds_read2_b64 v[42:45], v37 offset0:12 offset1:13
	v_mul_f64 v[10:11], v[10:11], v[32:33]
	s_waitcnt lgkmcnt(0)
	v_fma_f64 v[20:21], -v[10:11], v[42:43], v[20:21]
	v_fma_f64 v[30:31], -v[10:11], v[44:45], v[30:31]
.LBB26_199:
	s_or_b64 exec, exec, s[0:1]
	v_lshl_add_u32 v32, v35, 3, v37
	s_barrier
	ds_write_b64 v32, v[20:21]
	s_waitcnt lgkmcnt(0)
	s_barrier
	ds_read_b64 v[32:33], v37 offset:96
	s_cmp_lt_i32 s12, 14
	v_mov_b32_e32 v34, 12
	s_cbranch_scc1 .LBB26_202
; %bb.200:
	v_add_u32_e32 v36, 0x68, v37
	s_mov_b32 s0, 13
	v_mov_b32_e32 v34, 12
.LBB26_201:                             ; =>This Inner Loop Header: Depth=1
	ds_read_b64 v[42:43], v36
	v_mov_b32_e32 v44, s0
	s_add_i32 s0, s0, 1
	v_add_u32_e32 v36, 8, v36
	s_cmp_lg_u32 s12, s0
	s_waitcnt lgkmcnt(0)
	v_cmp_lt_f64_e64 vcc, |v[32:33]|, |v[42:43]|
	v_cndmask_b32_e32 v33, v33, v43, vcc
	v_cndmask_b32_e32 v32, v32, v42, vcc
	v_cndmask_b32_e32 v34, v34, v44, vcc
	s_cbranch_scc1 .LBB26_201
.LBB26_202:
	s_waitcnt lgkmcnt(0)
	v_cmp_eq_f64_e32 vcc, 0, v[32:33]
	s_and_saveexec_b64 s[0:1], vcc
	s_xor_b64 s[0:1], exec, s[0:1]
; %bb.203:
	v_cmp_ne_u32_e32 vcc, 0, v41
	v_cndmask_b32_e32 v41, 13, v41, vcc
; %bb.204:
	s_andn2_saveexec_b64 s[0:1], s[0:1]
; %bb.205:
	v_div_scale_f64 v[42:43], s[2:3], v[32:33], v[32:33], 1.0
	v_rcp_f64_e32 v[44:45], v[42:43]
	v_div_scale_f64 v[46:47], vcc, 1.0, v[32:33], 1.0
	v_fma_f64 v[48:49], -v[42:43], v[44:45], 1.0
	v_fmac_f64_e32 v[44:45], v[44:45], v[48:49]
	v_fma_f64 v[48:49], -v[42:43], v[44:45], 1.0
	v_fmac_f64_e32 v[44:45], v[44:45], v[48:49]
	v_mul_f64 v[48:49], v[46:47], v[44:45]
	v_fma_f64 v[42:43], -v[42:43], v[48:49], v[46:47]
	v_div_fmas_f64 v[42:43], v[42:43], v[44:45], v[48:49]
	v_div_fixup_f64 v[32:33], v[42:43], v[32:33], 1.0
; %bb.206:
	s_or_b64 exec, exec, s[0:1]
	v_cmp_ne_u32_e32 vcc, v35, v34
	s_and_saveexec_b64 s[0:1], vcc
	s_xor_b64 s[0:1], exec, s[0:1]
	s_cbranch_execz .LBB26_212
; %bb.207:
	v_cmp_eq_u32_e32 vcc, 12, v35
	s_and_saveexec_b64 s[2:3], vcc
	s_cbranch_execz .LBB26_211
; %bb.208:
	v_cmp_ne_u32_e32 vcc, 12, v34
	s_xor_b64 s[14:15], s[6:7], -1
	s_and_b64 s[16:17], s[14:15], vcc
	s_and_saveexec_b64 s[14:15], s[16:17]
	s_cbranch_execz .LBB26_210
; %bb.209:
	v_ashrrev_i32_e32 v35, 31, v34
	v_lshlrev_b64 v[42:43], 2, v[34:35]
	v_add_co_u32_e32 v42, vcc, v28, v42
	v_addc_co_u32_e32 v43, vcc, v29, v43, vcc
	flat_load_dword v35, v[42:43]
	flat_load_dword v36, v[28:29] offset:48
	s_waitcnt vmcnt(0) lgkmcnt(0)
	flat_store_dword v[28:29], v35 offset:48
	flat_store_dword v[42:43], v36
.LBB26_210:
	s_or_b64 exec, exec, s[14:15]
	v_mov_b32_e32 v40, v34
	v_mov_b32_e32 v35, v34
.LBB26_211:
	s_or_b64 exec, exec, s[2:3]
.LBB26_212:
	s_andn2_saveexec_b64 s[0:1], s[0:1]
	s_cbranch_execz .LBB26_214
; %bb.213:
	v_mov_b32_e32 v35, 12
	ds_write_b64 v37, v[30:31] offset:104
.LBB26_214:
	s_or_b64 exec, exec, s[0:1]
	v_cmp_lt_i32_e32 vcc, 12, v35
	s_waitcnt lgkmcnt(0)
	s_barrier
	s_and_saveexec_b64 s[0:1], vcc
	s_cbranch_execz .LBB26_216
; %bb.215:
	ds_read_b64 v[42:43], v37 offset:104
	v_mul_f64 v[20:21], v[20:21], v[32:33]
	s_waitcnt lgkmcnt(0)
	v_fma_f64 v[30:31], -v[20:21], v[42:43], v[30:31]
.LBB26_216:
	s_or_b64 exec, exec, s[0:1]
	v_lshl_add_u32 v32, v35, 3, v37
	s_barrier
	ds_write_b64 v32, v[30:31]
	s_waitcnt lgkmcnt(0)
	s_barrier
	ds_read_b64 v[32:33], v37 offset:104
	s_cmp_lt_i32 s12, 15
	v_mov_b32_e32 v36, 13
	s_cbranch_scc1 .LBB26_219
; %bb.217:
	v_add_u32_e32 v34, 0x70, v37
	s_mov_b32 s0, 14
	v_mov_b32_e32 v36, 13
.LBB26_218:                             ; =>This Inner Loop Header: Depth=1
	ds_read_b64 v[42:43], v34
	v_mov_b32_e32 v37, s0
	s_add_i32 s0, s0, 1
	v_add_u32_e32 v34, 8, v34
	s_cmp_lg_u32 s12, s0
	s_waitcnt lgkmcnt(0)
	v_cmp_lt_f64_e64 vcc, |v[32:33]|, |v[42:43]|
	v_cndmask_b32_e32 v33, v33, v43, vcc
	v_cndmask_b32_e32 v32, v32, v42, vcc
	;; [unrolled: 1-line block ×3, first 2 shown]
	s_cbranch_scc1 .LBB26_218
.LBB26_219:
	s_waitcnt lgkmcnt(0)
	v_cmp_eq_f64_e32 vcc, 0, v[32:33]
	s_and_saveexec_b64 s[0:1], vcc
	s_xor_b64 s[0:1], exec, s[0:1]
; %bb.220:
	v_cmp_ne_u32_e32 vcc, 0, v41
	v_cndmask_b32_e32 v41, 14, v41, vcc
; %bb.221:
	s_andn2_saveexec_b64 s[0:1], s[0:1]
; %bb.222:
	v_div_scale_f64 v[42:43], s[2:3], v[32:33], v[32:33], 1.0
	v_rcp_f64_e32 v[44:45], v[42:43]
	v_div_scale_f64 v[46:47], vcc, 1.0, v[32:33], 1.0
	v_fma_f64 v[48:49], -v[42:43], v[44:45], 1.0
	v_fmac_f64_e32 v[44:45], v[44:45], v[48:49]
	v_fma_f64 v[48:49], -v[42:43], v[44:45], 1.0
	v_fmac_f64_e32 v[44:45], v[44:45], v[48:49]
	v_mul_f64 v[48:49], v[46:47], v[44:45]
	v_fma_f64 v[42:43], -v[42:43], v[48:49], v[46:47]
	v_div_fmas_f64 v[42:43], v[42:43], v[44:45], v[48:49]
	v_div_fixup_f64 v[32:33], v[42:43], v[32:33], 1.0
; %bb.223:
	s_or_b64 exec, exec, s[0:1]
	v_cmp_ne_u32_e32 vcc, v35, v36
	v_mov_b32_e32 v34, 13
	s_and_saveexec_b64 s[0:1], vcc
	s_cbranch_execz .LBB26_229
; %bb.224:
	v_cmp_eq_u32_e32 vcc, 13, v35
	s_and_saveexec_b64 s[2:3], vcc
	s_cbranch_execz .LBB26_228
; %bb.225:
	v_cmp_ne_u32_e32 vcc, 13, v36
	s_xor_b64 s[6:7], s[6:7], -1
	s_and_b64 s[14:15], s[6:7], vcc
	s_and_saveexec_b64 s[6:7], s[14:15]
	s_cbranch_execz .LBB26_227
; %bb.226:
	v_ashrrev_i32_e32 v37, 31, v36
	v_lshlrev_b64 v[34:35], 2, v[36:37]
	v_add_co_u32_e32 v34, vcc, v28, v34
	v_addc_co_u32_e32 v35, vcc, v29, v35, vcc
	flat_load_dword v37, v[34:35]
	flat_load_dword v40, v[28:29] offset:52
	s_waitcnt vmcnt(0) lgkmcnt(0)
	flat_store_dword v[28:29], v37 offset:52
	flat_store_dword v[34:35], v40
.LBB26_227:
	s_or_b64 exec, exec, s[6:7]
	v_mov_b32_e32 v40, v36
	v_mov_b32_e32 v35, v36
.LBB26_228:
	s_or_b64 exec, exec, s[2:3]
	v_mov_b32_e32 v34, v35
.LBB26_229:
	s_or_b64 exec, exec, s[0:1]
	s_load_dwordx8 s[0:7], s[4:5], 0x28
	v_cmp_gt_i32_e32 vcc, 14, v34
	v_ashrrev_i32_e32 v35, 31, v34
	s_waitcnt lgkmcnt(0)
	s_barrier
	s_barrier
	s_and_saveexec_b64 s[14:15], vcc
	s_cbranch_execz .LBB26_231
; %bb.230:
	v_mul_lo_u32 v36, v3, s4
	v_mul_lo_u32 v37, v2, s5
	v_mad_u64_u32 v[28:29], s[4:5], v2, s4, 0
	s_lshl_b64 s[2:3], s[2:3], 2
	v_add3_u32 v29, v29, v37, v36
	s_add_u32 s0, s2, s0
	v_lshlrev_b64 v[28:29], 2, v[28:29]
	s_addc_u32 s1, s3, s1
	v_mov_b32_e32 v36, s1
	v_add_co_u32_e32 v37, vcc, s0, v28
	v_addc_co_u32_e32 v36, vcc, v36, v29, vcc
	v_lshlrev_b64 v[28:29], 2, v[34:35]
	v_add_co_u32_e32 v28, vcc, v37, v28
	v_addc_co_u32_e32 v29, vcc, v36, v29, vcc
	v_add3_u32 v36, v40, s13, 1
	global_store_dword v[28:29], v36, off
.LBB26_231:
	s_or_b64 exec, exec, s[14:15]
	v_cmp_eq_u32_e32 vcc, 0, v34
	s_and_saveexec_b64 s[2:3], vcc
	s_cbranch_execz .LBB26_234
; %bb.232:
	v_lshlrev_b64 v[2:3], 2, v[2:3]
	v_mov_b32_e32 v28, s7
	v_add_co_u32_e32 v2, vcc, s6, v2
	v_addc_co_u32_e32 v3, vcc, v28, v3, vcc
	global_load_dword v28, v[2:3], off
	v_cmp_lt_i32_e64 s[0:1], 0, v41
	s_waitcnt vmcnt(0)
	v_cmp_eq_u32_e32 vcc, 0, v28
	s_and_b64 s[0:1], vcc, s[0:1]
	s_and_b64 exec, exec, s[0:1]
	s_cbranch_execz .LBB26_234
; %bb.233:
	v_add_u32_e32 v28, s13, v41
	global_store_dword v[2:3], v28, off
.LBB26_234:
	s_or_b64 exec, exec, s[2:3]
	v_mul_f64 v[2:3], v[30:31], v[32:33]
	v_cmp_lt_i32_e32 vcc, 13, v34
	v_lshlrev_b64 v[28:29], 3, v[34:35]
	v_cndmask_b32_e32 v3, v31, v3, vcc
	v_cndmask_b32_e32 v2, v30, v2, vcc
	v_add_co_u32_e32 v28, vcc, v38, v28
	v_addc_co_u32_e32 v29, vcc, v39, v29, vcc
	global_store_dwordx2 v[28:29], v[16:17], off
	v_mov_b32_e32 v17, s11
	v_add_co_u32_e32 v16, vcc, s10, v28
	v_addc_co_u32_e32 v17, vcc, v29, v17, vcc
	global_store_dwordx2 v[16:17], v[12:13], off
	v_add_u32_e32 v12, s9, v34
	v_ashrrev_i32_e32 v13, 31, v12
	v_lshlrev_b64 v[16:17], 3, v[12:13]
	v_add_co_u32_e32 v16, vcc, v38, v16
	v_addc_co_u32_e32 v17, vcc, v39, v17, vcc
	global_store_dwordx2 v[16:17], v[4:5], off
	v_add_u32_e32 v4, s8, v12
	v_ashrrev_i32_e32 v5, 31, v4
	v_lshlrev_b64 v[12:13], 3, v[4:5]
	;; [unrolled: 6-line block ×3, first 2 shown]
	v_add_co_u32_e32 v4, vcc, v38, v4
	v_add_u32_e32 v0, s8, v0
	v_addc_co_u32_e32 v5, vcc, v39, v5, vcc
	v_ashrrev_i32_e32 v1, 31, v0
	global_store_dwordx2 v[4:5], v[24:25], off
	v_lshlrev_b64 v[4:5], 3, v[0:1]
	v_add_co_u32_e32 v4, vcc, v38, v4
	v_add_u32_e32 v0, s8, v0
	v_addc_co_u32_e32 v5, vcc, v39, v5, vcc
	v_ashrrev_i32_e32 v1, 31, v0
	global_store_dwordx2 v[4:5], v[18:19], off
	v_lshlrev_b64 v[4:5], 3, v[0:1]
	;; [unrolled: 6-line block ×8, first 2 shown]
	v_add_u32_e32 v0, s8, v0
	v_add_co_u32_e32 v4, vcc, v38, v4
	v_ashrrev_i32_e32 v1, 31, v0
	v_addc_co_u32_e32 v5, vcc, v39, v5, vcc
	v_lshlrev_b64 v[0:1], 3, v[0:1]
	v_add_co_u32_e32 v0, vcc, v38, v0
	v_addc_co_u32_e32 v1, vcc, v39, v1, vcc
	global_store_dwordx2 v[4:5], v[20:21], off
	global_store_dwordx2 v[0:1], v[2:3], off
.LBB26_235:
	s_endpgm
	.section	.rodata,"a",@progbits
	.p2align	6, 0x0
	.amdhsa_kernel _ZN9rocsolver6v33100L18getf2_small_kernelILi14EdiiPKPdEEvT1_T3_lS5_lPS5_llPT2_S5_S5_S7_l
		.amdhsa_group_segment_fixed_size 0
		.amdhsa_private_segment_fixed_size 0
		.amdhsa_kernarg_size 352
		.amdhsa_user_sgpr_count 6
		.amdhsa_user_sgpr_private_segment_buffer 1
		.amdhsa_user_sgpr_dispatch_ptr 0
		.amdhsa_user_sgpr_queue_ptr 0
		.amdhsa_user_sgpr_kernarg_segment_ptr 1
		.amdhsa_user_sgpr_dispatch_id 0
		.amdhsa_user_sgpr_flat_scratch_init 0
		.amdhsa_user_sgpr_kernarg_preload_length 0
		.amdhsa_user_sgpr_kernarg_preload_offset 0
		.amdhsa_user_sgpr_private_segment_size 0
		.amdhsa_uses_dynamic_stack 0
		.amdhsa_system_sgpr_private_segment_wavefront_offset 0
		.amdhsa_system_sgpr_workgroup_id_x 1
		.amdhsa_system_sgpr_workgroup_id_y 1
		.amdhsa_system_sgpr_workgroup_id_z 0
		.amdhsa_system_sgpr_workgroup_info 0
		.amdhsa_system_vgpr_workitem_id 1
		.amdhsa_next_free_vgpr 54
		.amdhsa_next_free_sgpr 20
		.amdhsa_accum_offset 56
		.amdhsa_reserve_vcc 1
		.amdhsa_reserve_flat_scratch 0
		.amdhsa_float_round_mode_32 0
		.amdhsa_float_round_mode_16_64 0
		.amdhsa_float_denorm_mode_32 3
		.amdhsa_float_denorm_mode_16_64 3
		.amdhsa_dx10_clamp 1
		.amdhsa_ieee_mode 1
		.amdhsa_fp16_overflow 0
		.amdhsa_tg_split 0
		.amdhsa_exception_fp_ieee_invalid_op 0
		.amdhsa_exception_fp_denorm_src 0
		.amdhsa_exception_fp_ieee_div_zero 0
		.amdhsa_exception_fp_ieee_overflow 0
		.amdhsa_exception_fp_ieee_underflow 0
		.amdhsa_exception_fp_ieee_inexact 0
		.amdhsa_exception_int_div_zero 0
	.end_amdhsa_kernel
	.section	.text._ZN9rocsolver6v33100L18getf2_small_kernelILi14EdiiPKPdEEvT1_T3_lS5_lPS5_llPT2_S5_S5_S7_l,"axG",@progbits,_ZN9rocsolver6v33100L18getf2_small_kernelILi14EdiiPKPdEEvT1_T3_lS5_lPS5_llPT2_S5_S5_S7_l,comdat
.Lfunc_end26:
	.size	_ZN9rocsolver6v33100L18getf2_small_kernelILi14EdiiPKPdEEvT1_T3_lS5_lPS5_llPT2_S5_S5_S7_l, .Lfunc_end26-_ZN9rocsolver6v33100L18getf2_small_kernelILi14EdiiPKPdEEvT1_T3_lS5_lPS5_llPT2_S5_S5_S7_l
                                        ; -- End function
	.section	.AMDGPU.csdata,"",@progbits
; Kernel info:
; codeLenInByte = 8432
; NumSgprs: 24
; NumVgprs: 54
; NumAgprs: 0
; TotalNumVgprs: 54
; ScratchSize: 0
; MemoryBound: 0
; FloatMode: 240
; IeeeMode: 1
; LDSByteSize: 0 bytes/workgroup (compile time only)
; SGPRBlocks: 2
; VGPRBlocks: 6
; NumSGPRsForWavesPerEU: 24
; NumVGPRsForWavesPerEU: 54
; AccumOffset: 56
; Occupancy: 8
; WaveLimiterHint : 1
; COMPUTE_PGM_RSRC2:SCRATCH_EN: 0
; COMPUTE_PGM_RSRC2:USER_SGPR: 6
; COMPUTE_PGM_RSRC2:TRAP_HANDLER: 0
; COMPUTE_PGM_RSRC2:TGID_X_EN: 1
; COMPUTE_PGM_RSRC2:TGID_Y_EN: 1
; COMPUTE_PGM_RSRC2:TGID_Z_EN: 0
; COMPUTE_PGM_RSRC2:TIDIG_COMP_CNT: 1
; COMPUTE_PGM_RSRC3_GFX90A:ACCUM_OFFSET: 13
; COMPUTE_PGM_RSRC3_GFX90A:TG_SPLIT: 0
	.section	.text._ZN9rocsolver6v33100L23getf2_npvt_small_kernelILi14EdiiPKPdEEvT1_T3_lS5_lPT2_S5_S5_,"axG",@progbits,_ZN9rocsolver6v33100L23getf2_npvt_small_kernelILi14EdiiPKPdEEvT1_T3_lS5_lPT2_S5_S5_,comdat
	.globl	_ZN9rocsolver6v33100L23getf2_npvt_small_kernelILi14EdiiPKPdEEvT1_T3_lS5_lPT2_S5_S5_ ; -- Begin function _ZN9rocsolver6v33100L23getf2_npvt_small_kernelILi14EdiiPKPdEEvT1_T3_lS5_lPT2_S5_S5_
	.p2align	8
	.type	_ZN9rocsolver6v33100L23getf2_npvt_small_kernelILi14EdiiPKPdEEvT1_T3_lS5_lPT2_S5_S5_,@function
_ZN9rocsolver6v33100L23getf2_npvt_small_kernelILi14EdiiPKPdEEvT1_T3_lS5_lPT2_S5_S5_: ; @_ZN9rocsolver6v33100L23getf2_npvt_small_kernelILi14EdiiPKPdEEvT1_T3_lS5_lPT2_S5_S5_
; %bb.0:
	s_load_dword s0, s[4:5], 0x44
	s_load_dwordx2 s[26:27], s[4:5], 0x30
	v_bfe_u32 v58, v0, 10, 10
	s_waitcnt lgkmcnt(0)
	s_lshr_b32 s8, s0, 16
	s_mul_i32 s7, s7, s8
	v_add_u32_e32 v2, s7, v58
	v_cmp_gt_i32_e32 vcc, s26, v2
	s_and_saveexec_b64 s[0:1], vcc
	s_cbranch_execz .LBB27_74
; %bb.1:
	s_load_dwordx4 s[12:15], s[4:5], 0x8
	s_load_dword s0, s[4:5], 0x18
	v_ashrrev_i32_e32 v3, 31, v2
	v_lshlrev_b64 v[4:5], 3, v[2:3]
	v_and_b32_e32 v86, 0x3ff, v0
	s_waitcnt lgkmcnt(0)
	v_mov_b32_e32 v1, s13
	v_add_co_u32_e32 v4, vcc, s12, v4
	v_addc_co_u32_e32 v5, vcc, v1, v5, vcc
	global_load_dwordx2 v[4:5], v[4:5], off
	s_add_i32 s9, s0, s0
	v_add_u32_e32 v0, s9, v86
	v_ashrrev_i32_e32 v1, 31, v0
	v_add_u32_e32 v6, s0, v0
	v_lshlrev_b64 v[8:9], 3, v[0:1]
	v_add_u32_e32 v0, s0, v6
	v_ashrrev_i32_e32 v1, 31, v0
	v_add_u32_e32 v10, s0, v0
	v_lshlrev_b64 v[12:13], 3, v[0:1]
	v_add_u32_e32 v0, s0, v10
	s_lshl_b64 s[6:7], s[14:15], 3
	v_ashrrev_i32_e32 v1, 31, v0
	v_add_u32_e32 v14, s0, v0
	v_mov_b32_e32 v21, s7
	v_lshlrev_b64 v[16:17], 3, v[0:1]
	v_add_u32_e32 v0, s0, v14
	v_lshlrev_b32_e32 v20, 3, v86
	v_ashrrev_i32_e32 v1, 31, v0
	v_add_u32_e32 v38, s0, v0
	v_lshlrev_b64 v[18:19], 3, v[0:1]
	v_ashrrev_i32_e32 v7, 31, v6
	v_lshlrev_b64 v[6:7], 3, v[6:7]
	v_ashrrev_i32_e32 v11, 31, v10
	;; [unrolled: 2-line block ×3, first 2 shown]
	v_lshlrev_b64 v[14:15], 3, v[14:15]
	s_ashr_i32 s1, s0, 31
	s_lshl_b64 s[2:3], s[0:1], 3
	v_mov_b32_e32 v22, s3
	v_ashrrev_i32_e32 v39, 31, v38
	v_lshlrev_b64 v[28:29], 3, v[38:39]
	v_add_u32_e32 v40, s0, v38
	v_ashrrev_i32_e32 v41, 31, v40
	v_lshlrev_b64 v[38:39], 3, v[40:41]
	v_add_u32_e32 v50, s0, v40
	;; [unrolled: 3-line block ×4, first 2 shown]
	v_ashrrev_i32_e32 v53, 31, v52
	v_lshlrev_b64 v[52:53], 3, v[52:53]
	s_mulk_i32 s8, 0x70
	s_movk_i32 s0, 0x70
	s_add_i32 s1, s8, 0
	v_mad_u32_u24 v85, v58, s0, 0
	v_lshl_add_u32 v84, v58, 3, s1
	v_cmp_eq_u32_e64 s[0:1], 0, v86
	s_waitcnt vmcnt(0)
	v_add_co_u32_e32 v54, vcc, s6, v4
	v_addc_co_u32_e32 v55, vcc, v5, v21, vcc
	v_add_co_u32_e32 v0, vcc, v54, v20
	v_addc_co_u32_e32 v1, vcc, 0, v55, vcc
	;; [unrolled: 2-line block ×11, first 2 shown]
	v_add_co_u32_e32 v38, vcc, v54, v38
	global_load_dwordx2 v[18:19], v[8:9], off
	global_load_dwordx2 v[20:21], v[10:11], off
	;; [unrolled: 1-line block ×8, first 2 shown]
	v_addc_co_u32_e32 v39, vcc, v55, v39, vcc
	v_add_co_u32_e32 v40, vcc, v54, v40
	v_addc_co_u32_e32 v41, vcc, v55, v41, vcc
	v_add_co_u32_e32 v50, vcc, v54, v50
	global_load_dwordx2 v[42:43], v[16:17], off
	global_load_dwordx2 v[44:45], v[28:29], off
	global_load_dwordx2 v[46:47], v[38:39], off
	global_load_dwordx2 v[48:49], v[40:41], off
	v_addc_co_u32_e32 v51, vcc, v55, v51, vcc
	v_add_co_u32_e32 v52, vcc, v54, v52
	v_addc_co_u32_e32 v53, vcc, v55, v53, vcc
	global_load_dwordx2 v[54:55], v[50:51], off
	global_load_dwordx2 v[56:57], v[52:53], off
	v_cmp_ne_u32_e64 s[2:3], 0, v86
	s_and_saveexec_b64 s[6:7], s[0:1]
	s_cbranch_execz .LBB27_4
; %bb.2:
	s_waitcnt vmcnt(9)
	ds_write_b64 v84, v[30:31]
	s_waitcnt vmcnt(7)
	ds_write2_b64 v85, v[32:33], v[34:35] offset0:1 offset1:2
	s_waitcnt vmcnt(6)
	ds_write2_b64 v85, v[36:37], v[18:19] offset0:3 offset1:4
	ds_write2_b64 v85, v[20:21], v[22:23] offset0:5 offset1:6
	s_waitcnt vmcnt(5)
	ds_write2_b64 v85, v[24:25], v[42:43] offset0:7 offset1:8
	s_waitcnt vmcnt(3)
	;; [unrolled: 2-line block ×4, first 2 shown]
	ds_write_b64 v85, v[56:57] offset:104
	ds_read_b64 v[58:59], v84
	s_waitcnt lgkmcnt(0)
	v_cmp_neq_f64_e32 vcc, 0, v[58:59]
	s_and_b64 exec, exec, vcc
	s_cbranch_execz .LBB27_4
; %bb.3:
	v_div_scale_f64 v[60:61], s[8:9], v[58:59], v[58:59], 1.0
	v_rcp_f64_e32 v[62:63], v[60:61]
	v_div_scale_f64 v[64:65], vcc, 1.0, v[58:59], 1.0
	v_fma_f64 v[66:67], -v[60:61], v[62:63], 1.0
	v_fmac_f64_e32 v[62:63], v[62:63], v[66:67]
	v_fma_f64 v[66:67], -v[60:61], v[62:63], 1.0
	v_fmac_f64_e32 v[62:63], v[62:63], v[66:67]
	v_mul_f64 v[66:67], v[64:65], v[62:63]
	v_fma_f64 v[60:61], -v[60:61], v[66:67], v[64:65]
	v_div_fmas_f64 v[60:61], v[60:61], v[62:63], v[66:67]
	v_div_fixup_f64 v[58:59], v[60:61], v[58:59], 1.0
	ds_write_b64 v84, v[58:59]
.LBB27_4:
	s_or_b64 exec, exec, s[6:7]
	s_waitcnt lgkmcnt(0)
	s_barrier
	ds_read_b64 v[58:59], v84
	s_and_saveexec_b64 s[6:7], s[2:3]
	s_cbranch_execz .LBB27_6
; %bb.5:
	ds_read2_b64 v[60:63], v85 offset0:1 offset1:2
	ds_read2_b64 v[64:67], v85 offset0:3 offset1:4
	s_waitcnt vmcnt(9) lgkmcnt(2)
	v_mul_f64 v[30:31], v[30:31], v[58:59]
	ds_read2_b64 v[68:71], v85 offset0:5 offset1:6
	s_waitcnt vmcnt(8) lgkmcnt(2)
	v_fma_f64 v[32:33], -v[30:31], v[60:61], v[32:33]
	s_waitcnt vmcnt(7)
	v_fma_f64 v[34:35], -v[30:31], v[62:63], v[34:35]
	ds_read2_b64 v[60:63], v85 offset0:7 offset1:8
	s_waitcnt vmcnt(6) lgkmcnt(2)
	v_fma_f64 v[36:37], -v[30:31], v[64:65], v[36:37]
	v_fma_f64 v[18:19], -v[30:31], v[66:67], v[18:19]
	s_waitcnt lgkmcnt(1)
	v_fma_f64 v[20:21], -v[30:31], v[68:69], v[20:21]
	v_fma_f64 v[22:23], -v[30:31], v[70:71], v[22:23]
	ds_read2_b64 v[64:67], v85 offset0:9 offset1:10
	ds_read2_b64 v[68:71], v85 offset0:11 offset1:12
	s_waitcnt lgkmcnt(2)
	v_fma_f64 v[24:25], -v[30:31], v[60:61], v[24:25]
	ds_read_b64 v[60:61], v85 offset:104
	s_waitcnt vmcnt(5)
	v_fma_f64 v[42:43], -v[30:31], v[62:63], v[42:43]
	s_waitcnt vmcnt(4) lgkmcnt(2)
	v_fma_f64 v[44:45], -v[30:31], v[64:65], v[44:45]
	s_waitcnt vmcnt(3)
	v_fma_f64 v[46:47], -v[30:31], v[66:67], v[46:47]
	s_waitcnt vmcnt(2) lgkmcnt(1)
	v_fma_f64 v[48:49], -v[30:31], v[68:69], v[48:49]
	;; [unrolled: 4-line block ×3, first 2 shown]
.LBB27_6:
	s_or_b64 exec, exec, s[6:7]
	v_cmp_eq_u32_e32 vcc, 1, v86
	s_waitcnt lgkmcnt(0)
	s_barrier
	s_and_saveexec_b64 s[2:3], vcc
	s_cbranch_execz .LBB27_9
; %bb.7:
	s_waitcnt vmcnt(8)
	ds_write_b64 v84, v[32:33]
	s_waitcnt vmcnt(6)
	ds_write2_b64 v85, v[34:35], v[36:37] offset0:2 offset1:3
	ds_write2_b64 v85, v[18:19], v[20:21] offset0:4 offset1:5
	;; [unrolled: 1-line block ×3, first 2 shown]
	s_waitcnt vmcnt(4)
	ds_write2_b64 v85, v[42:43], v[44:45] offset0:8 offset1:9
	s_waitcnt vmcnt(2)
	ds_write2_b64 v85, v[46:47], v[48:49] offset0:10 offset1:11
	;; [unrolled: 2-line block ×3, first 2 shown]
	ds_read_b64 v[60:61], v84
	s_waitcnt lgkmcnt(0)
	v_cmp_neq_f64_e32 vcc, 0, v[60:61]
	s_and_b64 exec, exec, vcc
	s_cbranch_execz .LBB27_9
; %bb.8:
	v_div_scale_f64 v[62:63], s[6:7], v[60:61], v[60:61], 1.0
	v_rcp_f64_e32 v[64:65], v[62:63]
	v_div_scale_f64 v[66:67], vcc, 1.0, v[60:61], 1.0
	v_fma_f64 v[68:69], -v[62:63], v[64:65], 1.0
	v_fmac_f64_e32 v[64:65], v[64:65], v[68:69]
	v_fma_f64 v[68:69], -v[62:63], v[64:65], 1.0
	v_fmac_f64_e32 v[64:65], v[64:65], v[68:69]
	v_mul_f64 v[68:69], v[66:67], v[64:65]
	v_fma_f64 v[62:63], -v[62:63], v[68:69], v[66:67]
	v_div_fmas_f64 v[62:63], v[62:63], v[64:65], v[68:69]
	v_div_fixup_f64 v[60:61], v[62:63], v[60:61], 1.0
	ds_write_b64 v84, v[60:61]
.LBB27_9:
	s_or_b64 exec, exec, s[2:3]
	s_waitcnt lgkmcnt(0)
	s_barrier
	ds_read_b64 v[60:61], v84
	v_cmp_lt_u32_e32 vcc, 1, v86
	s_and_saveexec_b64 s[2:3], vcc
	s_cbranch_execz .LBB27_11
; %bb.10:
	ds_read2_b64 v[62:65], v85 offset0:2 offset1:3
	ds_read2_b64 v[66:69], v85 offset0:4 offset1:5
	;; [unrolled: 1-line block ×3, first 2 shown]
	s_waitcnt vmcnt(8) lgkmcnt(3)
	v_mul_f64 v[32:33], v[32:33], v[60:61]
	s_waitcnt vmcnt(7) lgkmcnt(2)
	v_fma_f64 v[34:35], -v[32:33], v[62:63], v[34:35]
	s_waitcnt vmcnt(6)
	v_fma_f64 v[36:37], -v[32:33], v[64:65], v[36:37]
	ds_read2_b64 v[62:65], v85 offset0:8 offset1:9
	s_waitcnt lgkmcnt(2)
	v_fma_f64 v[18:19], -v[32:33], v[66:67], v[18:19]
	v_fma_f64 v[20:21], -v[32:33], v[68:69], v[20:21]
	s_waitcnt lgkmcnt(1)
	v_fma_f64 v[22:23], -v[32:33], v[70:71], v[22:23]
	ds_read2_b64 v[66:69], v85 offset0:10 offset1:11
	v_fma_f64 v[24:25], -v[32:33], v[72:73], v[24:25]
	ds_read2_b64 v[70:73], v85 offset0:12 offset1:13
	s_waitcnt vmcnt(5) lgkmcnt(2)
	v_fma_f64 v[42:43], -v[32:33], v[62:63], v[42:43]
	s_waitcnt vmcnt(4)
	v_fma_f64 v[44:45], -v[32:33], v[64:65], v[44:45]
	s_waitcnt vmcnt(3) lgkmcnt(1)
	v_fma_f64 v[46:47], -v[32:33], v[66:67], v[46:47]
	s_waitcnt vmcnt(2)
	v_fma_f64 v[48:49], -v[32:33], v[68:69], v[48:49]
	;; [unrolled: 4-line block ×3, first 2 shown]
.LBB27_11:
	s_or_b64 exec, exec, s[2:3]
	v_cmp_eq_u32_e32 vcc, 2, v86
	s_waitcnt lgkmcnt(0)
	s_barrier
	s_and_saveexec_b64 s[2:3], vcc
	s_cbranch_execz .LBB27_14
; %bb.12:
	s_waitcnt vmcnt(7)
	ds_write_b64 v84, v[34:35]
	s_waitcnt vmcnt(6)
	ds_write2_b64 v85, v[36:37], v[18:19] offset0:3 offset1:4
	ds_write2_b64 v85, v[20:21], v[22:23] offset0:5 offset1:6
	s_waitcnt vmcnt(5)
	ds_write2_b64 v85, v[24:25], v[42:43] offset0:7 offset1:8
	s_waitcnt vmcnt(3)
	;; [unrolled: 2-line block ×4, first 2 shown]
	ds_write_b64 v85, v[56:57] offset:104
	ds_read_b64 v[62:63], v84
	s_waitcnt lgkmcnt(0)
	v_cmp_neq_f64_e32 vcc, 0, v[62:63]
	s_and_b64 exec, exec, vcc
	s_cbranch_execz .LBB27_14
; %bb.13:
	v_div_scale_f64 v[64:65], s[6:7], v[62:63], v[62:63], 1.0
	v_rcp_f64_e32 v[66:67], v[64:65]
	v_div_scale_f64 v[68:69], vcc, 1.0, v[62:63], 1.0
	v_fma_f64 v[70:71], -v[64:65], v[66:67], 1.0
	v_fmac_f64_e32 v[66:67], v[66:67], v[70:71]
	v_fma_f64 v[70:71], -v[64:65], v[66:67], 1.0
	v_fmac_f64_e32 v[66:67], v[66:67], v[70:71]
	v_mul_f64 v[70:71], v[68:69], v[66:67]
	v_fma_f64 v[64:65], -v[64:65], v[70:71], v[68:69]
	v_div_fmas_f64 v[64:65], v[64:65], v[66:67], v[70:71]
	v_div_fixup_f64 v[62:63], v[64:65], v[62:63], 1.0
	ds_write_b64 v84, v[62:63]
.LBB27_14:
	s_or_b64 exec, exec, s[2:3]
	s_waitcnt lgkmcnt(0)
	s_barrier
	ds_read_b64 v[62:63], v84
	v_cmp_lt_u32_e32 vcc, 2, v86
	s_and_saveexec_b64 s[2:3], vcc
	s_cbranch_execz .LBB27_16
; %bb.15:
	ds_read2_b64 v[64:67], v85 offset0:3 offset1:4
	ds_read2_b64 v[68:71], v85 offset0:5 offset1:6
	;; [unrolled: 1-line block ×3, first 2 shown]
	s_waitcnt vmcnt(7) lgkmcnt(3)
	v_mul_f64 v[34:35], v[34:35], v[62:63]
	s_waitcnt vmcnt(6) lgkmcnt(2)
	v_fma_f64 v[36:37], -v[34:35], v[64:65], v[36:37]
	v_fma_f64 v[18:19], -v[34:35], v[66:67], v[18:19]
	ds_read2_b64 v[64:67], v85 offset0:9 offset1:10
	s_waitcnt lgkmcnt(2)
	v_fma_f64 v[20:21], -v[34:35], v[68:69], v[20:21]
	v_fma_f64 v[22:23], -v[34:35], v[70:71], v[22:23]
	s_waitcnt lgkmcnt(1)
	v_fma_f64 v[24:25], -v[34:35], v[72:73], v[24:25]
	ds_read2_b64 v[68:71], v85 offset0:11 offset1:12
	ds_read_b64 v[72:73], v85 offset:104
	s_waitcnt vmcnt(5)
	v_fma_f64 v[42:43], -v[34:35], v[74:75], v[42:43]
	s_waitcnt vmcnt(4) lgkmcnt(2)
	v_fma_f64 v[44:45], -v[34:35], v[64:65], v[44:45]
	s_waitcnt vmcnt(3)
	v_fma_f64 v[46:47], -v[34:35], v[66:67], v[46:47]
	s_waitcnt vmcnt(2) lgkmcnt(1)
	v_fma_f64 v[48:49], -v[34:35], v[68:69], v[48:49]
	;; [unrolled: 4-line block ×3, first 2 shown]
.LBB27_16:
	s_or_b64 exec, exec, s[2:3]
	v_cmp_eq_u32_e32 vcc, 3, v86
	s_waitcnt lgkmcnt(0)
	s_barrier
	s_and_saveexec_b64 s[2:3], vcc
	s_cbranch_execz .LBB27_19
; %bb.17:
	s_waitcnt vmcnt(6)
	ds_write_b64 v84, v[36:37]
	ds_write2_b64 v85, v[18:19], v[20:21] offset0:4 offset1:5
	ds_write2_b64 v85, v[22:23], v[24:25] offset0:6 offset1:7
	s_waitcnt vmcnt(4)
	ds_write2_b64 v85, v[42:43], v[44:45] offset0:8 offset1:9
	s_waitcnt vmcnt(2)
	;; [unrolled: 2-line block ×3, first 2 shown]
	ds_write2_b64 v85, v[54:55], v[56:57] offset0:12 offset1:13
	ds_read_b64 v[64:65], v84
	s_waitcnt lgkmcnt(0)
	v_cmp_neq_f64_e32 vcc, 0, v[64:65]
	s_and_b64 exec, exec, vcc
	s_cbranch_execz .LBB27_19
; %bb.18:
	v_div_scale_f64 v[66:67], s[6:7], v[64:65], v[64:65], 1.0
	v_rcp_f64_e32 v[68:69], v[66:67]
	v_div_scale_f64 v[70:71], vcc, 1.0, v[64:65], 1.0
	v_fma_f64 v[72:73], -v[66:67], v[68:69], 1.0
	v_fmac_f64_e32 v[68:69], v[68:69], v[72:73]
	v_fma_f64 v[72:73], -v[66:67], v[68:69], 1.0
	v_fmac_f64_e32 v[68:69], v[68:69], v[72:73]
	v_mul_f64 v[72:73], v[70:71], v[68:69]
	v_fma_f64 v[66:67], -v[66:67], v[72:73], v[70:71]
	v_div_fmas_f64 v[66:67], v[66:67], v[68:69], v[72:73]
	v_div_fixup_f64 v[64:65], v[66:67], v[64:65], 1.0
	ds_write_b64 v84, v[64:65]
.LBB27_19:
	s_or_b64 exec, exec, s[2:3]
	s_waitcnt lgkmcnt(0)
	s_barrier
	ds_read_b64 v[64:65], v84
	v_cmp_lt_u32_e32 vcc, 3, v86
	s_and_saveexec_b64 s[2:3], vcc
	s_cbranch_execz .LBB27_21
; %bb.20:
	ds_read2_b64 v[66:69], v85 offset0:4 offset1:5
	ds_read2_b64 v[70:73], v85 offset0:6 offset1:7
	s_waitcnt vmcnt(6) lgkmcnt(2)
	v_mul_f64 v[36:37], v[36:37], v[64:65]
	ds_read2_b64 v[74:77], v85 offset0:10 offset1:11
	s_waitcnt lgkmcnt(2)
	v_fma_f64 v[18:19], -v[36:37], v[66:67], v[18:19]
	v_fma_f64 v[20:21], -v[36:37], v[68:69], v[20:21]
	ds_read2_b64 v[66:69], v85 offset0:8 offset1:9
	s_waitcnt lgkmcnt(2)
	v_fma_f64 v[22:23], -v[36:37], v[70:71], v[22:23]
	v_fma_f64 v[24:25], -v[36:37], v[72:73], v[24:25]
	ds_read2_b64 v[70:73], v85 offset0:12 offset1:13
	s_waitcnt vmcnt(3) lgkmcnt(2)
	v_fma_f64 v[46:47], -v[36:37], v[74:75], v[46:47]
	s_waitcnt lgkmcnt(1)
	v_fma_f64 v[42:43], -v[36:37], v[66:67], v[42:43]
	v_fma_f64 v[44:45], -v[36:37], v[68:69], v[44:45]
	s_waitcnt vmcnt(2)
	v_fma_f64 v[48:49], -v[36:37], v[76:77], v[48:49]
	s_waitcnt vmcnt(1) lgkmcnt(0)
	v_fma_f64 v[54:55], -v[36:37], v[70:71], v[54:55]
	s_waitcnt vmcnt(0)
	v_fma_f64 v[56:57], -v[36:37], v[72:73], v[56:57]
.LBB27_21:
	s_or_b64 exec, exec, s[2:3]
	v_cmp_eq_u32_e32 vcc, 4, v86
	s_waitcnt lgkmcnt(0)
	s_barrier
	s_and_saveexec_b64 s[2:3], vcc
	s_cbranch_execz .LBB27_24
; %bb.22:
	s_waitcnt vmcnt(13)
	ds_write_b64 v84, v[18:19]
	s_waitcnt vmcnt(11)
	ds_write2_b64 v85, v[20:21], v[22:23] offset0:5 offset1:6
	s_waitcnt vmcnt(5)
	ds_write2_b64 v85, v[24:25], v[42:43] offset0:7 offset1:8
	;; [unrolled: 2-line block ×4, first 2 shown]
	s_waitcnt vmcnt(0)
	ds_write_b64 v85, v[56:57] offset:104
	ds_read_b64 v[66:67], v84
	s_waitcnt lgkmcnt(0)
	v_cmp_neq_f64_e32 vcc, 0, v[66:67]
	s_and_b64 exec, exec, vcc
	s_cbranch_execz .LBB27_24
; %bb.23:
	v_div_scale_f64 v[68:69], s[6:7], v[66:67], v[66:67], 1.0
	v_rcp_f64_e32 v[70:71], v[68:69]
	v_div_scale_f64 v[72:73], vcc, 1.0, v[66:67], 1.0
	v_fma_f64 v[74:75], -v[68:69], v[70:71], 1.0
	v_fmac_f64_e32 v[70:71], v[70:71], v[74:75]
	v_fma_f64 v[74:75], -v[68:69], v[70:71], 1.0
	v_fmac_f64_e32 v[70:71], v[70:71], v[74:75]
	v_mul_f64 v[74:75], v[72:73], v[70:71]
	v_fma_f64 v[68:69], -v[68:69], v[74:75], v[72:73]
	v_div_fmas_f64 v[68:69], v[68:69], v[70:71], v[74:75]
	v_div_fixup_f64 v[66:67], v[68:69], v[66:67], 1.0
	ds_write_b64 v84, v[66:67]
.LBB27_24:
	s_or_b64 exec, exec, s[2:3]
	s_waitcnt lgkmcnt(0)
	s_barrier
	ds_read_b64 v[66:67], v84
	v_cmp_lt_u32_e32 vcc, 4, v86
	s_and_saveexec_b64 s[2:3], vcc
	s_cbranch_execz .LBB27_26
; %bb.25:
	ds_read2_b64 v[68:71], v85 offset0:5 offset1:6
	ds_read2_b64 v[72:75], v85 offset0:7 offset1:8
	s_waitcnt vmcnt(13) lgkmcnt(2)
	v_mul_f64 v[18:19], v[18:19], v[66:67]
	ds_read2_b64 v[76:79], v85 offset0:11 offset1:12
	s_waitcnt vmcnt(12) lgkmcnt(2)
	v_fma_f64 v[20:21], -v[18:19], v[68:69], v[20:21]
	s_waitcnt vmcnt(11)
	v_fma_f64 v[22:23], -v[18:19], v[70:71], v[22:23]
	ds_read2_b64 v[68:71], v85 offset0:9 offset1:10
	s_waitcnt vmcnt(10) lgkmcnt(2)
	v_fma_f64 v[24:25], -v[18:19], v[72:73], v[24:25]
	ds_read_b64 v[72:73], v85 offset:104
	s_waitcnt vmcnt(5)
	v_fma_f64 v[42:43], -v[18:19], v[74:75], v[42:43]
	s_waitcnt vmcnt(2) lgkmcnt(2)
	v_fma_f64 v[48:49], -v[18:19], v[76:77], v[48:49]
	s_waitcnt lgkmcnt(1)
	v_fma_f64 v[44:45], -v[18:19], v[68:69], v[44:45]
	v_fma_f64 v[46:47], -v[18:19], v[70:71], v[46:47]
	s_waitcnt vmcnt(1)
	v_fma_f64 v[54:55], -v[18:19], v[78:79], v[54:55]
	s_waitcnt vmcnt(0) lgkmcnt(0)
	v_fma_f64 v[56:57], -v[18:19], v[72:73], v[56:57]
.LBB27_26:
	s_or_b64 exec, exec, s[2:3]
	v_cmp_eq_u32_e32 vcc, 5, v86
	s_waitcnt lgkmcnt(0)
	s_barrier
	s_and_saveexec_b64 s[2:3], vcc
	s_cbranch_execz .LBB27_29
; %bb.27:
	s_waitcnt vmcnt(12)
	ds_write_b64 v84, v[20:21]
	s_waitcnt vmcnt(10)
	ds_write2_b64 v85, v[22:23], v[24:25] offset0:6 offset1:7
	s_waitcnt vmcnt(4)
	ds_write2_b64 v85, v[42:43], v[44:45] offset0:8 offset1:9
	;; [unrolled: 2-line block ×4, first 2 shown]
	ds_read_b64 v[68:69], v84
	s_waitcnt lgkmcnt(0)
	v_cmp_neq_f64_e32 vcc, 0, v[68:69]
	s_and_b64 exec, exec, vcc
	s_cbranch_execz .LBB27_29
; %bb.28:
	v_div_scale_f64 v[70:71], s[6:7], v[68:69], v[68:69], 1.0
	v_rcp_f64_e32 v[72:73], v[70:71]
	v_div_scale_f64 v[74:75], vcc, 1.0, v[68:69], 1.0
	v_fma_f64 v[76:77], -v[70:71], v[72:73], 1.0
	v_fmac_f64_e32 v[72:73], v[72:73], v[76:77]
	v_fma_f64 v[76:77], -v[70:71], v[72:73], 1.0
	v_fmac_f64_e32 v[72:73], v[72:73], v[76:77]
	v_mul_f64 v[76:77], v[74:75], v[72:73]
	v_fma_f64 v[70:71], -v[70:71], v[76:77], v[74:75]
	v_div_fmas_f64 v[70:71], v[70:71], v[72:73], v[76:77]
	v_div_fixup_f64 v[68:69], v[70:71], v[68:69], 1.0
	ds_write_b64 v84, v[68:69]
.LBB27_29:
	s_or_b64 exec, exec, s[2:3]
	s_waitcnt lgkmcnt(0)
	s_barrier
	ds_read_b64 v[68:69], v84
	v_cmp_lt_u32_e32 vcc, 5, v86
	s_and_saveexec_b64 s[2:3], vcc
	s_cbranch_execz .LBB27_31
; %bb.30:
	ds_read2_b64 v[70:73], v85 offset0:6 offset1:7
	ds_read2_b64 v[74:77], v85 offset0:8 offset1:9
	s_waitcnt vmcnt(12) lgkmcnt(2)
	v_mul_f64 v[20:21], v[20:21], v[68:69]
	ds_read2_b64 v[78:81], v85 offset0:10 offset1:11
	s_waitcnt vmcnt(11) lgkmcnt(2)
	v_fma_f64 v[22:23], -v[20:21], v[70:71], v[22:23]
	s_waitcnt vmcnt(10)
	v_fma_f64 v[24:25], -v[20:21], v[72:73], v[24:25]
	ds_read2_b64 v[70:73], v85 offset0:12 offset1:13
	s_waitcnt vmcnt(5) lgkmcnt(2)
	v_fma_f64 v[42:43], -v[20:21], v[74:75], v[42:43]
	s_waitcnt vmcnt(4)
	v_fma_f64 v[44:45], -v[20:21], v[76:77], v[44:45]
	s_waitcnt vmcnt(3) lgkmcnt(1)
	v_fma_f64 v[46:47], -v[20:21], v[78:79], v[46:47]
	s_waitcnt vmcnt(2)
	v_fma_f64 v[48:49], -v[20:21], v[80:81], v[48:49]
	;; [unrolled: 4-line block ×3, first 2 shown]
.LBB27_31:
	s_or_b64 exec, exec, s[2:3]
	v_cmp_eq_u32_e32 vcc, 6, v86
	s_waitcnt lgkmcnt(0)
	s_barrier
	s_and_saveexec_b64 s[2:3], vcc
	s_cbranch_execz .LBB27_34
; %bb.32:
	s_waitcnt vmcnt(11)
	ds_write_b64 v84, v[22:23]
	s_waitcnt vmcnt(5)
	ds_write2_b64 v85, v[24:25], v[42:43] offset0:7 offset1:8
	s_waitcnt vmcnt(3)
	ds_write2_b64 v85, v[44:45], v[46:47] offset0:9 offset1:10
	;; [unrolled: 2-line block ×3, first 2 shown]
	s_waitcnt vmcnt(0)
	ds_write_b64 v85, v[56:57] offset:104
	ds_read_b64 v[70:71], v84
	s_waitcnt lgkmcnt(0)
	v_cmp_neq_f64_e32 vcc, 0, v[70:71]
	s_and_b64 exec, exec, vcc
	s_cbranch_execz .LBB27_34
; %bb.33:
	v_div_scale_f64 v[72:73], s[6:7], v[70:71], v[70:71], 1.0
	v_rcp_f64_e32 v[74:75], v[72:73]
	v_div_scale_f64 v[76:77], vcc, 1.0, v[70:71], 1.0
	v_fma_f64 v[78:79], -v[72:73], v[74:75], 1.0
	v_fmac_f64_e32 v[74:75], v[74:75], v[78:79]
	v_fma_f64 v[78:79], -v[72:73], v[74:75], 1.0
	v_fmac_f64_e32 v[74:75], v[74:75], v[78:79]
	v_mul_f64 v[78:79], v[76:77], v[74:75]
	v_fma_f64 v[72:73], -v[72:73], v[78:79], v[76:77]
	v_div_fmas_f64 v[72:73], v[72:73], v[74:75], v[78:79]
	v_div_fixup_f64 v[70:71], v[72:73], v[70:71], 1.0
	ds_write_b64 v84, v[70:71]
.LBB27_34:
	s_or_b64 exec, exec, s[2:3]
	s_waitcnt lgkmcnt(0)
	s_barrier
	ds_read_b64 v[70:71], v84
	v_cmp_lt_u32_e32 vcc, 6, v86
	s_and_saveexec_b64 s[2:3], vcc
	s_cbranch_execz .LBB27_36
; %bb.35:
	ds_read2_b64 v[72:75], v85 offset0:7 offset1:8
	ds_read2_b64 v[76:79], v85 offset0:9 offset1:10
	s_waitcnt vmcnt(11) lgkmcnt(2)
	v_mul_f64 v[22:23], v[22:23], v[70:71]
	ds_read2_b64 v[80:83], v85 offset0:11 offset1:12
	s_waitcnt vmcnt(10) lgkmcnt(2)
	v_fma_f64 v[24:25], -v[22:23], v[72:73], v[24:25]
	ds_read_b64 v[72:73], v85 offset:104
	s_waitcnt vmcnt(5)
	v_fma_f64 v[42:43], -v[22:23], v[74:75], v[42:43]
	s_waitcnt vmcnt(4) lgkmcnt(2)
	v_fma_f64 v[44:45], -v[22:23], v[76:77], v[44:45]
	s_waitcnt vmcnt(3)
	v_fma_f64 v[46:47], -v[22:23], v[78:79], v[46:47]
	s_waitcnt vmcnt(2) lgkmcnt(1)
	v_fma_f64 v[48:49], -v[22:23], v[80:81], v[48:49]
	s_waitcnt vmcnt(1)
	v_fma_f64 v[54:55], -v[22:23], v[82:83], v[54:55]
	s_waitcnt vmcnt(0) lgkmcnt(0)
	v_fma_f64 v[56:57], -v[22:23], v[72:73], v[56:57]
.LBB27_36:
	s_or_b64 exec, exec, s[2:3]
	v_cmp_eq_u32_e32 vcc, 7, v86
	s_waitcnt lgkmcnt(0)
	s_barrier
	s_and_saveexec_b64 s[2:3], vcc
	s_cbranch_execz .LBB27_39
; %bb.37:
	s_waitcnt vmcnt(10)
	ds_write_b64 v84, v[24:25]
	s_waitcnt vmcnt(4)
	ds_write2_b64 v85, v[42:43], v[44:45] offset0:8 offset1:9
	s_waitcnt vmcnt(2)
	ds_write2_b64 v85, v[46:47], v[48:49] offset0:10 offset1:11
	;; [unrolled: 2-line block ×3, first 2 shown]
	ds_read_b64 v[72:73], v84
	s_waitcnt lgkmcnt(0)
	v_cmp_neq_f64_e32 vcc, 0, v[72:73]
	s_and_b64 exec, exec, vcc
	s_cbranch_execz .LBB27_39
; %bb.38:
	v_div_scale_f64 v[74:75], s[6:7], v[72:73], v[72:73], 1.0
	v_rcp_f64_e32 v[76:77], v[74:75]
	v_div_scale_f64 v[78:79], vcc, 1.0, v[72:73], 1.0
	v_fma_f64 v[80:81], -v[74:75], v[76:77], 1.0
	v_fmac_f64_e32 v[76:77], v[76:77], v[80:81]
	v_fma_f64 v[80:81], -v[74:75], v[76:77], 1.0
	v_fmac_f64_e32 v[76:77], v[76:77], v[80:81]
	v_mul_f64 v[80:81], v[78:79], v[76:77]
	v_fma_f64 v[74:75], -v[74:75], v[80:81], v[78:79]
	v_div_fmas_f64 v[74:75], v[74:75], v[76:77], v[80:81]
	v_div_fixup_f64 v[72:73], v[74:75], v[72:73], 1.0
	ds_write_b64 v84, v[72:73]
.LBB27_39:
	s_or_b64 exec, exec, s[2:3]
	s_waitcnt lgkmcnt(0)
	s_barrier
	ds_read_b64 v[72:73], v84
	v_cmp_lt_u32_e32 vcc, 7, v86
	s_and_saveexec_b64 s[2:3], vcc
	s_cbranch_execz .LBB27_41
; %bb.40:
	ds_read2_b64 v[74:77], v85 offset0:8 offset1:9
	ds_read2_b64 v[78:81], v85 offset0:10 offset1:11
	ds_read2_b64 v[88:91], v85 offset0:12 offset1:13
	s_waitcnt vmcnt(10) lgkmcnt(3)
	v_mul_f64 v[24:25], v[24:25], v[72:73]
	s_waitcnt vmcnt(5) lgkmcnt(2)
	v_fma_f64 v[42:43], -v[24:25], v[74:75], v[42:43]
	s_waitcnt vmcnt(4)
	v_fma_f64 v[44:45], -v[24:25], v[76:77], v[44:45]
	s_waitcnt vmcnt(3) lgkmcnt(1)
	v_fma_f64 v[46:47], -v[24:25], v[78:79], v[46:47]
	s_waitcnt vmcnt(2)
	v_fma_f64 v[48:49], -v[24:25], v[80:81], v[48:49]
	s_waitcnt vmcnt(1) lgkmcnt(0)
	v_fma_f64 v[54:55], -v[24:25], v[88:89], v[54:55]
	s_waitcnt vmcnt(0)
	v_fma_f64 v[56:57], -v[24:25], v[90:91], v[56:57]
.LBB27_41:
	s_or_b64 exec, exec, s[2:3]
	v_cmp_eq_u32_e32 vcc, 8, v86
	s_waitcnt lgkmcnt(0)
	s_barrier
	s_and_saveexec_b64 s[2:3], vcc
	s_cbranch_execz .LBB27_44
; %bb.42:
	s_waitcnt vmcnt(5)
	ds_write_b64 v84, v[42:43]
	s_waitcnt vmcnt(3)
	ds_write2_b64 v85, v[44:45], v[46:47] offset0:9 offset1:10
	s_waitcnt vmcnt(1)
	ds_write2_b64 v85, v[48:49], v[54:55] offset0:11 offset1:12
	s_waitcnt vmcnt(0)
	ds_write_b64 v85, v[56:57] offset:104
	ds_read_b64 v[74:75], v84
	s_waitcnt lgkmcnt(0)
	v_cmp_neq_f64_e32 vcc, 0, v[74:75]
	s_and_b64 exec, exec, vcc
	s_cbranch_execz .LBB27_44
; %bb.43:
	v_div_scale_f64 v[76:77], s[6:7], v[74:75], v[74:75], 1.0
	v_rcp_f64_e32 v[78:79], v[76:77]
	v_div_scale_f64 v[80:81], vcc, 1.0, v[74:75], 1.0
	v_fma_f64 v[82:83], -v[76:77], v[78:79], 1.0
	v_fmac_f64_e32 v[78:79], v[78:79], v[82:83]
	v_fma_f64 v[82:83], -v[76:77], v[78:79], 1.0
	v_fmac_f64_e32 v[78:79], v[78:79], v[82:83]
	v_mul_f64 v[82:83], v[80:81], v[78:79]
	v_fma_f64 v[76:77], -v[76:77], v[82:83], v[80:81]
	v_div_fmas_f64 v[76:77], v[76:77], v[78:79], v[82:83]
	v_div_fixup_f64 v[74:75], v[76:77], v[74:75], 1.0
	ds_write_b64 v84, v[74:75]
.LBB27_44:
	s_or_b64 exec, exec, s[2:3]
	s_waitcnt lgkmcnt(0)
	s_barrier
	ds_read_b64 v[74:75], v84
	v_cmp_lt_u32_e32 vcc, 8, v86
	s_and_saveexec_b64 s[2:3], vcc
	s_cbranch_execz .LBB27_46
; %bb.45:
	ds_read2_b64 v[76:79], v85 offset0:9 offset1:10
	ds_read2_b64 v[80:83], v85 offset0:11 offset1:12
	ds_read_b64 v[88:89], v85 offset:104
	s_waitcnt vmcnt(5) lgkmcnt(3)
	v_mul_f64 v[42:43], v[42:43], v[74:75]
	s_waitcnt vmcnt(4) lgkmcnt(2)
	v_fma_f64 v[44:45], -v[42:43], v[76:77], v[44:45]
	s_waitcnt vmcnt(3)
	v_fma_f64 v[46:47], -v[42:43], v[78:79], v[46:47]
	s_waitcnt vmcnt(2) lgkmcnt(1)
	v_fma_f64 v[48:49], -v[42:43], v[80:81], v[48:49]
	s_waitcnt vmcnt(1)
	v_fma_f64 v[54:55], -v[42:43], v[82:83], v[54:55]
	s_waitcnt vmcnt(0) lgkmcnt(0)
	v_fma_f64 v[56:57], -v[42:43], v[88:89], v[56:57]
.LBB27_46:
	s_or_b64 exec, exec, s[2:3]
	v_cmp_eq_u32_e32 vcc, 9, v86
	s_waitcnt lgkmcnt(0)
	s_barrier
	s_and_saveexec_b64 s[2:3], vcc
	s_cbranch_execz .LBB27_49
; %bb.47:
	s_waitcnt vmcnt(4)
	ds_write_b64 v84, v[44:45]
	s_waitcnt vmcnt(2)
	ds_write2_b64 v85, v[46:47], v[48:49] offset0:10 offset1:11
	s_waitcnt vmcnt(0)
	ds_write2_b64 v85, v[54:55], v[56:57] offset0:12 offset1:13
	ds_read_b64 v[76:77], v84
	s_waitcnt lgkmcnt(0)
	v_cmp_neq_f64_e32 vcc, 0, v[76:77]
	s_and_b64 exec, exec, vcc
	s_cbranch_execz .LBB27_49
; %bb.48:
	v_div_scale_f64 v[78:79], s[6:7], v[76:77], v[76:77], 1.0
	v_rcp_f64_e32 v[80:81], v[78:79]
	v_div_scale_f64 v[82:83], vcc, 1.0, v[76:77], 1.0
	v_fma_f64 v[88:89], -v[78:79], v[80:81], 1.0
	v_fmac_f64_e32 v[80:81], v[80:81], v[88:89]
	v_fma_f64 v[88:89], -v[78:79], v[80:81], 1.0
	v_fmac_f64_e32 v[80:81], v[80:81], v[88:89]
	v_mul_f64 v[88:89], v[82:83], v[80:81]
	v_fma_f64 v[78:79], -v[78:79], v[88:89], v[82:83]
	v_div_fmas_f64 v[78:79], v[78:79], v[80:81], v[88:89]
	v_div_fixup_f64 v[76:77], v[78:79], v[76:77], 1.0
	ds_write_b64 v84, v[76:77]
.LBB27_49:
	s_or_b64 exec, exec, s[2:3]
	s_waitcnt lgkmcnt(0)
	s_barrier
	ds_read_b64 v[76:77], v84
	v_cmp_lt_u32_e32 vcc, 9, v86
	s_and_saveexec_b64 s[2:3], vcc
	s_cbranch_execz .LBB27_51
; %bb.50:
	ds_read2_b64 v[78:81], v85 offset0:10 offset1:11
	ds_read2_b64 v[88:91], v85 offset0:12 offset1:13
	s_waitcnt vmcnt(4) lgkmcnt(2)
	v_mul_f64 v[44:45], v[44:45], v[76:77]
	s_waitcnt vmcnt(3) lgkmcnt(1)
	v_fma_f64 v[46:47], -v[44:45], v[78:79], v[46:47]
	s_waitcnt vmcnt(2)
	v_fma_f64 v[48:49], -v[44:45], v[80:81], v[48:49]
	s_waitcnt vmcnt(1) lgkmcnt(0)
	v_fma_f64 v[54:55], -v[44:45], v[88:89], v[54:55]
	s_waitcnt vmcnt(0)
	v_fma_f64 v[56:57], -v[44:45], v[90:91], v[56:57]
.LBB27_51:
	s_or_b64 exec, exec, s[2:3]
	v_cmp_eq_u32_e32 vcc, 10, v86
	s_waitcnt lgkmcnt(0)
	s_barrier
	s_and_saveexec_b64 s[2:3], vcc
	s_cbranch_execz .LBB27_54
; %bb.52:
	s_waitcnt vmcnt(3)
	ds_write_b64 v84, v[46:47]
	s_waitcnt vmcnt(1)
	ds_write2_b64 v85, v[48:49], v[54:55] offset0:11 offset1:12
	s_waitcnt vmcnt(0)
	ds_write_b64 v85, v[56:57] offset:104
	ds_read_b64 v[78:79], v84
	s_waitcnt lgkmcnt(0)
	v_cmp_neq_f64_e32 vcc, 0, v[78:79]
	s_and_b64 exec, exec, vcc
	s_cbranch_execz .LBB27_54
; %bb.53:
	v_div_scale_f64 v[80:81], s[6:7], v[78:79], v[78:79], 1.0
	v_rcp_f64_e32 v[82:83], v[80:81]
	v_div_scale_f64 v[88:89], vcc, 1.0, v[78:79], 1.0
	v_fma_f64 v[90:91], -v[80:81], v[82:83], 1.0
	v_fmac_f64_e32 v[82:83], v[82:83], v[90:91]
	v_fma_f64 v[90:91], -v[80:81], v[82:83], 1.0
	v_fmac_f64_e32 v[82:83], v[82:83], v[90:91]
	v_mul_f64 v[90:91], v[88:89], v[82:83]
	v_fma_f64 v[80:81], -v[80:81], v[90:91], v[88:89]
	v_div_fmas_f64 v[80:81], v[80:81], v[82:83], v[90:91]
	v_div_fixup_f64 v[78:79], v[80:81], v[78:79], 1.0
	ds_write_b64 v84, v[78:79]
.LBB27_54:
	s_or_b64 exec, exec, s[2:3]
	s_waitcnt lgkmcnt(0)
	s_barrier
	ds_read_b64 v[78:79], v84
	v_cmp_lt_u32_e32 vcc, 10, v86
	s_and_saveexec_b64 s[2:3], vcc
	s_cbranch_execz .LBB27_56
; %bb.55:
	ds_read2_b64 v[80:83], v85 offset0:11 offset1:12
	ds_read_b64 v[88:89], v85 offset:104
	s_waitcnt vmcnt(3) lgkmcnt(2)
	v_mul_f64 v[46:47], v[46:47], v[78:79]
	s_waitcnt vmcnt(2) lgkmcnt(1)
	v_fma_f64 v[48:49], -v[46:47], v[80:81], v[48:49]
	s_waitcnt vmcnt(1)
	v_fma_f64 v[54:55], -v[46:47], v[82:83], v[54:55]
	s_waitcnt vmcnt(0) lgkmcnt(0)
	v_fma_f64 v[56:57], -v[46:47], v[88:89], v[56:57]
.LBB27_56:
	s_or_b64 exec, exec, s[2:3]
	v_cmp_eq_u32_e32 vcc, 11, v86
	s_waitcnt lgkmcnt(0)
	s_barrier
	s_and_saveexec_b64 s[2:3], vcc
	s_cbranch_execz .LBB27_59
; %bb.57:
	s_waitcnt vmcnt(2)
	ds_write_b64 v84, v[48:49]
	s_waitcnt vmcnt(0)
	ds_write2_b64 v85, v[54:55], v[56:57] offset0:12 offset1:13
	ds_read_b64 v[80:81], v84
	s_waitcnt lgkmcnt(0)
	v_cmp_neq_f64_e32 vcc, 0, v[80:81]
	s_and_b64 exec, exec, vcc
	s_cbranch_execz .LBB27_59
; %bb.58:
	v_div_scale_f64 v[82:83], s[6:7], v[80:81], v[80:81], 1.0
	v_rcp_f64_e32 v[88:89], v[82:83]
	v_div_scale_f64 v[90:91], vcc, 1.0, v[80:81], 1.0
	v_fma_f64 v[92:93], -v[82:83], v[88:89], 1.0
	v_fmac_f64_e32 v[88:89], v[88:89], v[92:93]
	v_fma_f64 v[92:93], -v[82:83], v[88:89], 1.0
	v_fmac_f64_e32 v[88:89], v[88:89], v[92:93]
	v_mul_f64 v[92:93], v[90:91], v[88:89]
	v_fma_f64 v[82:83], -v[82:83], v[92:93], v[90:91]
	v_div_fmas_f64 v[82:83], v[82:83], v[88:89], v[92:93]
	v_div_fixup_f64 v[80:81], v[82:83], v[80:81], 1.0
	ds_write_b64 v84, v[80:81]
.LBB27_59:
	s_or_b64 exec, exec, s[2:3]
	s_waitcnt lgkmcnt(0)
	s_barrier
	ds_read_b64 v[80:81], v84
	v_cmp_lt_u32_e32 vcc, 11, v86
	s_and_saveexec_b64 s[2:3], vcc
	s_cbranch_execz .LBB27_61
; %bb.60:
	ds_read2_b64 v[88:91], v85 offset0:12 offset1:13
	s_waitcnt vmcnt(2) lgkmcnt(1)
	v_mul_f64 v[48:49], v[48:49], v[80:81]
	s_waitcnt vmcnt(1) lgkmcnt(0)
	v_fma_f64 v[54:55], -v[48:49], v[88:89], v[54:55]
	s_waitcnt vmcnt(0)
	v_fma_f64 v[56:57], -v[48:49], v[90:91], v[56:57]
.LBB27_61:
	s_or_b64 exec, exec, s[2:3]
	v_cmp_eq_u32_e32 vcc, 12, v86
	s_waitcnt lgkmcnt(0)
	s_barrier
	s_and_saveexec_b64 s[2:3], vcc
	s_cbranch_execz .LBB27_64
; %bb.62:
	s_waitcnt vmcnt(1)
	ds_write_b64 v84, v[54:55]
	s_waitcnt vmcnt(0)
	ds_write_b64 v85, v[56:57] offset:104
	ds_read_b64 v[82:83], v84
	s_waitcnt lgkmcnt(0)
	v_cmp_neq_f64_e32 vcc, 0, v[82:83]
	s_and_b64 exec, exec, vcc
	s_cbranch_execz .LBB27_64
; %bb.63:
	v_div_scale_f64 v[88:89], s[6:7], v[82:83], v[82:83], 1.0
	v_rcp_f64_e32 v[90:91], v[88:89]
	v_div_scale_f64 v[92:93], vcc, 1.0, v[82:83], 1.0
	v_fma_f64 v[94:95], -v[88:89], v[90:91], 1.0
	v_fmac_f64_e32 v[90:91], v[90:91], v[94:95]
	v_fma_f64 v[94:95], -v[88:89], v[90:91], 1.0
	v_fmac_f64_e32 v[90:91], v[90:91], v[94:95]
	v_mul_f64 v[94:95], v[92:93], v[90:91]
	v_fma_f64 v[88:89], -v[88:89], v[94:95], v[92:93]
	v_div_fmas_f64 v[88:89], v[88:89], v[90:91], v[94:95]
	v_div_fixup_f64 v[82:83], v[88:89], v[82:83], 1.0
	ds_write_b64 v84, v[82:83]
.LBB27_64:
	s_or_b64 exec, exec, s[2:3]
	s_waitcnt lgkmcnt(0)
	s_barrier
	ds_read_b64 v[82:83], v84
	v_cmp_lt_u32_e32 vcc, 12, v86
	s_and_saveexec_b64 s[2:3], vcc
	s_cbranch_execz .LBB27_66
; %bb.65:
	ds_read_b64 v[88:89], v85 offset:104
	s_waitcnt vmcnt(1) lgkmcnt(1)
	v_mul_f64 v[54:55], v[54:55], v[82:83]
	s_waitcnt vmcnt(0) lgkmcnt(0)
	v_fma_f64 v[56:57], -v[54:55], v[88:89], v[56:57]
.LBB27_66:
	s_or_b64 exec, exec, s[2:3]
	v_cmp_ne_u32_e32 vcc, 13, v86
	s_waitcnt lgkmcnt(0)
	s_barrier
	s_and_saveexec_b64 s[2:3], vcc
	s_xor_b64 s[2:3], exec, s[2:3]
	s_andn2_saveexec_b64 s[2:3], s[2:3]
	s_cbranch_execz .LBB27_70
; %bb.67:
	s_waitcnt vmcnt(0)
	v_cmp_neq_f64_e32 vcc, 0, v[56:57]
	ds_write_b64 v84, v[56:57]
	s_and_saveexec_b64 s[6:7], vcc
	s_cbranch_execz .LBB27_69
; %bb.68:
	v_div_scale_f64 v[88:89], s[8:9], v[56:57], v[56:57], 1.0
	v_rcp_f64_e32 v[90:91], v[88:89]
	v_div_scale_f64 v[92:93], vcc, 1.0, v[56:57], 1.0
	v_fma_f64 v[94:95], -v[88:89], v[90:91], 1.0
	v_fmac_f64_e32 v[90:91], v[90:91], v[94:95]
	v_fma_f64 v[94:95], -v[88:89], v[90:91], 1.0
	v_fmac_f64_e32 v[90:91], v[90:91], v[94:95]
	v_mul_f64 v[94:95], v[92:93], v[90:91]
	v_fma_f64 v[88:89], -v[88:89], v[94:95], v[92:93]
	v_div_fmas_f64 v[88:89], v[88:89], v[90:91], v[94:95]
	v_div_fixup_f64 v[88:89], v[88:89], v[56:57], 1.0
	ds_write_b64 v84, v[88:89]
.LBB27_69:
	s_or_b64 exec, exec, s[6:7]
.LBB27_70:
	s_or_b64 exec, exec, s[2:3]
	s_waitcnt lgkmcnt(0)
	s_barrier
	ds_read_b64 v[84:85], v84
	s_waitcnt lgkmcnt(0)
	s_barrier
	s_and_saveexec_b64 s[28:29], s[0:1]
	s_cbranch_execz .LBB27_73
; %bb.71:
	s_load_dwordx2 s[0:1], s[4:5], 0x28
	v_lshlrev_b64 v[2:3], 2, v[2:3]
	v_cmp_eq_f64_e64 s[2:3], 0, v[62:63]
	v_cmp_eq_f64_e64 s[4:5], 0, v[64:65]
	;; [unrolled: 1-line block ×3, first 2 shown]
	s_waitcnt lgkmcnt(0)
	v_mov_b32_e32 v87, s1
	v_add_co_u32_e32 v2, vcc, s0, v2
	v_addc_co_u32_e32 v3, vcc, v87, v3, vcc
	global_load_dword v87, v[2:3], off
	v_cmp_eq_f64_e32 vcc, 0, v[58:59]
	v_cmp_neq_f64_e64 s[0:1], 0, v[60:61]
	v_cndmask_b32_e64 v58, 0, 1, vcc
	s_or_b64 vcc, s[0:1], vcc
	v_cndmask_b32_e32 v58, 2, v58, vcc
	v_cmp_eq_u32_e32 vcc, 0, v58
	s_and_b64 s[0:1], s[2:3], vcc
	v_cndmask_b32_e64 v58, v58, 3, s[0:1]
	v_cmp_eq_u32_e32 vcc, 0, v58
	s_and_b64 s[0:1], s[4:5], vcc
	v_cndmask_b32_e64 v58, v58, 4, s[0:1]
	;; [unrolled: 3-line block ×3, first 2 shown]
	v_cmp_eq_f64_e64 s[8:9], 0, v[68:69]
	v_cmp_eq_u32_e32 vcc, 0, v58
	s_and_b64 s[0:1], s[8:9], vcc
	v_cndmask_b32_e64 v58, v58, 6, s[0:1]
	v_cmp_eq_f64_e64 s[10:11], 0, v[70:71]
	v_cmp_eq_u32_e32 vcc, 0, v58
	s_and_b64 s[0:1], s[10:11], vcc
	v_cndmask_b32_e64 v58, v58, 7, s[0:1]
	;; [unrolled: 4-line block ×9, first 2 shown]
	v_cmp_ne_u32_e64 s[0:1], 0, v58
	s_waitcnt vmcnt(0)
	v_cmp_eq_u32_e32 vcc, 0, v87
	s_and_b64 s[0:1], vcc, s[0:1]
	s_and_b64 exec, exec, s[0:1]
	s_cbranch_execz .LBB27_73
; %bb.72:
	v_add_u32_e32 v58, s27, v58
	global_store_dword v[2:3], v58, off
.LBB27_73:
	s_or_b64 exec, exec, s[28:29]
	s_waitcnt vmcnt(0)
	v_mul_f64 v[2:3], v[56:57], v[84:85]
	v_cmp_lt_u32_e32 vcc, 13, v86
	v_cndmask_b32_e32 v3, v57, v3, vcc
	v_cndmask_b32_e32 v2, v56, v2, vcc
	global_store_dwordx2 v[0:1], v[30:31], off
	global_store_dwordx2 v[26:27], v[32:33], off
	;; [unrolled: 1-line block ×14, first 2 shown]
.LBB27_74:
	s_endpgm
	.section	.rodata,"a",@progbits
	.p2align	6, 0x0
	.amdhsa_kernel _ZN9rocsolver6v33100L23getf2_npvt_small_kernelILi14EdiiPKPdEEvT1_T3_lS5_lPT2_S5_S5_
		.amdhsa_group_segment_fixed_size 0
		.amdhsa_private_segment_fixed_size 0
		.amdhsa_kernarg_size 312
		.amdhsa_user_sgpr_count 6
		.amdhsa_user_sgpr_private_segment_buffer 1
		.amdhsa_user_sgpr_dispatch_ptr 0
		.amdhsa_user_sgpr_queue_ptr 0
		.amdhsa_user_sgpr_kernarg_segment_ptr 1
		.amdhsa_user_sgpr_dispatch_id 0
		.amdhsa_user_sgpr_flat_scratch_init 0
		.amdhsa_user_sgpr_kernarg_preload_length 0
		.amdhsa_user_sgpr_kernarg_preload_offset 0
		.amdhsa_user_sgpr_private_segment_size 0
		.amdhsa_uses_dynamic_stack 0
		.amdhsa_system_sgpr_private_segment_wavefront_offset 0
		.amdhsa_system_sgpr_workgroup_id_x 1
		.amdhsa_system_sgpr_workgroup_id_y 1
		.amdhsa_system_sgpr_workgroup_id_z 0
		.amdhsa_system_sgpr_workgroup_info 0
		.amdhsa_system_vgpr_workitem_id 1
		.amdhsa_next_free_vgpr 96
		.amdhsa_next_free_sgpr 30
		.amdhsa_accum_offset 96
		.amdhsa_reserve_vcc 1
		.amdhsa_reserve_flat_scratch 0
		.amdhsa_float_round_mode_32 0
		.amdhsa_float_round_mode_16_64 0
		.amdhsa_float_denorm_mode_32 3
		.amdhsa_float_denorm_mode_16_64 3
		.amdhsa_dx10_clamp 1
		.amdhsa_ieee_mode 1
		.amdhsa_fp16_overflow 0
		.amdhsa_tg_split 0
		.amdhsa_exception_fp_ieee_invalid_op 0
		.amdhsa_exception_fp_denorm_src 0
		.amdhsa_exception_fp_ieee_div_zero 0
		.amdhsa_exception_fp_ieee_overflow 0
		.amdhsa_exception_fp_ieee_underflow 0
		.amdhsa_exception_fp_ieee_inexact 0
		.amdhsa_exception_int_div_zero 0
	.end_amdhsa_kernel
	.section	.text._ZN9rocsolver6v33100L23getf2_npvt_small_kernelILi14EdiiPKPdEEvT1_T3_lS5_lPT2_S5_S5_,"axG",@progbits,_ZN9rocsolver6v33100L23getf2_npvt_small_kernelILi14EdiiPKPdEEvT1_T3_lS5_lPT2_S5_S5_,comdat
.Lfunc_end27:
	.size	_ZN9rocsolver6v33100L23getf2_npvt_small_kernelILi14EdiiPKPdEEvT1_T3_lS5_lPT2_S5_S5_, .Lfunc_end27-_ZN9rocsolver6v33100L23getf2_npvt_small_kernelILi14EdiiPKPdEEvT1_T3_lS5_lPT2_S5_S5_
                                        ; -- End function
	.section	.AMDGPU.csdata,"",@progbits
; Kernel info:
; codeLenInByte = 5764
; NumSgprs: 34
; NumVgprs: 96
; NumAgprs: 0
; TotalNumVgprs: 96
; ScratchSize: 0
; MemoryBound: 0
; FloatMode: 240
; IeeeMode: 1
; LDSByteSize: 0 bytes/workgroup (compile time only)
; SGPRBlocks: 4
; VGPRBlocks: 11
; NumSGPRsForWavesPerEU: 34
; NumVGPRsForWavesPerEU: 96
; AccumOffset: 96
; Occupancy: 5
; WaveLimiterHint : 1
; COMPUTE_PGM_RSRC2:SCRATCH_EN: 0
; COMPUTE_PGM_RSRC2:USER_SGPR: 6
; COMPUTE_PGM_RSRC2:TRAP_HANDLER: 0
; COMPUTE_PGM_RSRC2:TGID_X_EN: 1
; COMPUTE_PGM_RSRC2:TGID_Y_EN: 1
; COMPUTE_PGM_RSRC2:TGID_Z_EN: 0
; COMPUTE_PGM_RSRC2:TIDIG_COMP_CNT: 1
; COMPUTE_PGM_RSRC3_GFX90A:ACCUM_OFFSET: 23
; COMPUTE_PGM_RSRC3_GFX90A:TG_SPLIT: 0
	.section	.text._ZN9rocsolver6v33100L18getf2_small_kernelILi15EdiiPKPdEEvT1_T3_lS5_lPS5_llPT2_S5_S5_S7_l,"axG",@progbits,_ZN9rocsolver6v33100L18getf2_small_kernelILi15EdiiPKPdEEvT1_T3_lS5_lPS5_llPT2_S5_S5_S7_l,comdat
	.globl	_ZN9rocsolver6v33100L18getf2_small_kernelILi15EdiiPKPdEEvT1_T3_lS5_lPS5_llPT2_S5_S5_S7_l ; -- Begin function _ZN9rocsolver6v33100L18getf2_small_kernelILi15EdiiPKPdEEvT1_T3_lS5_lPS5_llPT2_S5_S5_S7_l
	.p2align	8
	.type	_ZN9rocsolver6v33100L18getf2_small_kernelILi15EdiiPKPdEEvT1_T3_lS5_lPS5_llPT2_S5_S5_S7_l,@function
_ZN9rocsolver6v33100L18getf2_small_kernelILi15EdiiPKPdEEvT1_T3_lS5_lPS5_llPT2_S5_S5_S7_l: ; @_ZN9rocsolver6v33100L18getf2_small_kernelILi15EdiiPKPdEEvT1_T3_lS5_lPS5_llPT2_S5_S5_S7_l
; %bb.0:
	s_load_dword s0, s[4:5], 0x6c
	s_load_dwordx2 s[12:13], s[4:5], 0x48
	v_bfe_u32 v34, v0, 10, 10
	s_waitcnt lgkmcnt(0)
	s_lshr_b32 s0, s0, 16
	s_mul_i32 s7, s7, s0
	v_add_u32_e32 v6, s7, v34
	v_cmp_gt_i32_e32 vcc, s12, v6
	s_and_saveexec_b64 s[0:1], vcc
	s_cbranch_execz .LBB28_252
; %bb.1:
	s_load_dwordx4 s[0:3], s[4:5], 0x8
	s_load_dwordx4 s[8:11], s[4:5], 0x50
	v_ashrrev_i32_e32 v7, 31, v6
	v_lshlrev_b64 v[2:3], 3, v[6:7]
	v_pk_mov_b32 v[30:31], 0, 0
	s_waitcnt lgkmcnt(0)
	v_mov_b32_e32 v1, s1
	v_add_co_u32_e32 v2, vcc, s0, v2
	v_addc_co_u32_e32 v3, vcc, v1, v3, vcc
	global_load_dwordx2 v[2:3], v[2:3], off
	s_cmp_eq_u64 s[8:9], 0
	s_cselect_b64 s[6:7], -1, 0
	s_and_b64 vcc, exec, s[6:7]
	s_cbranch_vccnz .LBB28_3
; %bb.2:
	v_mul_lo_u32 v1, v7, s10
	v_mul_lo_u32 v8, v6, s11
	v_mad_u64_u32 v[4:5], s[0:1], v6, s10, 0
	v_add3_u32 v5, v5, v8, v1
	v_lshlrev_b64 v[4:5], 2, v[4:5]
	v_mov_b32_e32 v1, s9
	v_add_co_u32_e32 v30, vcc, s8, v4
	v_addc_co_u32_e32 v31, vcc, v1, v5, vcc
.LBB28_3:
	s_load_dword s8, s[4:5], 0x18
	s_load_dword s12, s[4:5], 0x0
	s_lshl_b64 s[0:1], s[2:3], 3
	v_mov_b32_e32 v1, s1
	s_waitcnt vmcnt(0)
	v_add_co_u32_e32 v40, vcc, s0, v2
	v_and_b32_e32 v43, 0x3ff, v0
	v_addc_co_u32_e32 v41, vcc, v3, v1, vcc
	v_lshlrev_b32_e32 v35, 3, v43
	v_add_co_u32_e32 v4, vcc, v40, v35
	s_waitcnt lgkmcnt(0)
	s_ashr_i32 s9, s8, 31
	v_addc_co_u32_e32 v5, vcc, 0, v41, vcc
	s_lshl_b64 s[10:11], s[8:9], 3
	v_mov_b32_e32 v0, s11
	v_add_co_u32_e32 v8, vcc, s10, v4
	s_add_i32 s9, s8, s8
	v_addc_co_u32_e32 v9, vcc, v5, v0, vcc
	v_add_u32_e32 v0, s9, v43
	v_ashrrev_i32_e32 v1, 31, v0
	v_lshlrev_b64 v[2:3], 3, v[0:1]
	v_add_u32_e32 v14, s8, v0
	v_add_co_u32_e32 v10, vcc, v40, v2
	v_ashrrev_i32_e32 v15, 31, v14
	v_addc_co_u32_e32 v11, vcc, v41, v3, vcc
	v_lshlrev_b64 v[0:1], 3, v[14:15]
	v_add_co_u32_e32 v18, vcc, v40, v0
	v_addc_co_u32_e32 v19, vcc, v41, v1, vcc
	global_load_dwordx2 v[16:17], v[4:5], off
	global_load_dwordx2 v[12:13], v[8:9], off
	global_load_dwordx2 v[2:3], v[10:11], off
	global_load_dwordx2 v[0:1], v[18:19], off
	v_add_u32_e32 v4, s8, v14
	v_ashrrev_i32_e32 v5, 31, v4
	v_lshlrev_b64 v[8:9], 3, v[4:5]
	v_add_u32_e32 v4, s8, v4
	v_add_co_u32_e32 v10, vcc, v40, v8
	v_ashrrev_i32_e32 v5, 31, v4
	v_addc_co_u32_e32 v11, vcc, v41, v9, vcc
	v_lshlrev_b64 v[8:9], 3, v[4:5]
	v_add_u32_e32 v4, s8, v4
	v_add_co_u32_e32 v14, vcc, v40, v8
	v_ashrrev_i32_e32 v5, 31, v4
	v_addc_co_u32_e32 v15, vcc, v41, v9, vcc
	v_lshlrev_b64 v[8:9], 3, v[4:5]
	v_add_u32_e32 v22, s8, v4
	v_add_co_u32_e32 v20, vcc, v40, v8
	v_ashrrev_i32_e32 v23, 31, v22
	v_addc_co_u32_e32 v21, vcc, v41, v9, vcc
	v_lshlrev_b64 v[4:5], 3, v[22:23]
	v_add_co_u32_e32 v26, vcc, v40, v4
	v_addc_co_u32_e32 v27, vcc, v41, v5, vcc
	global_load_dwordx2 v[24:25], v[10:11], off
	global_load_dwordx2 v[18:19], v[14:15], off
	global_load_dwordx2 v[8:9], v[20:21], off
	global_load_dwordx2 v[4:5], v[26:27], off
	v_add_u32_e32 v10, s8, v22
	v_ashrrev_i32_e32 v11, 31, v10
	v_lshlrev_b64 v[14:15], 3, v[10:11]
	v_add_u32_e32 v10, s8, v10
	v_add_co_u32_e32 v20, vcc, v40, v14
	v_ashrrev_i32_e32 v11, 31, v10
	v_addc_co_u32_e32 v21, vcc, v41, v15, vcc
	v_lshlrev_b64 v[14:15], 3, v[10:11]
	v_add_u32_e32 v10, s8, v10
	v_add_co_u32_e32 v26, vcc, v40, v14
	v_ashrrev_i32_e32 v11, 31, v10
	v_addc_co_u32_e32 v27, vcc, v41, v15, vcc
	;; [unrolled: 24-line block ×3, first 2 shown]
	v_lshlrev_b64 v[20:21], 3, v[20:21]
	v_add_co_u32_e32 v44, vcc, v40, v20
	v_addc_co_u32_e32 v45, vcc, v41, v21, vcc
	global_load_dwordx2 v[26:27], v[36:37], off
	global_load_dwordx2 v[20:21], v[38:39], off
	global_load_dwordx2 v[32:33], v[44:45], off
	s_max_i32 s0, s12, 15
	v_mul_lo_u32 v37, s0, v34
	v_lshl_add_u32 v39, v37, 3, 0
	v_add_u32_e32 v34, v39, v35
	s_waitcnt vmcnt(14)
	ds_write_b64 v34, v[16:17]
	s_waitcnt lgkmcnt(0)
	s_barrier
	ds_read_b64 v[34:35], v39
	v_mov_b32_e32 v36, 0
	s_cmp_lt_i32 s12, 2
	v_lshlrev_b32_e32 v38, 3, v37
	s_cbranch_scc1 .LBB28_6
; %bb.4:
	v_add3_u32 v37, v38, 0, 8
	s_mov_b32 s0, 1
	v_mov_b32_e32 v36, 0
.LBB28_5:                               ; =>This Inner Loop Header: Depth=1
	ds_read_b64 v[44:45], v37
	v_mov_b32_e32 v42, s0
	s_add_i32 s0, s0, 1
	v_add_u32_e32 v37, 8, v37
	s_cmp_eq_u32 s12, s0
	s_waitcnt lgkmcnt(0)
	v_cmp_lt_f64_e64 vcc, |v[34:35]|, |v[44:45]|
	v_cndmask_b32_e32 v35, v35, v45, vcc
	v_cndmask_b32_e32 v34, v34, v44, vcc
	;; [unrolled: 1-line block ×3, first 2 shown]
	s_cbranch_scc0 .LBB28_5
.LBB28_6:
	v_cmp_ne_u32_e32 vcc, v43, v36
                                        ; implicit-def: $vgpr37
	s_and_saveexec_b64 s[0:1], vcc
	s_xor_b64 s[0:1], exec, s[0:1]
	s_cbranch_execz .LBB28_12
; %bb.7:
	v_cmp_eq_u32_e32 vcc, 0, v43
	s_and_saveexec_b64 s[2:3], vcc
	s_cbranch_execz .LBB28_11
; %bb.8:
	v_cmp_ne_u32_e32 vcc, 0, v36
	s_xor_b64 s[14:15], s[6:7], -1
	s_and_b64 s[16:17], s[14:15], vcc
	s_and_saveexec_b64 s[14:15], s[16:17]
	s_cbranch_execz .LBB28_10
; %bb.9:
	v_ashrrev_i32_e32 v37, 31, v36
	v_lshlrev_b64 v[42:43], 2, v[36:37]
	v_add_co_u32_e32 v42, vcc, v30, v42
	v_addc_co_u32_e32 v43, vcc, v31, v43, vcc
	flat_load_dword v37, v[42:43]
	flat_load_dword v44, v[30:31]
	s_waitcnt vmcnt(0) lgkmcnt(0)
	flat_store_dword v[30:31], v37
	flat_store_dword v[42:43], v44
.LBB28_10:
	s_or_b64 exec, exec, s[14:15]
	v_mov_b32_e32 v43, v36
.LBB28_11:
	s_or_b64 exec, exec, s[2:3]
	v_mov_b32_e32 v37, v43
                                        ; implicit-def: $vgpr43
.LBB28_12:
	s_or_saveexec_b64 s[0:1], s[0:1]
	v_mov_b32_e32 v42, v37
	s_xor_b64 exec, exec, s[0:1]
	s_cbranch_execz .LBB28_14
; %bb.13:
	v_mov_b32_e32 v37, 0
	v_mov_b32_e32 v42, v43
	s_waitcnt vmcnt(0)
	ds_write2_b64 v39, v[12:13], v[2:3] offset0:1 offset1:2
	ds_write2_b64 v39, v[0:1], v[24:25] offset0:3 offset1:4
	;; [unrolled: 1-line block ×7, first 2 shown]
.LBB28_14:
	s_or_b64 exec, exec, s[0:1]
	s_waitcnt lgkmcnt(0)
	v_cmp_eq_f64_e64 s[0:1], 0, v[34:35]
	v_cmp_lt_i32_e32 vcc, 0, v37
	s_barrier
	s_and_saveexec_b64 s[2:3], vcc
	s_cbranch_execz .LBB28_16
; %bb.15:
	v_div_scale_f64 v[44:45], s[14:15], v[34:35], v[34:35], 1.0
	v_rcp_f64_e32 v[46:47], v[44:45]
	v_div_scale_f64 v[48:49], vcc, 1.0, v[34:35], 1.0
	ds_read2_b64 v[52:55], v39 offset0:5 offset1:6
	v_fma_f64 v[50:51], -v[44:45], v[46:47], 1.0
	v_fmac_f64_e32 v[46:47], v[46:47], v[50:51]
	v_fma_f64 v[50:51], -v[44:45], v[46:47], 1.0
	v_fmac_f64_e32 v[46:47], v[46:47], v[50:51]
	v_mul_f64 v[50:51], v[48:49], v[46:47]
	v_fma_f64 v[44:45], -v[44:45], v[50:51], v[48:49]
	v_div_fmas_f64 v[44:45], v[44:45], v[46:47], v[50:51]
	v_div_fixup_f64 v[48:49], v[44:45], v[34:35], 1.0
	ds_read2_b64 v[44:47], v39 offset0:1 offset1:2
	v_cndmask_b32_e64 v35, v49, v35, s[0:1]
	v_cndmask_b32_e64 v34, v48, v34, s[0:1]
	ds_read2_b64 v[48:51], v39 offset0:3 offset1:4
	v_mul_f64 v[16:17], v[16:17], v[34:35]
	s_waitcnt vmcnt(0) lgkmcnt(0)
	v_fma_f64 v[12:13], -v[16:17], v[44:45], v[12:13]
	v_fma_f64 v[2:3], -v[16:17], v[46:47], v[2:3]
	ds_read2_b64 v[44:47], v39 offset0:7 offset1:8
	v_fma_f64 v[0:1], -v[16:17], v[48:49], v[0:1]
	v_fma_f64 v[24:25], -v[16:17], v[50:51], v[24:25]
	;; [unrolled: 1-line block ×4, first 2 shown]
	ds_read2_b64 v[48:51], v39 offset0:9 offset1:10
	ds_read2_b64 v[52:55], v39 offset0:11 offset1:12
	s_waitcnt lgkmcnt(2)
	v_fma_f64 v[4:5], -v[16:17], v[44:45], v[4:5]
	v_fma_f64 v[28:29], -v[16:17], v[46:47], v[28:29]
	ds_read2_b64 v[44:47], v39 offset0:13 offset1:14
	s_waitcnt lgkmcnt(2)
	v_fma_f64 v[22:23], -v[16:17], v[48:49], v[22:23]
	v_fma_f64 v[14:15], -v[16:17], v[50:51], v[14:15]
	s_waitcnt lgkmcnt(1)
	v_fma_f64 v[10:11], -v[16:17], v[52:53], v[10:11]
	v_fma_f64 v[26:27], -v[16:17], v[54:55], v[26:27]
	;; [unrolled: 3-line block ×3, first 2 shown]
.LBB28_16:
	s_or_b64 exec, exec, s[2:3]
	v_lshl_add_u32 v34, v37, 3, v39
	s_barrier
	s_waitcnt vmcnt(0)
	ds_write_b64 v34, v[12:13]
	s_waitcnt lgkmcnt(0)
	s_barrier
	ds_read_b64 v[34:35], v39 offset:8
	s_cmp_lt_i32 s12, 3
	v_mov_b32_e32 v36, 1
	s_cbranch_scc1 .LBB28_19
; %bb.17:
	v_add3_u32 v43, v38, 0, 16
	s_mov_b32 s2, 2
	v_mov_b32_e32 v36, 1
.LBB28_18:                              ; =>This Inner Loop Header: Depth=1
	ds_read_b64 v[44:45], v43
	v_mov_b32_e32 v46, s2
	s_add_i32 s2, s2, 1
	v_add_u32_e32 v43, 8, v43
	s_cmp_lg_u32 s12, s2
	s_waitcnt lgkmcnt(0)
	v_cmp_lt_f64_e64 vcc, |v[34:35]|, |v[44:45]|
	v_cndmask_b32_e32 v35, v35, v45, vcc
	v_cndmask_b32_e32 v34, v34, v44, vcc
	;; [unrolled: 1-line block ×3, first 2 shown]
	s_cbranch_scc1 .LBB28_18
.LBB28_19:
	v_cmp_ne_u32_e32 vcc, v37, v36
	s_and_saveexec_b64 s[2:3], vcc
	s_xor_b64 s[2:3], exec, s[2:3]
	s_cbranch_execz .LBB28_25
; %bb.20:
	v_cmp_eq_u32_e32 vcc, 1, v37
	s_and_saveexec_b64 s[14:15], vcc
	s_cbranch_execz .LBB28_24
; %bb.21:
	v_cmp_ne_u32_e32 vcc, 1, v36
	s_xor_b64 s[16:17], s[6:7], -1
	s_and_b64 s[18:19], s[16:17], vcc
	s_and_saveexec_b64 s[16:17], s[18:19]
	s_cbranch_execz .LBB28_23
; %bb.22:
	v_ashrrev_i32_e32 v37, 31, v36
	v_lshlrev_b64 v[42:43], 2, v[36:37]
	v_add_co_u32_e32 v42, vcc, v30, v42
	v_addc_co_u32_e32 v43, vcc, v31, v43, vcc
	flat_load_dword v37, v[42:43]
	flat_load_dword v44, v[30:31] offset:4
	s_waitcnt vmcnt(0) lgkmcnt(0)
	flat_store_dword v[30:31], v37 offset:4
	flat_store_dword v[42:43], v44
.LBB28_23:
	s_or_b64 exec, exec, s[16:17]
	v_mov_b32_e32 v42, v36
	v_mov_b32_e32 v37, v36
.LBB28_24:
	s_or_b64 exec, exec, s[14:15]
.LBB28_25:
	s_andn2_saveexec_b64 s[2:3], s[2:3]
	s_cbranch_execz .LBB28_27
; %bb.26:
	v_mov_b32_e32 v37, 1
	ds_write2_b64 v39, v[2:3], v[0:1] offset0:2 offset1:3
	ds_write2_b64 v39, v[24:25], v[18:19] offset0:4 offset1:5
	;; [unrolled: 1-line block ×6, first 2 shown]
	ds_write_b64 v39, v[32:33] offset:112
.LBB28_27:
	s_or_b64 exec, exec, s[2:3]
	s_waitcnt lgkmcnt(0)
	v_cmp_neq_f64_e64 s[2:3], 0, v[34:35]
	v_cmp_lt_i32_e32 vcc, 1, v37
	s_barrier
	s_and_saveexec_b64 s[14:15], vcc
	s_cbranch_execz .LBB28_29
; %bb.28:
	v_div_scale_f64 v[44:45], s[16:17], v[34:35], v[34:35], 1.0
	v_rcp_f64_e32 v[46:47], v[44:45]
	v_div_scale_f64 v[48:49], vcc, 1.0, v[34:35], 1.0
	ds_read2_b64 v[52:55], v39 offset0:6 offset1:7
	v_fma_f64 v[50:51], -v[44:45], v[46:47], 1.0
	v_fmac_f64_e32 v[46:47], v[46:47], v[50:51]
	v_fma_f64 v[50:51], -v[44:45], v[46:47], 1.0
	v_fmac_f64_e32 v[46:47], v[46:47], v[50:51]
	v_mul_f64 v[50:51], v[48:49], v[46:47]
	v_fma_f64 v[44:45], -v[44:45], v[50:51], v[48:49]
	v_div_fmas_f64 v[44:45], v[44:45], v[46:47], v[50:51]
	v_div_fixup_f64 v[48:49], v[44:45], v[34:35], 1.0
	ds_read2_b64 v[44:47], v39 offset0:2 offset1:3
	v_cndmask_b32_e64 v35, v35, v49, s[2:3]
	v_cndmask_b32_e64 v34, v34, v48, s[2:3]
	ds_read2_b64 v[48:51], v39 offset0:4 offset1:5
	v_mul_f64 v[12:13], v[12:13], v[34:35]
	s_waitcnt lgkmcnt(0)
	v_fma_f64 v[2:3], -v[12:13], v[44:45], v[2:3]
	v_fma_f64 v[0:1], -v[12:13], v[46:47], v[0:1]
	ds_read2_b64 v[44:47], v39 offset0:8 offset1:9
	v_fma_f64 v[24:25], -v[12:13], v[48:49], v[24:25]
	v_fma_f64 v[18:19], -v[12:13], v[50:51], v[18:19]
	;; [unrolled: 1-line block ×4, first 2 shown]
	ds_read2_b64 v[48:51], v39 offset0:10 offset1:11
	ds_read2_b64 v[52:55], v39 offset0:12 offset1:13
	ds_read_b64 v[34:35], v39 offset:112
	s_waitcnt lgkmcnt(0)
	v_fma_f64 v[28:29], -v[12:13], v[44:45], v[28:29]
	v_fma_f64 v[22:23], -v[12:13], v[46:47], v[22:23]
	;; [unrolled: 1-line block ×7, first 2 shown]
.LBB28_29:
	s_or_b64 exec, exec, s[14:15]
	v_lshl_add_u32 v34, v37, 3, v39
	s_barrier
	ds_write_b64 v34, v[2:3]
	s_waitcnt lgkmcnt(0)
	s_barrier
	ds_read_b64 v[34:35], v39 offset:16
	s_mov_b32 s14, 3
	s_cmp_lt_i32 s12, 4
	v_mov_b32_e32 v36, 2
	s_cbranch_scc1 .LBB28_32
; %bb.30:
	v_add3_u32 v43, v38, 0, 24
	v_mov_b32_e32 v36, 2
.LBB28_31:                              ; =>This Inner Loop Header: Depth=1
	ds_read_b64 v[44:45], v43
	v_mov_b32_e32 v46, s14
	s_add_i32 s14, s14, 1
	v_add_u32_e32 v43, 8, v43
	s_cmp_lg_u32 s12, s14
	s_waitcnt lgkmcnt(0)
	v_cmp_lt_f64_e64 vcc, |v[34:35]|, |v[44:45]|
	v_cndmask_b32_e32 v35, v35, v45, vcc
	v_cndmask_b32_e32 v34, v34, v44, vcc
	;; [unrolled: 1-line block ×3, first 2 shown]
	s_cbranch_scc1 .LBB28_31
.LBB28_32:
	v_cndmask_b32_e64 v43, 2, 1, s[0:1]
	v_cndmask_b32_e64 v44, 0, 1, s[0:1]
	;; [unrolled: 1-line block ×3, first 2 shown]
	s_waitcnt lgkmcnt(0)
	v_cmp_eq_f64_e32 vcc, 0, v[34:35]
	s_and_saveexec_b64 s[0:1], vcc
	s_xor_b64 s[0:1], exec, s[0:1]
; %bb.33:
	v_cmp_ne_u32_e32 vcc, 0, v43
	v_cndmask_b32_e32 v43, 3, v43, vcc
; %bb.34:
	s_andn2_saveexec_b64 s[0:1], s[0:1]
; %bb.35:
	v_div_scale_f64 v[44:45], s[2:3], v[34:35], v[34:35], 1.0
	v_rcp_f64_e32 v[46:47], v[44:45]
	v_div_scale_f64 v[48:49], vcc, 1.0, v[34:35], 1.0
	v_fma_f64 v[50:51], -v[44:45], v[46:47], 1.0
	v_fmac_f64_e32 v[46:47], v[46:47], v[50:51]
	v_fma_f64 v[50:51], -v[44:45], v[46:47], 1.0
	v_fmac_f64_e32 v[46:47], v[46:47], v[50:51]
	v_mul_f64 v[50:51], v[48:49], v[46:47]
	v_fma_f64 v[44:45], -v[44:45], v[50:51], v[48:49]
	v_div_fmas_f64 v[44:45], v[44:45], v[46:47], v[50:51]
	v_div_fixup_f64 v[34:35], v[44:45], v[34:35], 1.0
; %bb.36:
	s_or_b64 exec, exec, s[0:1]
	v_cmp_ne_u32_e32 vcc, v37, v36
	s_and_saveexec_b64 s[0:1], vcc
	s_xor_b64 s[0:1], exec, s[0:1]
	s_cbranch_execz .LBB28_42
; %bb.37:
	v_cmp_eq_u32_e32 vcc, 2, v37
	s_and_saveexec_b64 s[2:3], vcc
	s_cbranch_execz .LBB28_41
; %bb.38:
	v_cmp_ne_u32_e32 vcc, 2, v36
	s_xor_b64 s[14:15], s[6:7], -1
	s_and_b64 s[16:17], s[14:15], vcc
	s_and_saveexec_b64 s[14:15], s[16:17]
	s_cbranch_execz .LBB28_40
; %bb.39:
	v_ashrrev_i32_e32 v37, 31, v36
	v_lshlrev_b64 v[44:45], 2, v[36:37]
	v_add_co_u32_e32 v44, vcc, v30, v44
	v_addc_co_u32_e32 v45, vcc, v31, v45, vcc
	flat_load_dword v37, v[44:45]
	flat_load_dword v42, v[30:31] offset:8
	s_waitcnt vmcnt(0) lgkmcnt(0)
	flat_store_dword v[30:31], v37 offset:8
	flat_store_dword v[44:45], v42
.LBB28_40:
	s_or_b64 exec, exec, s[14:15]
	v_mov_b32_e32 v42, v36
	v_mov_b32_e32 v37, v36
.LBB28_41:
	s_or_b64 exec, exec, s[2:3]
.LBB28_42:
	s_andn2_saveexec_b64 s[0:1], s[0:1]
	s_cbranch_execz .LBB28_44
; %bb.43:
	v_mov_b32_e32 v37, 2
	ds_write2_b64 v39, v[0:1], v[24:25] offset0:3 offset1:4
	ds_write2_b64 v39, v[18:19], v[8:9] offset0:5 offset1:6
	;; [unrolled: 1-line block ×6, first 2 shown]
.LBB28_44:
	s_or_b64 exec, exec, s[0:1]
	v_cmp_lt_i32_e32 vcc, 2, v37
	s_waitcnt lgkmcnt(0)
	s_barrier
	s_and_saveexec_b64 s[0:1], vcc
	s_cbranch_execz .LBB28_46
; %bb.45:
	ds_read2_b64 v[44:47], v39 offset0:3 offset1:4
	ds_read2_b64 v[48:51], v39 offset0:5 offset1:6
	;; [unrolled: 1-line block ×3, first 2 shown]
	v_mul_f64 v[2:3], v[2:3], v[34:35]
	s_waitcnt lgkmcnt(0)
	v_fma_f64 v[0:1], -v[2:3], v[44:45], v[0:1]
	v_fma_f64 v[24:25], -v[2:3], v[46:47], v[24:25]
	ds_read2_b64 v[44:47], v39 offset0:9 offset1:10
	v_fma_f64 v[18:19], -v[2:3], v[48:49], v[18:19]
	v_fma_f64 v[8:9], -v[2:3], v[50:51], v[8:9]
	;; [unrolled: 1-line block ×3, first 2 shown]
	ds_read2_b64 v[48:51], v39 offset0:11 offset1:12
	v_fma_f64 v[28:29], -v[2:3], v[54:55], v[28:29]
	ds_read2_b64 v[52:55], v39 offset0:13 offset1:14
	s_waitcnt lgkmcnt(0)
	v_fma_f64 v[22:23], -v[2:3], v[44:45], v[22:23]
	v_fma_f64 v[14:15], -v[2:3], v[46:47], v[14:15]
	;; [unrolled: 1-line block ×6, first 2 shown]
.LBB28_46:
	s_or_b64 exec, exec, s[0:1]
	v_lshl_add_u32 v34, v37, 3, v39
	s_barrier
	ds_write_b64 v34, v[0:1]
	s_waitcnt lgkmcnt(0)
	s_barrier
	ds_read_b64 v[34:35], v39 offset:24
	s_cmp_lt_i32 s12, 5
	v_mov_b32_e32 v36, 3
	s_cbranch_scc1 .LBB28_49
; %bb.47:
	v_add3_u32 v44, v38, 0, 32
	s_mov_b32 s0, 4
	v_mov_b32_e32 v36, 3
.LBB28_48:                              ; =>This Inner Loop Header: Depth=1
	ds_read_b64 v[46:47], v44
	v_mov_b32_e32 v45, s0
	s_add_i32 s0, s0, 1
	v_add_u32_e32 v44, 8, v44
	s_cmp_lg_u32 s12, s0
	s_waitcnt lgkmcnt(0)
	v_cmp_lt_f64_e64 vcc, |v[34:35]|, |v[46:47]|
	v_cndmask_b32_e32 v35, v35, v47, vcc
	v_cndmask_b32_e32 v34, v34, v46, vcc
	;; [unrolled: 1-line block ×3, first 2 shown]
	s_cbranch_scc1 .LBB28_48
.LBB28_49:
	s_waitcnt lgkmcnt(0)
	v_cmp_eq_f64_e32 vcc, 0, v[34:35]
	s_and_saveexec_b64 s[0:1], vcc
	s_xor_b64 s[0:1], exec, s[0:1]
; %bb.50:
	v_cmp_ne_u32_e32 vcc, 0, v43
	v_cndmask_b32_e32 v43, 4, v43, vcc
; %bb.51:
	s_andn2_saveexec_b64 s[0:1], s[0:1]
; %bb.52:
	v_div_scale_f64 v[44:45], s[2:3], v[34:35], v[34:35], 1.0
	v_rcp_f64_e32 v[46:47], v[44:45]
	v_div_scale_f64 v[48:49], vcc, 1.0, v[34:35], 1.0
	v_fma_f64 v[50:51], -v[44:45], v[46:47], 1.0
	v_fmac_f64_e32 v[46:47], v[46:47], v[50:51]
	v_fma_f64 v[50:51], -v[44:45], v[46:47], 1.0
	v_fmac_f64_e32 v[46:47], v[46:47], v[50:51]
	v_mul_f64 v[50:51], v[48:49], v[46:47]
	v_fma_f64 v[44:45], -v[44:45], v[50:51], v[48:49]
	v_div_fmas_f64 v[44:45], v[44:45], v[46:47], v[50:51]
	v_div_fixup_f64 v[34:35], v[44:45], v[34:35], 1.0
; %bb.53:
	s_or_b64 exec, exec, s[0:1]
	v_cmp_ne_u32_e32 vcc, v37, v36
	s_and_saveexec_b64 s[0:1], vcc
	s_xor_b64 s[0:1], exec, s[0:1]
	s_cbranch_execz .LBB28_59
; %bb.54:
	v_cmp_eq_u32_e32 vcc, 3, v37
	s_and_saveexec_b64 s[2:3], vcc
	s_cbranch_execz .LBB28_58
; %bb.55:
	v_cmp_ne_u32_e32 vcc, 3, v36
	s_xor_b64 s[14:15], s[6:7], -1
	s_and_b64 s[16:17], s[14:15], vcc
	s_and_saveexec_b64 s[14:15], s[16:17]
	s_cbranch_execz .LBB28_57
; %bb.56:
	v_ashrrev_i32_e32 v37, 31, v36
	v_lshlrev_b64 v[44:45], 2, v[36:37]
	v_add_co_u32_e32 v44, vcc, v30, v44
	v_addc_co_u32_e32 v45, vcc, v31, v45, vcc
	flat_load_dword v37, v[44:45]
	flat_load_dword v42, v[30:31] offset:12
	s_waitcnt vmcnt(0) lgkmcnt(0)
	flat_store_dword v[30:31], v37 offset:12
	flat_store_dword v[44:45], v42
.LBB28_57:
	s_or_b64 exec, exec, s[14:15]
	v_mov_b32_e32 v42, v36
	v_mov_b32_e32 v37, v36
.LBB28_58:
	s_or_b64 exec, exec, s[2:3]
.LBB28_59:
	s_andn2_saveexec_b64 s[0:1], s[0:1]
	s_cbranch_execz .LBB28_61
; %bb.60:
	v_mov_b32_e32 v37, 3
	ds_write2_b64 v39, v[24:25], v[18:19] offset0:4 offset1:5
	ds_write2_b64 v39, v[8:9], v[4:5] offset0:6 offset1:7
	;; [unrolled: 1-line block ×5, first 2 shown]
	ds_write_b64 v39, v[32:33] offset:112
.LBB28_61:
	s_or_b64 exec, exec, s[0:1]
	v_cmp_lt_i32_e32 vcc, 3, v37
	s_waitcnt lgkmcnt(0)
	s_barrier
	s_and_saveexec_b64 s[0:1], vcc
	s_cbranch_execz .LBB28_63
; %bb.62:
	ds_read2_b64 v[44:47], v39 offset0:4 offset1:5
	ds_read2_b64 v[48:51], v39 offset0:6 offset1:7
	v_mul_f64 v[0:1], v[0:1], v[34:35]
	ds_read2_b64 v[52:55], v39 offset0:8 offset1:9
	ds_read_b64 v[34:35], v39 offset:112
	s_waitcnt lgkmcnt(0)
	v_fma_f64 v[24:25], -v[0:1], v[44:45], v[24:25]
	v_fma_f64 v[18:19], -v[0:1], v[46:47], v[18:19]
	ds_read2_b64 v[44:47], v39 offset0:10 offset1:11
	v_fma_f64 v[8:9], -v[0:1], v[48:49], v[8:9]
	v_fma_f64 v[4:5], -v[0:1], v[50:51], v[4:5]
	ds_read2_b64 v[48:51], v39 offset0:12 offset1:13
	v_fma_f64 v[28:29], -v[0:1], v[52:53], v[28:29]
	v_fma_f64 v[22:23], -v[0:1], v[54:55], v[22:23]
	s_waitcnt lgkmcnt(0)
	v_fma_f64 v[14:15], -v[0:1], v[44:45], v[14:15]
	v_fma_f64 v[10:11], -v[0:1], v[46:47], v[10:11]
	;; [unrolled: 1-line block ×5, first 2 shown]
.LBB28_63:
	s_or_b64 exec, exec, s[0:1]
	v_lshl_add_u32 v34, v37, 3, v39
	s_barrier
	ds_write_b64 v34, v[24:25]
	s_waitcnt lgkmcnt(0)
	s_barrier
	ds_read_b64 v[34:35], v39 offset:32
	s_cmp_lt_i32 s12, 6
	v_mov_b32_e32 v36, 4
	s_cbranch_scc1 .LBB28_66
; %bb.64:
	v_add3_u32 v44, v38, 0, 40
	s_mov_b32 s0, 5
	v_mov_b32_e32 v36, 4
.LBB28_65:                              ; =>This Inner Loop Header: Depth=1
	ds_read_b64 v[46:47], v44
	v_mov_b32_e32 v45, s0
	s_add_i32 s0, s0, 1
	v_add_u32_e32 v44, 8, v44
	s_cmp_lg_u32 s12, s0
	s_waitcnt lgkmcnt(0)
	v_cmp_lt_f64_e64 vcc, |v[34:35]|, |v[46:47]|
	v_cndmask_b32_e32 v35, v35, v47, vcc
	v_cndmask_b32_e32 v34, v34, v46, vcc
	;; [unrolled: 1-line block ×3, first 2 shown]
	s_cbranch_scc1 .LBB28_65
.LBB28_66:
	s_waitcnt lgkmcnt(0)
	v_cmp_eq_f64_e32 vcc, 0, v[34:35]
	s_and_saveexec_b64 s[0:1], vcc
	s_xor_b64 s[0:1], exec, s[0:1]
; %bb.67:
	v_cmp_ne_u32_e32 vcc, 0, v43
	v_cndmask_b32_e32 v43, 5, v43, vcc
; %bb.68:
	s_andn2_saveexec_b64 s[0:1], s[0:1]
; %bb.69:
	v_div_scale_f64 v[44:45], s[2:3], v[34:35], v[34:35], 1.0
	v_rcp_f64_e32 v[46:47], v[44:45]
	v_div_scale_f64 v[48:49], vcc, 1.0, v[34:35], 1.0
	v_fma_f64 v[50:51], -v[44:45], v[46:47], 1.0
	v_fmac_f64_e32 v[46:47], v[46:47], v[50:51]
	v_fma_f64 v[50:51], -v[44:45], v[46:47], 1.0
	v_fmac_f64_e32 v[46:47], v[46:47], v[50:51]
	v_mul_f64 v[50:51], v[48:49], v[46:47]
	v_fma_f64 v[44:45], -v[44:45], v[50:51], v[48:49]
	v_div_fmas_f64 v[44:45], v[44:45], v[46:47], v[50:51]
	v_div_fixup_f64 v[34:35], v[44:45], v[34:35], 1.0
; %bb.70:
	s_or_b64 exec, exec, s[0:1]
	v_cmp_ne_u32_e32 vcc, v37, v36
	s_and_saveexec_b64 s[0:1], vcc
	s_xor_b64 s[0:1], exec, s[0:1]
	s_cbranch_execz .LBB28_76
; %bb.71:
	v_cmp_eq_u32_e32 vcc, 4, v37
	s_and_saveexec_b64 s[2:3], vcc
	s_cbranch_execz .LBB28_75
; %bb.72:
	v_cmp_ne_u32_e32 vcc, 4, v36
	s_xor_b64 s[14:15], s[6:7], -1
	s_and_b64 s[16:17], s[14:15], vcc
	s_and_saveexec_b64 s[14:15], s[16:17]
	s_cbranch_execz .LBB28_74
; %bb.73:
	v_ashrrev_i32_e32 v37, 31, v36
	v_lshlrev_b64 v[44:45], 2, v[36:37]
	v_add_co_u32_e32 v44, vcc, v30, v44
	v_addc_co_u32_e32 v45, vcc, v31, v45, vcc
	flat_load_dword v37, v[44:45]
	flat_load_dword v42, v[30:31] offset:16
	s_waitcnt vmcnt(0) lgkmcnt(0)
	flat_store_dword v[30:31], v37 offset:16
	flat_store_dword v[44:45], v42
.LBB28_74:
	s_or_b64 exec, exec, s[14:15]
	v_mov_b32_e32 v42, v36
	v_mov_b32_e32 v37, v36
.LBB28_75:
	s_or_b64 exec, exec, s[2:3]
.LBB28_76:
	s_andn2_saveexec_b64 s[0:1], s[0:1]
	s_cbranch_execz .LBB28_78
; %bb.77:
	v_mov_b32_e32 v37, 4
	ds_write2_b64 v39, v[18:19], v[8:9] offset0:5 offset1:6
	ds_write2_b64 v39, v[4:5], v[28:29] offset0:7 offset1:8
	;; [unrolled: 1-line block ×5, first 2 shown]
.LBB28_78:
	s_or_b64 exec, exec, s[0:1]
	v_cmp_lt_i32_e32 vcc, 4, v37
	s_waitcnt lgkmcnt(0)
	s_barrier
	s_and_saveexec_b64 s[0:1], vcc
	s_cbranch_execz .LBB28_80
; %bb.79:
	ds_read2_b64 v[44:47], v39 offset0:5 offset1:6
	ds_read2_b64 v[48:51], v39 offset0:7 offset1:8
	v_mul_f64 v[24:25], v[24:25], v[34:35]
	ds_read2_b64 v[52:55], v39 offset0:11 offset1:12
	s_waitcnt lgkmcnt(0)
	v_fma_f64 v[18:19], -v[24:25], v[44:45], v[18:19]
	v_fma_f64 v[8:9], -v[24:25], v[46:47], v[8:9]
	ds_read2_b64 v[44:47], v39 offset0:9 offset1:10
	v_fma_f64 v[4:5], -v[24:25], v[48:49], v[4:5]
	v_fma_f64 v[28:29], -v[24:25], v[50:51], v[28:29]
	ds_read2_b64 v[48:51], v39 offset0:13 offset1:14
	v_fma_f64 v[10:11], -v[24:25], v[52:53], v[10:11]
	s_waitcnt lgkmcnt(0)
	v_fma_f64 v[22:23], -v[24:25], v[44:45], v[22:23]
	v_fma_f64 v[14:15], -v[24:25], v[46:47], v[14:15]
	;; [unrolled: 1-line block ×5, first 2 shown]
.LBB28_80:
	s_or_b64 exec, exec, s[0:1]
	v_lshl_add_u32 v34, v37, 3, v39
	s_barrier
	ds_write_b64 v34, v[18:19]
	s_waitcnt lgkmcnt(0)
	s_barrier
	ds_read_b64 v[34:35], v39 offset:40
	s_cmp_lt_i32 s12, 7
	v_mov_b32_e32 v36, 5
	s_cbranch_scc1 .LBB28_83
; %bb.81:
	v_add3_u32 v44, v38, 0, 48
	s_mov_b32 s0, 6
	v_mov_b32_e32 v36, 5
.LBB28_82:                              ; =>This Inner Loop Header: Depth=1
	ds_read_b64 v[46:47], v44
	v_mov_b32_e32 v45, s0
	s_add_i32 s0, s0, 1
	v_add_u32_e32 v44, 8, v44
	s_cmp_lg_u32 s12, s0
	s_waitcnt lgkmcnt(0)
	v_cmp_lt_f64_e64 vcc, |v[34:35]|, |v[46:47]|
	v_cndmask_b32_e32 v35, v35, v47, vcc
	v_cndmask_b32_e32 v34, v34, v46, vcc
	;; [unrolled: 1-line block ×3, first 2 shown]
	s_cbranch_scc1 .LBB28_82
.LBB28_83:
	s_waitcnt lgkmcnt(0)
	v_cmp_eq_f64_e32 vcc, 0, v[34:35]
	s_and_saveexec_b64 s[0:1], vcc
	s_xor_b64 s[0:1], exec, s[0:1]
; %bb.84:
	v_cmp_ne_u32_e32 vcc, 0, v43
	v_cndmask_b32_e32 v43, 6, v43, vcc
; %bb.85:
	s_andn2_saveexec_b64 s[0:1], s[0:1]
; %bb.86:
	v_div_scale_f64 v[44:45], s[2:3], v[34:35], v[34:35], 1.0
	v_rcp_f64_e32 v[46:47], v[44:45]
	v_div_scale_f64 v[48:49], vcc, 1.0, v[34:35], 1.0
	v_fma_f64 v[50:51], -v[44:45], v[46:47], 1.0
	v_fmac_f64_e32 v[46:47], v[46:47], v[50:51]
	v_fma_f64 v[50:51], -v[44:45], v[46:47], 1.0
	v_fmac_f64_e32 v[46:47], v[46:47], v[50:51]
	v_mul_f64 v[50:51], v[48:49], v[46:47]
	v_fma_f64 v[44:45], -v[44:45], v[50:51], v[48:49]
	v_div_fmas_f64 v[44:45], v[44:45], v[46:47], v[50:51]
	v_div_fixup_f64 v[34:35], v[44:45], v[34:35], 1.0
; %bb.87:
	s_or_b64 exec, exec, s[0:1]
	v_cmp_ne_u32_e32 vcc, v37, v36
	s_and_saveexec_b64 s[0:1], vcc
	s_xor_b64 s[0:1], exec, s[0:1]
	s_cbranch_execz .LBB28_93
; %bb.88:
	v_cmp_eq_u32_e32 vcc, 5, v37
	s_and_saveexec_b64 s[2:3], vcc
	s_cbranch_execz .LBB28_92
; %bb.89:
	v_cmp_ne_u32_e32 vcc, 5, v36
	s_xor_b64 s[14:15], s[6:7], -1
	s_and_b64 s[16:17], s[14:15], vcc
	s_and_saveexec_b64 s[14:15], s[16:17]
	s_cbranch_execz .LBB28_91
; %bb.90:
	v_ashrrev_i32_e32 v37, 31, v36
	v_lshlrev_b64 v[44:45], 2, v[36:37]
	v_add_co_u32_e32 v44, vcc, v30, v44
	v_addc_co_u32_e32 v45, vcc, v31, v45, vcc
	flat_load_dword v37, v[44:45]
	flat_load_dword v42, v[30:31] offset:20
	s_waitcnt vmcnt(0) lgkmcnt(0)
	flat_store_dword v[30:31], v37 offset:20
	flat_store_dword v[44:45], v42
.LBB28_91:
	s_or_b64 exec, exec, s[14:15]
	v_mov_b32_e32 v42, v36
	v_mov_b32_e32 v37, v36
.LBB28_92:
	s_or_b64 exec, exec, s[2:3]
.LBB28_93:
	s_andn2_saveexec_b64 s[0:1], s[0:1]
	s_cbranch_execz .LBB28_95
; %bb.94:
	v_mov_b32_e32 v37, 5
	ds_write2_b64 v39, v[8:9], v[4:5] offset0:6 offset1:7
	ds_write2_b64 v39, v[28:29], v[22:23] offset0:8 offset1:9
	;; [unrolled: 1-line block ×4, first 2 shown]
	ds_write_b64 v39, v[32:33] offset:112
.LBB28_95:
	s_or_b64 exec, exec, s[0:1]
	v_cmp_lt_i32_e32 vcc, 5, v37
	s_waitcnt lgkmcnt(0)
	s_barrier
	s_and_saveexec_b64 s[0:1], vcc
	s_cbranch_execz .LBB28_97
; %bb.96:
	ds_read2_b64 v[44:47], v39 offset0:6 offset1:7
	ds_read2_b64 v[48:51], v39 offset0:8 offset1:9
	v_mul_f64 v[18:19], v[18:19], v[34:35]
	ds_read_b64 v[34:35], v39 offset:112
	ds_read2_b64 v[52:55], v39 offset0:12 offset1:13
	s_waitcnt lgkmcnt(0)
	v_fma_f64 v[8:9], -v[18:19], v[44:45], v[8:9]
	v_fma_f64 v[4:5], -v[18:19], v[46:47], v[4:5]
	ds_read2_b64 v[44:47], v39 offset0:10 offset1:11
	v_fma_f64 v[28:29], -v[18:19], v[48:49], v[28:29]
	v_fma_f64 v[22:23], -v[18:19], v[50:51], v[22:23]
	;; [unrolled: 1-line block ×4, first 2 shown]
	s_waitcnt lgkmcnt(0)
	v_fma_f64 v[14:15], -v[18:19], v[44:45], v[14:15]
	v_fma_f64 v[10:11], -v[18:19], v[46:47], v[10:11]
	v_fma_f64 v[32:33], -v[18:19], v[34:35], v[32:33]
.LBB28_97:
	s_or_b64 exec, exec, s[0:1]
	v_lshl_add_u32 v34, v37, 3, v39
	s_barrier
	ds_write_b64 v34, v[8:9]
	s_waitcnt lgkmcnt(0)
	s_barrier
	ds_read_b64 v[34:35], v39 offset:48
	s_cmp_lt_i32 s12, 8
	v_mov_b32_e32 v36, 6
	s_cbranch_scc1 .LBB28_100
; %bb.98:
	v_add3_u32 v44, v38, 0, 56
	s_mov_b32 s0, 7
	v_mov_b32_e32 v36, 6
.LBB28_99:                              ; =>This Inner Loop Header: Depth=1
	ds_read_b64 v[46:47], v44
	v_mov_b32_e32 v45, s0
	s_add_i32 s0, s0, 1
	v_add_u32_e32 v44, 8, v44
	s_cmp_lg_u32 s12, s0
	s_waitcnt lgkmcnt(0)
	v_cmp_lt_f64_e64 vcc, |v[34:35]|, |v[46:47]|
	v_cndmask_b32_e32 v35, v35, v47, vcc
	v_cndmask_b32_e32 v34, v34, v46, vcc
	;; [unrolled: 1-line block ×3, first 2 shown]
	s_cbranch_scc1 .LBB28_99
.LBB28_100:
	s_waitcnt lgkmcnt(0)
	v_cmp_eq_f64_e32 vcc, 0, v[34:35]
	s_and_saveexec_b64 s[0:1], vcc
	s_xor_b64 s[0:1], exec, s[0:1]
; %bb.101:
	v_cmp_ne_u32_e32 vcc, 0, v43
	v_cndmask_b32_e32 v43, 7, v43, vcc
; %bb.102:
	s_andn2_saveexec_b64 s[0:1], s[0:1]
; %bb.103:
	v_div_scale_f64 v[44:45], s[2:3], v[34:35], v[34:35], 1.0
	v_rcp_f64_e32 v[46:47], v[44:45]
	v_div_scale_f64 v[48:49], vcc, 1.0, v[34:35], 1.0
	v_fma_f64 v[50:51], -v[44:45], v[46:47], 1.0
	v_fmac_f64_e32 v[46:47], v[46:47], v[50:51]
	v_fma_f64 v[50:51], -v[44:45], v[46:47], 1.0
	v_fmac_f64_e32 v[46:47], v[46:47], v[50:51]
	v_mul_f64 v[50:51], v[48:49], v[46:47]
	v_fma_f64 v[44:45], -v[44:45], v[50:51], v[48:49]
	v_div_fmas_f64 v[44:45], v[44:45], v[46:47], v[50:51]
	v_div_fixup_f64 v[34:35], v[44:45], v[34:35], 1.0
; %bb.104:
	s_or_b64 exec, exec, s[0:1]
	v_cmp_ne_u32_e32 vcc, v37, v36
	s_and_saveexec_b64 s[0:1], vcc
	s_xor_b64 s[0:1], exec, s[0:1]
	s_cbranch_execz .LBB28_110
; %bb.105:
	v_cmp_eq_u32_e32 vcc, 6, v37
	s_and_saveexec_b64 s[2:3], vcc
	s_cbranch_execz .LBB28_109
; %bb.106:
	v_cmp_ne_u32_e32 vcc, 6, v36
	s_xor_b64 s[14:15], s[6:7], -1
	s_and_b64 s[16:17], s[14:15], vcc
	s_and_saveexec_b64 s[14:15], s[16:17]
	s_cbranch_execz .LBB28_108
; %bb.107:
	v_ashrrev_i32_e32 v37, 31, v36
	v_lshlrev_b64 v[44:45], 2, v[36:37]
	v_add_co_u32_e32 v44, vcc, v30, v44
	v_addc_co_u32_e32 v45, vcc, v31, v45, vcc
	flat_load_dword v37, v[44:45]
	flat_load_dword v42, v[30:31] offset:24
	s_waitcnt vmcnt(0) lgkmcnt(0)
	flat_store_dword v[30:31], v37 offset:24
	flat_store_dword v[44:45], v42
.LBB28_108:
	s_or_b64 exec, exec, s[14:15]
	v_mov_b32_e32 v42, v36
	v_mov_b32_e32 v37, v36
.LBB28_109:
	s_or_b64 exec, exec, s[2:3]
.LBB28_110:
	s_andn2_saveexec_b64 s[0:1], s[0:1]
	s_cbranch_execz .LBB28_112
; %bb.111:
	v_mov_b32_e32 v37, 6
	ds_write2_b64 v39, v[4:5], v[28:29] offset0:7 offset1:8
	ds_write2_b64 v39, v[22:23], v[14:15] offset0:9 offset1:10
	;; [unrolled: 1-line block ×4, first 2 shown]
.LBB28_112:
	s_or_b64 exec, exec, s[0:1]
	v_cmp_lt_i32_e32 vcc, 6, v37
	s_waitcnt lgkmcnt(0)
	s_barrier
	s_and_saveexec_b64 s[0:1], vcc
	s_cbranch_execz .LBB28_114
; %bb.113:
	ds_read2_b64 v[44:47], v39 offset0:7 offset1:8
	ds_read2_b64 v[48:51], v39 offset0:9 offset1:10
	v_mul_f64 v[8:9], v[8:9], v[34:35]
	ds_read2_b64 v[52:55], v39 offset0:11 offset1:12
	s_waitcnt lgkmcnt(0)
	v_fma_f64 v[4:5], -v[8:9], v[44:45], v[4:5]
	v_fma_f64 v[28:29], -v[8:9], v[46:47], v[28:29]
	ds_read2_b64 v[44:47], v39 offset0:13 offset1:14
	v_fma_f64 v[22:23], -v[8:9], v[48:49], v[22:23]
	v_fma_f64 v[14:15], -v[8:9], v[50:51], v[14:15]
	;; [unrolled: 1-line block ×4, first 2 shown]
	s_waitcnt lgkmcnt(0)
	v_fma_f64 v[20:21], -v[8:9], v[44:45], v[20:21]
	v_fma_f64 v[32:33], -v[8:9], v[46:47], v[32:33]
.LBB28_114:
	s_or_b64 exec, exec, s[0:1]
	v_lshl_add_u32 v34, v37, 3, v39
	s_barrier
	ds_write_b64 v34, v[4:5]
	s_waitcnt lgkmcnt(0)
	s_barrier
	ds_read_b64 v[34:35], v39 offset:56
	s_cmp_lt_i32 s12, 9
	v_mov_b32_e32 v36, 7
	s_cbranch_scc1 .LBB28_117
; %bb.115:
	v_add3_u32 v38, v38, 0, 64
	s_mov_b32 s0, 8
	v_mov_b32_e32 v36, 7
.LBB28_116:                             ; =>This Inner Loop Header: Depth=1
	ds_read_b64 v[44:45], v38
	v_mov_b32_e32 v46, s0
	s_add_i32 s0, s0, 1
	v_add_u32_e32 v38, 8, v38
	s_cmp_lg_u32 s12, s0
	s_waitcnt lgkmcnt(0)
	v_cmp_lt_f64_e64 vcc, |v[34:35]|, |v[44:45]|
	v_cndmask_b32_e32 v35, v35, v45, vcc
	v_cndmask_b32_e32 v34, v34, v44, vcc
	v_cndmask_b32_e32 v36, v36, v46, vcc
	s_cbranch_scc1 .LBB28_116
.LBB28_117:
	s_waitcnt lgkmcnt(0)
	v_cmp_eq_f64_e32 vcc, 0, v[34:35]
	s_and_saveexec_b64 s[0:1], vcc
	s_xor_b64 s[0:1], exec, s[0:1]
; %bb.118:
	v_cmp_ne_u32_e32 vcc, 0, v43
	v_cndmask_b32_e32 v43, 8, v43, vcc
; %bb.119:
	s_andn2_saveexec_b64 s[0:1], s[0:1]
; %bb.120:
	v_div_scale_f64 v[44:45], s[2:3], v[34:35], v[34:35], 1.0
	v_rcp_f64_e32 v[46:47], v[44:45]
	v_div_scale_f64 v[48:49], vcc, 1.0, v[34:35], 1.0
	v_fma_f64 v[50:51], -v[44:45], v[46:47], 1.0
	v_fmac_f64_e32 v[46:47], v[46:47], v[50:51]
	v_fma_f64 v[50:51], -v[44:45], v[46:47], 1.0
	v_fmac_f64_e32 v[46:47], v[46:47], v[50:51]
	v_mul_f64 v[50:51], v[48:49], v[46:47]
	v_fma_f64 v[44:45], -v[44:45], v[50:51], v[48:49]
	v_div_fmas_f64 v[44:45], v[44:45], v[46:47], v[50:51]
	v_div_fixup_f64 v[34:35], v[44:45], v[34:35], 1.0
; %bb.121:
	s_or_b64 exec, exec, s[0:1]
	v_cmp_ne_u32_e32 vcc, v37, v36
	s_and_saveexec_b64 s[0:1], vcc
	s_xor_b64 s[0:1], exec, s[0:1]
	s_cbranch_execz .LBB28_127
; %bb.122:
	v_cmp_eq_u32_e32 vcc, 7, v37
	s_and_saveexec_b64 s[2:3], vcc
	s_cbranch_execz .LBB28_126
; %bb.123:
	v_cmp_ne_u32_e32 vcc, 7, v36
	s_xor_b64 s[14:15], s[6:7], -1
	s_and_b64 s[16:17], s[14:15], vcc
	s_and_saveexec_b64 s[14:15], s[16:17]
	s_cbranch_execz .LBB28_125
; %bb.124:
	v_ashrrev_i32_e32 v37, 31, v36
	v_lshlrev_b64 v[44:45], 2, v[36:37]
	v_add_co_u32_e32 v44, vcc, v30, v44
	v_addc_co_u32_e32 v45, vcc, v31, v45, vcc
	flat_load_dword v37, v[44:45]
	flat_load_dword v38, v[30:31] offset:28
	s_waitcnt vmcnt(0) lgkmcnt(0)
	flat_store_dword v[30:31], v37 offset:28
	flat_store_dword v[44:45], v38
.LBB28_125:
	s_or_b64 exec, exec, s[14:15]
	v_mov_b32_e32 v42, v36
	v_mov_b32_e32 v37, v36
.LBB28_126:
	s_or_b64 exec, exec, s[2:3]
.LBB28_127:
	s_andn2_saveexec_b64 s[0:1], s[0:1]
	s_cbranch_execz .LBB28_129
; %bb.128:
	v_mov_b32_e32 v37, 7
	ds_write2_b64 v39, v[28:29], v[22:23] offset0:8 offset1:9
	ds_write2_b64 v39, v[14:15], v[10:11] offset0:10 offset1:11
	;; [unrolled: 1-line block ×3, first 2 shown]
	ds_write_b64 v39, v[32:33] offset:112
.LBB28_129:
	s_or_b64 exec, exec, s[0:1]
	v_cmp_lt_i32_e32 vcc, 7, v37
	s_waitcnt lgkmcnt(0)
	s_barrier
	s_and_saveexec_b64 s[0:1], vcc
	s_cbranch_execz .LBB28_131
; %bb.130:
	ds_read2_b64 v[44:47], v39 offset0:8 offset1:9
	ds_read2_b64 v[48:51], v39 offset0:10 offset1:11
	v_mul_f64 v[4:5], v[4:5], v[34:35]
	ds_read2_b64 v[52:55], v39 offset0:12 offset1:13
	ds_read_b64 v[34:35], v39 offset:112
	s_waitcnt lgkmcnt(0)
	v_fma_f64 v[28:29], -v[4:5], v[44:45], v[28:29]
	v_fma_f64 v[22:23], -v[4:5], v[46:47], v[22:23]
	;; [unrolled: 1-line block ×7, first 2 shown]
.LBB28_131:
	s_or_b64 exec, exec, s[0:1]
	v_lshl_add_u32 v34, v37, 3, v39
	s_barrier
	ds_write_b64 v34, v[28:29]
	s_waitcnt lgkmcnt(0)
	s_barrier
	ds_read_b64 v[34:35], v39 offset:64
	s_cmp_lt_i32 s12, 10
	v_mov_b32_e32 v36, 8
	s_cbranch_scc1 .LBB28_134
; %bb.132:
	v_add_u32_e32 v38, 0x48, v39
	s_mov_b32 s0, 9
	v_mov_b32_e32 v36, 8
.LBB28_133:                             ; =>This Inner Loop Header: Depth=1
	ds_read_b64 v[44:45], v38
	v_mov_b32_e32 v46, s0
	s_add_i32 s0, s0, 1
	v_add_u32_e32 v38, 8, v38
	s_cmp_lg_u32 s12, s0
	s_waitcnt lgkmcnt(0)
	v_cmp_lt_f64_e64 vcc, |v[34:35]|, |v[44:45]|
	v_cndmask_b32_e32 v35, v35, v45, vcc
	v_cndmask_b32_e32 v34, v34, v44, vcc
	;; [unrolled: 1-line block ×3, first 2 shown]
	s_cbranch_scc1 .LBB28_133
.LBB28_134:
	s_waitcnt lgkmcnt(0)
	v_cmp_eq_f64_e32 vcc, 0, v[34:35]
	s_and_saveexec_b64 s[0:1], vcc
	s_xor_b64 s[0:1], exec, s[0:1]
; %bb.135:
	v_cmp_ne_u32_e32 vcc, 0, v43
	v_cndmask_b32_e32 v43, 9, v43, vcc
; %bb.136:
	s_andn2_saveexec_b64 s[0:1], s[0:1]
; %bb.137:
	v_div_scale_f64 v[44:45], s[2:3], v[34:35], v[34:35], 1.0
	v_rcp_f64_e32 v[46:47], v[44:45]
	v_div_scale_f64 v[48:49], vcc, 1.0, v[34:35], 1.0
	v_fma_f64 v[50:51], -v[44:45], v[46:47], 1.0
	v_fmac_f64_e32 v[46:47], v[46:47], v[50:51]
	v_fma_f64 v[50:51], -v[44:45], v[46:47], 1.0
	v_fmac_f64_e32 v[46:47], v[46:47], v[50:51]
	v_mul_f64 v[50:51], v[48:49], v[46:47]
	v_fma_f64 v[44:45], -v[44:45], v[50:51], v[48:49]
	v_div_fmas_f64 v[44:45], v[44:45], v[46:47], v[50:51]
	v_div_fixup_f64 v[34:35], v[44:45], v[34:35], 1.0
; %bb.138:
	s_or_b64 exec, exec, s[0:1]
	v_cmp_ne_u32_e32 vcc, v37, v36
	s_and_saveexec_b64 s[0:1], vcc
	s_xor_b64 s[0:1], exec, s[0:1]
	s_cbranch_execz .LBB28_144
; %bb.139:
	v_cmp_eq_u32_e32 vcc, 8, v37
	s_and_saveexec_b64 s[2:3], vcc
	s_cbranch_execz .LBB28_143
; %bb.140:
	v_cmp_ne_u32_e32 vcc, 8, v36
	s_xor_b64 s[14:15], s[6:7], -1
	s_and_b64 s[16:17], s[14:15], vcc
	s_and_saveexec_b64 s[14:15], s[16:17]
	s_cbranch_execz .LBB28_142
; %bb.141:
	v_ashrrev_i32_e32 v37, 31, v36
	v_lshlrev_b64 v[44:45], 2, v[36:37]
	v_add_co_u32_e32 v44, vcc, v30, v44
	v_addc_co_u32_e32 v45, vcc, v31, v45, vcc
	flat_load_dword v37, v[44:45]
	flat_load_dword v38, v[30:31] offset:32
	s_waitcnt vmcnt(0) lgkmcnt(0)
	flat_store_dword v[30:31], v37 offset:32
	flat_store_dword v[44:45], v38
.LBB28_142:
	s_or_b64 exec, exec, s[14:15]
	v_mov_b32_e32 v42, v36
	v_mov_b32_e32 v37, v36
.LBB28_143:
	s_or_b64 exec, exec, s[2:3]
.LBB28_144:
	s_andn2_saveexec_b64 s[0:1], s[0:1]
	s_cbranch_execz .LBB28_146
; %bb.145:
	v_mov_b32_e32 v37, 8
	ds_write2_b64 v39, v[22:23], v[14:15] offset0:9 offset1:10
	ds_write2_b64 v39, v[10:11], v[26:27] offset0:11 offset1:12
	;; [unrolled: 1-line block ×3, first 2 shown]
.LBB28_146:
	s_or_b64 exec, exec, s[0:1]
	v_cmp_lt_i32_e32 vcc, 8, v37
	s_waitcnt lgkmcnt(0)
	s_barrier
	s_and_saveexec_b64 s[0:1], vcc
	s_cbranch_execz .LBB28_148
; %bb.147:
	ds_read2_b64 v[44:47], v39 offset0:9 offset1:10
	ds_read2_b64 v[48:51], v39 offset0:11 offset1:12
	;; [unrolled: 1-line block ×3, first 2 shown]
	v_mul_f64 v[28:29], v[28:29], v[34:35]
	s_waitcnt lgkmcnt(0)
	v_fma_f64 v[22:23], -v[28:29], v[44:45], v[22:23]
	v_fma_f64 v[14:15], -v[28:29], v[46:47], v[14:15]
	;; [unrolled: 1-line block ×6, first 2 shown]
.LBB28_148:
	s_or_b64 exec, exec, s[0:1]
	v_lshl_add_u32 v34, v37, 3, v39
	s_barrier
	ds_write_b64 v34, v[22:23]
	s_waitcnt lgkmcnt(0)
	s_barrier
	ds_read_b64 v[34:35], v39 offset:72
	s_cmp_lt_i32 s12, 11
	v_mov_b32_e32 v36, 9
	s_cbranch_scc1 .LBB28_151
; %bb.149:
	v_add_u32_e32 v38, 0x50, v39
	s_mov_b32 s0, 10
	v_mov_b32_e32 v36, 9
.LBB28_150:                             ; =>This Inner Loop Header: Depth=1
	ds_read_b64 v[44:45], v38
	v_mov_b32_e32 v46, s0
	s_add_i32 s0, s0, 1
	v_add_u32_e32 v38, 8, v38
	s_cmp_lg_u32 s12, s0
	s_waitcnt lgkmcnt(0)
	v_cmp_lt_f64_e64 vcc, |v[34:35]|, |v[44:45]|
	v_cndmask_b32_e32 v35, v35, v45, vcc
	v_cndmask_b32_e32 v34, v34, v44, vcc
	;; [unrolled: 1-line block ×3, first 2 shown]
	s_cbranch_scc1 .LBB28_150
.LBB28_151:
	s_waitcnt lgkmcnt(0)
	v_cmp_eq_f64_e32 vcc, 0, v[34:35]
	s_and_saveexec_b64 s[0:1], vcc
	s_xor_b64 s[0:1], exec, s[0:1]
; %bb.152:
	v_cmp_ne_u32_e32 vcc, 0, v43
	v_cndmask_b32_e32 v43, 10, v43, vcc
; %bb.153:
	s_andn2_saveexec_b64 s[0:1], s[0:1]
; %bb.154:
	v_div_scale_f64 v[44:45], s[2:3], v[34:35], v[34:35], 1.0
	v_rcp_f64_e32 v[46:47], v[44:45]
	v_div_scale_f64 v[48:49], vcc, 1.0, v[34:35], 1.0
	v_fma_f64 v[50:51], -v[44:45], v[46:47], 1.0
	v_fmac_f64_e32 v[46:47], v[46:47], v[50:51]
	v_fma_f64 v[50:51], -v[44:45], v[46:47], 1.0
	v_fmac_f64_e32 v[46:47], v[46:47], v[50:51]
	v_mul_f64 v[50:51], v[48:49], v[46:47]
	v_fma_f64 v[44:45], -v[44:45], v[50:51], v[48:49]
	v_div_fmas_f64 v[44:45], v[44:45], v[46:47], v[50:51]
	v_div_fixup_f64 v[34:35], v[44:45], v[34:35], 1.0
; %bb.155:
	s_or_b64 exec, exec, s[0:1]
	v_cmp_ne_u32_e32 vcc, v37, v36
	s_and_saveexec_b64 s[0:1], vcc
	s_xor_b64 s[0:1], exec, s[0:1]
	s_cbranch_execz .LBB28_161
; %bb.156:
	v_cmp_eq_u32_e32 vcc, 9, v37
	s_and_saveexec_b64 s[2:3], vcc
	s_cbranch_execz .LBB28_160
; %bb.157:
	v_cmp_ne_u32_e32 vcc, 9, v36
	s_xor_b64 s[14:15], s[6:7], -1
	s_and_b64 s[16:17], s[14:15], vcc
	s_and_saveexec_b64 s[14:15], s[16:17]
	s_cbranch_execz .LBB28_159
; %bb.158:
	v_ashrrev_i32_e32 v37, 31, v36
	v_lshlrev_b64 v[44:45], 2, v[36:37]
	v_add_co_u32_e32 v44, vcc, v30, v44
	v_addc_co_u32_e32 v45, vcc, v31, v45, vcc
	flat_load_dword v37, v[44:45]
	flat_load_dword v38, v[30:31] offset:36
	s_waitcnt vmcnt(0) lgkmcnt(0)
	flat_store_dword v[30:31], v37 offset:36
	flat_store_dword v[44:45], v38
.LBB28_159:
	s_or_b64 exec, exec, s[14:15]
	v_mov_b32_e32 v42, v36
	v_mov_b32_e32 v37, v36
.LBB28_160:
	s_or_b64 exec, exec, s[2:3]
.LBB28_161:
	s_andn2_saveexec_b64 s[0:1], s[0:1]
	s_cbranch_execz .LBB28_163
; %bb.162:
	v_mov_b32_e32 v37, 9
	ds_write2_b64 v39, v[14:15], v[10:11] offset0:10 offset1:11
	ds_write2_b64 v39, v[26:27], v[20:21] offset0:12 offset1:13
	ds_write_b64 v39, v[32:33] offset:112
.LBB28_163:
	s_or_b64 exec, exec, s[0:1]
	v_cmp_lt_i32_e32 vcc, 9, v37
	s_waitcnt lgkmcnt(0)
	s_barrier
	s_and_saveexec_b64 s[0:1], vcc
	s_cbranch_execz .LBB28_165
; %bb.164:
	ds_read2_b64 v[44:47], v39 offset0:10 offset1:11
	ds_read2_b64 v[48:51], v39 offset0:12 offset1:13
	v_mul_f64 v[22:23], v[22:23], v[34:35]
	ds_read_b64 v[34:35], v39 offset:112
	s_waitcnt lgkmcnt(0)
	v_fma_f64 v[14:15], -v[22:23], v[44:45], v[14:15]
	v_fma_f64 v[10:11], -v[22:23], v[46:47], v[10:11]
	;; [unrolled: 1-line block ×5, first 2 shown]
.LBB28_165:
	s_or_b64 exec, exec, s[0:1]
	v_lshl_add_u32 v34, v37, 3, v39
	s_barrier
	ds_write_b64 v34, v[14:15]
	s_waitcnt lgkmcnt(0)
	s_barrier
	ds_read_b64 v[34:35], v39 offset:80
	s_cmp_lt_i32 s12, 12
	v_mov_b32_e32 v36, 10
	s_cbranch_scc1 .LBB28_168
; %bb.166:
	v_add_u32_e32 v38, 0x58, v39
	s_mov_b32 s0, 11
	v_mov_b32_e32 v36, 10
.LBB28_167:                             ; =>This Inner Loop Header: Depth=1
	ds_read_b64 v[44:45], v38
	v_mov_b32_e32 v46, s0
	s_add_i32 s0, s0, 1
	v_add_u32_e32 v38, 8, v38
	s_cmp_lg_u32 s12, s0
	s_waitcnt lgkmcnt(0)
	v_cmp_lt_f64_e64 vcc, |v[34:35]|, |v[44:45]|
	v_cndmask_b32_e32 v35, v35, v45, vcc
	v_cndmask_b32_e32 v34, v34, v44, vcc
	;; [unrolled: 1-line block ×3, first 2 shown]
	s_cbranch_scc1 .LBB28_167
.LBB28_168:
	s_waitcnt lgkmcnt(0)
	v_cmp_eq_f64_e32 vcc, 0, v[34:35]
	s_and_saveexec_b64 s[0:1], vcc
	s_xor_b64 s[0:1], exec, s[0:1]
; %bb.169:
	v_cmp_ne_u32_e32 vcc, 0, v43
	v_cndmask_b32_e32 v43, 11, v43, vcc
; %bb.170:
	s_andn2_saveexec_b64 s[0:1], s[0:1]
; %bb.171:
	v_div_scale_f64 v[44:45], s[2:3], v[34:35], v[34:35], 1.0
	v_rcp_f64_e32 v[46:47], v[44:45]
	v_div_scale_f64 v[48:49], vcc, 1.0, v[34:35], 1.0
	v_fma_f64 v[50:51], -v[44:45], v[46:47], 1.0
	v_fmac_f64_e32 v[46:47], v[46:47], v[50:51]
	v_fma_f64 v[50:51], -v[44:45], v[46:47], 1.0
	v_fmac_f64_e32 v[46:47], v[46:47], v[50:51]
	v_mul_f64 v[50:51], v[48:49], v[46:47]
	v_fma_f64 v[44:45], -v[44:45], v[50:51], v[48:49]
	v_div_fmas_f64 v[44:45], v[44:45], v[46:47], v[50:51]
	v_div_fixup_f64 v[34:35], v[44:45], v[34:35], 1.0
; %bb.172:
	s_or_b64 exec, exec, s[0:1]
	v_cmp_ne_u32_e32 vcc, v37, v36
	s_and_saveexec_b64 s[0:1], vcc
	s_xor_b64 s[0:1], exec, s[0:1]
	s_cbranch_execz .LBB28_178
; %bb.173:
	v_cmp_eq_u32_e32 vcc, 10, v37
	s_and_saveexec_b64 s[2:3], vcc
	s_cbranch_execz .LBB28_177
; %bb.174:
	v_cmp_ne_u32_e32 vcc, 10, v36
	s_xor_b64 s[14:15], s[6:7], -1
	s_and_b64 s[16:17], s[14:15], vcc
	s_and_saveexec_b64 s[14:15], s[16:17]
	s_cbranch_execz .LBB28_176
; %bb.175:
	v_ashrrev_i32_e32 v37, 31, v36
	v_lshlrev_b64 v[44:45], 2, v[36:37]
	v_add_co_u32_e32 v44, vcc, v30, v44
	v_addc_co_u32_e32 v45, vcc, v31, v45, vcc
	flat_load_dword v37, v[44:45]
	flat_load_dword v38, v[30:31] offset:40
	s_waitcnt vmcnt(0) lgkmcnt(0)
	flat_store_dword v[30:31], v37 offset:40
	flat_store_dword v[44:45], v38
.LBB28_176:
	s_or_b64 exec, exec, s[14:15]
	v_mov_b32_e32 v42, v36
	v_mov_b32_e32 v37, v36
.LBB28_177:
	s_or_b64 exec, exec, s[2:3]
.LBB28_178:
	s_andn2_saveexec_b64 s[0:1], s[0:1]
	s_cbranch_execz .LBB28_180
; %bb.179:
	v_mov_b32_e32 v37, 10
	ds_write2_b64 v39, v[10:11], v[26:27] offset0:11 offset1:12
	ds_write2_b64 v39, v[20:21], v[32:33] offset0:13 offset1:14
.LBB28_180:
	s_or_b64 exec, exec, s[0:1]
	v_cmp_lt_i32_e32 vcc, 10, v37
	s_waitcnt lgkmcnt(0)
	s_barrier
	s_and_saveexec_b64 s[0:1], vcc
	s_cbranch_execz .LBB28_182
; %bb.181:
	ds_read2_b64 v[44:47], v39 offset0:11 offset1:12
	ds_read2_b64 v[48:51], v39 offset0:13 offset1:14
	v_mul_f64 v[14:15], v[14:15], v[34:35]
	s_waitcnt lgkmcnt(0)
	v_fma_f64 v[10:11], -v[14:15], v[44:45], v[10:11]
	v_fma_f64 v[26:27], -v[14:15], v[46:47], v[26:27]
	;; [unrolled: 1-line block ×4, first 2 shown]
.LBB28_182:
	s_or_b64 exec, exec, s[0:1]
	v_lshl_add_u32 v34, v37, 3, v39
	s_barrier
	ds_write_b64 v34, v[10:11]
	s_waitcnt lgkmcnt(0)
	s_barrier
	ds_read_b64 v[34:35], v39 offset:88
	s_cmp_lt_i32 s12, 13
	v_mov_b32_e32 v36, 11
	s_cbranch_scc1 .LBB28_185
; %bb.183:
	v_add_u32_e32 v38, 0x60, v39
	s_mov_b32 s0, 12
	v_mov_b32_e32 v36, 11
.LBB28_184:                             ; =>This Inner Loop Header: Depth=1
	ds_read_b64 v[44:45], v38
	v_mov_b32_e32 v46, s0
	s_add_i32 s0, s0, 1
	v_add_u32_e32 v38, 8, v38
	s_cmp_lg_u32 s12, s0
	s_waitcnt lgkmcnt(0)
	v_cmp_lt_f64_e64 vcc, |v[34:35]|, |v[44:45]|
	v_cndmask_b32_e32 v35, v35, v45, vcc
	v_cndmask_b32_e32 v34, v34, v44, vcc
	;; [unrolled: 1-line block ×3, first 2 shown]
	s_cbranch_scc1 .LBB28_184
.LBB28_185:
	s_waitcnt lgkmcnt(0)
	v_cmp_eq_f64_e32 vcc, 0, v[34:35]
	s_and_saveexec_b64 s[0:1], vcc
	s_xor_b64 s[0:1], exec, s[0:1]
; %bb.186:
	v_cmp_ne_u32_e32 vcc, 0, v43
	v_cndmask_b32_e32 v43, 12, v43, vcc
; %bb.187:
	s_andn2_saveexec_b64 s[0:1], s[0:1]
; %bb.188:
	v_div_scale_f64 v[44:45], s[2:3], v[34:35], v[34:35], 1.0
	v_rcp_f64_e32 v[46:47], v[44:45]
	v_div_scale_f64 v[48:49], vcc, 1.0, v[34:35], 1.0
	v_fma_f64 v[50:51], -v[44:45], v[46:47], 1.0
	v_fmac_f64_e32 v[46:47], v[46:47], v[50:51]
	v_fma_f64 v[50:51], -v[44:45], v[46:47], 1.0
	v_fmac_f64_e32 v[46:47], v[46:47], v[50:51]
	v_mul_f64 v[50:51], v[48:49], v[46:47]
	v_fma_f64 v[44:45], -v[44:45], v[50:51], v[48:49]
	v_div_fmas_f64 v[44:45], v[44:45], v[46:47], v[50:51]
	v_div_fixup_f64 v[34:35], v[44:45], v[34:35], 1.0
; %bb.189:
	s_or_b64 exec, exec, s[0:1]
	v_cmp_ne_u32_e32 vcc, v37, v36
	s_and_saveexec_b64 s[0:1], vcc
	s_xor_b64 s[0:1], exec, s[0:1]
	s_cbranch_execz .LBB28_195
; %bb.190:
	v_cmp_eq_u32_e32 vcc, 11, v37
	s_and_saveexec_b64 s[2:3], vcc
	s_cbranch_execz .LBB28_194
; %bb.191:
	v_cmp_ne_u32_e32 vcc, 11, v36
	s_xor_b64 s[14:15], s[6:7], -1
	s_and_b64 s[16:17], s[14:15], vcc
	s_and_saveexec_b64 s[14:15], s[16:17]
	s_cbranch_execz .LBB28_193
; %bb.192:
	v_ashrrev_i32_e32 v37, 31, v36
	v_lshlrev_b64 v[44:45], 2, v[36:37]
	v_add_co_u32_e32 v44, vcc, v30, v44
	v_addc_co_u32_e32 v45, vcc, v31, v45, vcc
	flat_load_dword v37, v[44:45]
	flat_load_dword v38, v[30:31] offset:44
	s_waitcnt vmcnt(0) lgkmcnt(0)
	flat_store_dword v[30:31], v37 offset:44
	flat_store_dword v[44:45], v38
.LBB28_193:
	s_or_b64 exec, exec, s[14:15]
	v_mov_b32_e32 v42, v36
	v_mov_b32_e32 v37, v36
.LBB28_194:
	s_or_b64 exec, exec, s[2:3]
.LBB28_195:
	s_andn2_saveexec_b64 s[0:1], s[0:1]
	s_cbranch_execz .LBB28_197
; %bb.196:
	v_mov_b32_e32 v37, 11
	ds_write2_b64 v39, v[26:27], v[20:21] offset0:12 offset1:13
	ds_write_b64 v39, v[32:33] offset:112
.LBB28_197:
	s_or_b64 exec, exec, s[0:1]
	v_cmp_lt_i32_e32 vcc, 11, v37
	s_waitcnt lgkmcnt(0)
	s_barrier
	s_and_saveexec_b64 s[0:1], vcc
	s_cbranch_execz .LBB28_199
; %bb.198:
	ds_read2_b64 v[44:47], v39 offset0:12 offset1:13
	ds_read_b64 v[48:49], v39 offset:112
	v_mul_f64 v[10:11], v[10:11], v[34:35]
	s_waitcnt lgkmcnt(0)
	v_fma_f64 v[26:27], -v[10:11], v[44:45], v[26:27]
	v_fma_f64 v[20:21], -v[10:11], v[46:47], v[20:21]
	;; [unrolled: 1-line block ×3, first 2 shown]
.LBB28_199:
	s_or_b64 exec, exec, s[0:1]
	v_lshl_add_u32 v34, v37, 3, v39
	s_barrier
	ds_write_b64 v34, v[26:27]
	s_waitcnt lgkmcnt(0)
	s_barrier
	ds_read_b64 v[34:35], v39 offset:96
	s_cmp_lt_i32 s12, 14
	v_mov_b32_e32 v36, 12
	s_cbranch_scc1 .LBB28_202
; %bb.200:
	v_add_u32_e32 v38, 0x68, v39
	s_mov_b32 s0, 13
	v_mov_b32_e32 v36, 12
.LBB28_201:                             ; =>This Inner Loop Header: Depth=1
	ds_read_b64 v[44:45], v38
	v_mov_b32_e32 v46, s0
	s_add_i32 s0, s0, 1
	v_add_u32_e32 v38, 8, v38
	s_cmp_lg_u32 s12, s0
	s_waitcnt lgkmcnt(0)
	v_cmp_lt_f64_e64 vcc, |v[34:35]|, |v[44:45]|
	v_cndmask_b32_e32 v35, v35, v45, vcc
	v_cndmask_b32_e32 v34, v34, v44, vcc
	;; [unrolled: 1-line block ×3, first 2 shown]
	s_cbranch_scc1 .LBB28_201
.LBB28_202:
	s_waitcnt lgkmcnt(0)
	v_cmp_eq_f64_e32 vcc, 0, v[34:35]
	s_and_saveexec_b64 s[0:1], vcc
	s_xor_b64 s[0:1], exec, s[0:1]
; %bb.203:
	v_cmp_ne_u32_e32 vcc, 0, v43
	v_cndmask_b32_e32 v43, 13, v43, vcc
; %bb.204:
	s_andn2_saveexec_b64 s[0:1], s[0:1]
; %bb.205:
	v_div_scale_f64 v[44:45], s[2:3], v[34:35], v[34:35], 1.0
	v_rcp_f64_e32 v[46:47], v[44:45]
	v_div_scale_f64 v[48:49], vcc, 1.0, v[34:35], 1.0
	v_fma_f64 v[50:51], -v[44:45], v[46:47], 1.0
	v_fmac_f64_e32 v[46:47], v[46:47], v[50:51]
	v_fma_f64 v[50:51], -v[44:45], v[46:47], 1.0
	v_fmac_f64_e32 v[46:47], v[46:47], v[50:51]
	v_mul_f64 v[50:51], v[48:49], v[46:47]
	v_fma_f64 v[44:45], -v[44:45], v[50:51], v[48:49]
	v_div_fmas_f64 v[44:45], v[44:45], v[46:47], v[50:51]
	v_div_fixup_f64 v[34:35], v[44:45], v[34:35], 1.0
; %bb.206:
	s_or_b64 exec, exec, s[0:1]
	v_cmp_ne_u32_e32 vcc, v37, v36
	s_and_saveexec_b64 s[0:1], vcc
	s_xor_b64 s[0:1], exec, s[0:1]
	s_cbranch_execz .LBB28_212
; %bb.207:
	v_cmp_eq_u32_e32 vcc, 12, v37
	s_and_saveexec_b64 s[2:3], vcc
	s_cbranch_execz .LBB28_211
; %bb.208:
	v_cmp_ne_u32_e32 vcc, 12, v36
	s_xor_b64 s[14:15], s[6:7], -1
	s_and_b64 s[16:17], s[14:15], vcc
	s_and_saveexec_b64 s[14:15], s[16:17]
	s_cbranch_execz .LBB28_210
; %bb.209:
	v_ashrrev_i32_e32 v37, 31, v36
	v_lshlrev_b64 v[44:45], 2, v[36:37]
	v_add_co_u32_e32 v44, vcc, v30, v44
	v_addc_co_u32_e32 v45, vcc, v31, v45, vcc
	flat_load_dword v37, v[44:45]
	flat_load_dword v38, v[30:31] offset:48
	s_waitcnt vmcnt(0) lgkmcnt(0)
	flat_store_dword v[30:31], v37 offset:48
	flat_store_dword v[44:45], v38
.LBB28_210:
	s_or_b64 exec, exec, s[14:15]
	v_mov_b32_e32 v42, v36
	v_mov_b32_e32 v37, v36
.LBB28_211:
	s_or_b64 exec, exec, s[2:3]
.LBB28_212:
	s_andn2_saveexec_b64 s[0:1], s[0:1]
	s_cbranch_execz .LBB28_214
; %bb.213:
	v_mov_b32_e32 v37, 12
	ds_write2_b64 v39, v[20:21], v[32:33] offset0:13 offset1:14
.LBB28_214:
	s_or_b64 exec, exec, s[0:1]
	v_cmp_lt_i32_e32 vcc, 12, v37
	s_waitcnt lgkmcnt(0)
	s_barrier
	s_and_saveexec_b64 s[0:1], vcc
	s_cbranch_execz .LBB28_216
; %bb.215:
	ds_read2_b64 v[44:47], v39 offset0:13 offset1:14
	v_mul_f64 v[26:27], v[26:27], v[34:35]
	s_waitcnt lgkmcnt(0)
	v_fma_f64 v[20:21], -v[26:27], v[44:45], v[20:21]
	v_fma_f64 v[32:33], -v[26:27], v[46:47], v[32:33]
.LBB28_216:
	s_or_b64 exec, exec, s[0:1]
	v_lshl_add_u32 v34, v37, 3, v39
	s_barrier
	ds_write_b64 v34, v[20:21]
	s_waitcnt lgkmcnt(0)
	s_barrier
	ds_read_b64 v[34:35], v39 offset:104
	s_cmp_lt_i32 s12, 15
	v_mov_b32_e32 v36, 13
	s_cbranch_scc1 .LBB28_219
; %bb.217:
	v_add_u32_e32 v38, 0x70, v39
	s_mov_b32 s0, 14
	v_mov_b32_e32 v36, 13
.LBB28_218:                             ; =>This Inner Loop Header: Depth=1
	ds_read_b64 v[44:45], v38
	v_mov_b32_e32 v46, s0
	s_add_i32 s0, s0, 1
	v_add_u32_e32 v38, 8, v38
	s_cmp_lg_u32 s12, s0
	s_waitcnt lgkmcnt(0)
	v_cmp_lt_f64_e64 vcc, |v[34:35]|, |v[44:45]|
	v_cndmask_b32_e32 v35, v35, v45, vcc
	v_cndmask_b32_e32 v34, v34, v44, vcc
	;; [unrolled: 1-line block ×3, first 2 shown]
	s_cbranch_scc1 .LBB28_218
.LBB28_219:
	s_waitcnt lgkmcnt(0)
	v_cmp_eq_f64_e32 vcc, 0, v[34:35]
	s_and_saveexec_b64 s[0:1], vcc
	s_xor_b64 s[0:1], exec, s[0:1]
; %bb.220:
	v_cmp_ne_u32_e32 vcc, 0, v43
	v_cndmask_b32_e32 v43, 14, v43, vcc
; %bb.221:
	s_andn2_saveexec_b64 s[0:1], s[0:1]
; %bb.222:
	v_div_scale_f64 v[44:45], s[2:3], v[34:35], v[34:35], 1.0
	v_rcp_f64_e32 v[46:47], v[44:45]
	v_div_scale_f64 v[48:49], vcc, 1.0, v[34:35], 1.0
	v_fma_f64 v[50:51], -v[44:45], v[46:47], 1.0
	v_fmac_f64_e32 v[46:47], v[46:47], v[50:51]
	v_fma_f64 v[50:51], -v[44:45], v[46:47], 1.0
	v_fmac_f64_e32 v[46:47], v[46:47], v[50:51]
	v_mul_f64 v[50:51], v[48:49], v[46:47]
	v_fma_f64 v[44:45], -v[44:45], v[50:51], v[48:49]
	v_div_fmas_f64 v[44:45], v[44:45], v[46:47], v[50:51]
	v_div_fixup_f64 v[34:35], v[44:45], v[34:35], 1.0
; %bb.223:
	s_or_b64 exec, exec, s[0:1]
	v_cmp_ne_u32_e32 vcc, v37, v36
	s_and_saveexec_b64 s[0:1], vcc
	s_xor_b64 s[0:1], exec, s[0:1]
	s_cbranch_execz .LBB28_229
; %bb.224:
	v_cmp_eq_u32_e32 vcc, 13, v37
	s_and_saveexec_b64 s[2:3], vcc
	s_cbranch_execz .LBB28_228
; %bb.225:
	v_cmp_ne_u32_e32 vcc, 13, v36
	s_xor_b64 s[14:15], s[6:7], -1
	s_and_b64 s[16:17], s[14:15], vcc
	s_and_saveexec_b64 s[14:15], s[16:17]
	s_cbranch_execz .LBB28_227
; %bb.226:
	v_ashrrev_i32_e32 v37, 31, v36
	v_lshlrev_b64 v[44:45], 2, v[36:37]
	v_add_co_u32_e32 v44, vcc, v30, v44
	v_addc_co_u32_e32 v45, vcc, v31, v45, vcc
	flat_load_dword v37, v[44:45]
	flat_load_dword v38, v[30:31] offset:52
	s_waitcnt vmcnt(0) lgkmcnt(0)
	flat_store_dword v[30:31], v37 offset:52
	flat_store_dword v[44:45], v38
.LBB28_227:
	s_or_b64 exec, exec, s[14:15]
	v_mov_b32_e32 v42, v36
	v_mov_b32_e32 v37, v36
.LBB28_228:
	s_or_b64 exec, exec, s[2:3]
.LBB28_229:
	s_andn2_saveexec_b64 s[0:1], s[0:1]
	s_cbranch_execz .LBB28_231
; %bb.230:
	v_mov_b32_e32 v37, 13
	ds_write_b64 v39, v[32:33] offset:112
.LBB28_231:
	s_or_b64 exec, exec, s[0:1]
	v_cmp_lt_i32_e32 vcc, 13, v37
	s_waitcnt lgkmcnt(0)
	s_barrier
	s_and_saveexec_b64 s[0:1], vcc
	s_cbranch_execz .LBB28_233
; %bb.232:
	ds_read_b64 v[44:45], v39 offset:112
	v_mul_f64 v[20:21], v[20:21], v[34:35]
	s_waitcnt lgkmcnt(0)
	v_fma_f64 v[32:33], -v[20:21], v[44:45], v[32:33]
.LBB28_233:
	s_or_b64 exec, exec, s[0:1]
	v_lshl_add_u32 v34, v37, 3, v39
	s_barrier
	ds_write_b64 v34, v[32:33]
	s_waitcnt lgkmcnt(0)
	s_barrier
	ds_read_b64 v[34:35], v39 offset:112
	s_cmp_lt_i32 s12, 16
	v_mov_b32_e32 v38, 14
	s_cbranch_scc1 .LBB28_236
; %bb.234:
	v_add_u32_e32 v36, 0x78, v39
	s_mov_b32 s0, 15
	v_mov_b32_e32 v38, 14
.LBB28_235:                             ; =>This Inner Loop Header: Depth=1
	ds_read_b64 v[44:45], v36
	v_mov_b32_e32 v39, s0
	s_add_i32 s0, s0, 1
	v_add_u32_e32 v36, 8, v36
	s_cmp_lg_u32 s12, s0
	s_waitcnt lgkmcnt(0)
	v_cmp_lt_f64_e64 vcc, |v[34:35]|, |v[44:45]|
	v_cndmask_b32_e32 v35, v35, v45, vcc
	v_cndmask_b32_e32 v34, v34, v44, vcc
	;; [unrolled: 1-line block ×3, first 2 shown]
	s_cbranch_scc1 .LBB28_235
.LBB28_236:
	s_waitcnt lgkmcnt(0)
	v_cmp_eq_f64_e32 vcc, 0, v[34:35]
	s_and_saveexec_b64 s[0:1], vcc
	s_xor_b64 s[0:1], exec, s[0:1]
; %bb.237:
	v_cmp_ne_u32_e32 vcc, 0, v43
	v_cndmask_b32_e32 v43, 15, v43, vcc
; %bb.238:
	s_andn2_saveexec_b64 s[0:1], s[0:1]
; %bb.239:
	v_div_scale_f64 v[44:45], s[2:3], v[34:35], v[34:35], 1.0
	v_rcp_f64_e32 v[46:47], v[44:45]
	v_div_scale_f64 v[48:49], vcc, 1.0, v[34:35], 1.0
	v_fma_f64 v[50:51], -v[44:45], v[46:47], 1.0
	v_fmac_f64_e32 v[46:47], v[46:47], v[50:51]
	v_fma_f64 v[50:51], -v[44:45], v[46:47], 1.0
	v_fmac_f64_e32 v[46:47], v[46:47], v[50:51]
	v_mul_f64 v[50:51], v[48:49], v[46:47]
	v_fma_f64 v[44:45], -v[44:45], v[50:51], v[48:49]
	v_div_fmas_f64 v[44:45], v[44:45], v[46:47], v[50:51]
	v_div_fixup_f64 v[34:35], v[44:45], v[34:35], 1.0
; %bb.240:
	s_or_b64 exec, exec, s[0:1]
	v_cmp_ne_u32_e32 vcc, v37, v38
	v_mov_b32_e32 v36, 14
	s_and_saveexec_b64 s[0:1], vcc
	s_cbranch_execz .LBB28_246
; %bb.241:
	v_cmp_eq_u32_e32 vcc, 14, v37
	s_and_saveexec_b64 s[2:3], vcc
	s_cbranch_execz .LBB28_245
; %bb.242:
	v_cmp_ne_u32_e32 vcc, 14, v38
	s_xor_b64 s[6:7], s[6:7], -1
	s_and_b64 s[14:15], s[6:7], vcc
	s_and_saveexec_b64 s[6:7], s[14:15]
	s_cbranch_execz .LBB28_244
; %bb.243:
	v_ashrrev_i32_e32 v39, 31, v38
	v_lshlrev_b64 v[36:37], 2, v[38:39]
	v_add_co_u32_e32 v36, vcc, v30, v36
	v_addc_co_u32_e32 v37, vcc, v31, v37, vcc
	flat_load_dword v39, v[36:37]
	flat_load_dword v42, v[30:31] offset:56
	s_waitcnt vmcnt(0) lgkmcnt(0)
	flat_store_dword v[30:31], v39 offset:56
	flat_store_dword v[36:37], v42
.LBB28_244:
	s_or_b64 exec, exec, s[6:7]
	v_mov_b32_e32 v42, v38
	v_mov_b32_e32 v37, v38
.LBB28_245:
	s_or_b64 exec, exec, s[2:3]
	v_mov_b32_e32 v36, v37
.LBB28_246:
	s_or_b64 exec, exec, s[0:1]
	s_load_dwordx8 s[0:7], s[4:5], 0x28
	v_cmp_gt_i32_e32 vcc, 15, v36
	v_ashrrev_i32_e32 v37, 31, v36
	s_waitcnt lgkmcnt(0)
	s_barrier
	s_barrier
	s_and_saveexec_b64 s[14:15], vcc
	s_cbranch_execz .LBB28_248
; %bb.247:
	v_mul_lo_u32 v38, v7, s4
	v_mul_lo_u32 v39, v6, s5
	v_mad_u64_u32 v[30:31], s[4:5], v6, s4, 0
	s_lshl_b64 s[2:3], s[2:3], 2
	v_add3_u32 v31, v31, v39, v38
	s_add_u32 s0, s2, s0
	v_lshlrev_b64 v[30:31], 2, v[30:31]
	s_addc_u32 s1, s3, s1
	v_mov_b32_e32 v38, s1
	v_add_co_u32_e32 v39, vcc, s0, v30
	v_addc_co_u32_e32 v38, vcc, v38, v31, vcc
	v_lshlrev_b64 v[30:31], 2, v[36:37]
	v_add_co_u32_e32 v30, vcc, v39, v30
	v_addc_co_u32_e32 v31, vcc, v38, v31, vcc
	v_add3_u32 v38, v42, s13, 1
	global_store_dword v[30:31], v38, off
.LBB28_248:
	s_or_b64 exec, exec, s[14:15]
	v_cmp_eq_u32_e32 vcc, 0, v36
	s_and_saveexec_b64 s[2:3], vcc
	s_cbranch_execz .LBB28_251
; %bb.249:
	v_lshlrev_b64 v[6:7], 2, v[6:7]
	v_mov_b32_e32 v30, s7
	v_add_co_u32_e32 v6, vcc, s6, v6
	v_addc_co_u32_e32 v7, vcc, v30, v7, vcc
	global_load_dword v30, v[6:7], off
	v_cmp_lt_i32_e64 s[0:1], 0, v43
	s_waitcnt vmcnt(0)
	v_cmp_eq_u32_e32 vcc, 0, v30
	s_and_b64 s[0:1], vcc, s[0:1]
	s_and_b64 exec, exec, s[0:1]
	s_cbranch_execz .LBB28_251
; %bb.250:
	v_add_u32_e32 v30, s13, v43
	global_store_dword v[6:7], v30, off
.LBB28_251:
	s_or_b64 exec, exec, s[2:3]
	v_mul_f64 v[6:7], v[32:33], v[34:35]
	v_cmp_lt_i32_e32 vcc, 14, v36
	v_lshlrev_b64 v[30:31], 3, v[36:37]
	v_cndmask_b32_e32 v7, v33, v7, vcc
	v_cndmask_b32_e32 v6, v32, v6, vcc
	v_add_co_u32_e32 v30, vcc, v40, v30
	v_addc_co_u32_e32 v31, vcc, v41, v31, vcc
	global_store_dwordx2 v[30:31], v[16:17], off
	v_mov_b32_e32 v17, s11
	v_add_co_u32_e32 v16, vcc, s10, v30
	v_addc_co_u32_e32 v17, vcc, v31, v17, vcc
	global_store_dwordx2 v[16:17], v[12:13], off
	v_add_u32_e32 v12, s9, v36
	v_ashrrev_i32_e32 v13, 31, v12
	v_lshlrev_b64 v[16:17], 3, v[12:13]
	v_add_co_u32_e32 v16, vcc, v40, v16
	v_addc_co_u32_e32 v17, vcc, v41, v17, vcc
	global_store_dwordx2 v[16:17], v[2:3], off
	v_add_u32_e32 v2, s8, v12
	v_ashrrev_i32_e32 v3, 31, v2
	v_lshlrev_b64 v[12:13], 3, v[2:3]
	;; [unrolled: 6-line block ×3, first 2 shown]
	v_add_co_u32_e32 v2, vcc, v40, v2
	v_add_u32_e32 v0, s8, v0
	v_addc_co_u32_e32 v3, vcc, v41, v3, vcc
	v_ashrrev_i32_e32 v1, 31, v0
	global_store_dwordx2 v[2:3], v[24:25], off
	v_lshlrev_b64 v[2:3], 3, v[0:1]
	v_add_co_u32_e32 v2, vcc, v40, v2
	v_add_u32_e32 v0, s8, v0
	v_addc_co_u32_e32 v3, vcc, v41, v3, vcc
	v_ashrrev_i32_e32 v1, 31, v0
	global_store_dwordx2 v[2:3], v[18:19], off
	v_lshlrev_b64 v[2:3], 3, v[0:1]
	;; [unrolled: 6-line block ×9, first 2 shown]
	v_add_u32_e32 v0, s8, v0
	v_add_co_u32_e32 v2, vcc, v40, v2
	v_ashrrev_i32_e32 v1, 31, v0
	v_addc_co_u32_e32 v3, vcc, v41, v3, vcc
	v_lshlrev_b64 v[0:1], 3, v[0:1]
	v_add_co_u32_e32 v0, vcc, v40, v0
	v_addc_co_u32_e32 v1, vcc, v41, v1, vcc
	global_store_dwordx2 v[2:3], v[20:21], off
	global_store_dwordx2 v[0:1], v[6:7], off
.LBB28_252:
	s_endpgm
	.section	.rodata,"a",@progbits
	.p2align	6, 0x0
	.amdhsa_kernel _ZN9rocsolver6v33100L18getf2_small_kernelILi15EdiiPKPdEEvT1_T3_lS5_lPS5_llPT2_S5_S5_S7_l
		.amdhsa_group_segment_fixed_size 0
		.amdhsa_private_segment_fixed_size 0
		.amdhsa_kernarg_size 352
		.amdhsa_user_sgpr_count 6
		.amdhsa_user_sgpr_private_segment_buffer 1
		.amdhsa_user_sgpr_dispatch_ptr 0
		.amdhsa_user_sgpr_queue_ptr 0
		.amdhsa_user_sgpr_kernarg_segment_ptr 1
		.amdhsa_user_sgpr_dispatch_id 0
		.amdhsa_user_sgpr_flat_scratch_init 0
		.amdhsa_user_sgpr_kernarg_preload_length 0
		.amdhsa_user_sgpr_kernarg_preload_offset 0
		.amdhsa_user_sgpr_private_segment_size 0
		.amdhsa_uses_dynamic_stack 0
		.amdhsa_system_sgpr_private_segment_wavefront_offset 0
		.amdhsa_system_sgpr_workgroup_id_x 1
		.amdhsa_system_sgpr_workgroup_id_y 1
		.amdhsa_system_sgpr_workgroup_id_z 0
		.amdhsa_system_sgpr_workgroup_info 0
		.amdhsa_system_vgpr_workitem_id 1
		.amdhsa_next_free_vgpr 56
		.amdhsa_next_free_sgpr 20
		.amdhsa_accum_offset 56
		.amdhsa_reserve_vcc 1
		.amdhsa_reserve_flat_scratch 0
		.amdhsa_float_round_mode_32 0
		.amdhsa_float_round_mode_16_64 0
		.amdhsa_float_denorm_mode_32 3
		.amdhsa_float_denorm_mode_16_64 3
		.amdhsa_dx10_clamp 1
		.amdhsa_ieee_mode 1
		.amdhsa_fp16_overflow 0
		.amdhsa_tg_split 0
		.amdhsa_exception_fp_ieee_invalid_op 0
		.amdhsa_exception_fp_denorm_src 0
		.amdhsa_exception_fp_ieee_div_zero 0
		.amdhsa_exception_fp_ieee_overflow 0
		.amdhsa_exception_fp_ieee_underflow 0
		.amdhsa_exception_fp_ieee_inexact 0
		.amdhsa_exception_int_div_zero 0
	.end_amdhsa_kernel
	.section	.text._ZN9rocsolver6v33100L18getf2_small_kernelILi15EdiiPKPdEEvT1_T3_lS5_lPS5_llPT2_S5_S5_S7_l,"axG",@progbits,_ZN9rocsolver6v33100L18getf2_small_kernelILi15EdiiPKPdEEvT1_T3_lS5_lPS5_llPT2_S5_S5_S7_l,comdat
.Lfunc_end28:
	.size	_ZN9rocsolver6v33100L18getf2_small_kernelILi15EdiiPKPdEEvT1_T3_lS5_lPS5_llPT2_S5_S5_S7_l, .Lfunc_end28-_ZN9rocsolver6v33100L18getf2_small_kernelILi15EdiiPKPdEEvT1_T3_lS5_lPS5_llPT2_S5_S5_S7_l
                                        ; -- End function
	.section	.AMDGPU.csdata,"",@progbits
; Kernel info:
; codeLenInByte = 9120
; NumSgprs: 24
; NumVgprs: 56
; NumAgprs: 0
; TotalNumVgprs: 56
; ScratchSize: 0
; MemoryBound: 0
; FloatMode: 240
; IeeeMode: 1
; LDSByteSize: 0 bytes/workgroup (compile time only)
; SGPRBlocks: 2
; VGPRBlocks: 6
; NumSGPRsForWavesPerEU: 24
; NumVGPRsForWavesPerEU: 56
; AccumOffset: 56
; Occupancy: 8
; WaveLimiterHint : 1
; COMPUTE_PGM_RSRC2:SCRATCH_EN: 0
; COMPUTE_PGM_RSRC2:USER_SGPR: 6
; COMPUTE_PGM_RSRC2:TRAP_HANDLER: 0
; COMPUTE_PGM_RSRC2:TGID_X_EN: 1
; COMPUTE_PGM_RSRC2:TGID_Y_EN: 1
; COMPUTE_PGM_RSRC2:TGID_Z_EN: 0
; COMPUTE_PGM_RSRC2:TIDIG_COMP_CNT: 1
; COMPUTE_PGM_RSRC3_GFX90A:ACCUM_OFFSET: 13
; COMPUTE_PGM_RSRC3_GFX90A:TG_SPLIT: 0
	.section	.text._ZN9rocsolver6v33100L23getf2_npvt_small_kernelILi15EdiiPKPdEEvT1_T3_lS5_lPT2_S5_S5_,"axG",@progbits,_ZN9rocsolver6v33100L23getf2_npvt_small_kernelILi15EdiiPKPdEEvT1_T3_lS5_lPT2_S5_S5_,comdat
	.globl	_ZN9rocsolver6v33100L23getf2_npvt_small_kernelILi15EdiiPKPdEEvT1_T3_lS5_lPT2_S5_S5_ ; -- Begin function _ZN9rocsolver6v33100L23getf2_npvt_small_kernelILi15EdiiPKPdEEvT1_T3_lS5_lPT2_S5_S5_
	.p2align	8
	.type	_ZN9rocsolver6v33100L23getf2_npvt_small_kernelILi15EdiiPKPdEEvT1_T3_lS5_lPT2_S5_S5_,@function
_ZN9rocsolver6v33100L23getf2_npvt_small_kernelILi15EdiiPKPdEEvT1_T3_lS5_lPT2_S5_S5_: ; @_ZN9rocsolver6v33100L23getf2_npvt_small_kernelILi15EdiiPKPdEEvT1_T3_lS5_lPT2_S5_S5_
; %bb.0:
	s_load_dword s0, s[4:5], 0x44
	s_load_dwordx2 s[28:29], s[4:5], 0x30
	v_bfe_u32 v62, v0, 10, 10
	s_waitcnt lgkmcnt(0)
	s_lshr_b32 s8, s0, 16
	s_mul_i32 s7, s7, s8
	v_add_u32_e32 v2, s7, v62
	v_cmp_gt_i32_e32 vcc, s28, v2
	s_and_saveexec_b64 s[0:1], vcc
	s_cbranch_execz .LBB29_79
; %bb.1:
	s_load_dwordx4 s[12:15], s[4:5], 0x8
	s_load_dword s0, s[4:5], 0x18
	v_ashrrev_i32_e32 v3, 31, v2
	v_lshlrev_b64 v[4:5], 3, v[2:3]
	v_and_b32_e32 v92, 0x3ff, v0
	s_waitcnt lgkmcnt(0)
	v_mov_b32_e32 v1, s13
	v_add_co_u32_e32 v4, vcc, s12, v4
	v_addc_co_u32_e32 v5, vcc, v1, v5, vcc
	global_load_dwordx2 v[4:5], v[4:5], off
	s_add_i32 s9, s0, s0
	v_add_u32_e32 v0, s9, v92
	v_ashrrev_i32_e32 v1, 31, v0
	v_add_u32_e32 v6, s0, v0
	v_lshlrev_b64 v[8:9], 3, v[0:1]
	v_add_u32_e32 v0, s0, v6
	v_ashrrev_i32_e32 v1, 31, v0
	v_add_u32_e32 v10, s0, v0
	v_lshlrev_b64 v[12:13], 3, v[0:1]
	v_add_u32_e32 v0, s0, v10
	s_lshl_b64 s[6:7], s[14:15], 3
	v_ashrrev_i32_e32 v1, 31, v0
	v_add_u32_e32 v14, s0, v0
	v_mov_b32_e32 v21, s7
	v_lshlrev_b64 v[16:17], 3, v[0:1]
	v_add_u32_e32 v0, s0, v14
	v_lshlrev_b32_e32 v20, 3, v92
	v_ashrrev_i32_e32 v1, 31, v0
	v_add_u32_e32 v38, s0, v0
	v_lshlrev_b64 v[18:19], 3, v[0:1]
	v_ashrrev_i32_e32 v7, 31, v6
	v_lshlrev_b64 v[6:7], 3, v[6:7]
	v_ashrrev_i32_e32 v11, 31, v10
	;; [unrolled: 2-line block ×3, first 2 shown]
	v_lshlrev_b64 v[14:15], 3, v[14:15]
	s_ashr_i32 s1, s0, 31
	s_lshl_b64 s[2:3], s[0:1], 3
	v_mov_b32_e32 v22, s3
	v_ashrrev_i32_e32 v39, 31, v38
	v_lshlrev_b64 v[28:29], 3, v[38:39]
	v_add_u32_e32 v40, s0, v38
	v_ashrrev_i32_e32 v41, 31, v40
	v_lshlrev_b64 v[38:39], 3, v[40:41]
	v_add_u32_e32 v42, s0, v40
	;; [unrolled: 3-line block ×5, first 2 shown]
	v_ashrrev_i32_e32 v47, 31, v46
	v_lshlrev_b64 v[46:47], 3, v[46:47]
	s_mulk_i32 s8, 0x78
	s_movk_i32 s0, 0x78
	s_add_i32 s1, s8, 0
	v_mad_u32_u24 v91, v62, s0, 0
	v_lshl_add_u32 v90, v62, 3, s1
	v_cmp_eq_u32_e64 s[0:1], 0, v92
	s_waitcnt vmcnt(0)
	v_add_co_u32_e32 v48, vcc, s6, v4
	v_addc_co_u32_e32 v49, vcc, v5, v21, vcc
	v_add_co_u32_e32 v0, vcc, v48, v20
	v_addc_co_u32_e32 v1, vcc, 0, v49, vcc
	;; [unrolled: 2-line block ×15, first 2 shown]
	global_load_dwordx2 v[18:19], v[8:9], off
	global_load_dwordx2 v[20:21], v[10:11], off
	;; [unrolled: 1-line block ×8, first 2 shown]
	v_add_co_u32_e32 v46, vcc, v48, v46
	v_addc_co_u32_e32 v47, vcc, v49, v47, vcc
	global_load_dwordx2 v[48:49], v[16:17], off
	global_load_dwordx2 v[50:51], v[28:29], off
	;; [unrolled: 1-line block ×7, first 2 shown]
	v_cmp_ne_u32_e64 s[2:3], 0, v92
	s_and_saveexec_b64 s[6:7], s[0:1]
	s_cbranch_execz .LBB29_4
; %bb.2:
	s_waitcnt vmcnt(10)
	ds_write_b64 v90, v[30:31]
	s_waitcnt vmcnt(8)
	ds_write2_b64 v91, v[32:33], v[34:35] offset0:1 offset1:2
	s_waitcnt vmcnt(7)
	ds_write2_b64 v91, v[36:37], v[18:19] offset0:3 offset1:4
	ds_write2_b64 v91, v[20:21], v[22:23] offset0:5 offset1:6
	s_waitcnt vmcnt(6)
	ds_write2_b64 v91, v[24:25], v[48:49] offset0:7 offset1:8
	s_waitcnt vmcnt(4)
	;; [unrolled: 2-line block ×4, first 2 shown]
	ds_write2_b64 v91, v[58:59], v[60:61] offset0:13 offset1:14
	ds_read_b64 v[62:63], v90
	s_waitcnt lgkmcnt(0)
	v_cmp_neq_f64_e32 vcc, 0, v[62:63]
	s_and_b64 exec, exec, vcc
	s_cbranch_execz .LBB29_4
; %bb.3:
	v_div_scale_f64 v[64:65], s[8:9], v[62:63], v[62:63], 1.0
	v_rcp_f64_e32 v[66:67], v[64:65]
	v_div_scale_f64 v[68:69], vcc, 1.0, v[62:63], 1.0
	v_fma_f64 v[70:71], -v[64:65], v[66:67], 1.0
	v_fmac_f64_e32 v[66:67], v[66:67], v[70:71]
	v_fma_f64 v[70:71], -v[64:65], v[66:67], 1.0
	v_fmac_f64_e32 v[66:67], v[66:67], v[70:71]
	v_mul_f64 v[70:71], v[68:69], v[66:67]
	v_fma_f64 v[64:65], -v[64:65], v[70:71], v[68:69]
	v_div_fmas_f64 v[64:65], v[64:65], v[66:67], v[70:71]
	v_div_fixup_f64 v[62:63], v[64:65], v[62:63], 1.0
	ds_write_b64 v90, v[62:63]
.LBB29_4:
	s_or_b64 exec, exec, s[6:7]
	s_waitcnt lgkmcnt(0)
	s_barrier
	ds_read_b64 v[62:63], v90
	s_and_saveexec_b64 s[6:7], s[2:3]
	s_cbranch_execz .LBB29_6
; %bb.5:
	ds_read2_b64 v[64:67], v91 offset0:1 offset1:2
	ds_read2_b64 v[68:71], v91 offset0:3 offset1:4
	s_waitcnt vmcnt(10) lgkmcnt(2)
	v_mul_f64 v[30:31], v[30:31], v[62:63]
	ds_read2_b64 v[72:75], v91 offset0:5 offset1:6
	s_waitcnt vmcnt(9) lgkmcnt(2)
	v_fma_f64 v[32:33], -v[30:31], v[64:65], v[32:33]
	s_waitcnt vmcnt(8)
	v_fma_f64 v[34:35], -v[30:31], v[66:67], v[34:35]
	ds_read2_b64 v[64:67], v91 offset0:7 offset1:8
	s_waitcnt vmcnt(7) lgkmcnt(2)
	v_fma_f64 v[36:37], -v[30:31], v[68:69], v[36:37]
	v_fma_f64 v[18:19], -v[30:31], v[70:71], v[18:19]
	s_waitcnt lgkmcnt(1)
	v_fma_f64 v[20:21], -v[30:31], v[72:73], v[20:21]
	v_fma_f64 v[22:23], -v[30:31], v[74:75], v[22:23]
	ds_read2_b64 v[68:71], v91 offset0:9 offset1:10
	ds_read2_b64 v[72:75], v91 offset0:11 offset1:12
	s_waitcnt lgkmcnt(2)
	v_fma_f64 v[24:25], -v[30:31], v[64:65], v[24:25]
	s_waitcnt vmcnt(6)
	v_fma_f64 v[48:49], -v[30:31], v[66:67], v[48:49]
	ds_read2_b64 v[64:67], v91 offset0:13 offset1:14
	s_waitcnt vmcnt(5) lgkmcnt(2)
	v_fma_f64 v[50:51], -v[30:31], v[68:69], v[50:51]
	s_waitcnt vmcnt(4)
	v_fma_f64 v[52:53], -v[30:31], v[70:71], v[52:53]
	s_waitcnt vmcnt(3) lgkmcnt(1)
	v_fma_f64 v[54:55], -v[30:31], v[72:73], v[54:55]
	s_waitcnt vmcnt(2)
	v_fma_f64 v[56:57], -v[30:31], v[74:75], v[56:57]
	;; [unrolled: 4-line block ×3, first 2 shown]
.LBB29_6:
	s_or_b64 exec, exec, s[6:7]
	v_cmp_eq_u32_e32 vcc, 1, v92
	s_waitcnt lgkmcnt(0)
	s_barrier
	s_and_saveexec_b64 s[2:3], vcc
	s_cbranch_execz .LBB29_9
; %bb.7:
	s_waitcnt vmcnt(9)
	ds_write_b64 v90, v[32:33]
	s_waitcnt vmcnt(7)
	ds_write2_b64 v91, v[34:35], v[36:37] offset0:2 offset1:3
	ds_write2_b64 v91, v[18:19], v[20:21] offset0:4 offset1:5
	;; [unrolled: 1-line block ×3, first 2 shown]
	s_waitcnt vmcnt(5)
	ds_write2_b64 v91, v[48:49], v[50:51] offset0:8 offset1:9
	s_waitcnt vmcnt(3)
	ds_write2_b64 v91, v[52:53], v[54:55] offset0:10 offset1:11
	;; [unrolled: 2-line block ×3, first 2 shown]
	s_waitcnt vmcnt(0)
	ds_write_b64 v91, v[60:61] offset:112
	ds_read_b64 v[64:65], v90
	s_waitcnt lgkmcnt(0)
	v_cmp_neq_f64_e32 vcc, 0, v[64:65]
	s_and_b64 exec, exec, vcc
	s_cbranch_execz .LBB29_9
; %bb.8:
	v_div_scale_f64 v[66:67], s[6:7], v[64:65], v[64:65], 1.0
	v_rcp_f64_e32 v[68:69], v[66:67]
	v_div_scale_f64 v[70:71], vcc, 1.0, v[64:65], 1.0
	v_fma_f64 v[72:73], -v[66:67], v[68:69], 1.0
	v_fmac_f64_e32 v[68:69], v[68:69], v[72:73]
	v_fma_f64 v[72:73], -v[66:67], v[68:69], 1.0
	v_fmac_f64_e32 v[68:69], v[68:69], v[72:73]
	v_mul_f64 v[72:73], v[70:71], v[68:69]
	v_fma_f64 v[66:67], -v[66:67], v[72:73], v[70:71]
	v_div_fmas_f64 v[66:67], v[66:67], v[68:69], v[72:73]
	v_div_fixup_f64 v[64:65], v[66:67], v[64:65], 1.0
	ds_write_b64 v90, v[64:65]
.LBB29_9:
	s_or_b64 exec, exec, s[2:3]
	s_waitcnt lgkmcnt(0)
	s_barrier
	ds_read_b64 v[64:65], v90
	v_cmp_lt_u32_e32 vcc, 1, v92
	s_and_saveexec_b64 s[2:3], vcc
	s_cbranch_execz .LBB29_11
; %bb.10:
	ds_read2_b64 v[66:69], v91 offset0:2 offset1:3
	ds_read2_b64 v[70:73], v91 offset0:4 offset1:5
	s_waitcnt vmcnt(9) lgkmcnt(2)
	v_mul_f64 v[32:33], v[32:33], v[64:65]
	ds_read2_b64 v[74:77], v91 offset0:6 offset1:7
	s_waitcnt vmcnt(8) lgkmcnt(2)
	v_fma_f64 v[34:35], -v[32:33], v[66:67], v[34:35]
	s_waitcnt vmcnt(7)
	v_fma_f64 v[36:37], -v[32:33], v[68:69], v[36:37]
	ds_read2_b64 v[66:69], v91 offset0:8 offset1:9
	s_waitcnt lgkmcnt(2)
	v_fma_f64 v[18:19], -v[32:33], v[70:71], v[18:19]
	v_fma_f64 v[20:21], -v[32:33], v[72:73], v[20:21]
	s_waitcnt lgkmcnt(1)
	v_fma_f64 v[22:23], -v[32:33], v[74:75], v[22:23]
	v_fma_f64 v[24:25], -v[32:33], v[76:77], v[24:25]
	ds_read2_b64 v[70:73], v91 offset0:10 offset1:11
	ds_read2_b64 v[74:77], v91 offset0:12 offset1:13
	s_waitcnt vmcnt(6) lgkmcnt(2)
	v_fma_f64 v[48:49], -v[32:33], v[66:67], v[48:49]
	ds_read_b64 v[66:67], v91 offset:112
	s_waitcnt vmcnt(5)
	v_fma_f64 v[50:51], -v[32:33], v[68:69], v[50:51]
	s_waitcnt vmcnt(4) lgkmcnt(2)
	v_fma_f64 v[52:53], -v[32:33], v[70:71], v[52:53]
	s_waitcnt vmcnt(3)
	v_fma_f64 v[54:55], -v[32:33], v[72:73], v[54:55]
	s_waitcnt vmcnt(2) lgkmcnt(1)
	v_fma_f64 v[56:57], -v[32:33], v[74:75], v[56:57]
	;; [unrolled: 4-line block ×3, first 2 shown]
.LBB29_11:
	s_or_b64 exec, exec, s[2:3]
	v_cmp_eq_u32_e32 vcc, 2, v92
	s_waitcnt lgkmcnt(0)
	s_barrier
	s_and_saveexec_b64 s[2:3], vcc
	s_cbranch_execz .LBB29_14
; %bb.12:
	s_waitcnt vmcnt(8)
	ds_write_b64 v90, v[34:35]
	s_waitcnt vmcnt(7)
	ds_write2_b64 v91, v[36:37], v[18:19] offset0:3 offset1:4
	ds_write2_b64 v91, v[20:21], v[22:23] offset0:5 offset1:6
	s_waitcnt vmcnt(6)
	ds_write2_b64 v91, v[24:25], v[48:49] offset0:7 offset1:8
	s_waitcnt vmcnt(4)
	;; [unrolled: 2-line block ×4, first 2 shown]
	ds_write2_b64 v91, v[58:59], v[60:61] offset0:13 offset1:14
	ds_read_b64 v[66:67], v90
	s_waitcnt lgkmcnt(0)
	v_cmp_neq_f64_e32 vcc, 0, v[66:67]
	s_and_b64 exec, exec, vcc
	s_cbranch_execz .LBB29_14
; %bb.13:
	v_div_scale_f64 v[68:69], s[6:7], v[66:67], v[66:67], 1.0
	v_rcp_f64_e32 v[70:71], v[68:69]
	v_div_scale_f64 v[72:73], vcc, 1.0, v[66:67], 1.0
	v_fma_f64 v[74:75], -v[68:69], v[70:71], 1.0
	v_fmac_f64_e32 v[70:71], v[70:71], v[74:75]
	v_fma_f64 v[74:75], -v[68:69], v[70:71], 1.0
	v_fmac_f64_e32 v[70:71], v[70:71], v[74:75]
	v_mul_f64 v[74:75], v[72:73], v[70:71]
	v_fma_f64 v[68:69], -v[68:69], v[74:75], v[72:73]
	v_div_fmas_f64 v[68:69], v[68:69], v[70:71], v[74:75]
	v_div_fixup_f64 v[66:67], v[68:69], v[66:67], 1.0
	ds_write_b64 v90, v[66:67]
.LBB29_14:
	s_or_b64 exec, exec, s[2:3]
	s_waitcnt lgkmcnt(0)
	s_barrier
	ds_read_b64 v[66:67], v90
	v_cmp_lt_u32_e32 vcc, 2, v92
	s_and_saveexec_b64 s[2:3], vcc
	s_cbranch_execz .LBB29_16
; %bb.15:
	ds_read2_b64 v[68:71], v91 offset0:3 offset1:4
	ds_read2_b64 v[72:75], v91 offset0:5 offset1:6
	;; [unrolled: 1-line block ×3, first 2 shown]
	s_waitcnt vmcnt(8) lgkmcnt(3)
	v_mul_f64 v[34:35], v[34:35], v[66:67]
	s_waitcnt vmcnt(7) lgkmcnt(2)
	v_fma_f64 v[36:37], -v[34:35], v[68:69], v[36:37]
	v_fma_f64 v[18:19], -v[34:35], v[70:71], v[18:19]
	ds_read2_b64 v[68:71], v91 offset0:9 offset1:10
	s_waitcnt lgkmcnt(2)
	v_fma_f64 v[20:21], -v[34:35], v[72:73], v[20:21]
	v_fma_f64 v[22:23], -v[34:35], v[74:75], v[22:23]
	s_waitcnt lgkmcnt(1)
	v_fma_f64 v[24:25], -v[34:35], v[76:77], v[24:25]
	ds_read2_b64 v[72:75], v91 offset0:11 offset1:12
	s_waitcnt vmcnt(6)
	v_fma_f64 v[48:49], -v[34:35], v[78:79], v[48:49]
	ds_read2_b64 v[76:79], v91 offset0:13 offset1:14
	s_waitcnt vmcnt(5) lgkmcnt(2)
	v_fma_f64 v[50:51], -v[34:35], v[68:69], v[50:51]
	s_waitcnt vmcnt(4)
	v_fma_f64 v[52:53], -v[34:35], v[70:71], v[52:53]
	s_waitcnt vmcnt(3) lgkmcnt(1)
	v_fma_f64 v[54:55], -v[34:35], v[72:73], v[54:55]
	s_waitcnt vmcnt(2)
	v_fma_f64 v[56:57], -v[34:35], v[74:75], v[56:57]
	;; [unrolled: 4-line block ×3, first 2 shown]
.LBB29_16:
	s_or_b64 exec, exec, s[2:3]
	v_cmp_eq_u32_e32 vcc, 3, v92
	s_waitcnt lgkmcnt(0)
	s_barrier
	s_and_saveexec_b64 s[2:3], vcc
	s_cbranch_execz .LBB29_19
; %bb.17:
	s_waitcnt vmcnt(7)
	ds_write_b64 v90, v[36:37]
	ds_write2_b64 v91, v[18:19], v[20:21] offset0:4 offset1:5
	ds_write2_b64 v91, v[22:23], v[24:25] offset0:6 offset1:7
	s_waitcnt vmcnt(5)
	ds_write2_b64 v91, v[48:49], v[50:51] offset0:8 offset1:9
	s_waitcnt vmcnt(3)
	ds_write2_b64 v91, v[52:53], v[54:55] offset0:10 offset1:11
	s_waitcnt vmcnt(1)
	ds_write2_b64 v91, v[56:57], v[58:59] offset0:12 offset1:13
	s_waitcnt vmcnt(0)
	ds_write_b64 v91, v[60:61] offset:112
	ds_read_b64 v[68:69], v90
	s_waitcnt lgkmcnt(0)
	v_cmp_neq_f64_e32 vcc, 0, v[68:69]
	s_and_b64 exec, exec, vcc
	s_cbranch_execz .LBB29_19
; %bb.18:
	v_div_scale_f64 v[70:71], s[6:7], v[68:69], v[68:69], 1.0
	v_rcp_f64_e32 v[72:73], v[70:71]
	v_div_scale_f64 v[74:75], vcc, 1.0, v[68:69], 1.0
	v_fma_f64 v[76:77], -v[70:71], v[72:73], 1.0
	v_fmac_f64_e32 v[72:73], v[72:73], v[76:77]
	v_fma_f64 v[76:77], -v[70:71], v[72:73], 1.0
	v_fmac_f64_e32 v[72:73], v[72:73], v[76:77]
	v_mul_f64 v[76:77], v[74:75], v[72:73]
	v_fma_f64 v[70:71], -v[70:71], v[76:77], v[74:75]
	v_div_fmas_f64 v[70:71], v[70:71], v[72:73], v[76:77]
	v_div_fixup_f64 v[68:69], v[70:71], v[68:69], 1.0
	ds_write_b64 v90, v[68:69]
.LBB29_19:
	s_or_b64 exec, exec, s[2:3]
	s_waitcnt lgkmcnt(0)
	s_barrier
	ds_read_b64 v[68:69], v90
	v_cmp_lt_u32_e32 vcc, 3, v92
	s_and_saveexec_b64 s[2:3], vcc
	s_cbranch_execz .LBB29_21
; %bb.20:
	ds_read2_b64 v[70:73], v91 offset0:4 offset1:5
	ds_read2_b64 v[74:77], v91 offset0:6 offset1:7
	;; [unrolled: 1-line block ×3, first 2 shown]
	s_waitcnt vmcnt(7) lgkmcnt(3)
	v_mul_f64 v[36:37], v[36:37], v[68:69]
	s_waitcnt lgkmcnt(2)
	v_fma_f64 v[18:19], -v[36:37], v[70:71], v[18:19]
	v_fma_f64 v[20:21], -v[36:37], v[72:73], v[20:21]
	ds_read2_b64 v[70:73], v91 offset0:10 offset1:11
	s_waitcnt lgkmcnt(2)
	v_fma_f64 v[22:23], -v[36:37], v[74:75], v[22:23]
	v_fma_f64 v[24:25], -v[36:37], v[76:77], v[24:25]
	s_waitcnt vmcnt(6) lgkmcnt(1)
	v_fma_f64 v[48:49], -v[36:37], v[78:79], v[48:49]
	ds_read2_b64 v[74:77], v91 offset0:12 offset1:13
	ds_read_b64 v[78:79], v91 offset:112
	s_waitcnt vmcnt(5)
	v_fma_f64 v[50:51], -v[36:37], v[80:81], v[50:51]
	s_waitcnt vmcnt(4) lgkmcnt(2)
	v_fma_f64 v[52:53], -v[36:37], v[70:71], v[52:53]
	s_waitcnt vmcnt(3)
	v_fma_f64 v[54:55], -v[36:37], v[72:73], v[54:55]
	s_waitcnt vmcnt(2) lgkmcnt(1)
	v_fma_f64 v[56:57], -v[36:37], v[74:75], v[56:57]
	;; [unrolled: 4-line block ×3, first 2 shown]
.LBB29_21:
	s_or_b64 exec, exec, s[2:3]
	v_cmp_eq_u32_e32 vcc, 4, v92
	s_waitcnt lgkmcnt(0)
	s_barrier
	s_and_saveexec_b64 s[2:3], vcc
	s_cbranch_execz .LBB29_24
; %bb.22:
	s_waitcnt vmcnt(14)
	ds_write_b64 v90, v[18:19]
	s_waitcnt vmcnt(12)
	ds_write2_b64 v91, v[20:21], v[22:23] offset0:5 offset1:6
	s_waitcnt vmcnt(6)
	ds_write2_b64 v91, v[24:25], v[48:49] offset0:7 offset1:8
	;; [unrolled: 2-line block ×5, first 2 shown]
	ds_read_b64 v[70:71], v90
	s_waitcnt lgkmcnt(0)
	v_cmp_neq_f64_e32 vcc, 0, v[70:71]
	s_and_b64 exec, exec, vcc
	s_cbranch_execz .LBB29_24
; %bb.23:
	v_div_scale_f64 v[72:73], s[6:7], v[70:71], v[70:71], 1.0
	v_rcp_f64_e32 v[74:75], v[72:73]
	v_div_scale_f64 v[76:77], vcc, 1.0, v[70:71], 1.0
	v_fma_f64 v[78:79], -v[72:73], v[74:75], 1.0
	v_fmac_f64_e32 v[74:75], v[74:75], v[78:79]
	v_fma_f64 v[78:79], -v[72:73], v[74:75], 1.0
	v_fmac_f64_e32 v[74:75], v[74:75], v[78:79]
	v_mul_f64 v[78:79], v[76:77], v[74:75]
	v_fma_f64 v[72:73], -v[72:73], v[78:79], v[76:77]
	v_div_fmas_f64 v[72:73], v[72:73], v[74:75], v[78:79]
	v_div_fixup_f64 v[70:71], v[72:73], v[70:71], 1.0
	ds_write_b64 v90, v[70:71]
.LBB29_24:
	s_or_b64 exec, exec, s[2:3]
	s_waitcnt lgkmcnt(0)
	s_barrier
	ds_read_b64 v[70:71], v90
	v_cmp_lt_u32_e32 vcc, 4, v92
	s_and_saveexec_b64 s[2:3], vcc
	s_cbranch_execz .LBB29_26
; %bb.25:
	ds_read2_b64 v[72:75], v91 offset0:5 offset1:6
	ds_read2_b64 v[76:79], v91 offset0:7 offset1:8
	s_waitcnt vmcnt(14) lgkmcnt(2)
	v_mul_f64 v[18:19], v[18:19], v[70:71]
	ds_read2_b64 v[80:83], v91 offset0:11 offset1:12
	s_waitcnt vmcnt(13) lgkmcnt(2)
	v_fma_f64 v[20:21], -v[18:19], v[72:73], v[20:21]
	s_waitcnt vmcnt(12)
	v_fma_f64 v[22:23], -v[18:19], v[74:75], v[22:23]
	ds_read2_b64 v[72:75], v91 offset0:9 offset1:10
	s_waitcnt vmcnt(11) lgkmcnt(2)
	v_fma_f64 v[24:25], -v[18:19], v[76:77], v[24:25]
	s_waitcnt vmcnt(6)
	v_fma_f64 v[48:49], -v[18:19], v[78:79], v[48:49]
	ds_read2_b64 v[76:79], v91 offset0:13 offset1:14
	s_waitcnt vmcnt(3) lgkmcnt(2)
	v_fma_f64 v[54:55], -v[18:19], v[80:81], v[54:55]
	s_waitcnt lgkmcnt(1)
	v_fma_f64 v[50:51], -v[18:19], v[72:73], v[50:51]
	v_fma_f64 v[52:53], -v[18:19], v[74:75], v[52:53]
	s_waitcnt vmcnt(2)
	v_fma_f64 v[56:57], -v[18:19], v[82:83], v[56:57]
	s_waitcnt vmcnt(1) lgkmcnt(0)
	v_fma_f64 v[58:59], -v[18:19], v[76:77], v[58:59]
	s_waitcnt vmcnt(0)
	v_fma_f64 v[60:61], -v[18:19], v[78:79], v[60:61]
.LBB29_26:
	s_or_b64 exec, exec, s[2:3]
	v_cmp_eq_u32_e32 vcc, 5, v92
	s_waitcnt lgkmcnt(0)
	s_barrier
	s_and_saveexec_b64 s[2:3], vcc
	s_cbranch_execz .LBB29_29
; %bb.27:
	s_waitcnt vmcnt(13)
	ds_write_b64 v90, v[20:21]
	s_waitcnt vmcnt(11)
	ds_write2_b64 v91, v[22:23], v[24:25] offset0:6 offset1:7
	s_waitcnt vmcnt(5)
	ds_write2_b64 v91, v[48:49], v[50:51] offset0:8 offset1:9
	s_waitcnt vmcnt(3)
	ds_write2_b64 v91, v[52:53], v[54:55] offset0:10 offset1:11
	s_waitcnt vmcnt(1)
	ds_write2_b64 v91, v[56:57], v[58:59] offset0:12 offset1:13
	s_waitcnt vmcnt(0)
	ds_write_b64 v91, v[60:61] offset:112
	ds_read_b64 v[72:73], v90
	s_waitcnt lgkmcnt(0)
	v_cmp_neq_f64_e32 vcc, 0, v[72:73]
	s_and_b64 exec, exec, vcc
	s_cbranch_execz .LBB29_29
; %bb.28:
	v_div_scale_f64 v[74:75], s[6:7], v[72:73], v[72:73], 1.0
	v_rcp_f64_e32 v[76:77], v[74:75]
	v_div_scale_f64 v[78:79], vcc, 1.0, v[72:73], 1.0
	v_fma_f64 v[80:81], -v[74:75], v[76:77], 1.0
	v_fmac_f64_e32 v[76:77], v[76:77], v[80:81]
	v_fma_f64 v[80:81], -v[74:75], v[76:77], 1.0
	v_fmac_f64_e32 v[76:77], v[76:77], v[80:81]
	v_mul_f64 v[80:81], v[78:79], v[76:77]
	v_fma_f64 v[74:75], -v[74:75], v[80:81], v[78:79]
	v_div_fmas_f64 v[74:75], v[74:75], v[76:77], v[80:81]
	v_div_fixup_f64 v[72:73], v[74:75], v[72:73], 1.0
	ds_write_b64 v90, v[72:73]
.LBB29_29:
	s_or_b64 exec, exec, s[2:3]
	s_waitcnt lgkmcnt(0)
	s_barrier
	ds_read_b64 v[72:73], v90
	v_cmp_lt_u32_e32 vcc, 5, v92
	s_and_saveexec_b64 s[2:3], vcc
	s_cbranch_execz .LBB29_31
; %bb.30:
	ds_read2_b64 v[74:77], v91 offset0:6 offset1:7
	ds_read2_b64 v[78:81], v91 offset0:8 offset1:9
	s_waitcnt vmcnt(13) lgkmcnt(2)
	v_mul_f64 v[20:21], v[20:21], v[72:73]
	ds_read2_b64 v[82:85], v91 offset0:12 offset1:13
	s_waitcnt vmcnt(12) lgkmcnt(2)
	v_fma_f64 v[22:23], -v[20:21], v[74:75], v[22:23]
	s_waitcnt vmcnt(11)
	v_fma_f64 v[24:25], -v[20:21], v[76:77], v[24:25]
	ds_read2_b64 v[74:77], v91 offset0:10 offset1:11
	s_waitcnt vmcnt(6) lgkmcnt(2)
	v_fma_f64 v[48:49], -v[20:21], v[78:79], v[48:49]
	ds_read_b64 v[78:79], v91 offset:112
	s_waitcnt vmcnt(5)
	v_fma_f64 v[50:51], -v[20:21], v[80:81], v[50:51]
	s_waitcnt vmcnt(2) lgkmcnt(2)
	v_fma_f64 v[56:57], -v[20:21], v[82:83], v[56:57]
	s_waitcnt lgkmcnt(1)
	v_fma_f64 v[52:53], -v[20:21], v[74:75], v[52:53]
	v_fma_f64 v[54:55], -v[20:21], v[76:77], v[54:55]
	s_waitcnt vmcnt(1)
	v_fma_f64 v[58:59], -v[20:21], v[84:85], v[58:59]
	s_waitcnt vmcnt(0) lgkmcnt(0)
	v_fma_f64 v[60:61], -v[20:21], v[78:79], v[60:61]
.LBB29_31:
	s_or_b64 exec, exec, s[2:3]
	v_cmp_eq_u32_e32 vcc, 6, v92
	s_waitcnt lgkmcnt(0)
	s_barrier
	s_and_saveexec_b64 s[2:3], vcc
	s_cbranch_execz .LBB29_34
; %bb.32:
	s_waitcnt vmcnt(12)
	ds_write_b64 v90, v[22:23]
	s_waitcnt vmcnt(6)
	ds_write2_b64 v91, v[24:25], v[48:49] offset0:7 offset1:8
	s_waitcnt vmcnt(4)
	ds_write2_b64 v91, v[50:51], v[52:53] offset0:9 offset1:10
	;; [unrolled: 2-line block ×4, first 2 shown]
	ds_read_b64 v[74:75], v90
	s_waitcnt lgkmcnt(0)
	v_cmp_neq_f64_e32 vcc, 0, v[74:75]
	s_and_b64 exec, exec, vcc
	s_cbranch_execz .LBB29_34
; %bb.33:
	v_div_scale_f64 v[76:77], s[6:7], v[74:75], v[74:75], 1.0
	v_rcp_f64_e32 v[78:79], v[76:77]
	v_div_scale_f64 v[80:81], vcc, 1.0, v[74:75], 1.0
	v_fma_f64 v[82:83], -v[76:77], v[78:79], 1.0
	v_fmac_f64_e32 v[78:79], v[78:79], v[82:83]
	v_fma_f64 v[82:83], -v[76:77], v[78:79], 1.0
	v_fmac_f64_e32 v[78:79], v[78:79], v[82:83]
	v_mul_f64 v[82:83], v[80:81], v[78:79]
	v_fma_f64 v[76:77], -v[76:77], v[82:83], v[80:81]
	v_div_fmas_f64 v[76:77], v[76:77], v[78:79], v[82:83]
	v_div_fixup_f64 v[74:75], v[76:77], v[74:75], 1.0
	ds_write_b64 v90, v[74:75]
.LBB29_34:
	s_or_b64 exec, exec, s[2:3]
	s_waitcnt lgkmcnt(0)
	s_barrier
	ds_read_b64 v[74:75], v90
	v_cmp_lt_u32_e32 vcc, 6, v92
	s_and_saveexec_b64 s[2:3], vcc
	s_cbranch_execz .LBB29_36
; %bb.35:
	ds_read2_b64 v[76:79], v91 offset0:7 offset1:8
	ds_read2_b64 v[80:83], v91 offset0:9 offset1:10
	s_waitcnt vmcnt(12) lgkmcnt(2)
	v_mul_f64 v[22:23], v[22:23], v[74:75]
	ds_read2_b64 v[84:87], v91 offset0:11 offset1:12
	s_waitcnt vmcnt(11) lgkmcnt(2)
	v_fma_f64 v[24:25], -v[22:23], v[76:77], v[24:25]
	s_waitcnt vmcnt(6)
	v_fma_f64 v[48:49], -v[22:23], v[78:79], v[48:49]
	ds_read2_b64 v[76:79], v91 offset0:13 offset1:14
	s_waitcnt vmcnt(5) lgkmcnt(2)
	v_fma_f64 v[50:51], -v[22:23], v[80:81], v[50:51]
	s_waitcnt vmcnt(4)
	v_fma_f64 v[52:53], -v[22:23], v[82:83], v[52:53]
	s_waitcnt vmcnt(3) lgkmcnt(1)
	v_fma_f64 v[54:55], -v[22:23], v[84:85], v[54:55]
	s_waitcnt vmcnt(2)
	v_fma_f64 v[56:57], -v[22:23], v[86:87], v[56:57]
	;; [unrolled: 4-line block ×3, first 2 shown]
.LBB29_36:
	s_or_b64 exec, exec, s[2:3]
	v_cmp_eq_u32_e32 vcc, 7, v92
	s_waitcnt lgkmcnt(0)
	s_barrier
	s_and_saveexec_b64 s[2:3], vcc
	s_cbranch_execz .LBB29_39
; %bb.37:
	s_waitcnt vmcnt(11)
	ds_write_b64 v90, v[24:25]
	s_waitcnt vmcnt(5)
	ds_write2_b64 v91, v[48:49], v[50:51] offset0:8 offset1:9
	s_waitcnt vmcnt(3)
	ds_write2_b64 v91, v[52:53], v[54:55] offset0:10 offset1:11
	s_waitcnt vmcnt(1)
	ds_write2_b64 v91, v[56:57], v[58:59] offset0:12 offset1:13
	s_waitcnt vmcnt(0)
	ds_write_b64 v91, v[60:61] offset:112
	ds_read_b64 v[76:77], v90
	s_waitcnt lgkmcnt(0)
	v_cmp_neq_f64_e32 vcc, 0, v[76:77]
	s_and_b64 exec, exec, vcc
	s_cbranch_execz .LBB29_39
; %bb.38:
	v_div_scale_f64 v[78:79], s[6:7], v[76:77], v[76:77], 1.0
	v_rcp_f64_e32 v[80:81], v[78:79]
	v_div_scale_f64 v[82:83], vcc, 1.0, v[76:77], 1.0
	v_fma_f64 v[84:85], -v[78:79], v[80:81], 1.0
	v_fmac_f64_e32 v[80:81], v[80:81], v[84:85]
	v_fma_f64 v[84:85], -v[78:79], v[80:81], 1.0
	v_fmac_f64_e32 v[80:81], v[80:81], v[84:85]
	v_mul_f64 v[84:85], v[82:83], v[80:81]
	v_fma_f64 v[78:79], -v[78:79], v[84:85], v[82:83]
	v_div_fmas_f64 v[78:79], v[78:79], v[80:81], v[84:85]
	v_div_fixup_f64 v[76:77], v[78:79], v[76:77], 1.0
	ds_write_b64 v90, v[76:77]
.LBB29_39:
	s_or_b64 exec, exec, s[2:3]
	s_waitcnt lgkmcnt(0)
	s_barrier
	ds_read_b64 v[76:77], v90
	v_cmp_lt_u32_e32 vcc, 7, v92
	s_and_saveexec_b64 s[2:3], vcc
	s_cbranch_execz .LBB29_41
; %bb.40:
	ds_read2_b64 v[78:81], v91 offset0:8 offset1:9
	ds_read2_b64 v[82:85], v91 offset0:10 offset1:11
	s_waitcnt vmcnt(11) lgkmcnt(2)
	v_mul_f64 v[24:25], v[24:25], v[76:77]
	ds_read2_b64 v[86:89], v91 offset0:12 offset1:13
	s_waitcnt vmcnt(6) lgkmcnt(2)
	v_fma_f64 v[48:49], -v[24:25], v[78:79], v[48:49]
	ds_read_b64 v[78:79], v91 offset:112
	s_waitcnt vmcnt(5)
	v_fma_f64 v[50:51], -v[24:25], v[80:81], v[50:51]
	s_waitcnt vmcnt(4) lgkmcnt(2)
	v_fma_f64 v[52:53], -v[24:25], v[82:83], v[52:53]
	s_waitcnt vmcnt(3)
	v_fma_f64 v[54:55], -v[24:25], v[84:85], v[54:55]
	s_waitcnt vmcnt(2) lgkmcnt(1)
	v_fma_f64 v[56:57], -v[24:25], v[86:87], v[56:57]
	;; [unrolled: 4-line block ×3, first 2 shown]
.LBB29_41:
	s_or_b64 exec, exec, s[2:3]
	v_cmp_eq_u32_e32 vcc, 8, v92
	s_waitcnt lgkmcnt(0)
	s_barrier
	s_and_saveexec_b64 s[2:3], vcc
	s_cbranch_execz .LBB29_44
; %bb.42:
	s_waitcnt vmcnt(6)
	ds_write_b64 v90, v[48:49]
	s_waitcnt vmcnt(4)
	ds_write2_b64 v91, v[50:51], v[52:53] offset0:9 offset1:10
	s_waitcnt vmcnt(2)
	ds_write2_b64 v91, v[54:55], v[56:57] offset0:11 offset1:12
	;; [unrolled: 2-line block ×3, first 2 shown]
	ds_read_b64 v[78:79], v90
	s_waitcnt lgkmcnt(0)
	v_cmp_neq_f64_e32 vcc, 0, v[78:79]
	s_and_b64 exec, exec, vcc
	s_cbranch_execz .LBB29_44
; %bb.43:
	v_div_scale_f64 v[80:81], s[6:7], v[78:79], v[78:79], 1.0
	v_rcp_f64_e32 v[82:83], v[80:81]
	v_div_scale_f64 v[84:85], vcc, 1.0, v[78:79], 1.0
	v_fma_f64 v[86:87], -v[80:81], v[82:83], 1.0
	v_fmac_f64_e32 v[82:83], v[82:83], v[86:87]
	v_fma_f64 v[86:87], -v[80:81], v[82:83], 1.0
	v_fmac_f64_e32 v[82:83], v[82:83], v[86:87]
	v_mul_f64 v[86:87], v[84:85], v[82:83]
	v_fma_f64 v[80:81], -v[80:81], v[86:87], v[84:85]
	v_div_fmas_f64 v[80:81], v[80:81], v[82:83], v[86:87]
	v_div_fixup_f64 v[78:79], v[80:81], v[78:79], 1.0
	ds_write_b64 v90, v[78:79]
.LBB29_44:
	s_or_b64 exec, exec, s[2:3]
	s_waitcnt lgkmcnt(0)
	s_barrier
	ds_read_b64 v[78:79], v90
	v_cmp_lt_u32_e32 vcc, 8, v92
	s_and_saveexec_b64 s[2:3], vcc
	s_cbranch_execz .LBB29_46
; %bb.45:
	ds_read2_b64 v[80:83], v91 offset0:9 offset1:10
	ds_read2_b64 v[84:87], v91 offset0:11 offset1:12
	ds_read2_b64 v[94:97], v91 offset0:13 offset1:14
	s_waitcnt vmcnt(6) lgkmcnt(3)
	v_mul_f64 v[48:49], v[48:49], v[78:79]
	s_waitcnt vmcnt(5) lgkmcnt(2)
	v_fma_f64 v[50:51], -v[48:49], v[80:81], v[50:51]
	s_waitcnt vmcnt(4)
	v_fma_f64 v[52:53], -v[48:49], v[82:83], v[52:53]
	s_waitcnt vmcnt(3) lgkmcnt(1)
	v_fma_f64 v[54:55], -v[48:49], v[84:85], v[54:55]
	s_waitcnt vmcnt(2)
	v_fma_f64 v[56:57], -v[48:49], v[86:87], v[56:57]
	;; [unrolled: 4-line block ×3, first 2 shown]
.LBB29_46:
	s_or_b64 exec, exec, s[2:3]
	v_cmp_eq_u32_e32 vcc, 9, v92
	s_waitcnt lgkmcnt(0)
	s_barrier
	s_and_saveexec_b64 s[2:3], vcc
	s_cbranch_execz .LBB29_49
; %bb.47:
	s_waitcnt vmcnt(5)
	ds_write_b64 v90, v[50:51]
	s_waitcnt vmcnt(3)
	ds_write2_b64 v91, v[52:53], v[54:55] offset0:10 offset1:11
	s_waitcnt vmcnt(1)
	ds_write2_b64 v91, v[56:57], v[58:59] offset0:12 offset1:13
	s_waitcnt vmcnt(0)
	ds_write_b64 v91, v[60:61] offset:112
	ds_read_b64 v[80:81], v90
	s_waitcnt lgkmcnt(0)
	v_cmp_neq_f64_e32 vcc, 0, v[80:81]
	s_and_b64 exec, exec, vcc
	s_cbranch_execz .LBB29_49
; %bb.48:
	v_div_scale_f64 v[82:83], s[6:7], v[80:81], v[80:81], 1.0
	v_rcp_f64_e32 v[84:85], v[82:83]
	v_div_scale_f64 v[86:87], vcc, 1.0, v[80:81], 1.0
	v_fma_f64 v[88:89], -v[82:83], v[84:85], 1.0
	v_fmac_f64_e32 v[84:85], v[84:85], v[88:89]
	v_fma_f64 v[88:89], -v[82:83], v[84:85], 1.0
	v_fmac_f64_e32 v[84:85], v[84:85], v[88:89]
	v_mul_f64 v[88:89], v[86:87], v[84:85]
	v_fma_f64 v[82:83], -v[82:83], v[88:89], v[86:87]
	v_div_fmas_f64 v[82:83], v[82:83], v[84:85], v[88:89]
	v_div_fixup_f64 v[80:81], v[82:83], v[80:81], 1.0
	ds_write_b64 v90, v[80:81]
.LBB29_49:
	s_or_b64 exec, exec, s[2:3]
	s_waitcnt lgkmcnt(0)
	s_barrier
	ds_read_b64 v[80:81], v90
	v_cmp_lt_u32_e32 vcc, 9, v92
	s_and_saveexec_b64 s[2:3], vcc
	s_cbranch_execz .LBB29_51
; %bb.50:
	ds_read2_b64 v[82:85], v91 offset0:10 offset1:11
	ds_read2_b64 v[86:89], v91 offset0:12 offset1:13
	ds_read_b64 v[94:95], v91 offset:112
	s_waitcnt vmcnt(5) lgkmcnt(3)
	v_mul_f64 v[50:51], v[50:51], v[80:81]
	s_waitcnt vmcnt(4) lgkmcnt(2)
	v_fma_f64 v[52:53], -v[50:51], v[82:83], v[52:53]
	s_waitcnt vmcnt(3)
	v_fma_f64 v[54:55], -v[50:51], v[84:85], v[54:55]
	s_waitcnt vmcnt(2) lgkmcnt(1)
	v_fma_f64 v[56:57], -v[50:51], v[86:87], v[56:57]
	s_waitcnt vmcnt(1)
	v_fma_f64 v[58:59], -v[50:51], v[88:89], v[58:59]
	s_waitcnt vmcnt(0) lgkmcnt(0)
	v_fma_f64 v[60:61], -v[50:51], v[94:95], v[60:61]
.LBB29_51:
	s_or_b64 exec, exec, s[2:3]
	v_cmp_eq_u32_e32 vcc, 10, v92
	s_waitcnt lgkmcnt(0)
	s_barrier
	s_and_saveexec_b64 s[2:3], vcc
	s_cbranch_execz .LBB29_54
; %bb.52:
	s_waitcnt vmcnt(4)
	ds_write_b64 v90, v[52:53]
	s_waitcnt vmcnt(2)
	ds_write2_b64 v91, v[54:55], v[56:57] offset0:11 offset1:12
	s_waitcnt vmcnt(0)
	ds_write2_b64 v91, v[58:59], v[60:61] offset0:13 offset1:14
	ds_read_b64 v[82:83], v90
	s_waitcnt lgkmcnt(0)
	v_cmp_neq_f64_e32 vcc, 0, v[82:83]
	s_and_b64 exec, exec, vcc
	s_cbranch_execz .LBB29_54
; %bb.53:
	v_div_scale_f64 v[84:85], s[6:7], v[82:83], v[82:83], 1.0
	v_rcp_f64_e32 v[86:87], v[84:85]
	v_div_scale_f64 v[88:89], vcc, 1.0, v[82:83], 1.0
	v_fma_f64 v[94:95], -v[84:85], v[86:87], 1.0
	v_fmac_f64_e32 v[86:87], v[86:87], v[94:95]
	v_fma_f64 v[94:95], -v[84:85], v[86:87], 1.0
	v_fmac_f64_e32 v[86:87], v[86:87], v[94:95]
	v_mul_f64 v[94:95], v[88:89], v[86:87]
	v_fma_f64 v[84:85], -v[84:85], v[94:95], v[88:89]
	v_div_fmas_f64 v[84:85], v[84:85], v[86:87], v[94:95]
	v_div_fixup_f64 v[82:83], v[84:85], v[82:83], 1.0
	ds_write_b64 v90, v[82:83]
.LBB29_54:
	s_or_b64 exec, exec, s[2:3]
	s_waitcnt lgkmcnt(0)
	s_barrier
	ds_read_b64 v[82:83], v90
	v_cmp_lt_u32_e32 vcc, 10, v92
	s_and_saveexec_b64 s[2:3], vcc
	s_cbranch_execz .LBB29_56
; %bb.55:
	ds_read2_b64 v[84:87], v91 offset0:11 offset1:12
	ds_read2_b64 v[94:97], v91 offset0:13 offset1:14
	s_waitcnt vmcnt(4) lgkmcnt(2)
	v_mul_f64 v[52:53], v[52:53], v[82:83]
	s_waitcnt vmcnt(3) lgkmcnt(1)
	v_fma_f64 v[54:55], -v[52:53], v[84:85], v[54:55]
	s_waitcnt vmcnt(2)
	v_fma_f64 v[56:57], -v[52:53], v[86:87], v[56:57]
	s_waitcnt vmcnt(1) lgkmcnt(0)
	v_fma_f64 v[58:59], -v[52:53], v[94:95], v[58:59]
	s_waitcnt vmcnt(0)
	v_fma_f64 v[60:61], -v[52:53], v[96:97], v[60:61]
.LBB29_56:
	s_or_b64 exec, exec, s[2:3]
	v_cmp_eq_u32_e32 vcc, 11, v92
	s_waitcnt lgkmcnt(0)
	s_barrier
	s_and_saveexec_b64 s[2:3], vcc
	s_cbranch_execz .LBB29_59
; %bb.57:
	s_waitcnt vmcnt(3)
	ds_write_b64 v90, v[54:55]
	s_waitcnt vmcnt(1)
	ds_write2_b64 v91, v[56:57], v[58:59] offset0:12 offset1:13
	s_waitcnt vmcnt(0)
	ds_write_b64 v91, v[60:61] offset:112
	ds_read_b64 v[84:85], v90
	s_waitcnt lgkmcnt(0)
	v_cmp_neq_f64_e32 vcc, 0, v[84:85]
	s_and_b64 exec, exec, vcc
	s_cbranch_execz .LBB29_59
; %bb.58:
	v_div_scale_f64 v[86:87], s[6:7], v[84:85], v[84:85], 1.0
	v_rcp_f64_e32 v[88:89], v[86:87]
	v_div_scale_f64 v[94:95], vcc, 1.0, v[84:85], 1.0
	v_fma_f64 v[96:97], -v[86:87], v[88:89], 1.0
	v_fmac_f64_e32 v[88:89], v[88:89], v[96:97]
	v_fma_f64 v[96:97], -v[86:87], v[88:89], 1.0
	v_fmac_f64_e32 v[88:89], v[88:89], v[96:97]
	v_mul_f64 v[96:97], v[94:95], v[88:89]
	v_fma_f64 v[86:87], -v[86:87], v[96:97], v[94:95]
	v_div_fmas_f64 v[86:87], v[86:87], v[88:89], v[96:97]
	v_div_fixup_f64 v[84:85], v[86:87], v[84:85], 1.0
	ds_write_b64 v90, v[84:85]
.LBB29_59:
	s_or_b64 exec, exec, s[2:3]
	s_waitcnt lgkmcnt(0)
	s_barrier
	ds_read_b64 v[84:85], v90
	v_cmp_lt_u32_e32 vcc, 11, v92
	s_and_saveexec_b64 s[2:3], vcc
	s_cbranch_execz .LBB29_61
; %bb.60:
	ds_read2_b64 v[86:89], v91 offset0:12 offset1:13
	ds_read_b64 v[94:95], v91 offset:112
	s_waitcnt vmcnt(3) lgkmcnt(2)
	v_mul_f64 v[54:55], v[54:55], v[84:85]
	s_waitcnt vmcnt(2) lgkmcnt(1)
	v_fma_f64 v[56:57], -v[54:55], v[86:87], v[56:57]
	s_waitcnt vmcnt(1)
	v_fma_f64 v[58:59], -v[54:55], v[88:89], v[58:59]
	s_waitcnt vmcnt(0) lgkmcnt(0)
	v_fma_f64 v[60:61], -v[54:55], v[94:95], v[60:61]
.LBB29_61:
	s_or_b64 exec, exec, s[2:3]
	v_cmp_eq_u32_e32 vcc, 12, v92
	s_waitcnt lgkmcnt(0)
	s_barrier
	s_and_saveexec_b64 s[2:3], vcc
	s_cbranch_execz .LBB29_64
; %bb.62:
	s_waitcnt vmcnt(2)
	ds_write_b64 v90, v[56:57]
	s_waitcnt vmcnt(0)
	ds_write2_b64 v91, v[58:59], v[60:61] offset0:13 offset1:14
	ds_read_b64 v[86:87], v90
	s_waitcnt lgkmcnt(0)
	v_cmp_neq_f64_e32 vcc, 0, v[86:87]
	s_and_b64 exec, exec, vcc
	s_cbranch_execz .LBB29_64
; %bb.63:
	v_div_scale_f64 v[88:89], s[6:7], v[86:87], v[86:87], 1.0
	v_rcp_f64_e32 v[94:95], v[88:89]
	v_div_scale_f64 v[96:97], vcc, 1.0, v[86:87], 1.0
	v_fma_f64 v[98:99], -v[88:89], v[94:95], 1.0
	v_fmac_f64_e32 v[94:95], v[94:95], v[98:99]
	v_fma_f64 v[98:99], -v[88:89], v[94:95], 1.0
	v_fmac_f64_e32 v[94:95], v[94:95], v[98:99]
	v_mul_f64 v[98:99], v[96:97], v[94:95]
	v_fma_f64 v[88:89], -v[88:89], v[98:99], v[96:97]
	v_div_fmas_f64 v[88:89], v[88:89], v[94:95], v[98:99]
	v_div_fixup_f64 v[86:87], v[88:89], v[86:87], 1.0
	ds_write_b64 v90, v[86:87]
.LBB29_64:
	s_or_b64 exec, exec, s[2:3]
	s_waitcnt lgkmcnt(0)
	s_barrier
	ds_read_b64 v[86:87], v90
	v_cmp_lt_u32_e32 vcc, 12, v92
	s_and_saveexec_b64 s[2:3], vcc
	s_cbranch_execz .LBB29_66
; %bb.65:
	ds_read2_b64 v[94:97], v91 offset0:13 offset1:14
	s_waitcnt vmcnt(2) lgkmcnt(1)
	v_mul_f64 v[56:57], v[56:57], v[86:87]
	s_waitcnt vmcnt(1) lgkmcnt(0)
	v_fma_f64 v[58:59], -v[56:57], v[94:95], v[58:59]
	s_waitcnt vmcnt(0)
	v_fma_f64 v[60:61], -v[56:57], v[96:97], v[60:61]
.LBB29_66:
	s_or_b64 exec, exec, s[2:3]
	v_cmp_eq_u32_e32 vcc, 13, v92
	s_waitcnt lgkmcnt(0)
	s_barrier
	s_and_saveexec_b64 s[2:3], vcc
	s_cbranch_execz .LBB29_69
; %bb.67:
	s_waitcnt vmcnt(1)
	ds_write_b64 v90, v[58:59]
	s_waitcnt vmcnt(0)
	ds_write_b64 v91, v[60:61] offset:112
	ds_read_b64 v[88:89], v90
	s_waitcnt lgkmcnt(0)
	v_cmp_neq_f64_e32 vcc, 0, v[88:89]
	s_and_b64 exec, exec, vcc
	s_cbranch_execz .LBB29_69
; %bb.68:
	v_div_scale_f64 v[94:95], s[6:7], v[88:89], v[88:89], 1.0
	v_rcp_f64_e32 v[96:97], v[94:95]
	v_div_scale_f64 v[98:99], vcc, 1.0, v[88:89], 1.0
	v_fma_f64 v[100:101], -v[94:95], v[96:97], 1.0
	v_fmac_f64_e32 v[96:97], v[96:97], v[100:101]
	v_fma_f64 v[100:101], -v[94:95], v[96:97], 1.0
	v_fmac_f64_e32 v[96:97], v[96:97], v[100:101]
	v_mul_f64 v[100:101], v[98:99], v[96:97]
	v_fma_f64 v[94:95], -v[94:95], v[100:101], v[98:99]
	v_div_fmas_f64 v[94:95], v[94:95], v[96:97], v[100:101]
	v_div_fixup_f64 v[88:89], v[94:95], v[88:89], 1.0
	ds_write_b64 v90, v[88:89]
.LBB29_69:
	s_or_b64 exec, exec, s[2:3]
	s_waitcnt lgkmcnt(0)
	s_barrier
	ds_read_b64 v[88:89], v90
	v_cmp_lt_u32_e32 vcc, 13, v92
	s_and_saveexec_b64 s[2:3], vcc
	s_cbranch_execz .LBB29_71
; %bb.70:
	ds_read_b64 v[94:95], v91 offset:112
	s_waitcnt vmcnt(1) lgkmcnt(1)
	v_mul_f64 v[58:59], v[58:59], v[88:89]
	s_waitcnt vmcnt(0) lgkmcnt(0)
	v_fma_f64 v[60:61], -v[58:59], v[94:95], v[60:61]
.LBB29_71:
	s_or_b64 exec, exec, s[2:3]
	v_cmp_ne_u32_e32 vcc, 14, v92
	s_waitcnt lgkmcnt(0)
	s_barrier
	s_and_saveexec_b64 s[2:3], vcc
	s_xor_b64 s[2:3], exec, s[2:3]
	s_andn2_saveexec_b64 s[2:3], s[2:3]
	s_cbranch_execz .LBB29_75
; %bb.72:
	s_waitcnt vmcnt(0)
	v_cmp_neq_f64_e32 vcc, 0, v[60:61]
	ds_write_b64 v90, v[60:61]
	s_and_saveexec_b64 s[6:7], vcc
	s_cbranch_execz .LBB29_74
; %bb.73:
	v_div_scale_f64 v[94:95], s[8:9], v[60:61], v[60:61], 1.0
	v_rcp_f64_e32 v[96:97], v[94:95]
	v_div_scale_f64 v[98:99], vcc, 1.0, v[60:61], 1.0
	v_fma_f64 v[100:101], -v[94:95], v[96:97], 1.0
	v_fmac_f64_e32 v[96:97], v[96:97], v[100:101]
	v_fma_f64 v[100:101], -v[94:95], v[96:97], 1.0
	v_fmac_f64_e32 v[96:97], v[96:97], v[100:101]
	v_mul_f64 v[100:101], v[98:99], v[96:97]
	v_fma_f64 v[94:95], -v[94:95], v[100:101], v[98:99]
	v_div_fmas_f64 v[94:95], v[94:95], v[96:97], v[100:101]
	v_div_fixup_f64 v[94:95], v[94:95], v[60:61], 1.0
	ds_write_b64 v90, v[94:95]
.LBB29_74:
	s_or_b64 exec, exec, s[6:7]
.LBB29_75:
	s_or_b64 exec, exec, s[2:3]
	s_waitcnt lgkmcnt(0)
	s_barrier
	ds_read_b64 v[90:91], v90
	s_waitcnt lgkmcnt(0)
	s_barrier
	s_and_saveexec_b64 s[30:31], s[0:1]
	s_cbranch_execz .LBB29_78
; %bb.76:
	s_load_dwordx2 s[0:1], s[4:5], 0x28
	v_lshlrev_b64 v[2:3], 2, v[2:3]
	v_cmp_eq_f64_e64 s[2:3], 0, v[66:67]
	v_cmp_eq_f64_e64 s[4:5], 0, v[68:69]
	;; [unrolled: 1-line block ×3, first 2 shown]
	s_waitcnt lgkmcnt(0)
	v_mov_b32_e32 v93, s1
	v_add_co_u32_e32 v2, vcc, s0, v2
	v_addc_co_u32_e32 v3, vcc, v93, v3, vcc
	global_load_dword v93, v[2:3], off
	v_cmp_eq_f64_e32 vcc, 0, v[62:63]
	v_cmp_neq_f64_e64 s[0:1], 0, v[64:65]
	v_cndmask_b32_e64 v62, 0, 1, vcc
	s_or_b64 vcc, s[0:1], vcc
	v_cndmask_b32_e32 v62, 2, v62, vcc
	v_cmp_eq_u32_e32 vcc, 0, v62
	s_and_b64 s[0:1], s[2:3], vcc
	v_cndmask_b32_e64 v62, v62, 3, s[0:1]
	v_cmp_eq_u32_e32 vcc, 0, v62
	s_and_b64 s[0:1], s[4:5], vcc
	v_cndmask_b32_e64 v62, v62, 4, s[0:1]
	;; [unrolled: 3-line block ×3, first 2 shown]
	v_cmp_eq_f64_e64 s[8:9], 0, v[72:73]
	v_cmp_eq_u32_e32 vcc, 0, v62
	s_and_b64 s[0:1], s[8:9], vcc
	v_cndmask_b32_e64 v62, v62, 6, s[0:1]
	v_cmp_eq_f64_e64 s[10:11], 0, v[74:75]
	v_cmp_eq_u32_e32 vcc, 0, v62
	s_and_b64 s[0:1], s[10:11], vcc
	v_cndmask_b32_e64 v62, v62, 7, s[0:1]
	;; [unrolled: 4-line block ×10, first 2 shown]
	v_cmp_ne_u32_e64 s[0:1], 0, v62
	s_waitcnt vmcnt(0)
	v_cmp_eq_u32_e32 vcc, 0, v93
	s_and_b64 s[0:1], vcc, s[0:1]
	s_and_b64 exec, exec, s[0:1]
	s_cbranch_execz .LBB29_78
; %bb.77:
	v_add_u32_e32 v62, s29, v62
	global_store_dword v[2:3], v62, off
.LBB29_78:
	s_or_b64 exec, exec, s[30:31]
	s_waitcnt vmcnt(0)
	v_mul_f64 v[2:3], v[60:61], v[90:91]
	v_cmp_lt_u32_e32 vcc, 14, v92
	v_cndmask_b32_e32 v3, v61, v3, vcc
	v_cndmask_b32_e32 v2, v60, v2, vcc
	global_store_dwordx2 v[0:1], v[30:31], off
	global_store_dwordx2 v[26:27], v[32:33], off
	;; [unrolled: 1-line block ×15, first 2 shown]
.LBB29_79:
	s_endpgm
	.section	.rodata,"a",@progbits
	.p2align	6, 0x0
	.amdhsa_kernel _ZN9rocsolver6v33100L23getf2_npvt_small_kernelILi15EdiiPKPdEEvT1_T3_lS5_lPT2_S5_S5_
		.amdhsa_group_segment_fixed_size 0
		.amdhsa_private_segment_fixed_size 0
		.amdhsa_kernarg_size 312
		.amdhsa_user_sgpr_count 6
		.amdhsa_user_sgpr_private_segment_buffer 1
		.amdhsa_user_sgpr_dispatch_ptr 0
		.amdhsa_user_sgpr_queue_ptr 0
		.amdhsa_user_sgpr_kernarg_segment_ptr 1
		.amdhsa_user_sgpr_dispatch_id 0
		.amdhsa_user_sgpr_flat_scratch_init 0
		.amdhsa_user_sgpr_kernarg_preload_length 0
		.amdhsa_user_sgpr_kernarg_preload_offset 0
		.amdhsa_user_sgpr_private_segment_size 0
		.amdhsa_uses_dynamic_stack 0
		.amdhsa_system_sgpr_private_segment_wavefront_offset 0
		.amdhsa_system_sgpr_workgroup_id_x 1
		.amdhsa_system_sgpr_workgroup_id_y 1
		.amdhsa_system_sgpr_workgroup_id_z 0
		.amdhsa_system_sgpr_workgroup_info 0
		.amdhsa_system_vgpr_workitem_id 1
		.amdhsa_next_free_vgpr 102
		.amdhsa_next_free_sgpr 32
		.amdhsa_accum_offset 104
		.amdhsa_reserve_vcc 1
		.amdhsa_reserve_flat_scratch 0
		.amdhsa_float_round_mode_32 0
		.amdhsa_float_round_mode_16_64 0
		.amdhsa_float_denorm_mode_32 3
		.amdhsa_float_denorm_mode_16_64 3
		.amdhsa_dx10_clamp 1
		.amdhsa_ieee_mode 1
		.amdhsa_fp16_overflow 0
		.amdhsa_tg_split 0
		.amdhsa_exception_fp_ieee_invalid_op 0
		.amdhsa_exception_fp_denorm_src 0
		.amdhsa_exception_fp_ieee_div_zero 0
		.amdhsa_exception_fp_ieee_overflow 0
		.amdhsa_exception_fp_ieee_underflow 0
		.amdhsa_exception_fp_ieee_inexact 0
		.amdhsa_exception_int_div_zero 0
	.end_amdhsa_kernel
	.section	.text._ZN9rocsolver6v33100L23getf2_npvt_small_kernelILi15EdiiPKPdEEvT1_T3_lS5_lPT2_S5_S5_,"axG",@progbits,_ZN9rocsolver6v33100L23getf2_npvt_small_kernelILi15EdiiPKPdEEvT1_T3_lS5_lPT2_S5_S5_,comdat
.Lfunc_end29:
	.size	_ZN9rocsolver6v33100L23getf2_npvt_small_kernelILi15EdiiPKPdEEvT1_T3_lS5_lPT2_S5_S5_, .Lfunc_end29-_ZN9rocsolver6v33100L23getf2_npvt_small_kernelILi15EdiiPKPdEEvT1_T3_lS5_lPT2_S5_S5_
                                        ; -- End function
	.section	.AMDGPU.csdata,"",@progbits
; Kernel info:
; codeLenInByte = 6324
; NumSgprs: 36
; NumVgprs: 102
; NumAgprs: 0
; TotalNumVgprs: 102
; ScratchSize: 0
; MemoryBound: 0
; FloatMode: 240
; IeeeMode: 1
; LDSByteSize: 0 bytes/workgroup (compile time only)
; SGPRBlocks: 4
; VGPRBlocks: 12
; NumSGPRsForWavesPerEU: 36
; NumVGPRsForWavesPerEU: 102
; AccumOffset: 104
; Occupancy: 4
; WaveLimiterHint : 1
; COMPUTE_PGM_RSRC2:SCRATCH_EN: 0
; COMPUTE_PGM_RSRC2:USER_SGPR: 6
; COMPUTE_PGM_RSRC2:TRAP_HANDLER: 0
; COMPUTE_PGM_RSRC2:TGID_X_EN: 1
; COMPUTE_PGM_RSRC2:TGID_Y_EN: 1
; COMPUTE_PGM_RSRC2:TGID_Z_EN: 0
; COMPUTE_PGM_RSRC2:TIDIG_COMP_CNT: 1
; COMPUTE_PGM_RSRC3_GFX90A:ACCUM_OFFSET: 25
; COMPUTE_PGM_RSRC3_GFX90A:TG_SPLIT: 0
	.section	.text._ZN9rocsolver6v33100L18getf2_small_kernelILi16EdiiPKPdEEvT1_T3_lS5_lPS5_llPT2_S5_S5_S7_l,"axG",@progbits,_ZN9rocsolver6v33100L18getf2_small_kernelILi16EdiiPKPdEEvT1_T3_lS5_lPS5_llPT2_S5_S5_S7_l,comdat
	.globl	_ZN9rocsolver6v33100L18getf2_small_kernelILi16EdiiPKPdEEvT1_T3_lS5_lPS5_llPT2_S5_S5_S7_l ; -- Begin function _ZN9rocsolver6v33100L18getf2_small_kernelILi16EdiiPKPdEEvT1_T3_lS5_lPS5_llPT2_S5_S5_S7_l
	.p2align	8
	.type	_ZN9rocsolver6v33100L18getf2_small_kernelILi16EdiiPKPdEEvT1_T3_lS5_lPS5_llPT2_S5_S5_S7_l,@function
_ZN9rocsolver6v33100L18getf2_small_kernelILi16EdiiPKPdEEvT1_T3_lS5_lPS5_llPT2_S5_S5_S7_l: ; @_ZN9rocsolver6v33100L18getf2_small_kernelILi16EdiiPKPdEEvT1_T3_lS5_lPS5_llPT2_S5_S5_S7_l
; %bb.0:
	s_load_dword s0, s[4:5], 0x6c
	s_load_dwordx2 s[12:13], s[4:5], 0x48
	v_bfe_u32 v32, v0, 10, 10
	s_waitcnt lgkmcnt(0)
	s_lshr_b32 s0, s0, 16
	s_mul_i32 s7, s7, s0
	v_add_u32_e32 v64, s7, v32
	v_cmp_gt_i32_e32 vcc, s12, v64
	s_and_saveexec_b64 s[0:1], vcc
	s_cbranch_execz .LBB30_269
; %bb.1:
	s_load_dwordx4 s[0:3], s[4:5], 0x8
	s_load_dwordx4 s[8:11], s[4:5], 0x50
	v_ashrrev_i32_e32 v65, 31, v64
	v_lshlrev_b64 v[2:3], 3, v[64:65]
	v_pk_mov_b32 v[66:67], 0, 0
	s_waitcnt lgkmcnt(0)
	v_mov_b32_e32 v1, s1
	v_add_co_u32_e32 v2, vcc, s0, v2
	v_addc_co_u32_e32 v3, vcc, v1, v3, vcc
	global_load_dwordx2 v[2:3], v[2:3], off
	s_cmp_eq_u64 s[8:9], 0
	s_cselect_b64 s[6:7], -1, 0
	s_and_b64 vcc, exec, s[6:7]
	s_cbranch_vccnz .LBB30_3
; %bb.2:
	v_mul_lo_u32 v1, v65, s10
	v_mul_lo_u32 v6, v64, s11
	v_mad_u64_u32 v[4:5], s[0:1], v64, s10, 0
	v_add3_u32 v5, v5, v6, v1
	v_lshlrev_b64 v[4:5], 2, v[4:5]
	v_mov_b32_e32 v1, s9
	v_add_co_u32_e32 v66, vcc, s8, v4
	v_addc_co_u32_e32 v67, vcc, v1, v5, vcc
.LBB30_3:
	s_load_dword s8, s[4:5], 0x18
	s_load_dword s12, s[4:5], 0x0
	s_lshl_b64 s[0:1], s[2:3], 3
	v_mov_b32_e32 v1, s1
	s_waitcnt vmcnt(0)
	v_add_co_u32_e32 v68, vcc, s0, v2
	v_and_b32_e32 v35, 0x3ff, v0
	v_addc_co_u32_e32 v69, vcc, v3, v1, vcc
	v_lshlrev_b32_e32 v33, 3, v35
	v_add_co_u32_e32 v8, vcc, v68, v33
	s_waitcnt lgkmcnt(0)
	s_ashr_i32 s9, s8, 31
	v_addc_co_u32_e32 v9, vcc, 0, v69, vcc
	s_lshl_b64 s[10:11], s[8:9], 3
	v_mov_b32_e32 v0, s11
	v_add_co_u32_e32 v10, vcc, s10, v8
	s_add_i32 s9, s8, s8
	v_addc_co_u32_e32 v11, vcc, v9, v0, vcc
	v_add_u32_e32 v0, s9, v35
	v_ashrrev_i32_e32 v1, 31, v0
	v_lshlrev_b64 v[2:3], 3, v[0:1]
	v_add_u32_e32 v14, s8, v0
	v_add_co_u32_e32 v12, vcc, v68, v2
	v_ashrrev_i32_e32 v15, 31, v14
	v_addc_co_u32_e32 v13, vcc, v69, v3, vcc
	v_lshlrev_b64 v[0:1], 3, v[14:15]
	v_add_co_u32_e32 v16, vcc, v68, v0
	v_addc_co_u32_e32 v17, vcc, v69, v1, vcc
	global_load_dwordx2 v[0:1], v[8:9], off
	global_load_dwordx2 v[2:3], v[10:11], off
	global_load_dwordx2 v[4:5], v[12:13], off
	global_load_dwordx2 v[6:7], v[16:17], off
	v_add_u32_e32 v8, s8, v14
	v_ashrrev_i32_e32 v9, 31, v8
	v_lshlrev_b64 v[10:11], 3, v[8:9]
	v_add_u32_e32 v8, s8, v8
	v_add_co_u32_e32 v16, vcc, v68, v10
	v_ashrrev_i32_e32 v9, 31, v8
	v_addc_co_u32_e32 v17, vcc, v69, v11, vcc
	v_lshlrev_b64 v[10:11], 3, v[8:9]
	v_add_u32_e32 v8, s8, v8
	v_add_co_u32_e32 v18, vcc, v68, v10
	v_ashrrev_i32_e32 v9, 31, v8
	v_addc_co_u32_e32 v19, vcc, v69, v11, vcc
	v_lshlrev_b64 v[10:11], 3, v[8:9]
	v_add_u32_e32 v22, s8, v8
	v_add_co_u32_e32 v20, vcc, v68, v10
	v_ashrrev_i32_e32 v23, 31, v22
	v_addc_co_u32_e32 v21, vcc, v69, v11, vcc
	v_lshlrev_b64 v[8:9], 3, v[22:23]
	v_add_co_u32_e32 v24, vcc, v68, v8
	v_addc_co_u32_e32 v25, vcc, v69, v9, vcc
	global_load_dwordx2 v[8:9], v[16:17], off
	global_load_dwordx2 v[10:11], v[18:19], off
	global_load_dwordx2 v[12:13], v[20:21], off
	global_load_dwordx2 v[14:15], v[24:25], off
	v_add_u32_e32 v16, s8, v22
	v_ashrrev_i32_e32 v17, 31, v16
	v_lshlrev_b64 v[18:19], 3, v[16:17]
	v_add_u32_e32 v16, s8, v16
	v_add_co_u32_e32 v24, vcc, v68, v18
	v_ashrrev_i32_e32 v17, 31, v16
	v_addc_co_u32_e32 v25, vcc, v69, v19, vcc
	v_lshlrev_b64 v[18:19], 3, v[16:17]
	v_add_u32_e32 v16, s8, v16
	v_add_co_u32_e32 v26, vcc, v68, v18
	v_ashrrev_i32_e32 v17, 31, v16
	v_addc_co_u32_e32 v27, vcc, v69, v19, vcc
	;; [unrolled: 24-line block ×3, first 2 shown]
	v_lshlrev_b64 v[26:27], 3, v[24:25]
	v_add_u32_e32 v24, s8, v24
	v_add_co_u32_e32 v40, vcc, v68, v26
	v_ashrrev_i32_e32 v25, 31, v24
	v_addc_co_u32_e32 v41, vcc, v69, v27, vcc
	v_lshlrev_b64 v[24:25], 3, v[24:25]
	v_add_co_u32_e32 v42, vcc, v68, v24
	v_addc_co_u32_e32 v43, vcc, v69, v25, vcc
	global_load_dwordx2 v[24:25], v[36:37], off
	global_load_dwordx2 v[26:27], v[38:39], off
	;; [unrolled: 1-line block ×4, first 2 shown]
	s_max_i32 s0, s12, 16
	v_mul_lo_u32 v36, s0, v32
	v_lshl_add_u32 v70, v36, 3, 0
	v_add_u32_e32 v32, v70, v33
	s_waitcnt vmcnt(15)
	ds_write_b64 v32, v[0:1]
	s_waitcnt lgkmcnt(0)
	s_barrier
	ds_read_b64 v[32:33], v70
	v_mov_b32_e32 v34, 0
	s_cmp_lt_i32 s12, 2
	v_lshlrev_b32_e32 v74, 3, v36
	s_cbranch_scc1 .LBB30_6
; %bb.4:
	v_add3_u32 v36, v74, 0, 8
	s_mov_b32 s0, 1
	v_mov_b32_e32 v34, 0
.LBB30_5:                               ; =>This Inner Loop Header: Depth=1
	ds_read_b64 v[38:39], v36
	v_mov_b32_e32 v37, s0
	s_add_i32 s0, s0, 1
	v_add_u32_e32 v36, 8, v36
	s_cmp_eq_u32 s12, s0
	s_waitcnt lgkmcnt(0)
	v_cmp_lt_f64_e64 vcc, |v[32:33]|, |v[38:39]|
	v_cndmask_b32_e32 v33, v33, v39, vcc
	v_cndmask_b32_e32 v32, v32, v38, vcc
	;; [unrolled: 1-line block ×3, first 2 shown]
	s_cbranch_scc0 .LBB30_5
.LBB30_6:
	v_cmp_ne_u32_e32 vcc, v35, v34
                                        ; implicit-def: $vgpr73
	s_and_saveexec_b64 s[0:1], vcc
	s_xor_b64 s[0:1], exec, s[0:1]
	s_cbranch_execz .LBB30_12
; %bb.7:
	v_cmp_eq_u32_e32 vcc, 0, v35
	s_and_saveexec_b64 s[2:3], vcc
	s_cbranch_execz .LBB30_11
; %bb.8:
	v_cmp_ne_u32_e32 vcc, 0, v34
	s_xor_b64 s[14:15], s[6:7], -1
	s_and_b64 s[16:17], s[14:15], vcc
	s_and_saveexec_b64 s[14:15], s[16:17]
	s_cbranch_execz .LBB30_10
; %bb.9:
	v_ashrrev_i32_e32 v35, 31, v34
	v_lshlrev_b64 v[36:37], 2, v[34:35]
	v_add_co_u32_e32 v36, vcc, v66, v36
	v_addc_co_u32_e32 v37, vcc, v67, v37, vcc
	flat_load_dword v35, v[36:37]
	flat_load_dword v38, v[66:67]
	s_waitcnt vmcnt(0) lgkmcnt(0)
	flat_store_dword v[66:67], v35
	flat_store_dword v[36:37], v38
.LBB30_10:
	s_or_b64 exec, exec, s[14:15]
	v_mov_b32_e32 v35, v34
.LBB30_11:
	s_or_b64 exec, exec, s[2:3]
	v_mov_b32_e32 v73, v35
                                        ; implicit-def: $vgpr35
.LBB30_12:
	s_or_saveexec_b64 s[0:1], s[0:1]
	v_mov_b32_e32 v71, v73
	s_xor_b64 exec, exec, s[0:1]
	s_cbranch_execz .LBB30_14
; %bb.13:
	v_mov_b32_e32 v73, 0
	v_mov_b32_e32 v71, v35
	s_waitcnt vmcnt(0)
	ds_write2_b64 v70, v[2:3], v[4:5] offset0:1 offset1:2
	ds_write2_b64 v70, v[6:7], v[8:9] offset0:3 offset1:4
	;; [unrolled: 1-line block ×7, first 2 shown]
	ds_write_b64 v70, v[30:31] offset:120
.LBB30_14:
	s_or_b64 exec, exec, s[0:1]
	s_waitcnt lgkmcnt(0)
	v_cmp_eq_f64_e64 s[0:1], 0, v[32:33]
	v_cmp_lt_i32_e32 vcc, 0, v73
	s_barrier
	s_and_saveexec_b64 s[2:3], vcc
	s_cbranch_execz .LBB30_16
; %bb.15:
	v_div_scale_f64 v[34:35], s[14:15], v[32:33], v[32:33], 1.0
	v_rcp_f64_e32 v[36:37], v[34:35]
	v_div_scale_f64 v[38:39], vcc, 1.0, v[32:33], 1.0
	v_fma_f64 v[40:41], -v[34:35], v[36:37], 1.0
	v_fmac_f64_e32 v[36:37], v[36:37], v[40:41]
	v_fma_f64 v[40:41], -v[34:35], v[36:37], 1.0
	v_fmac_f64_e32 v[36:37], v[36:37], v[40:41]
	v_mul_f64 v[40:41], v[38:39], v[36:37]
	v_fma_f64 v[34:35], -v[34:35], v[40:41], v[38:39]
	v_div_fmas_f64 v[34:35], v[34:35], v[36:37], v[40:41]
	v_div_fixup_f64 v[38:39], v[34:35], v[32:33], 1.0
	ds_read2_b64 v[34:37], v70 offset0:1 offset1:2
	v_cndmask_b32_e64 v33, v39, v33, s[0:1]
	v_cndmask_b32_e64 v32, v38, v32, s[0:1]
	ds_read2_b64 v[38:41], v70 offset0:3 offset1:4
	v_mul_f64 v[0:1], v[0:1], v[32:33]
	s_waitcnt vmcnt(0) lgkmcnt(0)
	v_fma_f64 v[2:3], -v[0:1], v[34:35], v[2:3]
	ds_read2_b64 v[32:35], v70 offset0:5 offset1:6
	v_fma_f64 v[4:5], -v[0:1], v[36:37], v[4:5]
	v_fma_f64 v[6:7], -v[0:1], v[38:39], v[6:7]
	ds_read2_b64 v[36:39], v70 offset0:7 offset1:8
	v_fma_f64 v[8:9], -v[0:1], v[40:41], v[8:9]
	ds_read2_b64 v[40:43], v70 offset0:9 offset1:10
	s_waitcnt lgkmcnt(2)
	v_fma_f64 v[10:11], -v[0:1], v[32:33], v[10:11]
	v_fma_f64 v[12:13], -v[0:1], v[34:35], v[12:13]
	ds_read2_b64 v[32:35], v70 offset0:11 offset1:12
	s_waitcnt lgkmcnt(2)
	v_fma_f64 v[14:15], -v[0:1], v[36:37], v[14:15]
	v_fma_f64 v[16:17], -v[0:1], v[38:39], v[16:17]
	s_waitcnt lgkmcnt(1)
	v_fma_f64 v[18:19], -v[0:1], v[40:41], v[18:19]
	ds_read2_b64 v[36:39], v70 offset0:13 offset1:14
	ds_read_b64 v[40:41], v70 offset:120
	v_fma_f64 v[20:21], -v[0:1], v[42:43], v[20:21]
	s_waitcnt lgkmcnt(2)
	v_fma_f64 v[22:23], -v[0:1], v[32:33], v[22:23]
	v_fma_f64 v[24:25], -v[0:1], v[34:35], v[24:25]
	s_waitcnt lgkmcnt(1)
	v_fma_f64 v[26:27], -v[0:1], v[36:37], v[26:27]
	;; [unrolled: 3-line block ×3, first 2 shown]
.LBB30_16:
	s_or_b64 exec, exec, s[2:3]
	v_lshl_add_u32 v32, v73, 3, v70
	s_barrier
	s_waitcnt vmcnt(0)
	ds_write_b64 v32, v[2:3]
	s_waitcnt lgkmcnt(0)
	s_barrier
	ds_read_b64 v[32:33], v70 offset:8
	s_cmp_lt_i32 s12, 3
	v_mov_b32_e32 v34, 1
	s_cbranch_scc1 .LBB30_19
; %bb.17:
	v_add3_u32 v35, v74, 0, 16
	s_mov_b32 s2, 2
	v_mov_b32_e32 v34, 1
.LBB30_18:                              ; =>This Inner Loop Header: Depth=1
	ds_read_b64 v[36:37], v35
	v_mov_b32_e32 v38, s2
	s_add_i32 s2, s2, 1
	v_add_u32_e32 v35, 8, v35
	s_cmp_lg_u32 s12, s2
	s_waitcnt lgkmcnt(0)
	v_cmp_lt_f64_e64 vcc, |v[32:33]|, |v[36:37]|
	v_cndmask_b32_e32 v33, v33, v37, vcc
	v_cndmask_b32_e32 v32, v32, v36, vcc
	;; [unrolled: 1-line block ×3, first 2 shown]
	s_cbranch_scc1 .LBB30_18
.LBB30_19:
	v_cmp_ne_u32_e32 vcc, v73, v34
	s_and_saveexec_b64 s[2:3], vcc
	s_xor_b64 s[2:3], exec, s[2:3]
	s_cbranch_execz .LBB30_25
; %bb.20:
	v_cmp_eq_u32_e32 vcc, 1, v73
	s_and_saveexec_b64 s[14:15], vcc
	s_cbranch_execz .LBB30_24
; %bb.21:
	v_cmp_ne_u32_e32 vcc, 1, v34
	s_xor_b64 s[16:17], s[6:7], -1
	s_and_b64 s[18:19], s[16:17], vcc
	s_and_saveexec_b64 s[16:17], s[18:19]
	s_cbranch_execz .LBB30_23
; %bb.22:
	v_ashrrev_i32_e32 v35, 31, v34
	v_lshlrev_b64 v[36:37], 2, v[34:35]
	v_add_co_u32_e32 v36, vcc, v66, v36
	v_addc_co_u32_e32 v37, vcc, v67, v37, vcc
	flat_load_dword v35, v[36:37]
	flat_load_dword v38, v[66:67] offset:4
	s_waitcnt vmcnt(0) lgkmcnt(0)
	flat_store_dword v[66:67], v35 offset:4
	flat_store_dword v[36:37], v38
.LBB30_23:
	s_or_b64 exec, exec, s[16:17]
	v_mov_b32_e32 v71, v34
	v_mov_b32_e32 v73, v34
.LBB30_24:
	s_or_b64 exec, exec, s[14:15]
.LBB30_25:
	s_andn2_saveexec_b64 s[2:3], s[2:3]
	s_cbranch_execz .LBB30_27
; %bb.26:
	v_mov_b32_e32 v73, 1
	ds_write2_b64 v70, v[4:5], v[6:7] offset0:2 offset1:3
	ds_write2_b64 v70, v[8:9], v[10:11] offset0:4 offset1:5
	;; [unrolled: 1-line block ×7, first 2 shown]
.LBB30_27:
	s_or_b64 exec, exec, s[2:3]
	s_waitcnt lgkmcnt(0)
	v_cmp_neq_f64_e64 s[2:3], 0, v[32:33]
	v_cmp_lt_i32_e32 vcc, 1, v73
	s_barrier
	s_and_saveexec_b64 s[14:15], vcc
	s_cbranch_execz .LBB30_29
; %bb.28:
	v_div_scale_f64 v[34:35], s[16:17], v[32:33], v[32:33], 1.0
	v_rcp_f64_e32 v[36:37], v[34:35]
	v_div_scale_f64 v[38:39], vcc, 1.0, v[32:33], 1.0
	v_fma_f64 v[40:41], -v[34:35], v[36:37], 1.0
	v_fmac_f64_e32 v[36:37], v[36:37], v[40:41]
	v_fma_f64 v[40:41], -v[34:35], v[36:37], 1.0
	v_fmac_f64_e32 v[36:37], v[36:37], v[40:41]
	v_mul_f64 v[40:41], v[38:39], v[36:37]
	v_fma_f64 v[34:35], -v[34:35], v[40:41], v[38:39]
	v_div_fmas_f64 v[34:35], v[34:35], v[36:37], v[40:41]
	v_div_fixup_f64 v[38:39], v[34:35], v[32:33], 1.0
	ds_read2_b64 v[34:37], v70 offset0:2 offset1:3
	v_cndmask_b32_e64 v33, v33, v39, s[2:3]
	v_cndmask_b32_e64 v32, v32, v38, s[2:3]
	ds_read2_b64 v[38:41], v70 offset0:4 offset1:5
	v_mul_f64 v[2:3], v[2:3], v[32:33]
	s_waitcnt lgkmcnt(0)
	v_fma_f64 v[4:5], -v[2:3], v[34:35], v[4:5]
	ds_read2_b64 v[32:35], v70 offset0:6 offset1:7
	v_fma_f64 v[6:7], -v[2:3], v[36:37], v[6:7]
	v_fma_f64 v[8:9], -v[2:3], v[38:39], v[8:9]
	ds_read2_b64 v[36:39], v70 offset0:8 offset1:9
	v_fma_f64 v[10:11], -v[2:3], v[40:41], v[10:11]
	s_waitcnt lgkmcnt(0)
	v_fma_f64 v[12:13], -v[2:3], v[32:33], v[12:13]
	v_fma_f64 v[14:15], -v[2:3], v[34:35], v[14:15]
	ds_read2_b64 v[32:35], v70 offset0:10 offset1:11
	ds_read2_b64 v[40:43], v70 offset0:12 offset1:13
	v_fma_f64 v[16:17], -v[2:3], v[36:37], v[16:17]
	v_fma_f64 v[18:19], -v[2:3], v[38:39], v[18:19]
	ds_read2_b64 v[36:39], v70 offset0:14 offset1:15
	s_waitcnt lgkmcnt(0)
	v_fma_f64 v[20:21], -v[2:3], v[32:33], v[20:21]
	v_fma_f64 v[22:23], -v[2:3], v[34:35], v[22:23]
	;; [unrolled: 1-line block ×6, first 2 shown]
.LBB30_29:
	s_or_b64 exec, exec, s[14:15]
	v_lshl_add_u32 v32, v73, 3, v70
	s_barrier
	ds_write_b64 v32, v[4:5]
	s_waitcnt lgkmcnt(0)
	s_barrier
	ds_read_b64 v[32:33], v70 offset:16
	s_mov_b32 s14, 3
	s_cmp_lt_i32 s12, 4
	v_mov_b32_e32 v34, 2
	s_cbranch_scc1 .LBB30_32
; %bb.30:
	v_add3_u32 v35, v74, 0, 24
	v_mov_b32_e32 v34, 2
.LBB30_31:                              ; =>This Inner Loop Header: Depth=1
	ds_read_b64 v[36:37], v35
	v_mov_b32_e32 v38, s14
	s_add_i32 s14, s14, 1
	v_add_u32_e32 v35, 8, v35
	s_cmp_lg_u32 s12, s14
	s_waitcnt lgkmcnt(0)
	v_cmp_lt_f64_e64 vcc, |v[32:33]|, |v[36:37]|
	v_cndmask_b32_e32 v33, v33, v37, vcc
	v_cndmask_b32_e32 v32, v32, v36, vcc
	;; [unrolled: 1-line block ×3, first 2 shown]
	s_cbranch_scc1 .LBB30_31
.LBB30_32:
	v_cndmask_b32_e64 v35, 2, 1, s[0:1]
	v_cndmask_b32_e64 v36, 0, 1, s[0:1]
	;; [unrolled: 1-line block ×3, first 2 shown]
	s_waitcnt lgkmcnt(0)
	v_cmp_eq_f64_e32 vcc, 0, v[32:33]
	s_and_saveexec_b64 s[0:1], vcc
	s_xor_b64 s[0:1], exec, s[0:1]
; %bb.33:
	v_cmp_ne_u32_e32 vcc, 0, v72
	v_cndmask_b32_e32 v72, 3, v72, vcc
; %bb.34:
	s_andn2_saveexec_b64 s[0:1], s[0:1]
; %bb.35:
	v_div_scale_f64 v[36:37], s[2:3], v[32:33], v[32:33], 1.0
	v_rcp_f64_e32 v[38:39], v[36:37]
	v_div_scale_f64 v[40:41], vcc, 1.0, v[32:33], 1.0
	v_fma_f64 v[42:43], -v[36:37], v[38:39], 1.0
	v_fmac_f64_e32 v[38:39], v[38:39], v[42:43]
	v_fma_f64 v[42:43], -v[36:37], v[38:39], 1.0
	v_fmac_f64_e32 v[38:39], v[38:39], v[42:43]
	v_mul_f64 v[42:43], v[40:41], v[38:39]
	v_fma_f64 v[36:37], -v[36:37], v[42:43], v[40:41]
	v_div_fmas_f64 v[36:37], v[36:37], v[38:39], v[42:43]
	v_div_fixup_f64 v[32:33], v[36:37], v[32:33], 1.0
; %bb.36:
	s_or_b64 exec, exec, s[0:1]
	v_cmp_ne_u32_e32 vcc, v73, v34
	s_and_saveexec_b64 s[0:1], vcc
	s_xor_b64 s[0:1], exec, s[0:1]
	s_cbranch_execz .LBB30_42
; %bb.37:
	v_cmp_eq_u32_e32 vcc, 2, v73
	s_and_saveexec_b64 s[2:3], vcc
	s_cbranch_execz .LBB30_41
; %bb.38:
	v_cmp_ne_u32_e32 vcc, 2, v34
	s_xor_b64 s[14:15], s[6:7], -1
	s_and_b64 s[16:17], s[14:15], vcc
	s_and_saveexec_b64 s[14:15], s[16:17]
	s_cbranch_execz .LBB30_40
; %bb.39:
	v_ashrrev_i32_e32 v35, 31, v34
	v_lshlrev_b64 v[36:37], 2, v[34:35]
	v_add_co_u32_e32 v36, vcc, v66, v36
	v_addc_co_u32_e32 v37, vcc, v67, v37, vcc
	flat_load_dword v35, v[36:37]
	flat_load_dword v38, v[66:67] offset:8
	s_waitcnt vmcnt(0) lgkmcnt(0)
	flat_store_dword v[66:67], v35 offset:8
	flat_store_dword v[36:37], v38
.LBB30_40:
	s_or_b64 exec, exec, s[14:15]
	v_mov_b32_e32 v71, v34
	v_mov_b32_e32 v73, v34
.LBB30_41:
	s_or_b64 exec, exec, s[2:3]
.LBB30_42:
	s_andn2_saveexec_b64 s[0:1], s[0:1]
	s_cbranch_execz .LBB30_44
; %bb.43:
	v_mov_b32_e32 v73, 2
	ds_write2_b64 v70, v[6:7], v[8:9] offset0:3 offset1:4
	ds_write2_b64 v70, v[10:11], v[12:13] offset0:5 offset1:6
	;; [unrolled: 1-line block ×6, first 2 shown]
	ds_write_b64 v70, v[30:31] offset:120
.LBB30_44:
	s_or_b64 exec, exec, s[0:1]
	v_cmp_lt_i32_e32 vcc, 2, v73
	s_waitcnt lgkmcnt(0)
	s_barrier
	s_and_saveexec_b64 s[0:1], vcc
	s_cbranch_execz .LBB30_46
; %bb.45:
	ds_read2_b64 v[34:37], v70 offset0:3 offset1:4
	ds_read2_b64 v[38:41], v70 offset0:5 offset1:6
	v_mul_f64 v[4:5], v[4:5], v[32:33]
	s_waitcnt lgkmcnt(0)
	v_fma_f64 v[6:7], -v[4:5], v[34:35], v[6:7]
	ds_read2_b64 v[32:35], v70 offset0:7 offset1:8
	v_fma_f64 v[8:9], -v[4:5], v[36:37], v[8:9]
	v_fma_f64 v[10:11], -v[4:5], v[38:39], v[10:11]
	ds_read2_b64 v[36:39], v70 offset0:9 offset1:10
	v_fma_f64 v[12:13], -v[4:5], v[40:41], v[12:13]
	s_waitcnt lgkmcnt(0)
	v_fma_f64 v[14:15], -v[4:5], v[32:33], v[14:15]
	v_fma_f64 v[16:17], -v[4:5], v[34:35], v[16:17]
	ds_read2_b64 v[32:35], v70 offset0:11 offset1:12
	ds_read2_b64 v[40:43], v70 offset0:13 offset1:14
	v_fma_f64 v[18:19], -v[4:5], v[36:37], v[18:19]
	ds_read_b64 v[36:37], v70 offset:120
	v_fma_f64 v[20:21], -v[4:5], v[38:39], v[20:21]
	s_waitcnt lgkmcnt(0)
	v_fma_f64 v[22:23], -v[4:5], v[32:33], v[22:23]
	v_fma_f64 v[24:25], -v[4:5], v[34:35], v[24:25]
	;; [unrolled: 1-line block ×5, first 2 shown]
.LBB30_46:
	s_or_b64 exec, exec, s[0:1]
	v_lshl_add_u32 v32, v73, 3, v70
	s_barrier
	ds_write_b64 v32, v[6:7]
	s_waitcnt lgkmcnt(0)
	s_barrier
	ds_read_b64 v[32:33], v70 offset:24
	s_cmp_lt_i32 s12, 5
	v_mov_b32_e32 v34, 3
	s_cbranch_scc1 .LBB30_49
; %bb.47:
	v_add3_u32 v35, v74, 0, 32
	s_mov_b32 s0, 4
	v_mov_b32_e32 v34, 3
.LBB30_48:                              ; =>This Inner Loop Header: Depth=1
	ds_read_b64 v[36:37], v35
	v_mov_b32_e32 v38, s0
	s_add_i32 s0, s0, 1
	v_add_u32_e32 v35, 8, v35
	s_cmp_lg_u32 s12, s0
	s_waitcnt lgkmcnt(0)
	v_cmp_lt_f64_e64 vcc, |v[32:33]|, |v[36:37]|
	v_cndmask_b32_e32 v33, v33, v37, vcc
	v_cndmask_b32_e32 v32, v32, v36, vcc
	;; [unrolled: 1-line block ×3, first 2 shown]
	s_cbranch_scc1 .LBB30_48
.LBB30_49:
	s_waitcnt lgkmcnt(0)
	v_cmp_eq_f64_e32 vcc, 0, v[32:33]
	s_and_saveexec_b64 s[0:1], vcc
	s_xor_b64 s[0:1], exec, s[0:1]
; %bb.50:
	v_cmp_ne_u32_e32 vcc, 0, v72
	v_cndmask_b32_e32 v72, 4, v72, vcc
; %bb.51:
	s_andn2_saveexec_b64 s[0:1], s[0:1]
; %bb.52:
	v_div_scale_f64 v[36:37], s[2:3], v[32:33], v[32:33], 1.0
	v_rcp_f64_e32 v[38:39], v[36:37]
	v_div_scale_f64 v[40:41], vcc, 1.0, v[32:33], 1.0
	v_fma_f64 v[42:43], -v[36:37], v[38:39], 1.0
	v_fmac_f64_e32 v[38:39], v[38:39], v[42:43]
	v_fma_f64 v[42:43], -v[36:37], v[38:39], 1.0
	v_fmac_f64_e32 v[38:39], v[38:39], v[42:43]
	v_mul_f64 v[42:43], v[40:41], v[38:39]
	v_fma_f64 v[36:37], -v[36:37], v[42:43], v[40:41]
	v_div_fmas_f64 v[36:37], v[36:37], v[38:39], v[42:43]
	v_div_fixup_f64 v[32:33], v[36:37], v[32:33], 1.0
; %bb.53:
	s_or_b64 exec, exec, s[0:1]
	v_cmp_ne_u32_e32 vcc, v73, v34
	s_and_saveexec_b64 s[0:1], vcc
	s_xor_b64 s[0:1], exec, s[0:1]
	s_cbranch_execz .LBB30_59
; %bb.54:
	v_cmp_eq_u32_e32 vcc, 3, v73
	s_and_saveexec_b64 s[2:3], vcc
	s_cbranch_execz .LBB30_58
; %bb.55:
	v_cmp_ne_u32_e32 vcc, 3, v34
	s_xor_b64 s[14:15], s[6:7], -1
	s_and_b64 s[16:17], s[14:15], vcc
	s_and_saveexec_b64 s[14:15], s[16:17]
	s_cbranch_execz .LBB30_57
; %bb.56:
	v_ashrrev_i32_e32 v35, 31, v34
	v_lshlrev_b64 v[36:37], 2, v[34:35]
	v_add_co_u32_e32 v36, vcc, v66, v36
	v_addc_co_u32_e32 v37, vcc, v67, v37, vcc
	flat_load_dword v35, v[36:37]
	flat_load_dword v38, v[66:67] offset:12
	s_waitcnt vmcnt(0) lgkmcnt(0)
	flat_store_dword v[66:67], v35 offset:12
	flat_store_dword v[36:37], v38
.LBB30_57:
	s_or_b64 exec, exec, s[14:15]
	v_mov_b32_e32 v71, v34
	v_mov_b32_e32 v73, v34
.LBB30_58:
	s_or_b64 exec, exec, s[2:3]
.LBB30_59:
	s_andn2_saveexec_b64 s[0:1], s[0:1]
	s_cbranch_execz .LBB30_61
; %bb.60:
	v_mov_b32_e32 v73, 3
	ds_write2_b64 v70, v[8:9], v[10:11] offset0:4 offset1:5
	ds_write2_b64 v70, v[12:13], v[14:15] offset0:6 offset1:7
	;; [unrolled: 1-line block ×6, first 2 shown]
.LBB30_61:
	s_or_b64 exec, exec, s[0:1]
	v_cmp_lt_i32_e32 vcc, 3, v73
	s_waitcnt lgkmcnt(0)
	s_barrier
	s_and_saveexec_b64 s[0:1], vcc
	s_cbranch_execz .LBB30_63
; %bb.62:
	ds_read2_b64 v[34:37], v70 offset0:4 offset1:5
	ds_read2_b64 v[38:41], v70 offset0:6 offset1:7
	v_mul_f64 v[6:7], v[6:7], v[32:33]
	s_waitcnt lgkmcnt(0)
	v_fma_f64 v[8:9], -v[6:7], v[34:35], v[8:9]
	ds_read2_b64 v[32:35], v70 offset0:8 offset1:9
	v_fma_f64 v[10:11], -v[6:7], v[36:37], v[10:11]
	v_fma_f64 v[12:13], -v[6:7], v[38:39], v[12:13]
	ds_read2_b64 v[36:39], v70 offset0:10 offset1:11
	v_fma_f64 v[14:15], -v[6:7], v[40:41], v[14:15]
	s_waitcnt lgkmcnt(0)
	v_fma_f64 v[16:17], -v[6:7], v[32:33], v[16:17]
	ds_read2_b64 v[40:43], v70 offset0:12 offset1:13
	v_fma_f64 v[18:19], -v[6:7], v[34:35], v[18:19]
	ds_read2_b64 v[32:35], v70 offset0:14 offset1:15
	v_fma_f64 v[20:21], -v[6:7], v[36:37], v[20:21]
	v_fma_f64 v[22:23], -v[6:7], v[38:39], v[22:23]
	s_waitcnt lgkmcnt(0)
	v_fma_f64 v[24:25], -v[6:7], v[40:41], v[24:25]
	v_fma_f64 v[26:27], -v[6:7], v[42:43], v[26:27]
	;; [unrolled: 1-line block ×4, first 2 shown]
.LBB30_63:
	s_or_b64 exec, exec, s[0:1]
	v_lshl_add_u32 v32, v73, 3, v70
	s_barrier
	ds_write_b64 v32, v[8:9]
	s_waitcnt lgkmcnt(0)
	s_barrier
	ds_read_b64 v[32:33], v70 offset:32
	s_cmp_lt_i32 s12, 6
	v_mov_b32_e32 v34, 4
	s_cbranch_scc1 .LBB30_66
; %bb.64:
	v_add3_u32 v35, v74, 0, 40
	s_mov_b32 s0, 5
	v_mov_b32_e32 v34, 4
.LBB30_65:                              ; =>This Inner Loop Header: Depth=1
	ds_read_b64 v[36:37], v35
	v_mov_b32_e32 v38, s0
	s_add_i32 s0, s0, 1
	v_add_u32_e32 v35, 8, v35
	s_cmp_lg_u32 s12, s0
	s_waitcnt lgkmcnt(0)
	v_cmp_lt_f64_e64 vcc, |v[32:33]|, |v[36:37]|
	v_cndmask_b32_e32 v33, v33, v37, vcc
	v_cndmask_b32_e32 v32, v32, v36, vcc
	;; [unrolled: 1-line block ×3, first 2 shown]
	s_cbranch_scc1 .LBB30_65
.LBB30_66:
	s_waitcnt lgkmcnt(0)
	v_cmp_eq_f64_e32 vcc, 0, v[32:33]
	s_and_saveexec_b64 s[0:1], vcc
	s_xor_b64 s[0:1], exec, s[0:1]
; %bb.67:
	v_cmp_ne_u32_e32 vcc, 0, v72
	v_cndmask_b32_e32 v72, 5, v72, vcc
; %bb.68:
	s_andn2_saveexec_b64 s[0:1], s[0:1]
; %bb.69:
	v_div_scale_f64 v[36:37], s[2:3], v[32:33], v[32:33], 1.0
	v_rcp_f64_e32 v[38:39], v[36:37]
	v_div_scale_f64 v[40:41], vcc, 1.0, v[32:33], 1.0
	v_fma_f64 v[42:43], -v[36:37], v[38:39], 1.0
	v_fmac_f64_e32 v[38:39], v[38:39], v[42:43]
	v_fma_f64 v[42:43], -v[36:37], v[38:39], 1.0
	v_fmac_f64_e32 v[38:39], v[38:39], v[42:43]
	v_mul_f64 v[42:43], v[40:41], v[38:39]
	v_fma_f64 v[36:37], -v[36:37], v[42:43], v[40:41]
	v_div_fmas_f64 v[36:37], v[36:37], v[38:39], v[42:43]
	v_div_fixup_f64 v[32:33], v[36:37], v[32:33], 1.0
; %bb.70:
	s_or_b64 exec, exec, s[0:1]
	v_cmp_ne_u32_e32 vcc, v73, v34
	s_and_saveexec_b64 s[0:1], vcc
	s_xor_b64 s[0:1], exec, s[0:1]
	s_cbranch_execz .LBB30_76
; %bb.71:
	v_cmp_eq_u32_e32 vcc, 4, v73
	s_and_saveexec_b64 s[2:3], vcc
	s_cbranch_execz .LBB30_75
; %bb.72:
	v_cmp_ne_u32_e32 vcc, 4, v34
	s_xor_b64 s[14:15], s[6:7], -1
	s_and_b64 s[16:17], s[14:15], vcc
	s_and_saveexec_b64 s[14:15], s[16:17]
	s_cbranch_execz .LBB30_74
; %bb.73:
	v_ashrrev_i32_e32 v35, 31, v34
	v_lshlrev_b64 v[36:37], 2, v[34:35]
	v_add_co_u32_e32 v36, vcc, v66, v36
	v_addc_co_u32_e32 v37, vcc, v67, v37, vcc
	flat_load_dword v35, v[36:37]
	flat_load_dword v38, v[66:67] offset:16
	s_waitcnt vmcnt(0) lgkmcnt(0)
	flat_store_dword v[66:67], v35 offset:16
	flat_store_dword v[36:37], v38
.LBB30_74:
	s_or_b64 exec, exec, s[14:15]
	v_mov_b32_e32 v71, v34
	v_mov_b32_e32 v73, v34
.LBB30_75:
	s_or_b64 exec, exec, s[2:3]
.LBB30_76:
	s_andn2_saveexec_b64 s[0:1], s[0:1]
	s_cbranch_execz .LBB30_78
; %bb.77:
	v_mov_b32_e32 v73, 4
	ds_write2_b64 v70, v[10:11], v[12:13] offset0:5 offset1:6
	ds_write2_b64 v70, v[14:15], v[16:17] offset0:7 offset1:8
	;; [unrolled: 1-line block ×5, first 2 shown]
	ds_write_b64 v70, v[30:31] offset:120
.LBB30_78:
	s_or_b64 exec, exec, s[0:1]
	v_cmp_lt_i32_e32 vcc, 4, v73
	s_waitcnt lgkmcnt(0)
	s_barrier
	s_and_saveexec_b64 s[0:1], vcc
	s_cbranch_execz .LBB30_80
; %bb.79:
	ds_read2_b64 v[34:37], v70 offset0:5 offset1:6
	ds_read2_b64 v[38:41], v70 offset0:7 offset1:8
	v_mul_f64 v[8:9], v[8:9], v[32:33]
	s_waitcnt lgkmcnt(0)
	v_fma_f64 v[10:11], -v[8:9], v[34:35], v[10:11]
	ds_read2_b64 v[32:35], v70 offset0:9 offset1:10
	v_fma_f64 v[12:13], -v[8:9], v[36:37], v[12:13]
	v_fma_f64 v[14:15], -v[8:9], v[38:39], v[14:15]
	ds_read2_b64 v[36:39], v70 offset0:11 offset1:12
	v_fma_f64 v[16:17], -v[8:9], v[40:41], v[16:17]
	s_waitcnt lgkmcnt(0)
	v_fma_f64 v[18:19], -v[8:9], v[32:33], v[18:19]
	ds_read2_b64 v[40:43], v70 offset0:13 offset1:14
	ds_read_b64 v[32:33], v70 offset:120
	v_fma_f64 v[20:21], -v[8:9], v[34:35], v[20:21]
	v_fma_f64 v[22:23], -v[8:9], v[36:37], v[22:23]
	;; [unrolled: 1-line block ×3, first 2 shown]
	s_waitcnt lgkmcnt(0)
	v_fma_f64 v[26:27], -v[8:9], v[40:41], v[26:27]
	v_fma_f64 v[28:29], -v[8:9], v[42:43], v[28:29]
	;; [unrolled: 1-line block ×3, first 2 shown]
.LBB30_80:
	s_or_b64 exec, exec, s[0:1]
	v_lshl_add_u32 v32, v73, 3, v70
	s_barrier
	ds_write_b64 v32, v[10:11]
	s_waitcnt lgkmcnt(0)
	s_barrier
	ds_read_b64 v[32:33], v70 offset:40
	s_cmp_lt_i32 s12, 7
	v_mov_b32_e32 v34, 5
	s_cbranch_scc1 .LBB30_83
; %bb.81:
	v_add3_u32 v35, v74, 0, 48
	s_mov_b32 s0, 6
	v_mov_b32_e32 v34, 5
.LBB30_82:                              ; =>This Inner Loop Header: Depth=1
	ds_read_b64 v[36:37], v35
	v_mov_b32_e32 v38, s0
	s_add_i32 s0, s0, 1
	v_add_u32_e32 v35, 8, v35
	s_cmp_lg_u32 s12, s0
	s_waitcnt lgkmcnt(0)
	v_cmp_lt_f64_e64 vcc, |v[32:33]|, |v[36:37]|
	v_cndmask_b32_e32 v33, v33, v37, vcc
	v_cndmask_b32_e32 v32, v32, v36, vcc
	;; [unrolled: 1-line block ×3, first 2 shown]
	s_cbranch_scc1 .LBB30_82
.LBB30_83:
	s_waitcnt lgkmcnt(0)
	v_cmp_eq_f64_e32 vcc, 0, v[32:33]
	s_and_saveexec_b64 s[0:1], vcc
	s_xor_b64 s[0:1], exec, s[0:1]
; %bb.84:
	v_cmp_ne_u32_e32 vcc, 0, v72
	v_cndmask_b32_e32 v72, 6, v72, vcc
; %bb.85:
	s_andn2_saveexec_b64 s[0:1], s[0:1]
; %bb.86:
	v_div_scale_f64 v[36:37], s[2:3], v[32:33], v[32:33], 1.0
	v_rcp_f64_e32 v[38:39], v[36:37]
	v_div_scale_f64 v[40:41], vcc, 1.0, v[32:33], 1.0
	v_fma_f64 v[42:43], -v[36:37], v[38:39], 1.0
	v_fmac_f64_e32 v[38:39], v[38:39], v[42:43]
	v_fma_f64 v[42:43], -v[36:37], v[38:39], 1.0
	v_fmac_f64_e32 v[38:39], v[38:39], v[42:43]
	v_mul_f64 v[42:43], v[40:41], v[38:39]
	v_fma_f64 v[36:37], -v[36:37], v[42:43], v[40:41]
	v_div_fmas_f64 v[36:37], v[36:37], v[38:39], v[42:43]
	v_div_fixup_f64 v[32:33], v[36:37], v[32:33], 1.0
; %bb.87:
	s_or_b64 exec, exec, s[0:1]
	v_cmp_ne_u32_e32 vcc, v73, v34
	s_and_saveexec_b64 s[0:1], vcc
	s_xor_b64 s[0:1], exec, s[0:1]
	s_cbranch_execz .LBB30_93
; %bb.88:
	v_cmp_eq_u32_e32 vcc, 5, v73
	s_and_saveexec_b64 s[2:3], vcc
	s_cbranch_execz .LBB30_92
; %bb.89:
	v_cmp_ne_u32_e32 vcc, 5, v34
	s_xor_b64 s[14:15], s[6:7], -1
	s_and_b64 s[16:17], s[14:15], vcc
	s_and_saveexec_b64 s[14:15], s[16:17]
	s_cbranch_execz .LBB30_91
; %bb.90:
	v_ashrrev_i32_e32 v35, 31, v34
	v_lshlrev_b64 v[36:37], 2, v[34:35]
	v_add_co_u32_e32 v36, vcc, v66, v36
	v_addc_co_u32_e32 v37, vcc, v67, v37, vcc
	flat_load_dword v35, v[36:37]
	flat_load_dword v38, v[66:67] offset:20
	s_waitcnt vmcnt(0) lgkmcnt(0)
	flat_store_dword v[66:67], v35 offset:20
	flat_store_dword v[36:37], v38
.LBB30_91:
	s_or_b64 exec, exec, s[14:15]
	v_mov_b32_e32 v71, v34
	v_mov_b32_e32 v73, v34
.LBB30_92:
	s_or_b64 exec, exec, s[2:3]
.LBB30_93:
	s_andn2_saveexec_b64 s[0:1], s[0:1]
	s_cbranch_execz .LBB30_95
; %bb.94:
	v_mov_b32_e32 v73, 5
	ds_write2_b64 v70, v[12:13], v[14:15] offset0:6 offset1:7
	ds_write2_b64 v70, v[16:17], v[18:19] offset0:8 offset1:9
	;; [unrolled: 1-line block ×5, first 2 shown]
.LBB30_95:
	s_or_b64 exec, exec, s[0:1]
	v_cmp_lt_i32_e32 vcc, 5, v73
	s_waitcnt lgkmcnt(0)
	s_barrier
	s_and_saveexec_b64 s[0:1], vcc
	s_cbranch_execz .LBB30_97
; %bb.96:
	ds_read2_b64 v[34:37], v70 offset0:6 offset1:7
	ds_read2_b64 v[38:41], v70 offset0:8 offset1:9
	v_mul_f64 v[10:11], v[10:11], v[32:33]
	s_waitcnt lgkmcnt(0)
	v_fma_f64 v[12:13], -v[10:11], v[34:35], v[12:13]
	v_fma_f64 v[14:15], -v[10:11], v[36:37], v[14:15]
	ds_read2_b64 v[32:35], v70 offset0:10 offset1:11
	v_fma_f64 v[16:17], -v[10:11], v[38:39], v[16:17]
	ds_read2_b64 v[36:39], v70 offset0:12 offset1:13
	;; [unrolled: 2-line block ×3, first 2 shown]
	s_waitcnt lgkmcnt(0)
	v_fma_f64 v[20:21], -v[10:11], v[32:33], v[20:21]
	v_fma_f64 v[22:23], -v[10:11], v[34:35], v[22:23]
	;; [unrolled: 1-line block ×6, first 2 shown]
.LBB30_97:
	s_or_b64 exec, exec, s[0:1]
	v_lshl_add_u32 v32, v73, 3, v70
	s_barrier
	ds_write_b64 v32, v[12:13]
	s_waitcnt lgkmcnt(0)
	s_barrier
	ds_read_b64 v[32:33], v70 offset:48
	s_cmp_lt_i32 s12, 8
	v_mov_b32_e32 v34, 6
	s_cbranch_scc1 .LBB30_100
; %bb.98:
	v_add3_u32 v35, v74, 0, 56
	s_mov_b32 s0, 7
	v_mov_b32_e32 v34, 6
.LBB30_99:                              ; =>This Inner Loop Header: Depth=1
	ds_read_b64 v[36:37], v35
	v_mov_b32_e32 v38, s0
	s_add_i32 s0, s0, 1
	v_add_u32_e32 v35, 8, v35
	s_cmp_lg_u32 s12, s0
	s_waitcnt lgkmcnt(0)
	v_cmp_lt_f64_e64 vcc, |v[32:33]|, |v[36:37]|
	v_cndmask_b32_e32 v33, v33, v37, vcc
	v_cndmask_b32_e32 v32, v32, v36, vcc
	v_cndmask_b32_e32 v34, v34, v38, vcc
	s_cbranch_scc1 .LBB30_99
.LBB30_100:
	s_waitcnt lgkmcnt(0)
	v_cmp_eq_f64_e32 vcc, 0, v[32:33]
	s_and_saveexec_b64 s[0:1], vcc
	s_xor_b64 s[0:1], exec, s[0:1]
; %bb.101:
	v_cmp_ne_u32_e32 vcc, 0, v72
	v_cndmask_b32_e32 v72, 7, v72, vcc
; %bb.102:
	s_andn2_saveexec_b64 s[0:1], s[0:1]
; %bb.103:
	v_div_scale_f64 v[36:37], s[2:3], v[32:33], v[32:33], 1.0
	v_rcp_f64_e32 v[38:39], v[36:37]
	v_div_scale_f64 v[40:41], vcc, 1.0, v[32:33], 1.0
	v_fma_f64 v[42:43], -v[36:37], v[38:39], 1.0
	v_fmac_f64_e32 v[38:39], v[38:39], v[42:43]
	v_fma_f64 v[42:43], -v[36:37], v[38:39], 1.0
	v_fmac_f64_e32 v[38:39], v[38:39], v[42:43]
	v_mul_f64 v[42:43], v[40:41], v[38:39]
	v_fma_f64 v[36:37], -v[36:37], v[42:43], v[40:41]
	v_div_fmas_f64 v[36:37], v[36:37], v[38:39], v[42:43]
	v_div_fixup_f64 v[32:33], v[36:37], v[32:33], 1.0
; %bb.104:
	s_or_b64 exec, exec, s[0:1]
	v_cmp_ne_u32_e32 vcc, v73, v34
	s_and_saveexec_b64 s[0:1], vcc
	s_xor_b64 s[0:1], exec, s[0:1]
	s_cbranch_execz .LBB30_110
; %bb.105:
	v_cmp_eq_u32_e32 vcc, 6, v73
	s_and_saveexec_b64 s[2:3], vcc
	s_cbranch_execz .LBB30_109
; %bb.106:
	v_cmp_ne_u32_e32 vcc, 6, v34
	s_xor_b64 s[14:15], s[6:7], -1
	s_and_b64 s[16:17], s[14:15], vcc
	s_and_saveexec_b64 s[14:15], s[16:17]
	s_cbranch_execz .LBB30_108
; %bb.107:
	v_ashrrev_i32_e32 v35, 31, v34
	v_lshlrev_b64 v[36:37], 2, v[34:35]
	v_add_co_u32_e32 v36, vcc, v66, v36
	v_addc_co_u32_e32 v37, vcc, v67, v37, vcc
	flat_load_dword v35, v[36:37]
	flat_load_dword v38, v[66:67] offset:24
	s_waitcnt vmcnt(0) lgkmcnt(0)
	flat_store_dword v[66:67], v35 offset:24
	flat_store_dword v[36:37], v38
.LBB30_108:
	s_or_b64 exec, exec, s[14:15]
	v_mov_b32_e32 v71, v34
	v_mov_b32_e32 v73, v34
.LBB30_109:
	s_or_b64 exec, exec, s[2:3]
.LBB30_110:
	s_andn2_saveexec_b64 s[0:1], s[0:1]
	s_cbranch_execz .LBB30_112
; %bb.111:
	v_mov_b32_e32 v73, 6
	ds_write2_b64 v70, v[14:15], v[16:17] offset0:7 offset1:8
	ds_write2_b64 v70, v[18:19], v[20:21] offset0:9 offset1:10
	;; [unrolled: 1-line block ×4, first 2 shown]
	ds_write_b64 v70, v[30:31] offset:120
.LBB30_112:
	s_or_b64 exec, exec, s[0:1]
	v_cmp_lt_i32_e32 vcc, 6, v73
	s_waitcnt lgkmcnt(0)
	s_barrier
	s_and_saveexec_b64 s[0:1], vcc
	s_cbranch_execz .LBB30_114
; %bb.113:
	ds_read2_b64 v[76:79], v70 offset0:7 offset1:8
	ds_read2_b64 v[80:83], v70 offset0:9 offset1:10
	v_mul_f64 v[12:13], v[12:13], v[32:33]
	v_mov_b32_e32 v85, v19
	v_mov_b32_e32 v84, v18
	s_waitcnt lgkmcnt(0)
	v_fma_f64 v[14:15], -v[12:13], v[76:77], v[14:15]
	v_pk_mov_b32 v[62:63], v[30:31], v[30:31] op_sel:[0,1]
	v_pk_mov_b32 v[60:61], v[28:29], v[28:29] op_sel:[0,1]
	;; [unrolled: 1-line block ×16, first 2 shown]
	ds_read2_b64 v[0:3], v70 offset0:11 offset1:12
	v_mov_b32_e32 v5, v21
	v_mov_b32_e32 v4, v20
	v_fma_f64 v[52:53], -v[12:13], v[82:83], v[4:5]
	ds_read2_b64 v[4:7], v70 offset0:13 offset1:14
	v_mov_b32_e32 v9, v23
	v_mov_b32_e32 v8, v22
	s_waitcnt lgkmcnt(0)
	v_fma_f64 v[54:55], -v[12:13], v[0:1], v[8:9]
	v_mov_b32_e32 v1, v25
	v_mov_b32_e32 v0, v24
	v_fma_f64 v[56:57], -v[12:13], v[2:3], v[0:1]
	ds_read_b64 v[2:3], v70 offset:120
	v_mov_b32_e32 v1, v27
	v_mov_b32_e32 v0, v26
	v_fma_f64 v[58:59], -v[12:13], v[4:5], v[0:1]
	v_mov_b32_e32 v1, v29
	v_mov_b32_e32 v0, v28
	v_fma_f64 v[60:61], -v[12:13], v[6:7], v[0:1]
	v_mov_b32_e32 v1, v31
	v_mov_b32_e32 v0, v30
	s_waitcnt lgkmcnt(0)
	v_fma_f64 v[62:63], -v[12:13], v[2:3], v[0:1]
	v_fma_f64 v[0:1], -v[12:13], v[78:79], v[16:17]
	;; [unrolled: 1-line block ×3, first 2 shown]
	v_mov_b32_e32 v48, v0
	v_mov_b32_e32 v49, v1
	v_pk_mov_b32 v[0:1], v[32:33], v[32:33] op_sel:[0,1]
	v_pk_mov_b32 v[2:3], v[34:35], v[34:35] op_sel:[0,1]
	;; [unrolled: 1-line block ×16, first 2 shown]
.LBB30_114:
	s_or_b64 exec, exec, s[0:1]
	v_lshl_add_u32 v32, v73, 3, v70
	s_barrier
	ds_write_b64 v32, v[14:15]
	s_waitcnt lgkmcnt(0)
	s_barrier
	ds_read_b64 v[32:33], v70 offset:56
	s_cmp_lt_i32 s12, 9
	v_mov_b32_e32 v34, 7
	s_cbranch_scc1 .LBB30_117
; %bb.115:
	v_add3_u32 v35, v74, 0, 64
	s_mov_b32 s0, 8
	v_mov_b32_e32 v34, 7
.LBB30_116:                             ; =>This Inner Loop Header: Depth=1
	ds_read_b64 v[36:37], v35
	v_mov_b32_e32 v38, s0
	s_add_i32 s0, s0, 1
	v_add_u32_e32 v35, 8, v35
	s_cmp_lg_u32 s12, s0
	s_waitcnt lgkmcnt(0)
	v_cmp_lt_f64_e64 vcc, |v[32:33]|, |v[36:37]|
	v_cndmask_b32_e32 v33, v33, v37, vcc
	v_cndmask_b32_e32 v32, v32, v36, vcc
	;; [unrolled: 1-line block ×3, first 2 shown]
	s_cbranch_scc1 .LBB30_116
.LBB30_117:
	s_waitcnt lgkmcnt(0)
	v_cmp_eq_f64_e32 vcc, 0, v[32:33]
	s_and_saveexec_b64 s[0:1], vcc
	s_xor_b64 s[0:1], exec, s[0:1]
; %bb.118:
	v_cmp_ne_u32_e32 vcc, 0, v72
	v_cndmask_b32_e32 v72, 8, v72, vcc
; %bb.119:
	s_andn2_saveexec_b64 s[0:1], s[0:1]
; %bb.120:
	v_div_scale_f64 v[36:37], s[2:3], v[32:33], v[32:33], 1.0
	v_rcp_f64_e32 v[38:39], v[36:37]
	v_div_scale_f64 v[40:41], vcc, 1.0, v[32:33], 1.0
	v_fma_f64 v[42:43], -v[36:37], v[38:39], 1.0
	v_fmac_f64_e32 v[38:39], v[38:39], v[42:43]
	v_fma_f64 v[42:43], -v[36:37], v[38:39], 1.0
	v_fmac_f64_e32 v[38:39], v[38:39], v[42:43]
	v_mul_f64 v[42:43], v[40:41], v[38:39]
	v_fma_f64 v[36:37], -v[36:37], v[42:43], v[40:41]
	v_div_fmas_f64 v[36:37], v[36:37], v[38:39], v[42:43]
	v_div_fixup_f64 v[32:33], v[36:37], v[32:33], 1.0
; %bb.121:
	s_or_b64 exec, exec, s[0:1]
	v_cmp_ne_u32_e32 vcc, v73, v34
	s_and_saveexec_b64 s[0:1], vcc
	s_xor_b64 s[0:1], exec, s[0:1]
	s_cbranch_execz .LBB30_127
; %bb.122:
	v_cmp_eq_u32_e32 vcc, 7, v73
	s_and_saveexec_b64 s[2:3], vcc
	s_cbranch_execz .LBB30_126
; %bb.123:
	v_cmp_ne_u32_e32 vcc, 7, v34
	s_xor_b64 s[14:15], s[6:7], -1
	s_and_b64 s[16:17], s[14:15], vcc
	s_and_saveexec_b64 s[14:15], s[16:17]
	s_cbranch_execz .LBB30_125
; %bb.124:
	v_ashrrev_i32_e32 v35, 31, v34
	v_lshlrev_b64 v[36:37], 2, v[34:35]
	v_add_co_u32_e32 v36, vcc, v66, v36
	v_addc_co_u32_e32 v37, vcc, v67, v37, vcc
	flat_load_dword v35, v[36:37]
	flat_load_dword v38, v[66:67] offset:28
	s_waitcnt vmcnt(0) lgkmcnt(0)
	flat_store_dword v[66:67], v35 offset:28
	flat_store_dword v[36:37], v38
.LBB30_125:
	s_or_b64 exec, exec, s[14:15]
	v_mov_b32_e32 v71, v34
	v_mov_b32_e32 v73, v34
.LBB30_126:
	s_or_b64 exec, exec, s[2:3]
.LBB30_127:
	s_andn2_saveexec_b64 s[0:1], s[0:1]
	s_cbranch_execz .LBB30_129
; %bb.128:
	v_mov_b32_e32 v47, v19
	v_mov_b32_e32 v46, v18
	;; [unrolled: 1-line block ×17, first 2 shown]
	ds_write2_b64 v70, v[48:49], v[46:47] offset0:8 offset1:9
	ds_write2_b64 v70, v[44:45], v[42:43] offset0:10 offset1:11
	;; [unrolled: 1-line block ×4, first 2 shown]
.LBB30_129:
	s_or_b64 exec, exec, s[0:1]
	v_cmp_lt_i32_e32 vcc, 7, v73
	s_waitcnt lgkmcnt(0)
	s_barrier
	s_and_saveexec_b64 s[0:1], vcc
	s_cbranch_execz .LBB30_131
; %bb.130:
	v_mul_f64 v[74:75], v[14:15], v[32:33]
	v_pk_mov_b32 v[62:63], v[30:31], v[30:31] op_sel:[0,1]
	v_pk_mov_b32 v[60:61], v[28:29], v[28:29] op_sel:[0,1]
	;; [unrolled: 1-line block ×16, first 2 shown]
	ds_read2_b64 v[0:3], v70 offset0:8 offset1:9
	ds_read2_b64 v[4:7], v70 offset0:10 offset1:11
	v_mov_b32_e32 v9, v17
	v_mov_b32_e32 v8, v16
	;; [unrolled: 1-line block ×3, first 2 shown]
	s_waitcnt lgkmcnt(0)
	v_fma_f64 v[48:49], -v[74:75], v[0:1], v[8:9]
	v_mov_b32_e32 v1, v19
	v_mov_b32_e32 v0, v18
	v_fma_f64 v[50:51], -v[74:75], v[2:3], v[0:1]
	v_mov_b32_e32 v1, v21
	v_mov_b32_e32 v0, v20
	v_fma_f64 v[52:53], -v[74:75], v[4:5], v[0:1]
	ds_read2_b64 v[0:3], v70 offset0:12 offset1:13
	v_mov_b32_e32 v5, v23
	v_mov_b32_e32 v4, v22
	v_fma_f64 v[54:55], -v[74:75], v[6:7], v[4:5]
	ds_read2_b64 v[4:7], v70 offset0:14 offset1:15
	v_mov_b32_e32 v9, v25
	v_mov_b32_e32 v8, v24
	s_waitcnt lgkmcnt(0)
	v_fma_f64 v[56:57], -v[74:75], v[0:1], v[8:9]
	v_mov_b32_e32 v1, v27
	v_mov_b32_e32 v0, v26
	v_fma_f64 v[58:59], -v[74:75], v[2:3], v[0:1]
	v_mov_b32_e32 v1, v29
	v_mov_b32_e32 v0, v28
	;; [unrolled: 3-line block ×3, first 2 shown]
	v_mov_b32_e32 v47, v75
	v_fma_f64 v[62:63], -v[74:75], v[6:7], v[0:1]
	v_pk_mov_b32 v[0:1], v[32:33], v[32:33] op_sel:[0,1]
	v_pk_mov_b32 v[2:3], v[34:35], v[34:35] op_sel:[0,1]
	;; [unrolled: 1-line block ×16, first 2 shown]
.LBB30_131:
	s_or_b64 exec, exec, s[0:1]
	v_lshl_add_u32 v32, v73, 3, v70
	s_barrier
	ds_write_b64 v32, v[16:17]
	s_waitcnt lgkmcnt(0)
	s_barrier
	ds_read_b64 v[32:33], v70 offset:64
	s_cmp_lt_i32 s12, 10
	v_mov_b32_e32 v34, 8
	s_cbranch_scc1 .LBB30_134
; %bb.132:
	v_add_u32_e32 v35, 0x48, v70
	s_mov_b32 s0, 9
	v_mov_b32_e32 v34, 8
.LBB30_133:                             ; =>This Inner Loop Header: Depth=1
	ds_read_b64 v[36:37], v35
	v_mov_b32_e32 v38, s0
	s_add_i32 s0, s0, 1
	v_add_u32_e32 v35, 8, v35
	s_cmp_lg_u32 s12, s0
	s_waitcnt lgkmcnt(0)
	v_cmp_lt_f64_e64 vcc, |v[32:33]|, |v[36:37]|
	v_cndmask_b32_e32 v33, v33, v37, vcc
	v_cndmask_b32_e32 v32, v32, v36, vcc
	;; [unrolled: 1-line block ×3, first 2 shown]
	s_cbranch_scc1 .LBB30_133
.LBB30_134:
	s_waitcnt lgkmcnt(0)
	v_cmp_eq_f64_e32 vcc, 0, v[32:33]
	s_and_saveexec_b64 s[0:1], vcc
	s_xor_b64 s[0:1], exec, s[0:1]
; %bb.135:
	v_cmp_ne_u32_e32 vcc, 0, v72
	v_cndmask_b32_e32 v72, 9, v72, vcc
; %bb.136:
	s_andn2_saveexec_b64 s[0:1], s[0:1]
; %bb.137:
	v_div_scale_f64 v[36:37], s[2:3], v[32:33], v[32:33], 1.0
	v_rcp_f64_e32 v[38:39], v[36:37]
	v_div_scale_f64 v[40:41], vcc, 1.0, v[32:33], 1.0
	v_fma_f64 v[42:43], -v[36:37], v[38:39], 1.0
	v_fmac_f64_e32 v[38:39], v[38:39], v[42:43]
	v_fma_f64 v[42:43], -v[36:37], v[38:39], 1.0
	v_fmac_f64_e32 v[38:39], v[38:39], v[42:43]
	v_mul_f64 v[42:43], v[40:41], v[38:39]
	v_fma_f64 v[36:37], -v[36:37], v[42:43], v[40:41]
	v_div_fmas_f64 v[36:37], v[36:37], v[38:39], v[42:43]
	v_div_fixup_f64 v[32:33], v[36:37], v[32:33], 1.0
; %bb.138:
	s_or_b64 exec, exec, s[0:1]
	v_cmp_ne_u32_e32 vcc, v73, v34
	s_and_saveexec_b64 s[0:1], vcc
	s_xor_b64 s[0:1], exec, s[0:1]
	s_cbranch_execz .LBB30_144
; %bb.139:
	v_cmp_eq_u32_e32 vcc, 8, v73
	s_and_saveexec_b64 s[2:3], vcc
	s_cbranch_execz .LBB30_143
; %bb.140:
	v_cmp_ne_u32_e32 vcc, 8, v34
	s_xor_b64 s[14:15], s[6:7], -1
	s_and_b64 s[16:17], s[14:15], vcc
	s_and_saveexec_b64 s[14:15], s[16:17]
	s_cbranch_execz .LBB30_142
; %bb.141:
	v_ashrrev_i32_e32 v35, 31, v34
	v_lshlrev_b64 v[36:37], 2, v[34:35]
	v_add_co_u32_e32 v36, vcc, v66, v36
	v_addc_co_u32_e32 v37, vcc, v67, v37, vcc
	flat_load_dword v35, v[36:37]
	flat_load_dword v38, v[66:67] offset:32
	s_waitcnt vmcnt(0) lgkmcnt(0)
	flat_store_dword v[66:67], v35 offset:32
	flat_store_dword v[36:37], v38
.LBB30_142:
	s_or_b64 exec, exec, s[14:15]
	v_mov_b32_e32 v71, v34
	v_mov_b32_e32 v73, v34
.LBB30_143:
	s_or_b64 exec, exec, s[2:3]
.LBB30_144:
	s_andn2_saveexec_b64 s[0:1], s[0:1]
	s_cbranch_execz .LBB30_146
; %bb.145:
	v_mov_b32_e32 v35, v19
	v_mov_b32_e32 v34, v18
	v_mov_b32_e32 v37, v21
	v_mov_b32_e32 v36, v20
	ds_write2_b64 v70, v[34:35], v[36:37] offset0:9 offset1:10
	v_mov_b32_e32 v35, v23
	v_mov_b32_e32 v34, v22
	v_mov_b32_e32 v37, v25
	v_mov_b32_e32 v36, v24
	ds_write2_b64 v70, v[34:35], v[36:37] offset0:11 offset1:12
	;; [unrolled: 5-line block ×3, first 2 shown]
	v_mov_b32_e32 v35, v31
	v_mov_b32_e32 v34, v30
	;; [unrolled: 1-line block ×3, first 2 shown]
	ds_write_b64 v70, v[34:35] offset:120
.LBB30_146:
	s_or_b64 exec, exec, s[0:1]
	v_cmp_lt_i32_e32 vcc, 8, v73
	s_waitcnt lgkmcnt(0)
	s_barrier
	s_and_saveexec_b64 s[0:1], vcc
	s_cbranch_execz .LBB30_148
; %bb.147:
	v_mul_f64 v[74:75], v[16:17], v[32:33]
	v_pk_mov_b32 v[62:63], v[30:31], v[30:31] op_sel:[0,1]
	v_pk_mov_b32 v[60:61], v[28:29], v[28:29] op_sel:[0,1]
	;; [unrolled: 1-line block ×16, first 2 shown]
	ds_read2_b64 v[0:3], v70 offset0:9 offset1:10
	ds_read2_b64 v[4:7], v70 offset0:11 offset1:12
	v_mov_b32_e32 v9, v19
	v_mov_b32_e32 v8, v18
	;; [unrolled: 1-line block ×3, first 2 shown]
	s_waitcnt lgkmcnt(0)
	v_fma_f64 v[50:51], -v[74:75], v[0:1], v[8:9]
	v_mov_b32_e32 v1, v21
	v_mov_b32_e32 v0, v20
	v_fma_f64 v[52:53], -v[74:75], v[2:3], v[0:1]
	v_mov_b32_e32 v1, v23
	v_mov_b32_e32 v0, v22
	v_fma_f64 v[54:55], -v[74:75], v[4:5], v[0:1]
	ds_read2_b64 v[0:3], v70 offset0:13 offset1:14
	v_mov_b32_e32 v5, v25
	v_mov_b32_e32 v4, v24
	v_fma_f64 v[56:57], -v[74:75], v[6:7], v[4:5]
	ds_read_b64 v[6:7], v70 offset:120
	v_mov_b32_e32 v5, v27
	v_mov_b32_e32 v4, v26
	s_waitcnt lgkmcnt(0)
	v_fma_f64 v[58:59], -v[74:75], v[0:1], v[4:5]
	v_mov_b32_e32 v1, v29
	v_mov_b32_e32 v0, v28
	v_fma_f64 v[60:61], -v[74:75], v[2:3], v[0:1]
	v_mov_b32_e32 v1, v31
	v_mov_b32_e32 v0, v30
	;; [unrolled: 1-line block ×3, first 2 shown]
	v_fma_f64 v[62:63], -v[74:75], v[6:7], v[0:1]
	v_pk_mov_b32 v[0:1], v[32:33], v[32:33] op_sel:[0,1]
	v_pk_mov_b32 v[2:3], v[34:35], v[34:35] op_sel:[0,1]
	v_pk_mov_b32 v[4:5], v[36:37], v[36:37] op_sel:[0,1]
	v_pk_mov_b32 v[6:7], v[38:39], v[38:39] op_sel:[0,1]
	v_pk_mov_b32 v[8:9], v[40:41], v[40:41] op_sel:[0,1]
	v_pk_mov_b32 v[10:11], v[42:43], v[42:43] op_sel:[0,1]
	v_pk_mov_b32 v[12:13], v[44:45], v[44:45] op_sel:[0,1]
	v_pk_mov_b32 v[14:15], v[46:47], v[46:47] op_sel:[0,1]
	v_pk_mov_b32 v[16:17], v[48:49], v[48:49] op_sel:[0,1]
	v_pk_mov_b32 v[18:19], v[50:51], v[50:51] op_sel:[0,1]
	v_pk_mov_b32 v[20:21], v[52:53], v[52:53] op_sel:[0,1]
	v_pk_mov_b32 v[22:23], v[54:55], v[54:55] op_sel:[0,1]
	v_pk_mov_b32 v[24:25], v[56:57], v[56:57] op_sel:[0,1]
	v_pk_mov_b32 v[26:27], v[58:59], v[58:59] op_sel:[0,1]
	v_pk_mov_b32 v[28:29], v[60:61], v[60:61] op_sel:[0,1]
	v_pk_mov_b32 v[30:31], v[62:63], v[62:63] op_sel:[0,1]
.LBB30_148:
	s_or_b64 exec, exec, s[0:1]
	v_lshl_add_u32 v32, v73, 3, v70
	s_barrier
	ds_write_b64 v32, v[18:19]
	s_waitcnt lgkmcnt(0)
	s_barrier
	ds_read_b64 v[32:33], v70 offset:72
	s_cmp_lt_i32 s12, 11
	v_mov_b32_e32 v34, 9
	s_cbranch_scc1 .LBB30_151
; %bb.149:
	v_add_u32_e32 v35, 0x50, v70
	s_mov_b32 s0, 10
	v_mov_b32_e32 v34, 9
.LBB30_150:                             ; =>This Inner Loop Header: Depth=1
	ds_read_b64 v[36:37], v35
	v_mov_b32_e32 v38, s0
	s_add_i32 s0, s0, 1
	v_add_u32_e32 v35, 8, v35
	s_cmp_lg_u32 s12, s0
	s_waitcnt lgkmcnt(0)
	v_cmp_lt_f64_e64 vcc, |v[32:33]|, |v[36:37]|
	v_cndmask_b32_e32 v33, v33, v37, vcc
	v_cndmask_b32_e32 v32, v32, v36, vcc
	v_cndmask_b32_e32 v34, v34, v38, vcc
	s_cbranch_scc1 .LBB30_150
.LBB30_151:
	s_waitcnt lgkmcnt(0)
	v_cmp_eq_f64_e32 vcc, 0, v[32:33]
	s_and_saveexec_b64 s[0:1], vcc
	s_xor_b64 s[0:1], exec, s[0:1]
; %bb.152:
	v_cmp_ne_u32_e32 vcc, 0, v72
	v_cndmask_b32_e32 v72, 10, v72, vcc
; %bb.153:
	s_andn2_saveexec_b64 s[0:1], s[0:1]
; %bb.154:
	v_div_scale_f64 v[36:37], s[2:3], v[32:33], v[32:33], 1.0
	v_rcp_f64_e32 v[38:39], v[36:37]
	v_div_scale_f64 v[40:41], vcc, 1.0, v[32:33], 1.0
	v_fma_f64 v[42:43], -v[36:37], v[38:39], 1.0
	v_fmac_f64_e32 v[38:39], v[38:39], v[42:43]
	v_fma_f64 v[42:43], -v[36:37], v[38:39], 1.0
	v_fmac_f64_e32 v[38:39], v[38:39], v[42:43]
	v_mul_f64 v[42:43], v[40:41], v[38:39]
	v_fma_f64 v[36:37], -v[36:37], v[42:43], v[40:41]
	v_div_fmas_f64 v[36:37], v[36:37], v[38:39], v[42:43]
	v_div_fixup_f64 v[32:33], v[36:37], v[32:33], 1.0
; %bb.155:
	s_or_b64 exec, exec, s[0:1]
	v_cmp_ne_u32_e32 vcc, v73, v34
	s_and_saveexec_b64 s[0:1], vcc
	s_xor_b64 s[0:1], exec, s[0:1]
	s_cbranch_execz .LBB30_161
; %bb.156:
	v_cmp_eq_u32_e32 vcc, 9, v73
	s_and_saveexec_b64 s[2:3], vcc
	s_cbranch_execz .LBB30_160
; %bb.157:
	v_cmp_ne_u32_e32 vcc, 9, v34
	s_xor_b64 s[14:15], s[6:7], -1
	s_and_b64 s[16:17], s[14:15], vcc
	s_and_saveexec_b64 s[14:15], s[16:17]
	s_cbranch_execz .LBB30_159
; %bb.158:
	v_ashrrev_i32_e32 v35, 31, v34
	v_lshlrev_b64 v[36:37], 2, v[34:35]
	v_add_co_u32_e32 v36, vcc, v66, v36
	v_addc_co_u32_e32 v37, vcc, v67, v37, vcc
	flat_load_dword v35, v[36:37]
	flat_load_dword v38, v[66:67] offset:36
	s_waitcnt vmcnt(0) lgkmcnt(0)
	flat_store_dword v[66:67], v35 offset:36
	flat_store_dword v[36:37], v38
.LBB30_159:
	s_or_b64 exec, exec, s[14:15]
	v_mov_b32_e32 v71, v34
	v_mov_b32_e32 v73, v34
.LBB30_160:
	s_or_b64 exec, exec, s[2:3]
.LBB30_161:
	s_andn2_saveexec_b64 s[0:1], s[0:1]
	s_cbranch_execz .LBB30_163
; %bb.162:
	v_mov_b32_e32 v43, v23
	v_mov_b32_e32 v42, v22
	;; [unrolled: 1-line block ×13, first 2 shown]
	ds_write2_b64 v70, v[44:45], v[42:43] offset0:10 offset1:11
	ds_write2_b64 v70, v[40:41], v[38:39] offset0:12 offset1:13
	;; [unrolled: 1-line block ×3, first 2 shown]
.LBB30_163:
	s_or_b64 exec, exec, s[0:1]
	v_cmp_lt_i32_e32 vcc, 9, v73
	s_waitcnt lgkmcnt(0)
	s_barrier
	s_and_saveexec_b64 s[0:1], vcc
	s_cbranch_execz .LBB30_165
; %bb.164:
	v_mul_f64 v[74:75], v[18:19], v[32:33]
	v_pk_mov_b32 v[62:63], v[30:31], v[30:31] op_sel:[0,1]
	v_pk_mov_b32 v[60:61], v[28:29], v[28:29] op_sel:[0,1]
	;; [unrolled: 1-line block ×16, first 2 shown]
	ds_read2_b64 v[0:3], v70 offset0:10 offset1:11
	ds_read2_b64 v[4:7], v70 offset0:12 offset1:13
	v_mov_b32_e32 v9, v21
	v_mov_b32_e32 v8, v20
	;; [unrolled: 1-line block ×3, first 2 shown]
	s_waitcnt lgkmcnt(0)
	v_fma_f64 v[52:53], -v[74:75], v[0:1], v[8:9]
	v_mov_b32_e32 v1, v23
	v_mov_b32_e32 v0, v22
	v_fma_f64 v[54:55], -v[74:75], v[2:3], v[0:1]
	v_mov_b32_e32 v1, v25
	v_mov_b32_e32 v0, v24
	v_fma_f64 v[56:57], -v[74:75], v[4:5], v[0:1]
	ds_read2_b64 v[0:3], v70 offset0:14 offset1:15
	v_mov_b32_e32 v5, v27
	v_mov_b32_e32 v4, v26
	v_fma_f64 v[58:59], -v[74:75], v[6:7], v[4:5]
	v_mov_b32_e32 v5, v29
	v_mov_b32_e32 v4, v28
	s_waitcnt lgkmcnt(0)
	v_fma_f64 v[60:61], -v[74:75], v[0:1], v[4:5]
	v_mov_b32_e32 v1, v31
	v_mov_b32_e32 v0, v30
	;; [unrolled: 1-line block ×3, first 2 shown]
	v_fma_f64 v[62:63], -v[74:75], v[2:3], v[0:1]
	v_pk_mov_b32 v[0:1], v[32:33], v[32:33] op_sel:[0,1]
	v_pk_mov_b32 v[2:3], v[34:35], v[34:35] op_sel:[0,1]
	;; [unrolled: 1-line block ×16, first 2 shown]
.LBB30_165:
	s_or_b64 exec, exec, s[0:1]
	v_lshl_add_u32 v32, v73, 3, v70
	s_barrier
	ds_write_b64 v32, v[20:21]
	s_waitcnt lgkmcnt(0)
	s_barrier
	ds_read_b64 v[32:33], v70 offset:80
	s_cmp_lt_i32 s12, 12
	v_mov_b32_e32 v34, 10
	s_cbranch_scc1 .LBB30_168
; %bb.166:
	v_add_u32_e32 v35, 0x58, v70
	s_mov_b32 s0, 11
	v_mov_b32_e32 v34, 10
.LBB30_167:                             ; =>This Inner Loop Header: Depth=1
	ds_read_b64 v[36:37], v35
	v_mov_b32_e32 v38, s0
	s_add_i32 s0, s0, 1
	v_add_u32_e32 v35, 8, v35
	s_cmp_lg_u32 s12, s0
	s_waitcnt lgkmcnt(0)
	v_cmp_lt_f64_e64 vcc, |v[32:33]|, |v[36:37]|
	v_cndmask_b32_e32 v33, v33, v37, vcc
	v_cndmask_b32_e32 v32, v32, v36, vcc
	;; [unrolled: 1-line block ×3, first 2 shown]
	s_cbranch_scc1 .LBB30_167
.LBB30_168:
	s_waitcnt lgkmcnt(0)
	v_cmp_eq_f64_e32 vcc, 0, v[32:33]
	s_and_saveexec_b64 s[0:1], vcc
	s_xor_b64 s[0:1], exec, s[0:1]
; %bb.169:
	v_cmp_ne_u32_e32 vcc, 0, v72
	v_cndmask_b32_e32 v72, 11, v72, vcc
; %bb.170:
	s_andn2_saveexec_b64 s[0:1], s[0:1]
; %bb.171:
	v_div_scale_f64 v[36:37], s[2:3], v[32:33], v[32:33], 1.0
	v_rcp_f64_e32 v[38:39], v[36:37]
	v_div_scale_f64 v[40:41], vcc, 1.0, v[32:33], 1.0
	v_fma_f64 v[42:43], -v[36:37], v[38:39], 1.0
	v_fmac_f64_e32 v[38:39], v[38:39], v[42:43]
	v_fma_f64 v[42:43], -v[36:37], v[38:39], 1.0
	v_fmac_f64_e32 v[38:39], v[38:39], v[42:43]
	v_mul_f64 v[42:43], v[40:41], v[38:39]
	v_fma_f64 v[36:37], -v[36:37], v[42:43], v[40:41]
	v_div_fmas_f64 v[36:37], v[36:37], v[38:39], v[42:43]
	v_div_fixup_f64 v[32:33], v[36:37], v[32:33], 1.0
; %bb.172:
	s_or_b64 exec, exec, s[0:1]
	v_cmp_ne_u32_e32 vcc, v73, v34
	s_and_saveexec_b64 s[0:1], vcc
	s_xor_b64 s[0:1], exec, s[0:1]
	s_cbranch_execz .LBB30_178
; %bb.173:
	v_cmp_eq_u32_e32 vcc, 10, v73
	s_and_saveexec_b64 s[2:3], vcc
	s_cbranch_execz .LBB30_177
; %bb.174:
	v_cmp_ne_u32_e32 vcc, 10, v34
	s_xor_b64 s[14:15], s[6:7], -1
	s_and_b64 s[16:17], s[14:15], vcc
	s_and_saveexec_b64 s[14:15], s[16:17]
	s_cbranch_execz .LBB30_176
; %bb.175:
	v_ashrrev_i32_e32 v35, 31, v34
	v_lshlrev_b64 v[36:37], 2, v[34:35]
	v_add_co_u32_e32 v36, vcc, v66, v36
	v_addc_co_u32_e32 v37, vcc, v67, v37, vcc
	flat_load_dword v35, v[36:37]
	flat_load_dword v38, v[66:67] offset:40
	s_waitcnt vmcnt(0) lgkmcnt(0)
	flat_store_dword v[66:67], v35 offset:40
	flat_store_dword v[36:37], v38
.LBB30_176:
	s_or_b64 exec, exec, s[14:15]
	v_mov_b32_e32 v71, v34
	v_mov_b32_e32 v73, v34
.LBB30_177:
	s_or_b64 exec, exec, s[2:3]
.LBB30_178:
	s_andn2_saveexec_b64 s[0:1], s[0:1]
	s_cbranch_execz .LBB30_180
; %bb.179:
	v_mov_b32_e32 v35, v23
	v_mov_b32_e32 v34, v22
	;; [unrolled: 1-line block ×4, first 2 shown]
	ds_write2_b64 v70, v[34:35], v[36:37] offset0:11 offset1:12
	v_mov_b32_e32 v35, v27
	v_mov_b32_e32 v34, v26
	;; [unrolled: 1-line block ×4, first 2 shown]
	ds_write2_b64 v70, v[34:35], v[36:37] offset0:13 offset1:14
	v_mov_b32_e32 v35, v31
	v_mov_b32_e32 v34, v30
	;; [unrolled: 1-line block ×3, first 2 shown]
	ds_write_b64 v70, v[34:35] offset:120
.LBB30_180:
	s_or_b64 exec, exec, s[0:1]
	v_cmp_lt_i32_e32 vcc, 10, v73
	s_waitcnt lgkmcnt(0)
	s_barrier
	s_and_saveexec_b64 s[0:1], vcc
	s_cbranch_execz .LBB30_182
; %bb.181:
	v_mul_f64 v[74:75], v[20:21], v[32:33]
	v_pk_mov_b32 v[62:63], v[30:31], v[30:31] op_sel:[0,1]
	v_pk_mov_b32 v[60:61], v[28:29], v[28:29] op_sel:[0,1]
	;; [unrolled: 1-line block ×16, first 2 shown]
	ds_read2_b64 v[0:3], v70 offset0:11 offset1:12
	ds_read2_b64 v[4:7], v70 offset0:13 offset1:14
	v_mov_b32_e32 v9, v23
	v_mov_b32_e32 v8, v22
	;; [unrolled: 1-line block ×3, first 2 shown]
	s_waitcnt lgkmcnt(0)
	v_fma_f64 v[54:55], -v[74:75], v[0:1], v[8:9]
	v_mov_b32_e32 v1, v25
	v_mov_b32_e32 v0, v24
	v_fma_f64 v[56:57], -v[74:75], v[2:3], v[0:1]
	ds_read_b64 v[2:3], v70 offset:120
	v_mov_b32_e32 v1, v27
	v_mov_b32_e32 v0, v26
	v_fma_f64 v[58:59], -v[74:75], v[4:5], v[0:1]
	v_mov_b32_e32 v1, v29
	v_mov_b32_e32 v0, v28
	v_fma_f64 v[60:61], -v[74:75], v[6:7], v[0:1]
	v_mov_b32_e32 v1, v31
	v_mov_b32_e32 v0, v30
	;; [unrolled: 1-line block ×3, first 2 shown]
	s_waitcnt lgkmcnt(0)
	v_fma_f64 v[62:63], -v[74:75], v[2:3], v[0:1]
	v_pk_mov_b32 v[0:1], v[32:33], v[32:33] op_sel:[0,1]
	v_pk_mov_b32 v[2:3], v[34:35], v[34:35] op_sel:[0,1]
	v_pk_mov_b32 v[4:5], v[36:37], v[36:37] op_sel:[0,1]
	v_pk_mov_b32 v[6:7], v[38:39], v[38:39] op_sel:[0,1]
	v_pk_mov_b32 v[8:9], v[40:41], v[40:41] op_sel:[0,1]
	v_pk_mov_b32 v[10:11], v[42:43], v[42:43] op_sel:[0,1]
	v_pk_mov_b32 v[12:13], v[44:45], v[44:45] op_sel:[0,1]
	v_pk_mov_b32 v[14:15], v[46:47], v[46:47] op_sel:[0,1]
	v_pk_mov_b32 v[16:17], v[48:49], v[48:49] op_sel:[0,1]
	v_pk_mov_b32 v[18:19], v[50:51], v[50:51] op_sel:[0,1]
	v_pk_mov_b32 v[20:21], v[52:53], v[52:53] op_sel:[0,1]
	v_pk_mov_b32 v[22:23], v[54:55], v[54:55] op_sel:[0,1]
	v_pk_mov_b32 v[24:25], v[56:57], v[56:57] op_sel:[0,1]
	v_pk_mov_b32 v[26:27], v[58:59], v[58:59] op_sel:[0,1]
	v_pk_mov_b32 v[28:29], v[60:61], v[60:61] op_sel:[0,1]
	v_pk_mov_b32 v[30:31], v[62:63], v[62:63] op_sel:[0,1]
.LBB30_182:
	s_or_b64 exec, exec, s[0:1]
	v_lshl_add_u32 v32, v73, 3, v70
	s_barrier
	ds_write_b64 v32, v[22:23]
	s_waitcnt lgkmcnt(0)
	s_barrier
	ds_read_b64 v[32:33], v70 offset:88
	s_cmp_lt_i32 s12, 13
	v_mov_b32_e32 v34, 11
	s_cbranch_scc1 .LBB30_185
; %bb.183:
	v_add_u32_e32 v35, 0x60, v70
	s_mov_b32 s0, 12
	v_mov_b32_e32 v34, 11
.LBB30_184:                             ; =>This Inner Loop Header: Depth=1
	ds_read_b64 v[36:37], v35
	v_mov_b32_e32 v38, s0
	s_add_i32 s0, s0, 1
	v_add_u32_e32 v35, 8, v35
	s_cmp_lg_u32 s12, s0
	s_waitcnt lgkmcnt(0)
	v_cmp_lt_f64_e64 vcc, |v[32:33]|, |v[36:37]|
	v_cndmask_b32_e32 v33, v33, v37, vcc
	v_cndmask_b32_e32 v32, v32, v36, vcc
	;; [unrolled: 1-line block ×3, first 2 shown]
	s_cbranch_scc1 .LBB30_184
.LBB30_185:
	s_waitcnt lgkmcnt(0)
	v_cmp_eq_f64_e32 vcc, 0, v[32:33]
	s_and_saveexec_b64 s[0:1], vcc
	s_xor_b64 s[0:1], exec, s[0:1]
; %bb.186:
	v_cmp_ne_u32_e32 vcc, 0, v72
	v_cndmask_b32_e32 v72, 12, v72, vcc
; %bb.187:
	s_andn2_saveexec_b64 s[0:1], s[0:1]
; %bb.188:
	v_div_scale_f64 v[36:37], s[2:3], v[32:33], v[32:33], 1.0
	v_rcp_f64_e32 v[38:39], v[36:37]
	v_div_scale_f64 v[40:41], vcc, 1.0, v[32:33], 1.0
	v_fma_f64 v[42:43], -v[36:37], v[38:39], 1.0
	v_fmac_f64_e32 v[38:39], v[38:39], v[42:43]
	v_fma_f64 v[42:43], -v[36:37], v[38:39], 1.0
	v_fmac_f64_e32 v[38:39], v[38:39], v[42:43]
	v_mul_f64 v[42:43], v[40:41], v[38:39]
	v_fma_f64 v[36:37], -v[36:37], v[42:43], v[40:41]
	v_div_fmas_f64 v[36:37], v[36:37], v[38:39], v[42:43]
	v_div_fixup_f64 v[32:33], v[36:37], v[32:33], 1.0
; %bb.189:
	s_or_b64 exec, exec, s[0:1]
	v_cmp_ne_u32_e32 vcc, v73, v34
	s_and_saveexec_b64 s[0:1], vcc
	s_xor_b64 s[0:1], exec, s[0:1]
	s_cbranch_execz .LBB30_195
; %bb.190:
	v_cmp_eq_u32_e32 vcc, 11, v73
	s_and_saveexec_b64 s[2:3], vcc
	s_cbranch_execz .LBB30_194
; %bb.191:
	v_cmp_ne_u32_e32 vcc, 11, v34
	s_xor_b64 s[14:15], s[6:7], -1
	s_and_b64 s[16:17], s[14:15], vcc
	s_and_saveexec_b64 s[14:15], s[16:17]
	s_cbranch_execz .LBB30_193
; %bb.192:
	v_ashrrev_i32_e32 v35, 31, v34
	v_lshlrev_b64 v[36:37], 2, v[34:35]
	v_add_co_u32_e32 v36, vcc, v66, v36
	v_addc_co_u32_e32 v37, vcc, v67, v37, vcc
	flat_load_dword v35, v[36:37]
	flat_load_dword v38, v[66:67] offset:44
	s_waitcnt vmcnt(0) lgkmcnt(0)
	flat_store_dword v[66:67], v35 offset:44
	flat_store_dword v[36:37], v38
.LBB30_193:
	s_or_b64 exec, exec, s[14:15]
	v_mov_b32_e32 v71, v34
	v_mov_b32_e32 v73, v34
.LBB30_194:
	s_or_b64 exec, exec, s[2:3]
.LBB30_195:
	s_andn2_saveexec_b64 s[0:1], s[0:1]
	s_cbranch_execz .LBB30_197
; %bb.196:
	v_mov_b32_e32 v39, v27
	v_mov_b32_e32 v38, v26
	;; [unrolled: 1-line block ×9, first 2 shown]
	ds_write2_b64 v70, v[40:41], v[38:39] offset0:12 offset1:13
	ds_write2_b64 v70, v[36:37], v[34:35] offset0:14 offset1:15
.LBB30_197:
	s_or_b64 exec, exec, s[0:1]
	v_cmp_lt_i32_e32 vcc, 11, v73
	s_waitcnt lgkmcnt(0)
	s_barrier
	s_and_saveexec_b64 s[0:1], vcc
	s_cbranch_execz .LBB30_199
; %bb.198:
	v_mul_f64 v[74:75], v[22:23], v[32:33]
	v_pk_mov_b32 v[62:63], v[30:31], v[30:31] op_sel:[0,1]
	v_pk_mov_b32 v[60:61], v[28:29], v[28:29] op_sel:[0,1]
	;; [unrolled: 1-line block ×16, first 2 shown]
	ds_read2_b64 v[0:3], v70 offset0:12 offset1:13
	ds_read2_b64 v[4:7], v70 offset0:14 offset1:15
	v_mov_b32_e32 v9, v25
	v_mov_b32_e32 v8, v24
	;; [unrolled: 1-line block ×3, first 2 shown]
	s_waitcnt lgkmcnt(0)
	v_fma_f64 v[56:57], -v[74:75], v[0:1], v[8:9]
	v_mov_b32_e32 v1, v27
	v_mov_b32_e32 v0, v26
	v_fma_f64 v[58:59], -v[74:75], v[2:3], v[0:1]
	v_mov_b32_e32 v1, v29
	v_mov_b32_e32 v0, v28
	v_fma_f64 v[60:61], -v[74:75], v[4:5], v[0:1]
	v_mov_b32_e32 v1, v31
	v_mov_b32_e32 v0, v30
	v_mov_b32_e32 v55, v75
	v_fma_f64 v[62:63], -v[74:75], v[6:7], v[0:1]
	v_pk_mov_b32 v[0:1], v[32:33], v[32:33] op_sel:[0,1]
	v_pk_mov_b32 v[2:3], v[34:35], v[34:35] op_sel:[0,1]
	;; [unrolled: 1-line block ×16, first 2 shown]
.LBB30_199:
	s_or_b64 exec, exec, s[0:1]
	v_lshl_add_u32 v32, v73, 3, v70
	s_barrier
	ds_write_b64 v32, v[24:25]
	s_waitcnt lgkmcnt(0)
	s_barrier
	ds_read_b64 v[32:33], v70 offset:96
	s_cmp_lt_i32 s12, 14
	v_mov_b32_e32 v34, 12
	s_cbranch_scc1 .LBB30_202
; %bb.200:
	v_add_u32_e32 v35, 0x68, v70
	s_mov_b32 s0, 13
	v_mov_b32_e32 v34, 12
.LBB30_201:                             ; =>This Inner Loop Header: Depth=1
	ds_read_b64 v[36:37], v35
	v_mov_b32_e32 v38, s0
	s_add_i32 s0, s0, 1
	v_add_u32_e32 v35, 8, v35
	s_cmp_lg_u32 s12, s0
	s_waitcnt lgkmcnt(0)
	v_cmp_lt_f64_e64 vcc, |v[32:33]|, |v[36:37]|
	v_cndmask_b32_e32 v33, v33, v37, vcc
	v_cndmask_b32_e32 v32, v32, v36, vcc
	;; [unrolled: 1-line block ×3, first 2 shown]
	s_cbranch_scc1 .LBB30_201
.LBB30_202:
	s_waitcnt lgkmcnt(0)
	v_cmp_eq_f64_e32 vcc, 0, v[32:33]
	s_and_saveexec_b64 s[0:1], vcc
	s_xor_b64 s[0:1], exec, s[0:1]
; %bb.203:
	v_cmp_ne_u32_e32 vcc, 0, v72
	v_cndmask_b32_e32 v72, 13, v72, vcc
; %bb.204:
	s_andn2_saveexec_b64 s[0:1], s[0:1]
; %bb.205:
	v_div_scale_f64 v[36:37], s[2:3], v[32:33], v[32:33], 1.0
	v_rcp_f64_e32 v[38:39], v[36:37]
	v_div_scale_f64 v[40:41], vcc, 1.0, v[32:33], 1.0
	v_fma_f64 v[42:43], -v[36:37], v[38:39], 1.0
	v_fmac_f64_e32 v[38:39], v[38:39], v[42:43]
	v_fma_f64 v[42:43], -v[36:37], v[38:39], 1.0
	v_fmac_f64_e32 v[38:39], v[38:39], v[42:43]
	v_mul_f64 v[42:43], v[40:41], v[38:39]
	v_fma_f64 v[36:37], -v[36:37], v[42:43], v[40:41]
	v_div_fmas_f64 v[36:37], v[36:37], v[38:39], v[42:43]
	v_div_fixup_f64 v[32:33], v[36:37], v[32:33], 1.0
; %bb.206:
	s_or_b64 exec, exec, s[0:1]
	v_cmp_ne_u32_e32 vcc, v73, v34
	s_and_saveexec_b64 s[0:1], vcc
	s_xor_b64 s[0:1], exec, s[0:1]
	s_cbranch_execz .LBB30_212
; %bb.207:
	v_cmp_eq_u32_e32 vcc, 12, v73
	s_and_saveexec_b64 s[2:3], vcc
	s_cbranch_execz .LBB30_211
; %bb.208:
	v_cmp_ne_u32_e32 vcc, 12, v34
	s_xor_b64 s[14:15], s[6:7], -1
	s_and_b64 s[16:17], s[14:15], vcc
	s_and_saveexec_b64 s[14:15], s[16:17]
	s_cbranch_execz .LBB30_210
; %bb.209:
	v_ashrrev_i32_e32 v35, 31, v34
	v_lshlrev_b64 v[36:37], 2, v[34:35]
	v_add_co_u32_e32 v36, vcc, v66, v36
	v_addc_co_u32_e32 v37, vcc, v67, v37, vcc
	flat_load_dword v35, v[36:37]
	flat_load_dword v38, v[66:67] offset:48
	s_waitcnt vmcnt(0) lgkmcnt(0)
	flat_store_dword v[66:67], v35 offset:48
	flat_store_dword v[36:37], v38
.LBB30_210:
	s_or_b64 exec, exec, s[14:15]
	v_mov_b32_e32 v71, v34
	v_mov_b32_e32 v73, v34
.LBB30_211:
	s_or_b64 exec, exec, s[2:3]
.LBB30_212:
	s_andn2_saveexec_b64 s[0:1], s[0:1]
	s_cbranch_execz .LBB30_214
; %bb.213:
	v_mov_b32_e32 v35, v27
	v_mov_b32_e32 v34, v26
	;; [unrolled: 1-line block ×4, first 2 shown]
	ds_write2_b64 v70, v[34:35], v[36:37] offset0:13 offset1:14
	v_mov_b32_e32 v35, v31
	v_mov_b32_e32 v34, v30
	;; [unrolled: 1-line block ×3, first 2 shown]
	ds_write_b64 v70, v[34:35] offset:120
.LBB30_214:
	s_or_b64 exec, exec, s[0:1]
	v_cmp_lt_i32_e32 vcc, 12, v73
	s_waitcnt lgkmcnt(0)
	s_barrier
	s_and_saveexec_b64 s[0:1], vcc
	s_cbranch_execz .LBB30_216
; %bb.215:
	v_mul_f64 v[74:75], v[24:25], v[32:33]
	v_pk_mov_b32 v[62:63], v[30:31], v[30:31] op_sel:[0,1]
	v_pk_mov_b32 v[60:61], v[28:29], v[28:29] op_sel:[0,1]
	;; [unrolled: 1-line block ×16, first 2 shown]
	ds_read2_b64 v[0:3], v70 offset0:13 offset1:14
	ds_read_b64 v[6:7], v70 offset:120
	v_mov_b32_e32 v5, v27
	v_mov_b32_e32 v4, v26
	;; [unrolled: 1-line block ×3, first 2 shown]
	s_waitcnt lgkmcnt(0)
	v_fma_f64 v[58:59], -v[74:75], v[0:1], v[4:5]
	v_mov_b32_e32 v1, v29
	v_mov_b32_e32 v0, v28
	v_fma_f64 v[60:61], -v[74:75], v[2:3], v[0:1]
	v_mov_b32_e32 v1, v31
	v_mov_b32_e32 v0, v30
	v_mov_b32_e32 v57, v75
	v_fma_f64 v[62:63], -v[74:75], v[6:7], v[0:1]
	v_pk_mov_b32 v[0:1], v[32:33], v[32:33] op_sel:[0,1]
	v_pk_mov_b32 v[2:3], v[34:35], v[34:35] op_sel:[0,1]
	;; [unrolled: 1-line block ×16, first 2 shown]
.LBB30_216:
	s_or_b64 exec, exec, s[0:1]
	v_lshl_add_u32 v32, v73, 3, v70
	s_barrier
	ds_write_b64 v32, v[26:27]
	s_waitcnt lgkmcnt(0)
	s_barrier
	ds_read_b64 v[32:33], v70 offset:104
	s_cmp_lt_i32 s12, 15
	v_mov_b32_e32 v34, 13
	s_cbranch_scc1 .LBB30_219
; %bb.217:
	v_add_u32_e32 v35, 0x70, v70
	s_mov_b32 s0, 14
	v_mov_b32_e32 v34, 13
.LBB30_218:                             ; =>This Inner Loop Header: Depth=1
	ds_read_b64 v[36:37], v35
	v_mov_b32_e32 v38, s0
	s_add_i32 s0, s0, 1
	v_add_u32_e32 v35, 8, v35
	s_cmp_lg_u32 s12, s0
	s_waitcnt lgkmcnt(0)
	v_cmp_lt_f64_e64 vcc, |v[32:33]|, |v[36:37]|
	v_cndmask_b32_e32 v33, v33, v37, vcc
	v_cndmask_b32_e32 v32, v32, v36, vcc
	;; [unrolled: 1-line block ×3, first 2 shown]
	s_cbranch_scc1 .LBB30_218
.LBB30_219:
	s_waitcnt lgkmcnt(0)
	v_cmp_eq_f64_e32 vcc, 0, v[32:33]
	s_and_saveexec_b64 s[0:1], vcc
	s_xor_b64 s[0:1], exec, s[0:1]
; %bb.220:
	v_cmp_ne_u32_e32 vcc, 0, v72
	v_cndmask_b32_e32 v72, 14, v72, vcc
; %bb.221:
	s_andn2_saveexec_b64 s[0:1], s[0:1]
; %bb.222:
	v_div_scale_f64 v[36:37], s[2:3], v[32:33], v[32:33], 1.0
	v_rcp_f64_e32 v[38:39], v[36:37]
	v_div_scale_f64 v[40:41], vcc, 1.0, v[32:33], 1.0
	v_fma_f64 v[42:43], -v[36:37], v[38:39], 1.0
	v_fmac_f64_e32 v[38:39], v[38:39], v[42:43]
	v_fma_f64 v[42:43], -v[36:37], v[38:39], 1.0
	v_fmac_f64_e32 v[38:39], v[38:39], v[42:43]
	v_mul_f64 v[42:43], v[40:41], v[38:39]
	v_fma_f64 v[36:37], -v[36:37], v[42:43], v[40:41]
	v_div_fmas_f64 v[36:37], v[36:37], v[38:39], v[42:43]
	v_div_fixup_f64 v[32:33], v[36:37], v[32:33], 1.0
; %bb.223:
	s_or_b64 exec, exec, s[0:1]
	v_cmp_ne_u32_e32 vcc, v73, v34
	s_and_saveexec_b64 s[0:1], vcc
	s_xor_b64 s[0:1], exec, s[0:1]
	s_cbranch_execz .LBB30_229
; %bb.224:
	v_cmp_eq_u32_e32 vcc, 13, v73
	s_and_saveexec_b64 s[2:3], vcc
	s_cbranch_execz .LBB30_228
; %bb.225:
	v_cmp_ne_u32_e32 vcc, 13, v34
	s_xor_b64 s[14:15], s[6:7], -1
	s_and_b64 s[16:17], s[14:15], vcc
	s_and_saveexec_b64 s[14:15], s[16:17]
	s_cbranch_execz .LBB30_227
; %bb.226:
	v_ashrrev_i32_e32 v35, 31, v34
	v_lshlrev_b64 v[36:37], 2, v[34:35]
	v_add_co_u32_e32 v36, vcc, v66, v36
	v_addc_co_u32_e32 v37, vcc, v67, v37, vcc
	flat_load_dword v35, v[36:37]
	flat_load_dword v38, v[66:67] offset:52
	s_waitcnt vmcnt(0) lgkmcnt(0)
	flat_store_dword v[66:67], v35 offset:52
	flat_store_dword v[36:37], v38
.LBB30_227:
	s_or_b64 exec, exec, s[14:15]
	v_mov_b32_e32 v71, v34
	v_mov_b32_e32 v73, v34
.LBB30_228:
	s_or_b64 exec, exec, s[2:3]
.LBB30_229:
	s_andn2_saveexec_b64 s[0:1], s[0:1]
	s_cbranch_execz .LBB30_231
; %bb.230:
	v_mov_b32_e32 v35, v31
	v_mov_b32_e32 v34, v30
	;; [unrolled: 1-line block ×5, first 2 shown]
	ds_write2_b64 v70, v[36:37], v[34:35] offset0:14 offset1:15
.LBB30_231:
	s_or_b64 exec, exec, s[0:1]
	v_cmp_lt_i32_e32 vcc, 13, v73
	s_waitcnt lgkmcnt(0)
	s_barrier
	s_and_saveexec_b64 s[0:1], vcc
	s_cbranch_execz .LBB30_233
; %bb.232:
	v_mul_f64 v[74:75], v[26:27], v[32:33]
	v_pk_mov_b32 v[62:63], v[30:31], v[30:31] op_sel:[0,1]
	v_pk_mov_b32 v[60:61], v[28:29], v[28:29] op_sel:[0,1]
	;; [unrolled: 1-line block ×16, first 2 shown]
	ds_read2_b64 v[0:3], v70 offset0:14 offset1:15
	v_mov_b32_e32 v5, v29
	v_mov_b32_e32 v4, v28
	;; [unrolled: 1-line block ×4, first 2 shown]
	s_waitcnt lgkmcnt(0)
	v_fma_f64 v[60:61], -v[74:75], v[0:1], v[4:5]
	v_mov_b32_e32 v1, v31
	v_mov_b32_e32 v0, v30
	v_fma_f64 v[62:63], -v[74:75], v[2:3], v[0:1]
	v_pk_mov_b32 v[0:1], v[32:33], v[32:33] op_sel:[0,1]
	v_pk_mov_b32 v[2:3], v[34:35], v[34:35] op_sel:[0,1]
	;; [unrolled: 1-line block ×16, first 2 shown]
.LBB30_233:
	s_or_b64 exec, exec, s[0:1]
	v_lshl_add_u32 v32, v73, 3, v70
	s_barrier
	ds_write_b64 v32, v[28:29]
	s_waitcnt lgkmcnt(0)
	s_barrier
	ds_read_b64 v[32:33], v70 offset:112
	s_cmp_lt_i32 s12, 16
	v_mov_b32_e32 v34, 14
	s_cbranch_scc1 .LBB30_236
; %bb.234:
	v_add_u32_e32 v35, 0x78, v70
	s_mov_b32 s0, 15
	v_mov_b32_e32 v34, 14
.LBB30_235:                             ; =>This Inner Loop Header: Depth=1
	ds_read_b64 v[36:37], v35
	v_mov_b32_e32 v38, s0
	s_add_i32 s0, s0, 1
	v_add_u32_e32 v35, 8, v35
	s_cmp_lg_u32 s12, s0
	s_waitcnt lgkmcnt(0)
	v_cmp_lt_f64_e64 vcc, |v[32:33]|, |v[36:37]|
	v_cndmask_b32_e32 v33, v33, v37, vcc
	v_cndmask_b32_e32 v32, v32, v36, vcc
	;; [unrolled: 1-line block ×3, first 2 shown]
	s_cbranch_scc1 .LBB30_235
.LBB30_236:
	s_waitcnt lgkmcnt(0)
	v_cmp_eq_f64_e32 vcc, 0, v[32:33]
	s_and_saveexec_b64 s[0:1], vcc
	s_xor_b64 s[0:1], exec, s[0:1]
; %bb.237:
	v_cmp_ne_u32_e32 vcc, 0, v72
	v_cndmask_b32_e32 v72, 15, v72, vcc
; %bb.238:
	s_andn2_saveexec_b64 s[0:1], s[0:1]
; %bb.239:
	v_div_scale_f64 v[36:37], s[2:3], v[32:33], v[32:33], 1.0
	v_rcp_f64_e32 v[38:39], v[36:37]
	v_div_scale_f64 v[40:41], vcc, 1.0, v[32:33], 1.0
	v_fma_f64 v[42:43], -v[36:37], v[38:39], 1.0
	v_fmac_f64_e32 v[38:39], v[38:39], v[42:43]
	v_fma_f64 v[42:43], -v[36:37], v[38:39], 1.0
	v_fmac_f64_e32 v[38:39], v[38:39], v[42:43]
	v_mul_f64 v[42:43], v[40:41], v[38:39]
	v_fma_f64 v[36:37], -v[36:37], v[42:43], v[40:41]
	v_div_fmas_f64 v[36:37], v[36:37], v[38:39], v[42:43]
	v_div_fixup_f64 v[32:33], v[36:37], v[32:33], 1.0
; %bb.240:
	s_or_b64 exec, exec, s[0:1]
	v_cmp_ne_u32_e32 vcc, v73, v34
	s_and_saveexec_b64 s[0:1], vcc
	s_xor_b64 s[0:1], exec, s[0:1]
	s_cbranch_execz .LBB30_246
; %bb.241:
	v_cmp_eq_u32_e32 vcc, 14, v73
	s_and_saveexec_b64 s[2:3], vcc
	s_cbranch_execz .LBB30_245
; %bb.242:
	v_cmp_ne_u32_e32 vcc, 14, v34
	s_xor_b64 s[14:15], s[6:7], -1
	s_and_b64 s[16:17], s[14:15], vcc
	s_and_saveexec_b64 s[14:15], s[16:17]
	s_cbranch_execz .LBB30_244
; %bb.243:
	v_ashrrev_i32_e32 v35, 31, v34
	v_lshlrev_b64 v[36:37], 2, v[34:35]
	v_add_co_u32_e32 v36, vcc, v66, v36
	v_addc_co_u32_e32 v37, vcc, v67, v37, vcc
	flat_load_dword v35, v[36:37]
	flat_load_dword v38, v[66:67] offset:56
	s_waitcnt vmcnt(0) lgkmcnt(0)
	flat_store_dword v[66:67], v35 offset:56
	flat_store_dword v[36:37], v38
.LBB30_244:
	s_or_b64 exec, exec, s[14:15]
	v_mov_b32_e32 v71, v34
	v_mov_b32_e32 v73, v34
.LBB30_245:
	s_or_b64 exec, exec, s[2:3]
.LBB30_246:
	s_andn2_saveexec_b64 s[0:1], s[0:1]
	s_cbranch_execz .LBB30_248
; %bb.247:
	v_mov_b32_e32 v35, v31
	v_mov_b32_e32 v34, v30
	;; [unrolled: 1-line block ×3, first 2 shown]
	ds_write_b64 v70, v[34:35] offset:120
.LBB30_248:
	s_or_b64 exec, exec, s[0:1]
	v_cmp_lt_i32_e32 vcc, 14, v73
	s_waitcnt lgkmcnt(0)
	s_barrier
	s_and_saveexec_b64 s[0:1], vcc
	s_cbranch_execz .LBB30_250
; %bb.249:
	v_mul_f64 v[74:75], v[28:29], v[32:33]
	v_pk_mov_b32 v[62:63], v[30:31], v[30:31] op_sel:[0,1]
	v_pk_mov_b32 v[60:61], v[28:29], v[28:29] op_sel:[0,1]
	;; [unrolled: 1-line block ×16, first 2 shown]
	ds_read_b64 v[0:1], v70 offset:120
	v_mov_b32_e32 v3, v31
	v_mov_b32_e32 v2, v30
	;; [unrolled: 1-line block ×4, first 2 shown]
	s_waitcnt lgkmcnt(0)
	v_fma_f64 v[62:63], -v[74:75], v[0:1], v[2:3]
	v_pk_mov_b32 v[0:1], v[32:33], v[32:33] op_sel:[0,1]
	v_pk_mov_b32 v[2:3], v[34:35], v[34:35] op_sel:[0,1]
	;; [unrolled: 1-line block ×16, first 2 shown]
.LBB30_250:
	s_or_b64 exec, exec, s[0:1]
	v_lshl_add_u32 v32, v73, 3, v70
	s_barrier
	ds_write_b64 v32, v[30:31]
	s_waitcnt lgkmcnt(0)
	s_barrier
	ds_read_b64 v[32:33], v70 offset:120
	s_cmp_lt_i32 s12, 17
	v_mov_b32_e32 v36, 15
	s_cbranch_scc1 .LBB30_253
; %bb.251:
	v_add_u32_e32 v34, 0x80, v70
	s_mov_b32 s0, 16
	v_mov_b32_e32 v36, 15
.LBB30_252:                             ; =>This Inner Loop Header: Depth=1
	ds_read_b64 v[38:39], v34
	v_mov_b32_e32 v35, s0
	s_add_i32 s0, s0, 1
	v_add_u32_e32 v34, 8, v34
	s_cmp_lg_u32 s12, s0
	s_waitcnt lgkmcnt(0)
	v_cmp_lt_f64_e64 vcc, |v[32:33]|, |v[38:39]|
	v_cndmask_b32_e32 v33, v33, v39, vcc
	v_cndmask_b32_e32 v32, v32, v38, vcc
	v_cndmask_b32_e32 v36, v36, v35, vcc
	s_cbranch_scc1 .LBB30_252
.LBB30_253:
	s_waitcnt lgkmcnt(0)
	v_cmp_eq_f64_e32 vcc, 0, v[32:33]
	s_and_saveexec_b64 s[0:1], vcc
	s_xor_b64 s[0:1], exec, s[0:1]
; %bb.254:
	v_cmp_ne_u32_e32 vcc, 0, v72
	v_cndmask_b32_e32 v72, 16, v72, vcc
; %bb.255:
	s_andn2_saveexec_b64 s[0:1], s[0:1]
; %bb.256:
	v_div_scale_f64 v[34:35], s[2:3], v[32:33], v[32:33], 1.0
	v_rcp_f64_e32 v[38:39], v[34:35]
	v_div_scale_f64 v[40:41], vcc, 1.0, v[32:33], 1.0
	v_fma_f64 v[42:43], -v[34:35], v[38:39], 1.0
	v_fmac_f64_e32 v[38:39], v[38:39], v[42:43]
	v_fma_f64 v[42:43], -v[34:35], v[38:39], 1.0
	v_fmac_f64_e32 v[38:39], v[38:39], v[42:43]
	v_mul_f64 v[42:43], v[40:41], v[38:39]
	v_fma_f64 v[34:35], -v[34:35], v[42:43], v[40:41]
	v_div_fmas_f64 v[34:35], v[34:35], v[38:39], v[42:43]
	v_div_fixup_f64 v[32:33], v[34:35], v[32:33], 1.0
; %bb.257:
	s_or_b64 exec, exec, s[0:1]
	v_cmp_ne_u32_e32 vcc, v73, v36
	v_mov_b32_e32 v34, 15
	s_and_saveexec_b64 s[0:1], vcc
	s_cbranch_execz .LBB30_263
; %bb.258:
	v_cmp_eq_u32_e32 vcc, 15, v73
	s_and_saveexec_b64 s[2:3], vcc
	s_cbranch_execz .LBB30_262
; %bb.259:
	v_cmp_ne_u32_e32 vcc, 15, v36
	s_xor_b64 s[6:7], s[6:7], -1
	s_and_b64 s[14:15], s[6:7], vcc
	s_and_saveexec_b64 s[6:7], s[14:15]
	s_cbranch_execz .LBB30_261
; %bb.260:
	v_ashrrev_i32_e32 v37, 31, v36
	v_lshlrev_b64 v[34:35], 2, v[36:37]
	v_add_co_u32_e32 v34, vcc, v66, v34
	v_addc_co_u32_e32 v35, vcc, v67, v35, vcc
	flat_load_dword v37, v[34:35]
	flat_load_dword v38, v[66:67] offset:60
	s_waitcnt vmcnt(0) lgkmcnt(0)
	flat_store_dword v[66:67], v37 offset:60
	flat_store_dword v[34:35], v38
.LBB30_261:
	s_or_b64 exec, exec, s[6:7]
	v_mov_b32_e32 v71, v36
	v_mov_b32_e32 v73, v36
.LBB30_262:
	s_or_b64 exec, exec, s[2:3]
	v_mov_b32_e32 v34, v73
.LBB30_263:
	s_or_b64 exec, exec, s[0:1]
	s_load_dwordx8 s[0:7], s[4:5], 0x28
	v_cmp_gt_i32_e32 vcc, 16, v34
	v_ashrrev_i32_e32 v35, 31, v34
	s_waitcnt lgkmcnt(0)
	s_barrier
	s_barrier
	s_and_saveexec_b64 s[14:15], vcc
	s_cbranch_execz .LBB30_265
; %bb.264:
	v_mul_lo_u32 v38, v65, s4
	v_mul_lo_u32 v39, v64, s5
	v_mad_u64_u32 v[36:37], s[4:5], v64, s4, 0
	s_lshl_b64 s[2:3], s[2:3], 2
	v_add3_u32 v37, v37, v39, v38
	s_add_u32 s0, s2, s0
	v_lshlrev_b64 v[36:37], 2, v[36:37]
	s_addc_u32 s1, s3, s1
	v_mov_b32_e32 v38, s1
	v_add_co_u32_e32 v39, vcc, s0, v36
	v_addc_co_u32_e32 v38, vcc, v38, v37, vcc
	v_lshlrev_b64 v[36:37], 2, v[34:35]
	v_add_co_u32_e32 v36, vcc, v39, v36
	v_addc_co_u32_e32 v37, vcc, v38, v37, vcc
	v_add3_u32 v38, v71, s13, 1
	global_store_dword v[36:37], v38, off
.LBB30_265:
	s_or_b64 exec, exec, s[14:15]
	v_cmp_eq_u32_e32 vcc, 0, v34
	s_and_saveexec_b64 s[2:3], vcc
	s_cbranch_execz .LBB30_268
; %bb.266:
	v_lshlrev_b64 v[36:37], 2, v[64:65]
	v_mov_b32_e32 v38, s7
	v_add_co_u32_e32 v36, vcc, s6, v36
	v_addc_co_u32_e32 v37, vcc, v38, v37, vcc
	global_load_dword v38, v[36:37], off
	v_cmp_lt_i32_e64 s[0:1], 0, v72
	s_waitcnt vmcnt(0)
	v_cmp_eq_u32_e32 vcc, 0, v38
	s_and_b64 s[0:1], vcc, s[0:1]
	s_and_b64 exec, exec, s[0:1]
	s_cbranch_execz .LBB30_268
; %bb.267:
	v_add_u32_e32 v38, s13, v72
	global_store_dword v[36:37], v38, off
.LBB30_268:
	s_or_b64 exec, exec, s[2:3]
	v_mul_f64 v[32:33], v[30:31], v[32:33]
	v_cmp_lt_i32_e32 vcc, 15, v34
	v_cndmask_b32_e32 v31, v31, v33, vcc
	v_cndmask_b32_e32 v30, v30, v32, vcc
	v_lshlrev_b64 v[32:33], 3, v[34:35]
	v_add_co_u32_e32 v32, vcc, v68, v32
	v_addc_co_u32_e32 v33, vcc, v69, v33, vcc
	global_store_dwordx2 v[32:33], v[0:1], off
	v_mov_b32_e32 v1, s11
	v_add_co_u32_e32 v0, vcc, s10, v32
	v_addc_co_u32_e32 v1, vcc, v33, v1, vcc
	global_store_dwordx2 v[0:1], v[2:3], off
	v_add_u32_e32 v0, s9, v34
	v_ashrrev_i32_e32 v1, 31, v0
	v_lshlrev_b64 v[2:3], 3, v[0:1]
	v_add_co_u32_e32 v2, vcc, v68, v2
	v_add_u32_e32 v0, s8, v0
	v_addc_co_u32_e32 v3, vcc, v69, v3, vcc
	v_ashrrev_i32_e32 v1, 31, v0
	global_store_dwordx2 v[2:3], v[4:5], off
	v_lshlrev_b64 v[2:3], 3, v[0:1]
	v_add_co_u32_e32 v2, vcc, v68, v2
	v_add_u32_e32 v0, s8, v0
	v_addc_co_u32_e32 v3, vcc, v69, v3, vcc
	v_ashrrev_i32_e32 v1, 31, v0
	global_store_dwordx2 v[2:3], v[6:7], off
	;; [unrolled: 6-line block ×12, first 2 shown]
	v_lshlrev_b64 v[2:3], 3, v[0:1]
	v_add_u32_e32 v0, s8, v0
	v_add_co_u32_e32 v2, vcc, v68, v2
	v_ashrrev_i32_e32 v1, 31, v0
	v_addc_co_u32_e32 v3, vcc, v69, v3, vcc
	v_lshlrev_b64 v[0:1], 3, v[0:1]
	v_add_co_u32_e32 v0, vcc, v68, v0
	v_addc_co_u32_e32 v1, vcc, v69, v1, vcc
	global_store_dwordx2 v[2:3], v[28:29], off
	global_store_dwordx2 v[0:1], v[30:31], off
.LBB30_269:
	s_endpgm
	.section	.rodata,"a",@progbits
	.p2align	6, 0x0
	.amdhsa_kernel _ZN9rocsolver6v33100L18getf2_small_kernelILi16EdiiPKPdEEvT1_T3_lS5_lPS5_llPT2_S5_S5_S7_l
		.amdhsa_group_segment_fixed_size 0
		.amdhsa_private_segment_fixed_size 0
		.amdhsa_kernarg_size 352
		.amdhsa_user_sgpr_count 6
		.amdhsa_user_sgpr_private_segment_buffer 1
		.amdhsa_user_sgpr_dispatch_ptr 0
		.amdhsa_user_sgpr_queue_ptr 0
		.amdhsa_user_sgpr_kernarg_segment_ptr 1
		.amdhsa_user_sgpr_dispatch_id 0
		.amdhsa_user_sgpr_flat_scratch_init 0
		.amdhsa_user_sgpr_kernarg_preload_length 0
		.amdhsa_user_sgpr_kernarg_preload_offset 0
		.amdhsa_user_sgpr_private_segment_size 0
		.amdhsa_uses_dynamic_stack 0
		.amdhsa_system_sgpr_private_segment_wavefront_offset 0
		.amdhsa_system_sgpr_workgroup_id_x 1
		.amdhsa_system_sgpr_workgroup_id_y 1
		.amdhsa_system_sgpr_workgroup_id_z 0
		.amdhsa_system_sgpr_workgroup_info 0
		.amdhsa_system_vgpr_workitem_id 1
		.amdhsa_next_free_vgpr 86
		.amdhsa_next_free_sgpr 20
		.amdhsa_accum_offset 88
		.amdhsa_reserve_vcc 1
		.amdhsa_reserve_flat_scratch 0
		.amdhsa_float_round_mode_32 0
		.amdhsa_float_round_mode_16_64 0
		.amdhsa_float_denorm_mode_32 3
		.amdhsa_float_denorm_mode_16_64 3
		.amdhsa_dx10_clamp 1
		.amdhsa_ieee_mode 1
		.amdhsa_fp16_overflow 0
		.amdhsa_tg_split 0
		.amdhsa_exception_fp_ieee_invalid_op 0
		.amdhsa_exception_fp_denorm_src 0
		.amdhsa_exception_fp_ieee_div_zero 0
		.amdhsa_exception_fp_ieee_overflow 0
		.amdhsa_exception_fp_ieee_underflow 0
		.amdhsa_exception_fp_ieee_inexact 0
		.amdhsa_exception_int_div_zero 0
	.end_amdhsa_kernel
	.section	.text._ZN9rocsolver6v33100L18getf2_small_kernelILi16EdiiPKPdEEvT1_T3_lS5_lPS5_llPT2_S5_S5_S7_l,"axG",@progbits,_ZN9rocsolver6v33100L18getf2_small_kernelILi16EdiiPKPdEEvT1_T3_lS5_lPS5_llPT2_S5_S5_S7_l,comdat
.Lfunc_end30:
	.size	_ZN9rocsolver6v33100L18getf2_small_kernelILi16EdiiPKPdEEvT1_T3_lS5_lPS5_llPT2_S5_S5_S7_l, .Lfunc_end30-_ZN9rocsolver6v33100L18getf2_small_kernelILi16EdiiPKPdEEvT1_T3_lS5_lPS5_llPT2_S5_S5_S7_l
                                        ; -- End function
	.section	.AMDGPU.csdata,"",@progbits
; Kernel info:
; codeLenInByte = 12880
; NumSgprs: 24
; NumVgprs: 86
; NumAgprs: 0
; TotalNumVgprs: 86
; ScratchSize: 0
; MemoryBound: 0
; FloatMode: 240
; IeeeMode: 1
; LDSByteSize: 0 bytes/workgroup (compile time only)
; SGPRBlocks: 2
; VGPRBlocks: 10
; NumSGPRsForWavesPerEU: 24
; NumVGPRsForWavesPerEU: 86
; AccumOffset: 88
; Occupancy: 5
; WaveLimiterHint : 1
; COMPUTE_PGM_RSRC2:SCRATCH_EN: 0
; COMPUTE_PGM_RSRC2:USER_SGPR: 6
; COMPUTE_PGM_RSRC2:TRAP_HANDLER: 0
; COMPUTE_PGM_RSRC2:TGID_X_EN: 1
; COMPUTE_PGM_RSRC2:TGID_Y_EN: 1
; COMPUTE_PGM_RSRC2:TGID_Z_EN: 0
; COMPUTE_PGM_RSRC2:TIDIG_COMP_CNT: 1
; COMPUTE_PGM_RSRC3_GFX90A:ACCUM_OFFSET: 21
; COMPUTE_PGM_RSRC3_GFX90A:TG_SPLIT: 0
	.section	.text._ZN9rocsolver6v33100L23getf2_npvt_small_kernelILi16EdiiPKPdEEvT1_T3_lS5_lPT2_S5_S5_,"axG",@progbits,_ZN9rocsolver6v33100L23getf2_npvt_small_kernelILi16EdiiPKPdEEvT1_T3_lS5_lPT2_S5_S5_,comdat
	.globl	_ZN9rocsolver6v33100L23getf2_npvt_small_kernelILi16EdiiPKPdEEvT1_T3_lS5_lPT2_S5_S5_ ; -- Begin function _ZN9rocsolver6v33100L23getf2_npvt_small_kernelILi16EdiiPKPdEEvT1_T3_lS5_lPT2_S5_S5_
	.p2align	8
	.type	_ZN9rocsolver6v33100L23getf2_npvt_small_kernelILi16EdiiPKPdEEvT1_T3_lS5_lPT2_S5_S5_,@function
_ZN9rocsolver6v33100L23getf2_npvt_small_kernelILi16EdiiPKPdEEvT1_T3_lS5_lPT2_S5_S5_: ; @_ZN9rocsolver6v33100L23getf2_npvt_small_kernelILi16EdiiPKPdEEvT1_T3_lS5_lPT2_S5_S5_
; %bb.0:
	s_load_dword s0, s[4:5], 0x44
	s_load_dwordx2 s[30:31], s[4:5], 0x30
	v_bfe_u32 v32, v0, 10, 10
	s_waitcnt lgkmcnt(0)
	s_lshr_b32 s8, s0, 16
	s_mul_i32 s7, s7, s8
	v_add_u32_e32 v68, s7, v32
	v_cmp_gt_i32_e32 vcc, s30, v68
	s_and_saveexec_b64 s[0:1], vcc
	s_cbranch_execz .LBB31_86
; %bb.1:
	s_load_dwordx4 s[12:15], s[4:5], 0x8
	s_load_dword s0, s[4:5], 0x18
	v_ashrrev_i32_e32 v69, 31, v68
	v_lshlrev_b64 v[2:3], 3, v[68:69]
	v_and_b32_e32 v128, 0x3ff, v0
	s_waitcnt lgkmcnt(0)
	v_mov_b32_e32 v1, s13
	v_add_co_u32_e32 v2, vcc, s12, v2
	v_addc_co_u32_e32 v3, vcc, v1, v3, vcc
	global_load_dwordx2 v[2:3], v[2:3], off
	s_add_i32 s9, s0, s0
	v_add_u32_e32 v0, s9, v128
	v_add_u32_e32 v4, s0, v0
	;; [unrolled: 1-line block ×9, first 2 shown]
	s_lshl_b64 s[6:7], s[14:15], 3
	v_ashrrev_i32_e32 v19, 31, v18
	v_mov_b32_e32 v23, s7
	v_lshlrev_b64 v[20:21], 3, v[18:19]
	v_lshlrev_b32_e32 v22, 3, v128
	v_ashrrev_i32_e32 v1, 31, v0
	v_lshlrev_b64 v[0:1], 3, v[0:1]
	v_ashrrev_i32_e32 v5, 31, v4
	v_lshlrev_b64 v[4:5], 3, v[4:5]
	;; [unrolled: 2-line block ×8, first 2 shown]
	s_ashr_i32 s1, s0, 31
	s_lshl_b64 s[2:3], s[0:1], 3
	v_mov_b32_e32 v24, s3
	v_lshl_add_u32 v130, v32, 7, 0
	s_waitcnt vmcnt(0)
	v_add_co_u32_e32 v19, vcc, s6, v2
	v_addc_co_u32_e32 v23, vcc, v3, v23, vcc
	v_add_co_u32_e32 v64, vcc, v19, v22
	v_addc_co_u32_e32 v65, vcc, 0, v23, vcc
	;; [unrolled: 2-line block ×11, first 2 shown]
	v_add_u32_e32 v0, s0, v18
	v_add_co_u32_e32 v84, vcc, v19, v20
	v_ashrrev_i32_e32 v1, 31, v0
	v_addc_co_u32_e32 v85, vcc, v23, v21, vcc
	v_lshlrev_b64 v[2:3], 3, v[0:1]
	v_add_u32_e32 v0, s0, v0
	v_add_co_u32_e32 v88, vcc, v19, v2
	v_ashrrev_i32_e32 v1, 31, v0
	v_addc_co_u32_e32 v89, vcc, v23, v3, vcc
	v_lshlrev_b64 v[2:3], 3, v[0:1]
	v_add_u32_e32 v0, s0, v0
	v_add_co_u32_e32 v90, vcc, v19, v2
	v_ashrrev_i32_e32 v1, 31, v0
	v_addc_co_u32_e32 v91, vcc, v23, v3, vcc
	v_lshlrev_b64 v[2:3], 3, v[0:1]
	v_add_u32_e32 v0, s0, v0
	v_add_co_u32_e32 v92, vcc, v19, v2
	v_ashrrev_i32_e32 v1, 31, v0
	v_addc_co_u32_e32 v93, vcc, v23, v3, vcc
	v_lshlrev_b64 v[2:3], 3, v[0:1]
	v_add_u32_e32 v0, s0, v0
	v_add_co_u32_e32 v94, vcc, v19, v2
	v_ashrrev_i32_e32 v1, 31, v0
	v_addc_co_u32_e32 v95, vcc, v23, v3, vcc
	v_lshlrev_b64 v[0:1], 3, v[0:1]
	v_add_co_u32_e32 v96, vcc, v19, v0
	v_addc_co_u32_e32 v97, vcc, v23, v1, vcc
	global_load_dwordx2 v[0:1], v[64:65], off
	global_load_dwordx2 v[2:3], v[86:87], off
	;; [unrolled: 1-line block ×16, first 2 shown]
	s_lshl_b32 s0, s8, 7
	s_add_i32 s0, s0, 0
	v_lshl_add_u32 v129, v32, 3, s0
	v_cmp_ne_u32_e64 s[2:3], 0, v128
	v_cmp_eq_u32_e64 s[0:1], 0, v128
	s_and_saveexec_b64 s[6:7], s[0:1]
	s_cbranch_execz .LBB31_4
; %bb.2:
	s_waitcnt vmcnt(15)
	ds_write_b64 v129, v[0:1]
	s_waitcnt vmcnt(13)
	ds_write2_b64 v130, v[2:3], v[4:5] offset0:1 offset1:2
	s_waitcnt vmcnt(11)
	ds_write2_b64 v130, v[6:7], v[8:9] offset0:3 offset1:4
	;; [unrolled: 2-line block ×7, first 2 shown]
	s_waitcnt vmcnt(0)
	ds_write_b64 v130, v[30:31] offset:120
	ds_read_b64 v[32:33], v129
	s_waitcnt lgkmcnt(0)
	v_cmp_neq_f64_e32 vcc, 0, v[32:33]
	s_and_b64 exec, exec, vcc
	s_cbranch_execz .LBB31_4
; %bb.3:
	v_div_scale_f64 v[34:35], s[8:9], v[32:33], v[32:33], 1.0
	v_rcp_f64_e32 v[36:37], v[34:35]
	v_div_scale_f64 v[38:39], vcc, 1.0, v[32:33], 1.0
	v_fma_f64 v[40:41], -v[34:35], v[36:37], 1.0
	v_fmac_f64_e32 v[36:37], v[36:37], v[40:41]
	v_fma_f64 v[40:41], -v[34:35], v[36:37], 1.0
	v_fmac_f64_e32 v[36:37], v[36:37], v[40:41]
	v_mul_f64 v[40:41], v[38:39], v[36:37]
	v_fma_f64 v[34:35], -v[34:35], v[40:41], v[38:39]
	v_div_fmas_f64 v[34:35], v[34:35], v[36:37], v[40:41]
	v_div_fixup_f64 v[32:33], v[34:35], v[32:33], 1.0
	ds_write_b64 v129, v[32:33]
.LBB31_4:
	s_or_b64 exec, exec, s[6:7]
	s_waitcnt lgkmcnt(0)
	s_barrier
	ds_read_b64 v[98:99], v129
	s_and_saveexec_b64 s[6:7], s[2:3]
	s_cbranch_execz .LBB31_6
; %bb.5:
	ds_read2_b64 v[32:35], v130 offset0:1 offset1:2
	ds_read2_b64 v[36:39], v130 offset0:3 offset1:4
	s_waitcnt vmcnt(15) lgkmcnt(2)
	v_mul_f64 v[0:1], v[0:1], v[98:99]
	ds_read2_b64 v[40:43], v130 offset0:5 offset1:6
	s_waitcnt vmcnt(14) lgkmcnt(2)
	v_fma_f64 v[2:3], -v[0:1], v[32:33], v[2:3]
	s_waitcnt vmcnt(13)
	v_fma_f64 v[4:5], -v[0:1], v[34:35], v[4:5]
	ds_read2_b64 v[32:35], v130 offset0:7 offset1:8
	s_waitcnt vmcnt(12) lgkmcnt(2)
	v_fma_f64 v[6:7], -v[0:1], v[36:37], v[6:7]
	s_waitcnt vmcnt(11)
	v_fma_f64 v[8:9], -v[0:1], v[38:39], v[8:9]
	;; [unrolled: 5-line block ×3, first 2 shown]
	s_waitcnt vmcnt(8) lgkmcnt(1)
	v_fma_f64 v[14:15], -v[0:1], v[32:33], v[14:15]
	s_waitcnt vmcnt(7)
	v_fma_f64 v[16:17], -v[0:1], v[34:35], v[16:17]
	ds_read2_b64 v[32:35], v130 offset0:11 offset1:12
	s_waitcnt vmcnt(6) lgkmcnt(1)
	v_fma_f64 v[18:19], -v[0:1], v[36:37], v[18:19]
	ds_read2_b64 v[40:43], v130 offset0:13 offset1:14
	ds_read_b64 v[36:37], v130 offset:120
	s_waitcnt vmcnt(5)
	v_fma_f64 v[20:21], -v[0:1], v[38:39], v[20:21]
	s_waitcnt vmcnt(4) lgkmcnt(2)
	v_fma_f64 v[22:23], -v[0:1], v[32:33], v[22:23]
	s_waitcnt vmcnt(3)
	v_fma_f64 v[24:25], -v[0:1], v[34:35], v[24:25]
	s_waitcnt vmcnt(2) lgkmcnt(1)
	v_fma_f64 v[26:27], -v[0:1], v[40:41], v[26:27]
	;; [unrolled: 4-line block ×3, first 2 shown]
.LBB31_6:
	s_or_b64 exec, exec, s[6:7]
	v_cmp_eq_u32_e32 vcc, 1, v128
	s_waitcnt lgkmcnt(0)
	s_barrier
	s_and_saveexec_b64 s[2:3], vcc
	s_cbranch_execz .LBB31_9
; %bb.7:
	s_waitcnt vmcnt(14)
	ds_write_b64 v129, v[2:3]
	s_waitcnt vmcnt(12)
	ds_write2_b64 v130, v[4:5], v[6:7] offset0:2 offset1:3
	s_waitcnt vmcnt(10)
	ds_write2_b64 v130, v[8:9], v[10:11] offset0:4 offset1:5
	;; [unrolled: 2-line block ×7, first 2 shown]
	ds_read_b64 v[32:33], v129
	s_waitcnt lgkmcnt(0)
	v_cmp_neq_f64_e32 vcc, 0, v[32:33]
	s_and_b64 exec, exec, vcc
	s_cbranch_execz .LBB31_9
; %bb.8:
	v_div_scale_f64 v[34:35], s[6:7], v[32:33], v[32:33], 1.0
	v_rcp_f64_e32 v[36:37], v[34:35]
	v_div_scale_f64 v[38:39], vcc, 1.0, v[32:33], 1.0
	v_fma_f64 v[40:41], -v[34:35], v[36:37], 1.0
	v_fmac_f64_e32 v[36:37], v[36:37], v[40:41]
	v_fma_f64 v[40:41], -v[34:35], v[36:37], 1.0
	v_fmac_f64_e32 v[36:37], v[36:37], v[40:41]
	v_mul_f64 v[40:41], v[38:39], v[36:37]
	v_fma_f64 v[34:35], -v[34:35], v[40:41], v[38:39]
	v_div_fmas_f64 v[34:35], v[34:35], v[36:37], v[40:41]
	v_div_fixup_f64 v[32:33], v[34:35], v[32:33], 1.0
	ds_write_b64 v129, v[32:33]
.LBB31_9:
	s_or_b64 exec, exec, s[2:3]
	s_waitcnt lgkmcnt(0)
	s_barrier
	ds_read_b64 v[100:101], v129
	v_cmp_lt_u32_e32 vcc, 1, v128
	s_and_saveexec_b64 s[2:3], vcc
	s_cbranch_execz .LBB31_11
; %bb.10:
	ds_read2_b64 v[32:35], v130 offset0:2 offset1:3
	ds_read2_b64 v[36:39], v130 offset0:4 offset1:5
	s_waitcnt vmcnt(14) lgkmcnt(2)
	v_mul_f64 v[2:3], v[2:3], v[100:101]
	ds_read2_b64 v[40:43], v130 offset0:6 offset1:7
	s_waitcnt vmcnt(13) lgkmcnt(2)
	v_fma_f64 v[4:5], -v[2:3], v[32:33], v[4:5]
	s_waitcnt vmcnt(12)
	v_fma_f64 v[6:7], -v[2:3], v[34:35], v[6:7]
	ds_read2_b64 v[32:35], v130 offset0:8 offset1:9
	s_waitcnt vmcnt(11) lgkmcnt(2)
	v_fma_f64 v[8:9], -v[2:3], v[36:37], v[8:9]
	s_waitcnt vmcnt(10)
	v_fma_f64 v[10:11], -v[2:3], v[38:39], v[10:11]
	s_waitcnt vmcnt(9) lgkmcnt(1)
	v_fma_f64 v[12:13], -v[2:3], v[40:41], v[12:13]
	s_waitcnt vmcnt(8)
	v_fma_f64 v[14:15], -v[2:3], v[42:43], v[14:15]
	ds_read2_b64 v[36:39], v130 offset0:10 offset1:11
	ds_read2_b64 v[40:43], v130 offset0:12 offset1:13
	s_waitcnt vmcnt(7) lgkmcnt(2)
	v_fma_f64 v[16:17], -v[2:3], v[32:33], v[16:17]
	s_waitcnt vmcnt(6)
	v_fma_f64 v[18:19], -v[2:3], v[34:35], v[18:19]
	ds_read2_b64 v[32:35], v130 offset0:14 offset1:15
	s_waitcnt vmcnt(5) lgkmcnt(2)
	v_fma_f64 v[20:21], -v[2:3], v[36:37], v[20:21]
	s_waitcnt vmcnt(4)
	v_fma_f64 v[22:23], -v[2:3], v[38:39], v[22:23]
	s_waitcnt vmcnt(3) lgkmcnt(1)
	v_fma_f64 v[24:25], -v[2:3], v[40:41], v[24:25]
	s_waitcnt vmcnt(2)
	v_fma_f64 v[26:27], -v[2:3], v[42:43], v[26:27]
	;; [unrolled: 4-line block ×3, first 2 shown]
.LBB31_11:
	s_or_b64 exec, exec, s[2:3]
	v_cmp_eq_u32_e32 vcc, 2, v128
	s_waitcnt lgkmcnt(0)
	s_barrier
	s_and_saveexec_b64 s[2:3], vcc
	s_cbranch_execz .LBB31_14
; %bb.12:
	s_waitcnt vmcnt(13)
	ds_write_b64 v129, v[4:5]
	s_waitcnt vmcnt(11)
	ds_write2_b64 v130, v[6:7], v[8:9] offset0:3 offset1:4
	s_waitcnt vmcnt(9)
	ds_write2_b64 v130, v[10:11], v[12:13] offset0:5 offset1:6
	;; [unrolled: 2-line block ×6, first 2 shown]
	s_waitcnt vmcnt(0)
	ds_write_b64 v130, v[30:31] offset:120
	ds_read_b64 v[32:33], v129
	s_waitcnt lgkmcnt(0)
	v_cmp_neq_f64_e32 vcc, 0, v[32:33]
	s_and_b64 exec, exec, vcc
	s_cbranch_execz .LBB31_14
; %bb.13:
	v_div_scale_f64 v[34:35], s[6:7], v[32:33], v[32:33], 1.0
	v_rcp_f64_e32 v[36:37], v[34:35]
	v_div_scale_f64 v[38:39], vcc, 1.0, v[32:33], 1.0
	v_fma_f64 v[40:41], -v[34:35], v[36:37], 1.0
	v_fmac_f64_e32 v[36:37], v[36:37], v[40:41]
	v_fma_f64 v[40:41], -v[34:35], v[36:37], 1.0
	v_fmac_f64_e32 v[36:37], v[36:37], v[40:41]
	v_mul_f64 v[40:41], v[38:39], v[36:37]
	v_fma_f64 v[34:35], -v[34:35], v[40:41], v[38:39]
	v_div_fmas_f64 v[34:35], v[34:35], v[36:37], v[40:41]
	v_div_fixup_f64 v[32:33], v[34:35], v[32:33], 1.0
	ds_write_b64 v129, v[32:33]
.LBB31_14:
	s_or_b64 exec, exec, s[2:3]
	s_waitcnt lgkmcnt(0)
	s_barrier
	ds_read_b64 v[102:103], v129
	v_cmp_lt_u32_e32 vcc, 2, v128
	s_and_saveexec_b64 s[2:3], vcc
	s_cbranch_execz .LBB31_16
; %bb.15:
	ds_read2_b64 v[32:35], v130 offset0:3 offset1:4
	ds_read2_b64 v[36:39], v130 offset0:5 offset1:6
	s_waitcnt vmcnt(13) lgkmcnt(2)
	v_mul_f64 v[4:5], v[4:5], v[102:103]
	ds_read2_b64 v[40:43], v130 offset0:7 offset1:8
	s_waitcnt vmcnt(12) lgkmcnt(2)
	v_fma_f64 v[6:7], -v[4:5], v[32:33], v[6:7]
	s_waitcnt vmcnt(11)
	v_fma_f64 v[8:9], -v[4:5], v[34:35], v[8:9]
	ds_read2_b64 v[32:35], v130 offset0:9 offset1:10
	s_waitcnt vmcnt(10) lgkmcnt(2)
	v_fma_f64 v[10:11], -v[4:5], v[36:37], v[10:11]
	s_waitcnt vmcnt(9)
	v_fma_f64 v[12:13], -v[4:5], v[38:39], v[12:13]
	s_waitcnt vmcnt(8) lgkmcnt(1)
	v_fma_f64 v[14:15], -v[4:5], v[40:41], v[14:15]
	s_waitcnt vmcnt(7)
	v_fma_f64 v[16:17], -v[4:5], v[42:43], v[16:17]
	ds_read2_b64 v[36:39], v130 offset0:11 offset1:12
	ds_read2_b64 v[40:43], v130 offset0:13 offset1:14
	s_waitcnt vmcnt(6) lgkmcnt(2)
	v_fma_f64 v[18:19], -v[4:5], v[32:33], v[18:19]
	ds_read_b64 v[32:33], v130 offset:120
	s_waitcnt vmcnt(5)
	v_fma_f64 v[20:21], -v[4:5], v[34:35], v[20:21]
	s_waitcnt vmcnt(4) lgkmcnt(2)
	v_fma_f64 v[22:23], -v[4:5], v[36:37], v[22:23]
	s_waitcnt vmcnt(3)
	v_fma_f64 v[24:25], -v[4:5], v[38:39], v[24:25]
	s_waitcnt vmcnt(2) lgkmcnt(1)
	v_fma_f64 v[26:27], -v[4:5], v[40:41], v[26:27]
	;; [unrolled: 4-line block ×3, first 2 shown]
.LBB31_16:
	s_or_b64 exec, exec, s[2:3]
	v_cmp_eq_u32_e32 vcc, 3, v128
	s_waitcnt lgkmcnt(0)
	s_barrier
	s_and_saveexec_b64 s[2:3], vcc
	s_cbranch_execz .LBB31_19
; %bb.17:
	s_waitcnt vmcnt(12)
	ds_write_b64 v129, v[6:7]
	s_waitcnt vmcnt(10)
	ds_write2_b64 v130, v[8:9], v[10:11] offset0:4 offset1:5
	s_waitcnt vmcnt(8)
	ds_write2_b64 v130, v[12:13], v[14:15] offset0:6 offset1:7
	;; [unrolled: 2-line block ×6, first 2 shown]
	ds_read_b64 v[32:33], v129
	s_waitcnt lgkmcnt(0)
	v_cmp_neq_f64_e32 vcc, 0, v[32:33]
	s_and_b64 exec, exec, vcc
	s_cbranch_execz .LBB31_19
; %bb.18:
	v_div_scale_f64 v[34:35], s[6:7], v[32:33], v[32:33], 1.0
	v_rcp_f64_e32 v[36:37], v[34:35]
	v_div_scale_f64 v[38:39], vcc, 1.0, v[32:33], 1.0
	v_fma_f64 v[40:41], -v[34:35], v[36:37], 1.0
	v_fmac_f64_e32 v[36:37], v[36:37], v[40:41]
	v_fma_f64 v[40:41], -v[34:35], v[36:37], 1.0
	v_fmac_f64_e32 v[36:37], v[36:37], v[40:41]
	v_mul_f64 v[40:41], v[38:39], v[36:37]
	v_fma_f64 v[34:35], -v[34:35], v[40:41], v[38:39]
	v_div_fmas_f64 v[34:35], v[34:35], v[36:37], v[40:41]
	v_div_fixup_f64 v[32:33], v[34:35], v[32:33], 1.0
	ds_write_b64 v129, v[32:33]
.LBB31_19:
	s_or_b64 exec, exec, s[2:3]
	s_waitcnt lgkmcnt(0)
	s_barrier
	ds_read_b64 v[104:105], v129
	v_cmp_lt_u32_e32 vcc, 3, v128
	s_and_saveexec_b64 s[2:3], vcc
	s_cbranch_execz .LBB31_21
; %bb.20:
	ds_read2_b64 v[32:35], v130 offset0:4 offset1:5
	ds_read2_b64 v[36:39], v130 offset0:6 offset1:7
	;; [unrolled: 1-line block ×3, first 2 shown]
	s_waitcnt vmcnt(12) lgkmcnt(3)
	v_mul_f64 v[6:7], v[6:7], v[104:105]
	s_waitcnt vmcnt(11) lgkmcnt(2)
	v_fma_f64 v[8:9], -v[6:7], v[32:33], v[8:9]
	s_waitcnt vmcnt(10)
	v_fma_f64 v[10:11], -v[6:7], v[34:35], v[10:11]
	ds_read2_b64 v[32:35], v130 offset0:10 offset1:11
	s_waitcnt vmcnt(9) lgkmcnt(2)
	v_fma_f64 v[12:13], -v[6:7], v[36:37], v[12:13]
	s_waitcnt vmcnt(8)
	v_fma_f64 v[14:15], -v[6:7], v[38:39], v[14:15]
	s_waitcnt vmcnt(7) lgkmcnt(1)
	v_fma_f64 v[16:17], -v[6:7], v[40:41], v[16:17]
	ds_read2_b64 v[36:39], v130 offset0:12 offset1:13
	s_waitcnt vmcnt(6)
	v_fma_f64 v[18:19], -v[6:7], v[42:43], v[18:19]
	ds_read2_b64 v[40:43], v130 offset0:14 offset1:15
	s_waitcnt vmcnt(5) lgkmcnt(2)
	v_fma_f64 v[20:21], -v[6:7], v[32:33], v[20:21]
	s_waitcnt vmcnt(4)
	v_fma_f64 v[22:23], -v[6:7], v[34:35], v[22:23]
	s_waitcnt vmcnt(3) lgkmcnt(1)
	v_fma_f64 v[24:25], -v[6:7], v[36:37], v[24:25]
	s_waitcnt vmcnt(2)
	v_fma_f64 v[26:27], -v[6:7], v[38:39], v[26:27]
	;; [unrolled: 4-line block ×3, first 2 shown]
.LBB31_21:
	s_or_b64 exec, exec, s[2:3]
	v_cmp_eq_u32_e32 vcc, 4, v128
	s_waitcnt lgkmcnt(0)
	s_barrier
	s_and_saveexec_b64 s[2:3], vcc
	s_cbranch_execz .LBB31_24
; %bb.22:
	s_waitcnt vmcnt(11)
	ds_write_b64 v129, v[8:9]
	s_waitcnt vmcnt(9)
	ds_write2_b64 v130, v[10:11], v[12:13] offset0:5 offset1:6
	s_waitcnt vmcnt(7)
	ds_write2_b64 v130, v[14:15], v[16:17] offset0:7 offset1:8
	;; [unrolled: 2-line block ×5, first 2 shown]
	s_waitcnt vmcnt(0)
	ds_write_b64 v130, v[30:31] offset:120
	ds_read_b64 v[32:33], v129
	s_waitcnt lgkmcnt(0)
	v_cmp_neq_f64_e32 vcc, 0, v[32:33]
	s_and_b64 exec, exec, vcc
	s_cbranch_execz .LBB31_24
; %bb.23:
	v_div_scale_f64 v[34:35], s[6:7], v[32:33], v[32:33], 1.0
	v_rcp_f64_e32 v[36:37], v[34:35]
	v_div_scale_f64 v[38:39], vcc, 1.0, v[32:33], 1.0
	v_fma_f64 v[40:41], -v[34:35], v[36:37], 1.0
	v_fmac_f64_e32 v[36:37], v[36:37], v[40:41]
	v_fma_f64 v[40:41], -v[34:35], v[36:37], 1.0
	v_fmac_f64_e32 v[36:37], v[36:37], v[40:41]
	v_mul_f64 v[40:41], v[38:39], v[36:37]
	v_fma_f64 v[34:35], -v[34:35], v[40:41], v[38:39]
	v_div_fmas_f64 v[34:35], v[34:35], v[36:37], v[40:41]
	v_div_fixup_f64 v[32:33], v[34:35], v[32:33], 1.0
	ds_write_b64 v129, v[32:33]
.LBB31_24:
	s_or_b64 exec, exec, s[2:3]
	s_waitcnt lgkmcnt(0)
	s_barrier
	ds_read_b64 v[106:107], v129
	v_cmp_lt_u32_e32 vcc, 4, v128
	s_and_saveexec_b64 s[2:3], vcc
	s_cbranch_execz .LBB31_26
; %bb.25:
	ds_read2_b64 v[32:35], v130 offset0:5 offset1:6
	ds_read2_b64 v[36:39], v130 offset0:7 offset1:8
	;; [unrolled: 1-line block ×3, first 2 shown]
	s_waitcnt vmcnt(11) lgkmcnt(3)
	v_mul_f64 v[8:9], v[8:9], v[106:107]
	s_waitcnt vmcnt(10) lgkmcnt(2)
	v_fma_f64 v[10:11], -v[8:9], v[32:33], v[10:11]
	s_waitcnt vmcnt(9)
	v_fma_f64 v[12:13], -v[8:9], v[34:35], v[12:13]
	ds_read2_b64 v[32:35], v130 offset0:11 offset1:12
	s_waitcnt vmcnt(8) lgkmcnt(2)
	v_fma_f64 v[14:15], -v[8:9], v[36:37], v[14:15]
	s_waitcnt vmcnt(7)
	v_fma_f64 v[16:17], -v[8:9], v[38:39], v[16:17]
	s_waitcnt vmcnt(6) lgkmcnt(1)
	v_fma_f64 v[18:19], -v[8:9], v[40:41], v[18:19]
	ds_read2_b64 v[36:39], v130 offset0:13 offset1:14
	ds_read_b64 v[40:41], v130 offset:120
	s_waitcnt vmcnt(5)
	v_fma_f64 v[20:21], -v[8:9], v[42:43], v[20:21]
	s_waitcnt vmcnt(4) lgkmcnt(2)
	v_fma_f64 v[22:23], -v[8:9], v[32:33], v[22:23]
	s_waitcnt vmcnt(3)
	v_fma_f64 v[24:25], -v[8:9], v[34:35], v[24:25]
	s_waitcnt vmcnt(2) lgkmcnt(1)
	v_fma_f64 v[26:27], -v[8:9], v[36:37], v[26:27]
	;; [unrolled: 4-line block ×3, first 2 shown]
.LBB31_26:
	s_or_b64 exec, exec, s[2:3]
	v_cmp_eq_u32_e32 vcc, 5, v128
	s_waitcnt lgkmcnt(0)
	s_barrier
	s_and_saveexec_b64 s[2:3], vcc
	s_cbranch_execz .LBB31_29
; %bb.27:
	s_waitcnt vmcnt(10)
	ds_write_b64 v129, v[10:11]
	s_waitcnt vmcnt(8)
	ds_write2_b64 v130, v[12:13], v[14:15] offset0:6 offset1:7
	s_waitcnt vmcnt(6)
	ds_write2_b64 v130, v[16:17], v[18:19] offset0:8 offset1:9
	;; [unrolled: 2-line block ×5, first 2 shown]
	ds_read_b64 v[32:33], v129
	s_waitcnt lgkmcnt(0)
	v_cmp_neq_f64_e32 vcc, 0, v[32:33]
	s_and_b64 exec, exec, vcc
	s_cbranch_execz .LBB31_29
; %bb.28:
	v_div_scale_f64 v[34:35], s[6:7], v[32:33], v[32:33], 1.0
	v_rcp_f64_e32 v[36:37], v[34:35]
	v_div_scale_f64 v[38:39], vcc, 1.0, v[32:33], 1.0
	v_fma_f64 v[40:41], -v[34:35], v[36:37], 1.0
	v_fmac_f64_e32 v[36:37], v[36:37], v[40:41]
	v_fma_f64 v[40:41], -v[34:35], v[36:37], 1.0
	v_fmac_f64_e32 v[36:37], v[36:37], v[40:41]
	v_mul_f64 v[40:41], v[38:39], v[36:37]
	v_fma_f64 v[34:35], -v[34:35], v[40:41], v[38:39]
	v_div_fmas_f64 v[34:35], v[34:35], v[36:37], v[40:41]
	v_div_fixup_f64 v[32:33], v[34:35], v[32:33], 1.0
	ds_write_b64 v129, v[32:33]
.LBB31_29:
	s_or_b64 exec, exec, s[2:3]
	s_waitcnt lgkmcnt(0)
	s_barrier
	ds_read_b64 v[108:109], v129
	v_cmp_lt_u32_e32 vcc, 5, v128
	s_and_saveexec_b64 s[2:3], vcc
	s_cbranch_execz .LBB31_31
; %bb.30:
	ds_read2_b64 v[32:35], v130 offset0:6 offset1:7
	ds_read2_b64 v[36:39], v130 offset0:8 offset1:9
	s_waitcnt vmcnt(10) lgkmcnt(2)
	v_mul_f64 v[10:11], v[10:11], v[108:109]
	ds_read2_b64 v[40:43], v130 offset0:12 offset1:13
	s_waitcnt vmcnt(9) lgkmcnt(2)
	v_fma_f64 v[12:13], -v[10:11], v[32:33], v[12:13]
	s_waitcnt vmcnt(8)
	v_fma_f64 v[14:15], -v[10:11], v[34:35], v[14:15]
	ds_read2_b64 v[32:35], v130 offset0:10 offset1:11
	s_waitcnt vmcnt(7) lgkmcnt(2)
	v_fma_f64 v[16:17], -v[10:11], v[36:37], v[16:17]
	s_waitcnt vmcnt(6)
	v_fma_f64 v[18:19], -v[10:11], v[38:39], v[18:19]
	ds_read2_b64 v[36:39], v130 offset0:14 offset1:15
	s_waitcnt vmcnt(3) lgkmcnt(2)
	v_fma_f64 v[24:25], -v[10:11], v[40:41], v[24:25]
	s_waitcnt lgkmcnt(1)
	v_fma_f64 v[20:21], -v[10:11], v[32:33], v[20:21]
	v_fma_f64 v[22:23], -v[10:11], v[34:35], v[22:23]
	s_waitcnt vmcnt(2)
	v_fma_f64 v[26:27], -v[10:11], v[42:43], v[26:27]
	s_waitcnt vmcnt(1) lgkmcnt(0)
	v_fma_f64 v[28:29], -v[10:11], v[36:37], v[28:29]
	s_waitcnt vmcnt(0)
	v_fma_f64 v[30:31], -v[10:11], v[38:39], v[30:31]
.LBB31_31:
	s_or_b64 exec, exec, s[2:3]
	v_cmp_eq_u32_e32 vcc, 6, v128
	s_waitcnt lgkmcnt(0)
	s_barrier
	s_and_saveexec_b64 s[2:3], vcc
	s_cbranch_execz .LBB31_34
; %bb.32:
	s_waitcnt vmcnt(9)
	ds_write_b64 v129, v[12:13]
	s_waitcnt vmcnt(7)
	ds_write2_b64 v130, v[14:15], v[16:17] offset0:7 offset1:8
	s_waitcnt vmcnt(5)
	ds_write2_b64 v130, v[18:19], v[20:21] offset0:9 offset1:10
	;; [unrolled: 2-line block ×4, first 2 shown]
	s_waitcnt vmcnt(0)
	ds_write_b64 v130, v[30:31] offset:120
	ds_read_b64 v[32:33], v129
	s_waitcnt lgkmcnt(0)
	v_cmp_neq_f64_e32 vcc, 0, v[32:33]
	s_and_b64 exec, exec, vcc
	s_cbranch_execz .LBB31_34
; %bb.33:
	v_div_scale_f64 v[34:35], s[6:7], v[32:33], v[32:33], 1.0
	v_rcp_f64_e32 v[36:37], v[34:35]
	v_div_scale_f64 v[38:39], vcc, 1.0, v[32:33], 1.0
	v_fma_f64 v[40:41], -v[34:35], v[36:37], 1.0
	v_fmac_f64_e32 v[36:37], v[36:37], v[40:41]
	v_fma_f64 v[40:41], -v[34:35], v[36:37], 1.0
	v_fmac_f64_e32 v[36:37], v[36:37], v[40:41]
	v_mul_f64 v[40:41], v[38:39], v[36:37]
	v_fma_f64 v[34:35], -v[34:35], v[40:41], v[38:39]
	v_div_fmas_f64 v[34:35], v[34:35], v[36:37], v[40:41]
	v_div_fixup_f64 v[32:33], v[34:35], v[32:33], 1.0
	ds_write_b64 v129, v[32:33]
.LBB31_34:
	s_or_b64 exec, exec, s[2:3]
	s_waitcnt lgkmcnt(0)
	s_barrier
	ds_read_b64 v[110:111], v129
	v_cmp_lt_u32_e32 vcc, 6, v128
	s_and_saveexec_b64 s[2:3], vcc
	s_cbranch_execz .LBB31_36
; %bb.35:
	ds_read2_b64 v[32:35], v130 offset0:7 offset1:8
	ds_read2_b64 v[36:39], v130 offset0:9 offset1:10
	s_waitcnt vmcnt(9) lgkmcnt(2)
	v_mul_f64 v[12:13], v[12:13], v[110:111]
	ds_read2_b64 v[40:43], v130 offset0:13 offset1:14
	s_waitcnt vmcnt(8) lgkmcnt(2)
	v_fma_f64 v[14:15], -v[12:13], v[32:33], v[14:15]
	s_waitcnt vmcnt(7)
	v_fma_f64 v[16:17], -v[12:13], v[34:35], v[16:17]
	ds_read2_b64 v[32:35], v130 offset0:11 offset1:12
	s_waitcnt vmcnt(6) lgkmcnt(2)
	v_fma_f64 v[18:19], -v[12:13], v[36:37], v[18:19]
	ds_read_b64 v[36:37], v130 offset:120
	s_waitcnt vmcnt(5)
	v_fma_f64 v[20:21], -v[12:13], v[38:39], v[20:21]
	s_waitcnt vmcnt(2) lgkmcnt(2)
	v_fma_f64 v[26:27], -v[12:13], v[40:41], v[26:27]
	s_waitcnt lgkmcnt(1)
	v_fma_f64 v[22:23], -v[12:13], v[32:33], v[22:23]
	v_fma_f64 v[24:25], -v[12:13], v[34:35], v[24:25]
	s_waitcnt vmcnt(1)
	v_fma_f64 v[28:29], -v[12:13], v[42:43], v[28:29]
	s_waitcnt vmcnt(0) lgkmcnt(0)
	v_fma_f64 v[30:31], -v[12:13], v[36:37], v[30:31]
.LBB31_36:
	s_or_b64 exec, exec, s[2:3]
	v_cmp_eq_u32_e32 vcc, 7, v128
	s_waitcnt lgkmcnt(0)
	s_barrier
	s_and_saveexec_b64 s[2:3], vcc
	s_cbranch_execz .LBB31_39
; %bb.37:
	s_waitcnt vmcnt(8)
	ds_write_b64 v129, v[14:15]
	s_waitcnt vmcnt(6)
	ds_write2_b64 v130, v[16:17], v[18:19] offset0:8 offset1:9
	s_waitcnt vmcnt(4)
	ds_write2_b64 v130, v[20:21], v[22:23] offset0:10 offset1:11
	;; [unrolled: 2-line block ×4, first 2 shown]
	ds_read_b64 v[32:33], v129
	s_waitcnt lgkmcnt(0)
	v_cmp_neq_f64_e32 vcc, 0, v[32:33]
	s_and_b64 exec, exec, vcc
	s_cbranch_execz .LBB31_39
; %bb.38:
	v_div_scale_f64 v[34:35], s[6:7], v[32:33], v[32:33], 1.0
	v_rcp_f64_e32 v[36:37], v[34:35]
	v_div_scale_f64 v[38:39], vcc, 1.0, v[32:33], 1.0
	v_fma_f64 v[40:41], -v[34:35], v[36:37], 1.0
	v_fmac_f64_e32 v[36:37], v[36:37], v[40:41]
	v_fma_f64 v[40:41], -v[34:35], v[36:37], 1.0
	v_fmac_f64_e32 v[36:37], v[36:37], v[40:41]
	v_mul_f64 v[40:41], v[38:39], v[36:37]
	v_fma_f64 v[34:35], -v[34:35], v[40:41], v[38:39]
	v_div_fmas_f64 v[34:35], v[34:35], v[36:37], v[40:41]
	v_div_fixup_f64 v[32:33], v[34:35], v[32:33], 1.0
	ds_write_b64 v129, v[32:33]
.LBB31_39:
	s_or_b64 exec, exec, s[2:3]
	s_waitcnt lgkmcnt(0)
	s_barrier
	ds_read_b64 v[112:113], v129
	v_cmp_lt_u32_e32 vcc, 7, v128
	s_and_saveexec_b64 s[2:3], vcc
	s_cbranch_execz .LBB31_41
; %bb.40:
	ds_read2_b64 v[32:35], v130 offset0:8 offset1:9
	ds_read2_b64 v[114:117], v130 offset0:10 offset1:11
	s_waitcnt vmcnt(8) lgkmcnt(2)
	v_mul_f64 v[14:15], v[14:15], v[112:113]
	s_waitcnt vmcnt(6)
	v_mov_b32_e32 v37, v19
	v_mov_b32_e32 v36, v18
	s_waitcnt lgkmcnt(1)
	v_fma_f64 v[16:17], -v[14:15], v[32:33], v[16:17]
	v_fma_f64 v[118:119], -v[14:15], v[34:35], v[36:37]
	s_waitcnt vmcnt(0)
	v_pk_mov_b32 v[62:63], v[30:31], v[30:31] op_sel:[0,1]
	v_pk_mov_b32 v[60:61], v[28:29], v[28:29] op_sel:[0,1]
	;; [unrolled: 1-line block ×16, first 2 shown]
	v_mov_b32_e32 v1, v21
	v_mov_b32_e32 v0, v20
	s_waitcnt lgkmcnt(0)
	v_fma_f64 v[52:53], -v[14:15], v[114:115], v[0:1]
	ds_read2_b64 v[0:3], v130 offset0:12 offset1:13
	v_mov_b32_e32 v5, v23
	v_mov_b32_e32 v4, v22
	v_fma_f64 v[54:55], -v[14:15], v[116:117], v[4:5]
	ds_read2_b64 v[4:7], v130 offset0:14 offset1:15
	v_mov_b32_e32 v9, v25
	v_mov_b32_e32 v8, v24
	s_waitcnt lgkmcnt(1)
	v_fma_f64 v[56:57], -v[14:15], v[0:1], v[8:9]
	v_mov_b32_e32 v1, v27
	v_mov_b32_e32 v0, v26
	v_fma_f64 v[58:59], -v[14:15], v[2:3], v[0:1]
	v_mov_b32_e32 v1, v29
	v_mov_b32_e32 v0, v28
	s_waitcnt lgkmcnt(0)
	v_fma_f64 v[60:61], -v[14:15], v[4:5], v[0:1]
	v_mov_b32_e32 v1, v31
	v_mov_b32_e32 v0, v30
	;; [unrolled: 1-line block ×4, first 2 shown]
	v_fma_f64 v[62:63], -v[14:15], v[6:7], v[0:1]
	v_pk_mov_b32 v[0:1], v[32:33], v[32:33] op_sel:[0,1]
	v_pk_mov_b32 v[2:3], v[34:35], v[34:35] op_sel:[0,1]
	;; [unrolled: 1-line block ×16, first 2 shown]
.LBB31_41:
	s_or_b64 exec, exec, s[2:3]
	v_cmp_eq_u32_e32 vcc, 8, v128
	s_waitcnt lgkmcnt(0)
	s_barrier
	s_and_saveexec_b64 s[2:3], vcc
	s_cbranch_execz .LBB31_44
; %bb.42:
	s_waitcnt vmcnt(7)
	ds_write_b64 v129, v[16:17]
	s_waitcnt vmcnt(5)
	ds_write2_b64 v130, v[18:19], v[20:21] offset0:9 offset1:10
	s_waitcnt vmcnt(3)
	ds_write2_b64 v130, v[22:23], v[24:25] offset0:11 offset1:12
	s_waitcnt vmcnt(1)
	ds_write2_b64 v130, v[26:27], v[28:29] offset0:13 offset1:14
	s_waitcnt vmcnt(0)
	ds_write_b64 v130, v[30:31] offset:120
	ds_read_b64 v[32:33], v129
	s_waitcnt lgkmcnt(0)
	v_cmp_neq_f64_e32 vcc, 0, v[32:33]
	s_and_b64 exec, exec, vcc
	s_cbranch_execz .LBB31_44
; %bb.43:
	v_div_scale_f64 v[34:35], s[6:7], v[32:33], v[32:33], 1.0
	v_rcp_f64_e32 v[36:37], v[34:35]
	v_div_scale_f64 v[38:39], vcc, 1.0, v[32:33], 1.0
	v_fma_f64 v[40:41], -v[34:35], v[36:37], 1.0
	v_fmac_f64_e32 v[36:37], v[36:37], v[40:41]
	v_fma_f64 v[40:41], -v[34:35], v[36:37], 1.0
	v_fmac_f64_e32 v[36:37], v[36:37], v[40:41]
	v_mul_f64 v[40:41], v[38:39], v[36:37]
	v_fma_f64 v[34:35], -v[34:35], v[40:41], v[38:39]
	v_div_fmas_f64 v[34:35], v[34:35], v[36:37], v[40:41]
	v_div_fixup_f64 v[32:33], v[34:35], v[32:33], 1.0
	ds_write_b64 v129, v[32:33]
.LBB31_44:
	s_or_b64 exec, exec, s[2:3]
	s_waitcnt lgkmcnt(0)
	s_barrier
	ds_read_b64 v[114:115], v129
	v_cmp_lt_u32_e32 vcc, 8, v128
	s_and_saveexec_b64 s[2:3], vcc
	s_cbranch_execz .LBB31_46
; %bb.45:
	s_waitcnt vmcnt(7)
	v_mov_b32_e32 v33, v17
	v_mov_b32_e32 v32, v16
	s_waitcnt lgkmcnt(0)
	v_mul_f64 v[116:117], v[32:33], v[114:115]
	s_waitcnt vmcnt(0)
	v_pk_mov_b32 v[62:63], v[30:31], v[30:31] op_sel:[0,1]
	v_pk_mov_b32 v[60:61], v[28:29], v[28:29] op_sel:[0,1]
	v_pk_mov_b32 v[58:59], v[26:27], v[26:27] op_sel:[0,1]
	v_pk_mov_b32 v[56:57], v[24:25], v[24:25] op_sel:[0,1]
	v_pk_mov_b32 v[54:55], v[22:23], v[22:23] op_sel:[0,1]
	v_pk_mov_b32 v[52:53], v[20:21], v[20:21] op_sel:[0,1]
	v_pk_mov_b32 v[50:51], v[18:19], v[18:19] op_sel:[0,1]
	v_pk_mov_b32 v[48:49], v[16:17], v[16:17] op_sel:[0,1]
	v_pk_mov_b32 v[46:47], v[14:15], v[14:15] op_sel:[0,1]
	v_pk_mov_b32 v[44:45], v[12:13], v[12:13] op_sel:[0,1]
	v_pk_mov_b32 v[42:43], v[10:11], v[10:11] op_sel:[0,1]
	v_pk_mov_b32 v[40:41], v[8:9], v[8:9] op_sel:[0,1]
	v_pk_mov_b32 v[38:39], v[6:7], v[6:7] op_sel:[0,1]
	v_pk_mov_b32 v[36:37], v[4:5], v[4:5] op_sel:[0,1]
	v_pk_mov_b32 v[34:35], v[2:3], v[2:3] op_sel:[0,1]
	v_pk_mov_b32 v[32:33], v[0:1], v[0:1] op_sel:[0,1]
	ds_read2_b64 v[0:3], v130 offset0:9 offset1:10
	ds_read2_b64 v[4:7], v130 offset0:11 offset1:12
	v_mov_b32_e32 v9, v19
	v_mov_b32_e32 v8, v18
	;; [unrolled: 1-line block ×3, first 2 shown]
	s_waitcnt lgkmcnt(1)
	v_fma_f64 v[50:51], -v[116:117], v[0:1], v[8:9]
	v_mov_b32_e32 v1, v21
	v_mov_b32_e32 v0, v20
	v_fma_f64 v[52:53], -v[116:117], v[2:3], v[0:1]
	v_mov_b32_e32 v1, v23
	v_mov_b32_e32 v0, v22
	s_waitcnt lgkmcnt(0)
	v_fma_f64 v[54:55], -v[116:117], v[4:5], v[0:1]
	ds_read2_b64 v[0:3], v130 offset0:13 offset1:14
	v_mov_b32_e32 v5, v25
	v_mov_b32_e32 v4, v24
	v_fma_f64 v[56:57], -v[116:117], v[6:7], v[4:5]
	ds_read_b64 v[6:7], v130 offset:120
	v_mov_b32_e32 v5, v27
	v_mov_b32_e32 v4, v26
	s_waitcnt lgkmcnt(1)
	v_fma_f64 v[58:59], -v[116:117], v[0:1], v[4:5]
	v_mov_b32_e32 v1, v29
	v_mov_b32_e32 v0, v28
	v_fma_f64 v[60:61], -v[116:117], v[2:3], v[0:1]
	v_mov_b32_e32 v1, v31
	v_mov_b32_e32 v0, v30
	;; [unrolled: 1-line block ×3, first 2 shown]
	s_waitcnt lgkmcnt(0)
	v_fma_f64 v[62:63], -v[116:117], v[6:7], v[0:1]
	v_pk_mov_b32 v[0:1], v[32:33], v[32:33] op_sel:[0,1]
	v_pk_mov_b32 v[2:3], v[34:35], v[34:35] op_sel:[0,1]
	;; [unrolled: 1-line block ×16, first 2 shown]
.LBB31_46:
	s_or_b64 exec, exec, s[2:3]
	v_cmp_eq_u32_e32 vcc, 9, v128
	s_waitcnt lgkmcnt(0)
	s_barrier
	s_and_saveexec_b64 s[2:3], vcc
	s_cbranch_execz .LBB31_49
; %bb.47:
	s_waitcnt vmcnt(6)
	ds_write_b64 v129, v[18:19]
	s_waitcnt vmcnt(4)
	ds_write2_b64 v130, v[20:21], v[22:23] offset0:10 offset1:11
	s_waitcnt vmcnt(2)
	ds_write2_b64 v130, v[24:25], v[26:27] offset0:12 offset1:13
	;; [unrolled: 2-line block ×3, first 2 shown]
	ds_read_b64 v[32:33], v129
	s_waitcnt lgkmcnt(0)
	v_cmp_neq_f64_e32 vcc, 0, v[32:33]
	s_and_b64 exec, exec, vcc
	s_cbranch_execz .LBB31_49
; %bb.48:
	v_div_scale_f64 v[34:35], s[6:7], v[32:33], v[32:33], 1.0
	v_rcp_f64_e32 v[36:37], v[34:35]
	v_div_scale_f64 v[38:39], vcc, 1.0, v[32:33], 1.0
	v_fma_f64 v[40:41], -v[34:35], v[36:37], 1.0
	v_fmac_f64_e32 v[36:37], v[36:37], v[40:41]
	v_fma_f64 v[40:41], -v[34:35], v[36:37], 1.0
	v_fmac_f64_e32 v[36:37], v[36:37], v[40:41]
	v_mul_f64 v[40:41], v[38:39], v[36:37]
	v_fma_f64 v[34:35], -v[34:35], v[40:41], v[38:39]
	v_div_fmas_f64 v[34:35], v[34:35], v[36:37], v[40:41]
	v_div_fixup_f64 v[32:33], v[34:35], v[32:33], 1.0
	ds_write_b64 v129, v[32:33]
.LBB31_49:
	s_or_b64 exec, exec, s[2:3]
	s_waitcnt lgkmcnt(0)
	s_barrier
	ds_read_b64 v[116:117], v129
	v_cmp_lt_u32_e32 vcc, 9, v128
	s_and_saveexec_b64 s[2:3], vcc
	s_cbranch_execz .LBB31_51
; %bb.50:
	s_waitcnt vmcnt(6)
	v_mov_b32_e32 v33, v19
	v_mov_b32_e32 v32, v18
	s_waitcnt lgkmcnt(0)
	v_mul_f64 v[118:119], v[32:33], v[116:117]
	s_waitcnt vmcnt(0)
	v_pk_mov_b32 v[62:63], v[30:31], v[30:31] op_sel:[0,1]
	v_pk_mov_b32 v[60:61], v[28:29], v[28:29] op_sel:[0,1]
	;; [unrolled: 1-line block ×16, first 2 shown]
	ds_read2_b64 v[0:3], v130 offset0:10 offset1:11
	ds_read2_b64 v[4:7], v130 offset0:12 offset1:13
	v_mov_b32_e32 v9, v21
	v_mov_b32_e32 v8, v20
	;; [unrolled: 1-line block ×3, first 2 shown]
	s_waitcnt lgkmcnt(1)
	v_fma_f64 v[52:53], -v[118:119], v[0:1], v[8:9]
	v_mov_b32_e32 v1, v23
	v_mov_b32_e32 v0, v22
	v_fma_f64 v[54:55], -v[118:119], v[2:3], v[0:1]
	v_mov_b32_e32 v1, v25
	v_mov_b32_e32 v0, v24
	s_waitcnt lgkmcnt(0)
	v_fma_f64 v[56:57], -v[118:119], v[4:5], v[0:1]
	ds_read2_b64 v[0:3], v130 offset0:14 offset1:15
	v_mov_b32_e32 v5, v27
	v_mov_b32_e32 v4, v26
	v_fma_f64 v[58:59], -v[118:119], v[6:7], v[4:5]
	v_mov_b32_e32 v5, v29
	v_mov_b32_e32 v4, v28
	s_waitcnt lgkmcnt(0)
	v_fma_f64 v[60:61], -v[118:119], v[0:1], v[4:5]
	v_mov_b32_e32 v1, v31
	v_mov_b32_e32 v0, v30
	;; [unrolled: 1-line block ×3, first 2 shown]
	v_fma_f64 v[62:63], -v[118:119], v[2:3], v[0:1]
	v_pk_mov_b32 v[0:1], v[32:33], v[32:33] op_sel:[0,1]
	v_pk_mov_b32 v[2:3], v[34:35], v[34:35] op_sel:[0,1]
	;; [unrolled: 1-line block ×16, first 2 shown]
.LBB31_51:
	s_or_b64 exec, exec, s[2:3]
	v_cmp_eq_u32_e32 vcc, 10, v128
	s_waitcnt lgkmcnt(0)
	s_barrier
	s_and_saveexec_b64 s[2:3], vcc
	s_cbranch_execz .LBB31_54
; %bb.52:
	s_waitcnt vmcnt(5)
	ds_write_b64 v129, v[20:21]
	s_waitcnt vmcnt(3)
	ds_write2_b64 v130, v[22:23], v[24:25] offset0:11 offset1:12
	s_waitcnt vmcnt(1)
	ds_write2_b64 v130, v[26:27], v[28:29] offset0:13 offset1:14
	s_waitcnt vmcnt(0)
	ds_write_b64 v130, v[30:31] offset:120
	ds_read_b64 v[32:33], v129
	s_waitcnt lgkmcnt(0)
	v_cmp_neq_f64_e32 vcc, 0, v[32:33]
	s_and_b64 exec, exec, vcc
	s_cbranch_execz .LBB31_54
; %bb.53:
	v_div_scale_f64 v[34:35], s[6:7], v[32:33], v[32:33], 1.0
	v_rcp_f64_e32 v[36:37], v[34:35]
	v_div_scale_f64 v[38:39], vcc, 1.0, v[32:33], 1.0
	v_fma_f64 v[40:41], -v[34:35], v[36:37], 1.0
	v_fmac_f64_e32 v[36:37], v[36:37], v[40:41]
	v_fma_f64 v[40:41], -v[34:35], v[36:37], 1.0
	v_fmac_f64_e32 v[36:37], v[36:37], v[40:41]
	v_mul_f64 v[40:41], v[38:39], v[36:37]
	v_fma_f64 v[34:35], -v[34:35], v[40:41], v[38:39]
	v_div_fmas_f64 v[34:35], v[34:35], v[36:37], v[40:41]
	v_div_fixup_f64 v[32:33], v[34:35], v[32:33], 1.0
	ds_write_b64 v129, v[32:33]
.LBB31_54:
	s_or_b64 exec, exec, s[2:3]
	s_waitcnt lgkmcnt(0)
	s_barrier
	ds_read_b64 v[118:119], v129
	v_cmp_lt_u32_e32 vcc, 10, v128
	s_and_saveexec_b64 s[2:3], vcc
	s_cbranch_execz .LBB31_56
; %bb.55:
	s_waitcnt vmcnt(5)
	v_mov_b32_e32 v33, v21
	v_mov_b32_e32 v32, v20
	s_waitcnt lgkmcnt(0)
	v_mul_f64 v[120:121], v[32:33], v[118:119]
	s_waitcnt vmcnt(0)
	v_pk_mov_b32 v[62:63], v[30:31], v[30:31] op_sel:[0,1]
	v_pk_mov_b32 v[60:61], v[28:29], v[28:29] op_sel:[0,1]
	;; [unrolled: 1-line block ×16, first 2 shown]
	ds_read2_b64 v[0:3], v130 offset0:11 offset1:12
	ds_read2_b64 v[4:7], v130 offset0:13 offset1:14
	v_mov_b32_e32 v9, v23
	v_mov_b32_e32 v8, v22
	;; [unrolled: 1-line block ×3, first 2 shown]
	s_waitcnt lgkmcnt(1)
	v_fma_f64 v[54:55], -v[120:121], v[0:1], v[8:9]
	v_mov_b32_e32 v1, v25
	v_mov_b32_e32 v0, v24
	v_fma_f64 v[56:57], -v[120:121], v[2:3], v[0:1]
	ds_read_b64 v[2:3], v130 offset:120
	v_mov_b32_e32 v1, v27
	v_mov_b32_e32 v0, v26
	s_waitcnt lgkmcnt(1)
	v_fma_f64 v[58:59], -v[120:121], v[4:5], v[0:1]
	v_mov_b32_e32 v1, v29
	v_mov_b32_e32 v0, v28
	v_fma_f64 v[60:61], -v[120:121], v[6:7], v[0:1]
	v_mov_b32_e32 v1, v31
	v_mov_b32_e32 v0, v30
	;; [unrolled: 1-line block ×3, first 2 shown]
	s_waitcnt lgkmcnt(0)
	v_fma_f64 v[62:63], -v[120:121], v[2:3], v[0:1]
	v_pk_mov_b32 v[0:1], v[32:33], v[32:33] op_sel:[0,1]
	v_pk_mov_b32 v[2:3], v[34:35], v[34:35] op_sel:[0,1]
	v_pk_mov_b32 v[4:5], v[36:37], v[36:37] op_sel:[0,1]
	v_pk_mov_b32 v[6:7], v[38:39], v[38:39] op_sel:[0,1]
	v_pk_mov_b32 v[8:9], v[40:41], v[40:41] op_sel:[0,1]
	v_pk_mov_b32 v[10:11], v[42:43], v[42:43] op_sel:[0,1]
	v_pk_mov_b32 v[12:13], v[44:45], v[44:45] op_sel:[0,1]
	v_pk_mov_b32 v[14:15], v[46:47], v[46:47] op_sel:[0,1]
	v_pk_mov_b32 v[16:17], v[48:49], v[48:49] op_sel:[0,1]
	v_pk_mov_b32 v[18:19], v[50:51], v[50:51] op_sel:[0,1]
	v_pk_mov_b32 v[20:21], v[52:53], v[52:53] op_sel:[0,1]
	v_pk_mov_b32 v[22:23], v[54:55], v[54:55] op_sel:[0,1]
	v_pk_mov_b32 v[24:25], v[56:57], v[56:57] op_sel:[0,1]
	v_pk_mov_b32 v[26:27], v[58:59], v[58:59] op_sel:[0,1]
	v_pk_mov_b32 v[28:29], v[60:61], v[60:61] op_sel:[0,1]
	v_pk_mov_b32 v[30:31], v[62:63], v[62:63] op_sel:[0,1]
.LBB31_56:
	s_or_b64 exec, exec, s[2:3]
	v_cmp_eq_u32_e32 vcc, 11, v128
	s_waitcnt lgkmcnt(0)
	s_barrier
	s_and_saveexec_b64 s[2:3], vcc
	s_cbranch_execz .LBB31_59
; %bb.57:
	s_waitcnt vmcnt(4)
	ds_write_b64 v129, v[22:23]
	s_waitcnt vmcnt(2)
	ds_write2_b64 v130, v[24:25], v[26:27] offset0:12 offset1:13
	s_waitcnt vmcnt(0)
	ds_write2_b64 v130, v[28:29], v[30:31] offset0:14 offset1:15
	ds_read_b64 v[32:33], v129
	s_waitcnt lgkmcnt(0)
	v_cmp_neq_f64_e32 vcc, 0, v[32:33]
	s_and_b64 exec, exec, vcc
	s_cbranch_execz .LBB31_59
; %bb.58:
	v_div_scale_f64 v[34:35], s[6:7], v[32:33], v[32:33], 1.0
	v_rcp_f64_e32 v[36:37], v[34:35]
	v_div_scale_f64 v[38:39], vcc, 1.0, v[32:33], 1.0
	v_fma_f64 v[40:41], -v[34:35], v[36:37], 1.0
	v_fmac_f64_e32 v[36:37], v[36:37], v[40:41]
	v_fma_f64 v[40:41], -v[34:35], v[36:37], 1.0
	v_fmac_f64_e32 v[36:37], v[36:37], v[40:41]
	v_mul_f64 v[40:41], v[38:39], v[36:37]
	v_fma_f64 v[34:35], -v[34:35], v[40:41], v[38:39]
	v_div_fmas_f64 v[34:35], v[34:35], v[36:37], v[40:41]
	v_div_fixup_f64 v[32:33], v[34:35], v[32:33], 1.0
	ds_write_b64 v129, v[32:33]
.LBB31_59:
	s_or_b64 exec, exec, s[2:3]
	s_waitcnt lgkmcnt(0)
	s_barrier
	ds_read_b64 v[120:121], v129
	v_cmp_lt_u32_e32 vcc, 11, v128
	s_and_saveexec_b64 s[2:3], vcc
	s_cbranch_execz .LBB31_61
; %bb.60:
	s_waitcnt vmcnt(4)
	v_mov_b32_e32 v33, v23
	v_mov_b32_e32 v32, v22
	s_waitcnt lgkmcnt(0)
	v_mul_f64 v[122:123], v[32:33], v[120:121]
	s_waitcnt vmcnt(0)
	v_pk_mov_b32 v[62:63], v[30:31], v[30:31] op_sel:[0,1]
	v_pk_mov_b32 v[60:61], v[28:29], v[28:29] op_sel:[0,1]
	;; [unrolled: 1-line block ×16, first 2 shown]
	ds_read2_b64 v[0:3], v130 offset0:12 offset1:13
	ds_read2_b64 v[4:7], v130 offset0:14 offset1:15
	v_mov_b32_e32 v9, v25
	v_mov_b32_e32 v8, v24
	;; [unrolled: 1-line block ×3, first 2 shown]
	s_waitcnt lgkmcnt(1)
	v_fma_f64 v[56:57], -v[122:123], v[0:1], v[8:9]
	v_mov_b32_e32 v1, v27
	v_mov_b32_e32 v0, v26
	v_fma_f64 v[58:59], -v[122:123], v[2:3], v[0:1]
	v_mov_b32_e32 v1, v29
	v_mov_b32_e32 v0, v28
	s_waitcnt lgkmcnt(0)
	v_fma_f64 v[60:61], -v[122:123], v[4:5], v[0:1]
	v_mov_b32_e32 v1, v31
	v_mov_b32_e32 v0, v30
	;; [unrolled: 1-line block ×3, first 2 shown]
	v_fma_f64 v[62:63], -v[122:123], v[6:7], v[0:1]
	v_pk_mov_b32 v[0:1], v[32:33], v[32:33] op_sel:[0,1]
	v_pk_mov_b32 v[2:3], v[34:35], v[34:35] op_sel:[0,1]
	;; [unrolled: 1-line block ×16, first 2 shown]
.LBB31_61:
	s_or_b64 exec, exec, s[2:3]
	v_cmp_eq_u32_e32 vcc, 12, v128
	s_waitcnt lgkmcnt(0)
	s_barrier
	s_and_saveexec_b64 s[2:3], vcc
	s_cbranch_execz .LBB31_64
; %bb.62:
	s_waitcnt vmcnt(3)
	ds_write_b64 v129, v[24:25]
	s_waitcnt vmcnt(1)
	ds_write2_b64 v130, v[26:27], v[28:29] offset0:13 offset1:14
	s_waitcnt vmcnt(0)
	ds_write_b64 v130, v[30:31] offset:120
	ds_read_b64 v[32:33], v129
	s_waitcnt lgkmcnt(0)
	v_cmp_neq_f64_e32 vcc, 0, v[32:33]
	s_and_b64 exec, exec, vcc
	s_cbranch_execz .LBB31_64
; %bb.63:
	v_div_scale_f64 v[34:35], s[6:7], v[32:33], v[32:33], 1.0
	v_rcp_f64_e32 v[36:37], v[34:35]
	v_div_scale_f64 v[38:39], vcc, 1.0, v[32:33], 1.0
	v_fma_f64 v[40:41], -v[34:35], v[36:37], 1.0
	v_fmac_f64_e32 v[36:37], v[36:37], v[40:41]
	v_fma_f64 v[40:41], -v[34:35], v[36:37], 1.0
	v_fmac_f64_e32 v[36:37], v[36:37], v[40:41]
	v_mul_f64 v[40:41], v[38:39], v[36:37]
	v_fma_f64 v[34:35], -v[34:35], v[40:41], v[38:39]
	v_div_fmas_f64 v[34:35], v[34:35], v[36:37], v[40:41]
	v_div_fixup_f64 v[32:33], v[34:35], v[32:33], 1.0
	ds_write_b64 v129, v[32:33]
.LBB31_64:
	s_or_b64 exec, exec, s[2:3]
	s_waitcnt lgkmcnt(0)
	s_barrier
	ds_read_b64 v[122:123], v129
	v_cmp_lt_u32_e32 vcc, 12, v128
	s_and_saveexec_b64 s[2:3], vcc
	s_cbranch_execz .LBB31_66
; %bb.65:
	s_waitcnt vmcnt(3)
	v_mov_b32_e32 v33, v25
	v_mov_b32_e32 v32, v24
	s_waitcnt lgkmcnt(0)
	v_mul_f64 v[124:125], v[32:33], v[122:123]
	s_waitcnt vmcnt(0)
	v_pk_mov_b32 v[62:63], v[30:31], v[30:31] op_sel:[0,1]
	v_pk_mov_b32 v[60:61], v[28:29], v[28:29] op_sel:[0,1]
	;; [unrolled: 1-line block ×16, first 2 shown]
	ds_read2_b64 v[0:3], v130 offset0:13 offset1:14
	ds_read_b64 v[6:7], v130 offset:120
	v_mov_b32_e32 v5, v27
	v_mov_b32_e32 v4, v26
	;; [unrolled: 1-line block ×3, first 2 shown]
	s_waitcnt lgkmcnt(1)
	v_fma_f64 v[58:59], -v[124:125], v[0:1], v[4:5]
	v_mov_b32_e32 v1, v29
	v_mov_b32_e32 v0, v28
	v_fma_f64 v[60:61], -v[124:125], v[2:3], v[0:1]
	v_mov_b32_e32 v1, v31
	v_mov_b32_e32 v0, v30
	;; [unrolled: 1-line block ×3, first 2 shown]
	s_waitcnt lgkmcnt(0)
	v_fma_f64 v[62:63], -v[124:125], v[6:7], v[0:1]
	v_pk_mov_b32 v[0:1], v[32:33], v[32:33] op_sel:[0,1]
	v_pk_mov_b32 v[2:3], v[34:35], v[34:35] op_sel:[0,1]
	;; [unrolled: 1-line block ×16, first 2 shown]
.LBB31_66:
	s_or_b64 exec, exec, s[2:3]
	v_cmp_eq_u32_e32 vcc, 13, v128
	s_waitcnt lgkmcnt(0)
	s_barrier
	s_and_saveexec_b64 s[2:3], vcc
	s_cbranch_execz .LBB31_69
; %bb.67:
	s_waitcnt vmcnt(2)
	ds_write_b64 v129, v[26:27]
	s_waitcnt vmcnt(0)
	ds_write2_b64 v130, v[28:29], v[30:31] offset0:14 offset1:15
	ds_read_b64 v[32:33], v129
	s_waitcnt lgkmcnt(0)
	v_cmp_neq_f64_e32 vcc, 0, v[32:33]
	s_and_b64 exec, exec, vcc
	s_cbranch_execz .LBB31_69
; %bb.68:
	v_div_scale_f64 v[34:35], s[6:7], v[32:33], v[32:33], 1.0
	v_rcp_f64_e32 v[36:37], v[34:35]
	v_div_scale_f64 v[38:39], vcc, 1.0, v[32:33], 1.0
	v_fma_f64 v[40:41], -v[34:35], v[36:37], 1.0
	v_fmac_f64_e32 v[36:37], v[36:37], v[40:41]
	v_fma_f64 v[40:41], -v[34:35], v[36:37], 1.0
	v_fmac_f64_e32 v[36:37], v[36:37], v[40:41]
	v_mul_f64 v[40:41], v[38:39], v[36:37]
	v_fma_f64 v[34:35], -v[34:35], v[40:41], v[38:39]
	v_div_fmas_f64 v[34:35], v[34:35], v[36:37], v[40:41]
	v_div_fixup_f64 v[32:33], v[34:35], v[32:33], 1.0
	ds_write_b64 v129, v[32:33]
.LBB31_69:
	s_or_b64 exec, exec, s[2:3]
	s_waitcnt lgkmcnt(0)
	s_barrier
	ds_read_b64 v[124:125], v129
	v_cmp_lt_u32_e32 vcc, 13, v128
	s_and_saveexec_b64 s[2:3], vcc
	s_cbranch_execz .LBB31_71
; %bb.70:
	s_waitcnt vmcnt(2)
	v_mov_b32_e32 v33, v27
	v_mov_b32_e32 v32, v26
	s_waitcnt lgkmcnt(0)
	v_mul_f64 v[126:127], v[32:33], v[124:125]
	s_waitcnt vmcnt(0)
	v_pk_mov_b32 v[62:63], v[30:31], v[30:31] op_sel:[0,1]
	v_pk_mov_b32 v[60:61], v[28:29], v[28:29] op_sel:[0,1]
	;; [unrolled: 1-line block ×16, first 2 shown]
	ds_read2_b64 v[0:3], v130 offset0:14 offset1:15
	v_mov_b32_e32 v5, v29
	v_mov_b32_e32 v4, v28
	v_mov_b32_e32 v58, v126
	v_mov_b32_e32 v59, v127
	s_waitcnt lgkmcnt(0)
	v_fma_f64 v[60:61], -v[126:127], v[0:1], v[4:5]
	v_mov_b32_e32 v1, v31
	v_mov_b32_e32 v0, v30
	v_fma_f64 v[62:63], -v[126:127], v[2:3], v[0:1]
	v_pk_mov_b32 v[0:1], v[32:33], v[32:33] op_sel:[0,1]
	v_pk_mov_b32 v[2:3], v[34:35], v[34:35] op_sel:[0,1]
	;; [unrolled: 1-line block ×16, first 2 shown]
.LBB31_71:
	s_or_b64 exec, exec, s[2:3]
	v_cmp_eq_u32_e32 vcc, 14, v128
	s_waitcnt lgkmcnt(0)
	s_barrier
	s_and_saveexec_b64 s[2:3], vcc
	s_cbranch_execz .LBB31_74
; %bb.72:
	s_waitcnt vmcnt(1)
	ds_write_b64 v129, v[28:29]
	s_waitcnt vmcnt(0)
	ds_write_b64 v130, v[30:31] offset:120
	ds_read_b64 v[32:33], v129
	s_waitcnt lgkmcnt(0)
	v_cmp_neq_f64_e32 vcc, 0, v[32:33]
	s_and_b64 exec, exec, vcc
	s_cbranch_execz .LBB31_74
; %bb.73:
	v_div_scale_f64 v[34:35], s[6:7], v[32:33], v[32:33], 1.0
	v_rcp_f64_e32 v[36:37], v[34:35]
	v_div_scale_f64 v[38:39], vcc, 1.0, v[32:33], 1.0
	v_fma_f64 v[40:41], -v[34:35], v[36:37], 1.0
	v_fmac_f64_e32 v[36:37], v[36:37], v[40:41]
	v_fma_f64 v[40:41], -v[34:35], v[36:37], 1.0
	v_fmac_f64_e32 v[36:37], v[36:37], v[40:41]
	v_mul_f64 v[40:41], v[38:39], v[36:37]
	v_fma_f64 v[34:35], -v[34:35], v[40:41], v[38:39]
	v_div_fmas_f64 v[34:35], v[34:35], v[36:37], v[40:41]
	v_div_fixup_f64 v[32:33], v[34:35], v[32:33], 1.0
	ds_write_b64 v129, v[32:33]
.LBB31_74:
	s_or_b64 exec, exec, s[2:3]
	s_waitcnt lgkmcnt(0)
	s_barrier
	ds_read_b64 v[126:127], v129
	v_cmp_lt_u32_e32 vcc, 14, v128
	s_and_saveexec_b64 s[2:3], vcc
	s_cbranch_execz .LBB31_76
; %bb.75:
	s_waitcnt vmcnt(1)
	v_mov_b32_e32 v33, v29
	v_mov_b32_e32 v32, v28
	s_waitcnt lgkmcnt(0)
	v_mul_f64 v[132:133], v[32:33], v[126:127]
	s_waitcnt vmcnt(0)
	v_pk_mov_b32 v[62:63], v[30:31], v[30:31] op_sel:[0,1]
	v_pk_mov_b32 v[60:61], v[28:29], v[28:29] op_sel:[0,1]
	v_pk_mov_b32 v[58:59], v[26:27], v[26:27] op_sel:[0,1]
	v_pk_mov_b32 v[56:57], v[24:25], v[24:25] op_sel:[0,1]
	v_pk_mov_b32 v[54:55], v[22:23], v[22:23] op_sel:[0,1]
	v_pk_mov_b32 v[52:53], v[20:21], v[20:21] op_sel:[0,1]
	v_pk_mov_b32 v[50:51], v[18:19], v[18:19] op_sel:[0,1]
	v_pk_mov_b32 v[48:49], v[16:17], v[16:17] op_sel:[0,1]
	v_pk_mov_b32 v[46:47], v[14:15], v[14:15] op_sel:[0,1]
	v_pk_mov_b32 v[44:45], v[12:13], v[12:13] op_sel:[0,1]
	v_pk_mov_b32 v[42:43], v[10:11], v[10:11] op_sel:[0,1]
	v_pk_mov_b32 v[40:41], v[8:9], v[8:9] op_sel:[0,1]
	v_pk_mov_b32 v[38:39], v[6:7], v[6:7] op_sel:[0,1]
	v_pk_mov_b32 v[36:37], v[4:5], v[4:5] op_sel:[0,1]
	v_pk_mov_b32 v[34:35], v[2:3], v[2:3] op_sel:[0,1]
	v_pk_mov_b32 v[32:33], v[0:1], v[0:1] op_sel:[0,1]
	ds_read_b64 v[0:1], v130 offset:120
	v_mov_b32_e32 v3, v31
	v_mov_b32_e32 v2, v30
	;; [unrolled: 1-line block ×4, first 2 shown]
	s_waitcnt lgkmcnt(0)
	v_fma_f64 v[62:63], -v[132:133], v[0:1], v[2:3]
	v_pk_mov_b32 v[0:1], v[32:33], v[32:33] op_sel:[0,1]
	v_pk_mov_b32 v[2:3], v[34:35], v[34:35] op_sel:[0,1]
	;; [unrolled: 1-line block ×16, first 2 shown]
.LBB31_76:
	s_or_b64 exec, exec, s[2:3]
	v_cmp_ne_u32_e32 vcc, 15, v128
	s_waitcnt lgkmcnt(0)
	s_barrier
	s_waitcnt lgkmcnt(0)
                                        ; implicit-def: $vgpr32_vgpr33
	s_and_saveexec_b64 s[2:3], vcc
	s_xor_b64 s[2:3], exec, s[2:3]
	s_cbranch_execz .LBB31_78
; %bb.77:
	s_waitcnt vmcnt(0)
	v_mov_b32_e32 v33, v31
	v_mov_b32_e32 v32, v30
.LBB31_78:
	s_andn2_saveexec_b64 s[2:3], s[2:3]
	s_cbranch_execz .LBB31_82
; %bb.79:
	s_waitcnt vmcnt(0)
	v_cmp_neq_f64_e32 vcc, 0, v[30:31]
	ds_write_b64 v129, v[30:31]
	s_and_saveexec_b64 s[6:7], vcc
	s_cbranch_execz .LBB31_81
; %bb.80:
	v_div_scale_f64 v[32:33], s[8:9], v[30:31], v[30:31], 1.0
	v_rcp_f64_e32 v[34:35], v[32:33]
	v_div_scale_f64 v[36:37], vcc, 1.0, v[30:31], 1.0
	v_fma_f64 v[38:39], -v[32:33], v[34:35], 1.0
	v_fmac_f64_e32 v[34:35], v[34:35], v[38:39]
	v_fma_f64 v[38:39], -v[32:33], v[34:35], 1.0
	v_fmac_f64_e32 v[34:35], v[34:35], v[38:39]
	v_mul_f64 v[38:39], v[36:37], v[34:35]
	v_fma_f64 v[32:33], -v[32:33], v[38:39], v[36:37]
	v_div_fmas_f64 v[32:33], v[32:33], v[34:35], v[38:39]
	v_div_fixup_f64 v[32:33], v[32:33], v[30:31], 1.0
	ds_write_b64 v129, v[32:33]
.LBB31_81:
	s_or_b64 exec, exec, s[6:7]
	v_pk_mov_b32 v[32:33], v[30:31], v[30:31] op_sel:[0,1]
.LBB31_82:
	s_or_b64 exec, exec, s[2:3]
	s_waitcnt lgkmcnt(0)
	s_barrier
	ds_read_b64 v[34:35], v129
	s_waitcnt lgkmcnt(0)
	s_barrier
	s_and_saveexec_b64 s[34:35], s[0:1]
	s_cbranch_execz .LBB31_85
; %bb.83:
	s_load_dwordx2 s[0:1], s[4:5], 0x28
	v_lshlrev_b64 v[36:37], 2, v[68:69]
	v_cmp_eq_f64_e64 s[2:3], 0, v[102:103]
	v_cmp_eq_f64_e64 s[4:5], 0, v[104:105]
	;; [unrolled: 1-line block ×3, first 2 shown]
	s_waitcnt lgkmcnt(0)
	v_mov_b32_e32 v38, s1
	v_add_co_u32_e32 v36, vcc, s0, v36
	v_addc_co_u32_e32 v37, vcc, v38, v37, vcc
	global_load_dword v39, v[36:37], off
	v_cmp_eq_f64_e32 vcc, 0, v[98:99]
	v_cmp_neq_f64_e64 s[0:1], 0, v[100:101]
	v_cndmask_b32_e64 v38, 0, 1, vcc
	s_or_b64 vcc, s[0:1], vcc
	v_cndmask_b32_e32 v38, 2, v38, vcc
	v_cmp_eq_u32_e32 vcc, 0, v38
	s_and_b64 s[0:1], s[2:3], vcc
	v_cndmask_b32_e64 v38, v38, 3, s[0:1]
	v_cmp_eq_u32_e32 vcc, 0, v38
	s_and_b64 s[0:1], s[4:5], vcc
	v_cndmask_b32_e64 v38, v38, 4, s[0:1]
	;; [unrolled: 3-line block ×3, first 2 shown]
	v_cmp_eq_f64_e64 s[8:9], 0, v[108:109]
	v_cmp_eq_u32_e32 vcc, 0, v38
	s_and_b64 s[0:1], s[8:9], vcc
	v_cndmask_b32_e64 v38, v38, 6, s[0:1]
	v_cmp_eq_f64_e64 s[10:11], 0, v[110:111]
	v_cmp_eq_u32_e32 vcc, 0, v38
	s_and_b64 s[0:1], s[10:11], vcc
	v_cndmask_b32_e64 v38, v38, 7, s[0:1]
	;; [unrolled: 4-line block ×11, first 2 shown]
	v_cmp_ne_u32_e64 s[0:1], 0, v38
	s_waitcnt vmcnt(0)
	v_cmp_eq_u32_e32 vcc, 0, v39
	s_and_b64 s[0:1], vcc, s[0:1]
	s_and_b64 exec, exec, s[0:1]
	s_cbranch_execz .LBB31_85
; %bb.84:
	v_add_u32_e32 v38, s31, v38
	global_store_dword v[36:37], v38, off
.LBB31_85:
	s_or_b64 exec, exec, s[34:35]
	v_mul_f64 v[32:33], v[32:33], v[34:35]
	v_cmp_lt_u32_e32 vcc, 15, v128
	s_waitcnt vmcnt(0)
	v_cndmask_b32_e32 v31, v31, v33, vcc
	v_cndmask_b32_e32 v30, v30, v32, vcc
	global_store_dwordx2 v[64:65], v[0:1], off
	global_store_dwordx2 v[86:87], v[2:3], off
	;; [unrolled: 1-line block ×16, first 2 shown]
.LBB31_86:
	s_endpgm
	.section	.rodata,"a",@progbits
	.p2align	6, 0x0
	.amdhsa_kernel _ZN9rocsolver6v33100L23getf2_npvt_small_kernelILi16EdiiPKPdEEvT1_T3_lS5_lPT2_S5_S5_
		.amdhsa_group_segment_fixed_size 0
		.amdhsa_private_segment_fixed_size 0
		.amdhsa_kernarg_size 312
		.amdhsa_user_sgpr_count 6
		.amdhsa_user_sgpr_private_segment_buffer 1
		.amdhsa_user_sgpr_dispatch_ptr 0
		.amdhsa_user_sgpr_queue_ptr 0
		.amdhsa_user_sgpr_kernarg_segment_ptr 1
		.amdhsa_user_sgpr_dispatch_id 0
		.amdhsa_user_sgpr_flat_scratch_init 0
		.amdhsa_user_sgpr_kernarg_preload_length 0
		.amdhsa_user_sgpr_kernarg_preload_offset 0
		.amdhsa_user_sgpr_private_segment_size 0
		.amdhsa_uses_dynamic_stack 0
		.amdhsa_system_sgpr_private_segment_wavefront_offset 0
		.amdhsa_system_sgpr_workgroup_id_x 1
		.amdhsa_system_sgpr_workgroup_id_y 1
		.amdhsa_system_sgpr_workgroup_id_z 0
		.amdhsa_system_sgpr_workgroup_info 0
		.amdhsa_system_vgpr_workitem_id 1
		.amdhsa_next_free_vgpr 134
		.amdhsa_next_free_sgpr 36
		.amdhsa_accum_offset 136
		.amdhsa_reserve_vcc 1
		.amdhsa_reserve_flat_scratch 0
		.amdhsa_float_round_mode_32 0
		.amdhsa_float_round_mode_16_64 0
		.amdhsa_float_denorm_mode_32 3
		.amdhsa_float_denorm_mode_16_64 3
		.amdhsa_dx10_clamp 1
		.amdhsa_ieee_mode 1
		.amdhsa_fp16_overflow 0
		.amdhsa_tg_split 0
		.amdhsa_exception_fp_ieee_invalid_op 0
		.amdhsa_exception_fp_denorm_src 0
		.amdhsa_exception_fp_ieee_div_zero 0
		.amdhsa_exception_fp_ieee_overflow 0
		.amdhsa_exception_fp_ieee_underflow 0
		.amdhsa_exception_fp_ieee_inexact 0
		.amdhsa_exception_int_div_zero 0
	.end_amdhsa_kernel
	.section	.text._ZN9rocsolver6v33100L23getf2_npvt_small_kernelILi16EdiiPKPdEEvT1_T3_lS5_lPT2_S5_S5_,"axG",@progbits,_ZN9rocsolver6v33100L23getf2_npvt_small_kernelILi16EdiiPKPdEEvT1_T3_lS5_lPT2_S5_S5_,comdat
.Lfunc_end31:
	.size	_ZN9rocsolver6v33100L23getf2_npvt_small_kernelILi16EdiiPKPdEEvT1_T3_lS5_lPT2_S5_S5_, .Lfunc_end31-_ZN9rocsolver6v33100L23getf2_npvt_small_kernelILi16EdiiPKPdEEvT1_T3_lS5_lPT2_S5_S5_
                                        ; -- End function
	.section	.AMDGPU.csdata,"",@progbits
; Kernel info:
; codeLenInByte = 9444
; NumSgprs: 40
; NumVgprs: 134
; NumAgprs: 0
; TotalNumVgprs: 134
; ScratchSize: 0
; MemoryBound: 0
; FloatMode: 240
; IeeeMode: 1
; LDSByteSize: 0 bytes/workgroup (compile time only)
; SGPRBlocks: 4
; VGPRBlocks: 16
; NumSGPRsForWavesPerEU: 40
; NumVGPRsForWavesPerEU: 134
; AccumOffset: 136
; Occupancy: 3
; WaveLimiterHint : 1
; COMPUTE_PGM_RSRC2:SCRATCH_EN: 0
; COMPUTE_PGM_RSRC2:USER_SGPR: 6
; COMPUTE_PGM_RSRC2:TRAP_HANDLER: 0
; COMPUTE_PGM_RSRC2:TGID_X_EN: 1
; COMPUTE_PGM_RSRC2:TGID_Y_EN: 1
; COMPUTE_PGM_RSRC2:TGID_Z_EN: 0
; COMPUTE_PGM_RSRC2:TIDIG_COMP_CNT: 1
; COMPUTE_PGM_RSRC3_GFX90A:ACCUM_OFFSET: 33
; COMPUTE_PGM_RSRC3_GFX90A:TG_SPLIT: 0
	.section	.text._ZN9rocsolver6v33100L18getf2_small_kernelILi17EdiiPKPdEEvT1_T3_lS5_lPS5_llPT2_S5_S5_S7_l,"axG",@progbits,_ZN9rocsolver6v33100L18getf2_small_kernelILi17EdiiPKPdEEvT1_T3_lS5_lPS5_llPT2_S5_S5_S7_l,comdat
	.globl	_ZN9rocsolver6v33100L18getf2_small_kernelILi17EdiiPKPdEEvT1_T3_lS5_lPS5_llPT2_S5_S5_S7_l ; -- Begin function _ZN9rocsolver6v33100L18getf2_small_kernelILi17EdiiPKPdEEvT1_T3_lS5_lPS5_llPT2_S5_S5_S7_l
	.p2align	8
	.type	_ZN9rocsolver6v33100L18getf2_small_kernelILi17EdiiPKPdEEvT1_T3_lS5_lPS5_llPT2_S5_S5_S7_l,@function
_ZN9rocsolver6v33100L18getf2_small_kernelILi17EdiiPKPdEEvT1_T3_lS5_lPS5_llPT2_S5_S5_S7_l: ; @_ZN9rocsolver6v33100L18getf2_small_kernelILi17EdiiPKPdEEvT1_T3_lS5_lPS5_llPT2_S5_S5_S7_l
; %bb.0:
	s_load_dword s0, s[4:5], 0x6c
	s_load_dwordx2 s[12:13], s[4:5], 0x48
	v_bfe_u32 v38, v0, 10, 10
	s_waitcnt lgkmcnt(0)
	s_lshr_b32 s0, s0, 16
	s_mul_i32 s7, s7, s0
	v_add_u32_e32 v2, s7, v38
	v_cmp_gt_i32_e32 vcc, s12, v2
	s_and_saveexec_b64 s[0:1], vcc
	s_cbranch_execz .LBB32_286
; %bb.1:
	s_load_dwordx4 s[0:3], s[4:5], 0x8
	s_load_dwordx4 s[8:11], s[4:5], 0x50
	v_ashrrev_i32_e32 v3, 31, v2
	v_lshlrev_b64 v[4:5], 3, v[2:3]
	v_pk_mov_b32 v[34:35], 0, 0
	s_waitcnt lgkmcnt(0)
	v_mov_b32_e32 v1, s1
	v_add_co_u32_e32 v4, vcc, s0, v4
	v_addc_co_u32_e32 v5, vcc, v1, v5, vcc
	global_load_dwordx2 v[4:5], v[4:5], off
	s_cmp_eq_u64 s[8:9], 0
	s_cselect_b64 s[6:7], -1, 0
	s_and_b64 vcc, exec, s[6:7]
	s_cbranch_vccnz .LBB32_3
; %bb.2:
	v_mul_lo_u32 v1, v3, s10
	v_mul_lo_u32 v8, v2, s11
	v_mad_u64_u32 v[6:7], s[0:1], v2, s10, 0
	v_add3_u32 v7, v7, v8, v1
	v_lshlrev_b64 v[6:7], 2, v[6:7]
	v_mov_b32_e32 v1, s9
	v_add_co_u32_e32 v34, vcc, s8, v6
	v_addc_co_u32_e32 v35, vcc, v1, v7, vcc
.LBB32_3:
	s_load_dword s8, s[4:5], 0x18
	s_load_dword s12, s[4:5], 0x0
	s_lshl_b64 s[0:1], s[2:3], 3
	v_mov_b32_e32 v1, s1
	s_waitcnt vmcnt(0)
	v_add_co_u32_e32 v44, vcc, s0, v4
	v_and_b32_e32 v46, 0x3ff, v0
	v_addc_co_u32_e32 v45, vcc, v5, v1, vcc
	v_lshlrev_b32_e32 v39, 3, v46
	v_add_co_u32_e32 v4, vcc, v44, v39
	s_waitcnt lgkmcnt(0)
	s_ashr_i32 s9, s8, 31
	v_addc_co_u32_e32 v5, vcc, 0, v45, vcc
	s_lshl_b64 s[10:11], s[8:9], 3
	v_mov_b32_e32 v0, s11
	v_add_co_u32_e32 v8, vcc, s10, v4
	s_add_i32 s9, s8, s8
	v_addc_co_u32_e32 v9, vcc, v5, v0, vcc
	v_add_u32_e32 v0, s9, v46
	v_ashrrev_i32_e32 v1, 31, v0
	v_lshlrev_b64 v[6:7], 3, v[0:1]
	v_add_u32_e32 v14, s8, v0
	v_add_co_u32_e32 v10, vcc, v44, v6
	v_ashrrev_i32_e32 v15, 31, v14
	v_addc_co_u32_e32 v11, vcc, v45, v7, vcc
	v_lshlrev_b64 v[0:1], 3, v[14:15]
	v_add_co_u32_e32 v16, vcc, v44, v0
	v_addc_co_u32_e32 v17, vcc, v45, v1, vcc
	global_load_dwordx2 v[18:19], v[4:5], off
	global_load_dwordx2 v[12:13], v[8:9], off
	global_load_dwordx2 v[6:7], v[10:11], off
	global_load_dwordx2 v[0:1], v[16:17], off
	v_add_u32_e32 v4, s8, v14
	v_ashrrev_i32_e32 v5, 31, v4
	v_lshlrev_b64 v[8:9], 3, v[4:5]
	v_add_u32_e32 v4, s8, v4
	v_add_co_u32_e32 v8, vcc, v44, v8
	v_ashrrev_i32_e32 v5, 31, v4
	v_addc_co_u32_e32 v9, vcc, v45, v9, vcc
	v_lshlrev_b64 v[10:11], 3, v[4:5]
	v_add_u32_e32 v4, s8, v4
	v_add_co_u32_e32 v14, vcc, v44, v10
	v_ashrrev_i32_e32 v5, 31, v4
	v_addc_co_u32_e32 v15, vcc, v45, v11, vcc
	v_lshlrev_b64 v[10:11], 3, v[4:5]
	v_add_u32_e32 v22, s8, v4
	v_add_co_u32_e32 v16, vcc, v44, v10
	v_ashrrev_i32_e32 v23, 31, v22
	v_addc_co_u32_e32 v17, vcc, v45, v11, vcc
	v_lshlrev_b64 v[4:5], 3, v[22:23]
	v_add_co_u32_e32 v24, vcc, v44, v4
	v_addc_co_u32_e32 v25, vcc, v45, v5, vcc
	global_load_dwordx2 v[26:27], v[8:9], off
	global_load_dwordx2 v[20:21], v[14:15], off
	global_load_dwordx2 v[10:11], v[16:17], off
	global_load_dwordx2 v[4:5], v[24:25], off
	v_add_u32_e32 v8, s8, v22
	v_ashrrev_i32_e32 v9, 31, v8
	v_lshlrev_b64 v[14:15], 3, v[8:9]
	v_add_u32_e32 v8, s8, v8
	v_add_co_u32_e32 v14, vcc, v44, v14
	v_ashrrev_i32_e32 v9, 31, v8
	v_addc_co_u32_e32 v15, vcc, v45, v15, vcc
	v_lshlrev_b64 v[16:17], 3, v[8:9]
	v_add_u32_e32 v8, s8, v8
	v_add_co_u32_e32 v22, vcc, v44, v16
	v_ashrrev_i32_e32 v9, 31, v8
	v_addc_co_u32_e32 v23, vcc, v45, v17, vcc
	;; [unrolled: 24-line block ×3, first 2 shown]
	v_lshlrev_b64 v[22:23], 3, v[14:15]
	v_add_u32_e32 v48, s8, v14
	v_add_co_u32_e32 v42, vcc, v44, v22
	v_ashrrev_i32_e32 v49, 31, v48
	v_addc_co_u32_e32 v43, vcc, v45, v23, vcc
	v_lshlrev_b64 v[14:15], 3, v[48:49]
	v_add_co_u32_e32 v50, vcc, v44, v14
	v_addc_co_u32_e32 v51, vcc, v45, v15, vcc
	global_load_dwordx2 v[32:33], v[36:37], off
	global_load_dwordx2 v[28:29], v[40:41], off
	;; [unrolled: 1-line block ×4, first 2 shown]
	v_add_u32_e32 v36, s8, v48
	v_ashrrev_i32_e32 v37, 31, v36
	v_lshlrev_b64 v[36:37], 3, v[36:37]
	v_add_co_u32_e32 v36, vcc, v44, v36
	v_addc_co_u32_e32 v37, vcc, v45, v37, vcc
	global_load_dwordx2 v[36:37], v[36:37], off
	s_max_i32 s0, s12, 17
	v_mul_lo_u32 v41, s0, v38
	v_lshl_add_u32 v42, v41, 3, 0
	v_add_u32_e32 v38, v42, v39
	s_waitcnt vmcnt(16)
	ds_write_b64 v38, v[18:19]
	s_waitcnt lgkmcnt(0)
	s_barrier
	ds_read_b64 v[38:39], v42
	v_mov_b32_e32 v40, 0
	s_cmp_lt_i32 s12, 2
	v_lshlrev_b32_e32 v47, 3, v41
	s_cbranch_scc1 .LBB32_6
; %bb.4:
	v_add3_u32 v41, v47, 0, 8
	s_mov_b32 s0, 1
	v_mov_b32_e32 v40, 0
.LBB32_5:                               ; =>This Inner Loop Header: Depth=1
	ds_read_b64 v[48:49], v41
	v_mov_b32_e32 v43, s0
	s_add_i32 s0, s0, 1
	v_add_u32_e32 v41, 8, v41
	s_cmp_eq_u32 s12, s0
	s_waitcnt lgkmcnt(0)
	v_cmp_lt_f64_e64 vcc, |v[38:39]|, |v[48:49]|
	v_cndmask_b32_e32 v39, v39, v49, vcc
	v_cndmask_b32_e32 v38, v38, v48, vcc
	;; [unrolled: 1-line block ×3, first 2 shown]
	s_cbranch_scc0 .LBB32_5
.LBB32_6:
	v_cmp_ne_u32_e32 vcc, v46, v40
                                        ; implicit-def: $vgpr43
	s_and_saveexec_b64 s[0:1], vcc
	s_xor_b64 s[0:1], exec, s[0:1]
	s_cbranch_execz .LBB32_12
; %bb.7:
	v_cmp_eq_u32_e32 vcc, 0, v46
	s_and_saveexec_b64 s[2:3], vcc
	s_cbranch_execz .LBB32_11
; %bb.8:
	v_cmp_ne_u32_e32 vcc, 0, v40
	s_xor_b64 s[14:15], s[6:7], -1
	s_and_b64 s[16:17], s[14:15], vcc
	s_and_saveexec_b64 s[14:15], s[16:17]
	s_cbranch_execz .LBB32_10
; %bb.9:
	v_ashrrev_i32_e32 v41, 31, v40
	v_lshlrev_b64 v[48:49], 2, v[40:41]
	v_add_co_u32_e32 v48, vcc, v34, v48
	v_addc_co_u32_e32 v49, vcc, v35, v49, vcc
	flat_load_dword v41, v[48:49]
	flat_load_dword v43, v[34:35]
	s_waitcnt vmcnt(0) lgkmcnt(0)
	flat_store_dword v[34:35], v41
	flat_store_dword v[48:49], v43
.LBB32_10:
	s_or_b64 exec, exec, s[14:15]
	v_mov_b32_e32 v46, v40
.LBB32_11:
	s_or_b64 exec, exec, s[2:3]
	v_mov_b32_e32 v43, v46
                                        ; implicit-def: $vgpr46
.LBB32_12:
	s_or_saveexec_b64 s[0:1], s[0:1]
	v_mov_b32_e32 v41, v43
	s_xor_b64 exec, exec, s[0:1]
	s_cbranch_execz .LBB32_14
; %bb.13:
	v_mov_b32_e32 v43, 0
	v_mov_b32_e32 v41, v46
	s_waitcnt vmcnt(0)
	ds_write2_b64 v42, v[12:13], v[6:7] offset0:1 offset1:2
	ds_write2_b64 v42, v[0:1], v[26:27] offset0:3 offset1:4
	;; [unrolled: 1-line block ×8, first 2 shown]
.LBB32_14:
	s_or_b64 exec, exec, s[0:1]
	s_waitcnt lgkmcnt(0)
	v_cmp_eq_f64_e64 s[0:1], 0, v[38:39]
	v_cmp_lt_i32_e32 vcc, 0, v43
	s_barrier
	s_and_saveexec_b64 s[2:3], vcc
	s_cbranch_execz .LBB32_16
; %bb.15:
	v_div_scale_f64 v[48:49], s[14:15], v[38:39], v[38:39], 1.0
	v_rcp_f64_e32 v[50:51], v[48:49]
	v_div_scale_f64 v[52:53], vcc, 1.0, v[38:39], 1.0
	ds_read2_b64 v[56:59], v42 offset0:5 offset1:6
	v_fma_f64 v[54:55], -v[48:49], v[50:51], 1.0
	v_fmac_f64_e32 v[50:51], v[50:51], v[54:55]
	v_fma_f64 v[54:55], -v[48:49], v[50:51], 1.0
	v_fmac_f64_e32 v[50:51], v[50:51], v[54:55]
	v_mul_f64 v[54:55], v[52:53], v[50:51]
	v_fma_f64 v[48:49], -v[48:49], v[54:55], v[52:53]
	v_div_fmas_f64 v[48:49], v[48:49], v[50:51], v[54:55]
	v_div_fixup_f64 v[52:53], v[48:49], v[38:39], 1.0
	ds_read2_b64 v[48:51], v42 offset0:1 offset1:2
	v_cndmask_b32_e64 v39, v53, v39, s[0:1]
	v_cndmask_b32_e64 v38, v52, v38, s[0:1]
	ds_read2_b64 v[52:55], v42 offset0:3 offset1:4
	v_mul_f64 v[18:19], v[38:39], v[18:19]
	s_waitcnt vmcnt(0) lgkmcnt(0)
	v_fma_f64 v[12:13], -v[18:19], v[48:49], v[12:13]
	v_fma_f64 v[6:7], -v[18:19], v[50:51], v[6:7]
	ds_read2_b64 v[48:51], v42 offset0:7 offset1:8
	v_fma_f64 v[0:1], -v[18:19], v[52:53], v[0:1]
	v_fma_f64 v[26:27], -v[18:19], v[54:55], v[26:27]
	ds_read2_b64 v[52:55], v42 offset0:9 offset1:10
	v_fma_f64 v[20:21], -v[18:19], v[56:57], v[20:21]
	v_fma_f64 v[10:11], -v[18:19], v[58:59], v[10:11]
	s_waitcnt lgkmcnt(1)
	v_fma_f64 v[4:5], -v[18:19], v[48:49], v[4:5]
	v_fma_f64 v[30:31], -v[18:19], v[50:51], v[30:31]
	ds_read2_b64 v[48:51], v42 offset0:11 offset1:12
	s_waitcnt lgkmcnt(1)
	v_fma_f64 v[24:25], -v[18:19], v[52:53], v[24:25]
	ds_read2_b64 v[56:59], v42 offset0:13 offset1:14
	v_fma_f64 v[16:17], -v[18:19], v[54:55], v[16:17]
	ds_read2_b64 v[52:55], v42 offset0:15 offset1:16
	s_waitcnt lgkmcnt(2)
	v_fma_f64 v[8:9], -v[18:19], v[48:49], v[8:9]
	v_fma_f64 v[32:33], -v[18:19], v[50:51], v[32:33]
	s_waitcnt lgkmcnt(1)
	v_fma_f64 v[28:29], -v[18:19], v[56:57], v[28:29]
	v_fma_f64 v[22:23], -v[18:19], v[58:59], v[22:23]
	;; [unrolled: 3-line block ×3, first 2 shown]
.LBB32_16:
	s_or_b64 exec, exec, s[2:3]
	v_lshl_add_u32 v38, v43, 3, v42
	s_barrier
	s_waitcnt vmcnt(0)
	ds_write_b64 v38, v[12:13]
	s_waitcnt lgkmcnt(0)
	s_barrier
	ds_read_b64 v[38:39], v42 offset:8
	s_cmp_lt_i32 s12, 3
	v_mov_b32_e32 v40, 1
	s_cbranch_scc1 .LBB32_19
; %bb.17:
	v_add3_u32 v46, v47, 0, 16
	s_mov_b32 s2, 2
	v_mov_b32_e32 v40, 1
.LBB32_18:                              ; =>This Inner Loop Header: Depth=1
	ds_read_b64 v[48:49], v46
	v_mov_b32_e32 v50, s2
	s_add_i32 s2, s2, 1
	v_add_u32_e32 v46, 8, v46
	s_cmp_lg_u32 s12, s2
	s_waitcnt lgkmcnt(0)
	v_cmp_lt_f64_e64 vcc, |v[38:39]|, |v[48:49]|
	v_cndmask_b32_e32 v39, v39, v49, vcc
	v_cndmask_b32_e32 v38, v38, v48, vcc
	;; [unrolled: 1-line block ×3, first 2 shown]
	s_cbranch_scc1 .LBB32_18
.LBB32_19:
	v_cmp_ne_u32_e32 vcc, v43, v40
	s_and_saveexec_b64 s[2:3], vcc
	s_xor_b64 s[2:3], exec, s[2:3]
	s_cbranch_execz .LBB32_25
; %bb.20:
	v_cmp_eq_u32_e32 vcc, 1, v43
	s_and_saveexec_b64 s[14:15], vcc
	s_cbranch_execz .LBB32_24
; %bb.21:
	v_cmp_ne_u32_e32 vcc, 1, v40
	s_xor_b64 s[16:17], s[6:7], -1
	s_and_b64 s[18:19], s[16:17], vcc
	s_and_saveexec_b64 s[16:17], s[18:19]
	s_cbranch_execz .LBB32_23
; %bb.22:
	v_ashrrev_i32_e32 v41, 31, v40
	v_lshlrev_b64 v[48:49], 2, v[40:41]
	v_add_co_u32_e32 v48, vcc, v34, v48
	v_addc_co_u32_e32 v49, vcc, v35, v49, vcc
	flat_load_dword v41, v[48:49]
	flat_load_dword v43, v[34:35] offset:4
	s_waitcnt vmcnt(0) lgkmcnt(0)
	flat_store_dword v[34:35], v41 offset:4
	flat_store_dword v[48:49], v43
.LBB32_23:
	s_or_b64 exec, exec, s[16:17]
	v_mov_b32_e32 v41, v40
	v_mov_b32_e32 v43, v40
.LBB32_24:
	s_or_b64 exec, exec, s[14:15]
.LBB32_25:
	s_andn2_saveexec_b64 s[2:3], s[2:3]
	s_cbranch_execz .LBB32_27
; %bb.26:
	v_mov_b32_e32 v48, v6
	v_mov_b32_e32 v49, v7
	v_mov_b32_e32 v50, v0
	v_mov_b32_e32 v51, v1
	ds_write2_b64 v42, v[48:49], v[50:51] offset0:2 offset1:3
	v_mov_b32_e32 v48, v26
	v_mov_b32_e32 v49, v27
	v_mov_b32_e32 v50, v20
	v_mov_b32_e32 v51, v21
	ds_write2_b64 v42, v[48:49], v[50:51] offset0:4 offset1:5
	v_mov_b32_e32 v48, v10
	v_mov_b32_e32 v49, v11
	v_mov_b32_e32 v50, v4
	v_mov_b32_e32 v51, v5
	ds_write2_b64 v42, v[48:49], v[50:51] offset0:6 offset1:7
	v_mov_b32_e32 v48, v30
	v_mov_b32_e32 v49, v31
	v_mov_b32_e32 v50, v24
	v_mov_b32_e32 v51, v25
	ds_write2_b64 v42, v[48:49], v[50:51] offset0:8 offset1:9
	v_mov_b32_e32 v48, v16
	v_mov_b32_e32 v49, v17
	v_mov_b32_e32 v50, v8
	v_mov_b32_e32 v51, v9
	ds_write2_b64 v42, v[48:49], v[50:51] offset0:10 offset1:11
	v_mov_b32_e32 v48, v32
	v_mov_b32_e32 v49, v33
	v_mov_b32_e32 v50, v28
	v_mov_b32_e32 v51, v29
	ds_write2_b64 v42, v[48:49], v[50:51] offset0:12 offset1:13
	v_mov_b32_e32 v48, v22
	v_mov_b32_e32 v49, v23
	;; [unrolled: 1-line block ×5, first 2 shown]
	ds_write2_b64 v42, v[48:49], v[50:51] offset0:14 offset1:15
	ds_write_b64 v42, v[36:37] offset:128
.LBB32_27:
	s_or_b64 exec, exec, s[2:3]
	s_waitcnt lgkmcnt(0)
	v_cmp_neq_f64_e64 s[2:3], 0, v[38:39]
	v_cmp_lt_i32_e32 vcc, 1, v43
	s_barrier
	s_and_saveexec_b64 s[14:15], vcc
	s_cbranch_execz .LBB32_29
; %bb.28:
	v_div_scale_f64 v[48:49], s[16:17], v[38:39], v[38:39], 1.0
	v_rcp_f64_e32 v[50:51], v[48:49]
	v_div_scale_f64 v[52:53], vcc, 1.0, v[38:39], 1.0
	ds_read2_b64 v[56:59], v42 offset0:6 offset1:7
	v_fma_f64 v[54:55], -v[48:49], v[50:51], 1.0
	v_fmac_f64_e32 v[50:51], v[50:51], v[54:55]
	v_fma_f64 v[54:55], -v[48:49], v[50:51], 1.0
	v_fmac_f64_e32 v[50:51], v[50:51], v[54:55]
	v_mul_f64 v[54:55], v[52:53], v[50:51]
	v_fma_f64 v[48:49], -v[48:49], v[54:55], v[52:53]
	v_div_fmas_f64 v[48:49], v[48:49], v[50:51], v[54:55]
	v_div_fixup_f64 v[52:53], v[48:49], v[38:39], 1.0
	ds_read2_b64 v[48:51], v42 offset0:2 offset1:3
	v_cndmask_b32_e64 v39, v39, v53, s[2:3]
	v_cndmask_b32_e64 v38, v38, v52, s[2:3]
	ds_read2_b64 v[52:55], v42 offset0:4 offset1:5
	v_mul_f64 v[12:13], v[38:39], v[12:13]
	s_waitcnt lgkmcnt(0)
	v_fma_f64 v[6:7], -v[12:13], v[48:49], v[6:7]
	v_fma_f64 v[0:1], -v[12:13], v[50:51], v[0:1]
	ds_read2_b64 v[48:51], v42 offset0:8 offset1:9
	v_fma_f64 v[26:27], -v[12:13], v[52:53], v[26:27]
	v_fma_f64 v[20:21], -v[12:13], v[54:55], v[20:21]
	;; [unrolled: 1-line block ×3, first 2 shown]
	ds_read2_b64 v[52:55], v42 offset0:10 offset1:11
	v_fma_f64 v[4:5], -v[12:13], v[58:59], v[4:5]
	s_waitcnt lgkmcnt(0)
	v_fma_f64 v[30:31], -v[12:13], v[48:49], v[30:31]
	v_fma_f64 v[24:25], -v[12:13], v[50:51], v[24:25]
	ds_read2_b64 v[48:51], v42 offset0:12 offset1:13
	ds_read2_b64 v[56:59], v42 offset0:14 offset1:15
	ds_read_b64 v[38:39], v42 offset:128
	v_fma_f64 v[16:17], -v[12:13], v[52:53], v[16:17]
	v_fma_f64 v[8:9], -v[12:13], v[54:55], v[8:9]
	s_waitcnt lgkmcnt(0)
	v_fma_f64 v[32:33], -v[12:13], v[48:49], v[32:33]
	v_fma_f64 v[28:29], -v[12:13], v[50:51], v[28:29]
	;; [unrolled: 1-line block ×5, first 2 shown]
.LBB32_29:
	s_or_b64 exec, exec, s[14:15]
	v_lshl_add_u32 v38, v43, 3, v42
	s_barrier
	ds_write_b64 v38, v[6:7]
	s_waitcnt lgkmcnt(0)
	s_barrier
	ds_read_b64 v[38:39], v42 offset:16
	s_mov_b32 s14, 3
	s_cmp_lt_i32 s12, 4
	v_mov_b32_e32 v40, 2
	s_cbranch_scc1 .LBB32_32
; %bb.30:
	v_add3_u32 v46, v47, 0, 24
	v_mov_b32_e32 v40, 2
.LBB32_31:                              ; =>This Inner Loop Header: Depth=1
	ds_read_b64 v[48:49], v46
	v_mov_b32_e32 v50, s14
	s_add_i32 s14, s14, 1
	v_add_u32_e32 v46, 8, v46
	s_cmp_lg_u32 s12, s14
	s_waitcnt lgkmcnt(0)
	v_cmp_lt_f64_e64 vcc, |v[38:39]|, |v[48:49]|
	v_cndmask_b32_e32 v39, v39, v49, vcc
	v_cndmask_b32_e32 v38, v38, v48, vcc
	;; [unrolled: 1-line block ×3, first 2 shown]
	s_cbranch_scc1 .LBB32_31
.LBB32_32:
	v_cndmask_b32_e64 v46, 2, 1, s[0:1]
	v_cndmask_b32_e64 v48, 0, 1, s[0:1]
	;; [unrolled: 1-line block ×3, first 2 shown]
	s_waitcnt lgkmcnt(0)
	v_cmp_eq_f64_e32 vcc, 0, v[38:39]
	s_and_saveexec_b64 s[0:1], vcc
	s_xor_b64 s[0:1], exec, s[0:1]
; %bb.33:
	v_cmp_ne_u32_e32 vcc, 0, v46
	v_cndmask_b32_e32 v46, 3, v46, vcc
; %bb.34:
	s_andn2_saveexec_b64 s[0:1], s[0:1]
; %bb.35:
	v_div_scale_f64 v[48:49], s[2:3], v[38:39], v[38:39], 1.0
	v_rcp_f64_e32 v[50:51], v[48:49]
	v_div_scale_f64 v[52:53], vcc, 1.0, v[38:39], 1.0
	v_fma_f64 v[54:55], -v[48:49], v[50:51], 1.0
	v_fmac_f64_e32 v[50:51], v[50:51], v[54:55]
	v_fma_f64 v[54:55], -v[48:49], v[50:51], 1.0
	v_fmac_f64_e32 v[50:51], v[50:51], v[54:55]
	v_mul_f64 v[54:55], v[52:53], v[50:51]
	v_fma_f64 v[48:49], -v[48:49], v[54:55], v[52:53]
	v_div_fmas_f64 v[48:49], v[48:49], v[50:51], v[54:55]
	v_div_fixup_f64 v[38:39], v[48:49], v[38:39], 1.0
; %bb.36:
	s_or_b64 exec, exec, s[0:1]
	v_cmp_ne_u32_e32 vcc, v43, v40
	s_and_saveexec_b64 s[0:1], vcc
	s_xor_b64 s[0:1], exec, s[0:1]
	s_cbranch_execz .LBB32_42
; %bb.37:
	v_cmp_eq_u32_e32 vcc, 2, v43
	s_and_saveexec_b64 s[2:3], vcc
	s_cbranch_execz .LBB32_41
; %bb.38:
	v_cmp_ne_u32_e32 vcc, 2, v40
	s_xor_b64 s[14:15], s[6:7], -1
	s_and_b64 s[16:17], s[14:15], vcc
	s_and_saveexec_b64 s[14:15], s[16:17]
	s_cbranch_execz .LBB32_40
; %bb.39:
	v_ashrrev_i32_e32 v41, 31, v40
	v_lshlrev_b64 v[48:49], 2, v[40:41]
	v_add_co_u32_e32 v48, vcc, v34, v48
	v_addc_co_u32_e32 v49, vcc, v35, v49, vcc
	flat_load_dword v41, v[48:49]
	flat_load_dword v43, v[34:35] offset:8
	s_waitcnt vmcnt(0) lgkmcnt(0)
	flat_store_dword v[34:35], v41 offset:8
	flat_store_dword v[48:49], v43
.LBB32_40:
	s_or_b64 exec, exec, s[14:15]
	v_mov_b32_e32 v41, v40
	v_mov_b32_e32 v43, v40
.LBB32_41:
	s_or_b64 exec, exec, s[2:3]
.LBB32_42:
	s_andn2_saveexec_b64 s[0:1], s[0:1]
	s_cbranch_execz .LBB32_44
; %bb.43:
	v_mov_b32_e32 v43, 2
	ds_write2_b64 v42, v[0:1], v[26:27] offset0:3 offset1:4
	ds_write2_b64 v42, v[20:21], v[10:11] offset0:5 offset1:6
	;; [unrolled: 1-line block ×7, first 2 shown]
.LBB32_44:
	s_or_b64 exec, exec, s[0:1]
	v_cmp_lt_i32_e32 vcc, 2, v43
	s_waitcnt lgkmcnt(0)
	s_barrier
	s_and_saveexec_b64 s[0:1], vcc
	s_cbranch_execz .LBB32_46
; %bb.45:
	ds_read2_b64 v[48:51], v42 offset0:3 offset1:4
	ds_read2_b64 v[52:55], v42 offset0:5 offset1:6
	v_mul_f64 v[6:7], v[38:39], v[6:7]
	ds_read2_b64 v[56:59], v42 offset0:7 offset1:8
	s_waitcnt lgkmcnt(0)
	v_fma_f64 v[0:1], -v[6:7], v[48:49], v[0:1]
	v_fma_f64 v[26:27], -v[6:7], v[50:51], v[26:27]
	ds_read2_b64 v[48:51], v42 offset0:9 offset1:10
	v_fma_f64 v[20:21], -v[6:7], v[52:53], v[20:21]
	v_fma_f64 v[10:11], -v[6:7], v[54:55], v[10:11]
	;; [unrolled: 1-line block ×4, first 2 shown]
	ds_read2_b64 v[52:55], v42 offset0:11 offset1:12
	ds_read2_b64 v[56:59], v42 offset0:13 offset1:14
	s_waitcnt lgkmcnt(0)
	v_fma_f64 v[24:25], -v[6:7], v[48:49], v[24:25]
	v_fma_f64 v[16:17], -v[6:7], v[50:51], v[16:17]
	ds_read2_b64 v[48:51], v42 offset0:15 offset1:16
	v_fma_f64 v[8:9], -v[6:7], v[52:53], v[8:9]
	v_fma_f64 v[32:33], -v[6:7], v[54:55], v[32:33]
	;; [unrolled: 1-line block ×4, first 2 shown]
	s_waitcnt lgkmcnt(0)
	v_fma_f64 v[14:15], -v[6:7], v[48:49], v[14:15]
	v_fma_f64 v[36:37], -v[6:7], v[50:51], v[36:37]
.LBB32_46:
	s_or_b64 exec, exec, s[0:1]
	v_lshl_add_u32 v38, v43, 3, v42
	s_barrier
	ds_write_b64 v38, v[0:1]
	s_waitcnt lgkmcnt(0)
	s_barrier
	ds_read_b64 v[38:39], v42 offset:24
	s_cmp_lt_i32 s12, 5
	v_mov_b32_e32 v40, 3
	s_cbranch_scc1 .LBB32_49
; %bb.47:
	v_add3_u32 v48, v47, 0, 32
	s_mov_b32 s0, 4
	v_mov_b32_e32 v40, 3
.LBB32_48:                              ; =>This Inner Loop Header: Depth=1
	ds_read_b64 v[50:51], v48
	v_mov_b32_e32 v49, s0
	s_add_i32 s0, s0, 1
	v_add_u32_e32 v48, 8, v48
	s_cmp_lg_u32 s12, s0
	s_waitcnt lgkmcnt(0)
	v_cmp_lt_f64_e64 vcc, |v[38:39]|, |v[50:51]|
	v_cndmask_b32_e32 v39, v39, v51, vcc
	v_cndmask_b32_e32 v38, v38, v50, vcc
	;; [unrolled: 1-line block ×3, first 2 shown]
	s_cbranch_scc1 .LBB32_48
.LBB32_49:
	s_waitcnt lgkmcnt(0)
	v_cmp_eq_f64_e32 vcc, 0, v[38:39]
	s_and_saveexec_b64 s[0:1], vcc
	s_xor_b64 s[0:1], exec, s[0:1]
; %bb.50:
	v_cmp_ne_u32_e32 vcc, 0, v46
	v_cndmask_b32_e32 v46, 4, v46, vcc
; %bb.51:
	s_andn2_saveexec_b64 s[0:1], s[0:1]
; %bb.52:
	v_div_scale_f64 v[48:49], s[2:3], v[38:39], v[38:39], 1.0
	v_rcp_f64_e32 v[50:51], v[48:49]
	v_div_scale_f64 v[52:53], vcc, 1.0, v[38:39], 1.0
	v_fma_f64 v[54:55], -v[48:49], v[50:51], 1.0
	v_fmac_f64_e32 v[50:51], v[50:51], v[54:55]
	v_fma_f64 v[54:55], -v[48:49], v[50:51], 1.0
	v_fmac_f64_e32 v[50:51], v[50:51], v[54:55]
	v_mul_f64 v[54:55], v[52:53], v[50:51]
	v_fma_f64 v[48:49], -v[48:49], v[54:55], v[52:53]
	v_div_fmas_f64 v[48:49], v[48:49], v[50:51], v[54:55]
	v_div_fixup_f64 v[38:39], v[48:49], v[38:39], 1.0
; %bb.53:
	s_or_b64 exec, exec, s[0:1]
	v_cmp_ne_u32_e32 vcc, v43, v40
	s_and_saveexec_b64 s[0:1], vcc
	s_xor_b64 s[0:1], exec, s[0:1]
	s_cbranch_execz .LBB32_59
; %bb.54:
	v_cmp_eq_u32_e32 vcc, 3, v43
	s_and_saveexec_b64 s[2:3], vcc
	s_cbranch_execz .LBB32_58
; %bb.55:
	v_cmp_ne_u32_e32 vcc, 3, v40
	s_xor_b64 s[14:15], s[6:7], -1
	s_and_b64 s[16:17], s[14:15], vcc
	s_and_saveexec_b64 s[14:15], s[16:17]
	s_cbranch_execz .LBB32_57
; %bb.56:
	v_ashrrev_i32_e32 v41, 31, v40
	v_lshlrev_b64 v[48:49], 2, v[40:41]
	v_add_co_u32_e32 v48, vcc, v34, v48
	v_addc_co_u32_e32 v49, vcc, v35, v49, vcc
	flat_load_dword v41, v[48:49]
	flat_load_dword v43, v[34:35] offset:12
	s_waitcnt vmcnt(0) lgkmcnt(0)
	flat_store_dword v[34:35], v41 offset:12
	flat_store_dword v[48:49], v43
.LBB32_57:
	s_or_b64 exec, exec, s[14:15]
	v_mov_b32_e32 v41, v40
	v_mov_b32_e32 v43, v40
.LBB32_58:
	s_or_b64 exec, exec, s[2:3]
.LBB32_59:
	s_andn2_saveexec_b64 s[0:1], s[0:1]
	s_cbranch_execz .LBB32_61
; %bb.60:
	v_mov_b32_e32 v48, v26
	v_mov_b32_e32 v49, v27
	v_mov_b32_e32 v50, v20
	v_mov_b32_e32 v51, v21
	ds_write2_b64 v42, v[48:49], v[50:51] offset0:4 offset1:5
	v_mov_b32_e32 v48, v10
	v_mov_b32_e32 v49, v11
	v_mov_b32_e32 v50, v4
	v_mov_b32_e32 v51, v5
	ds_write2_b64 v42, v[48:49], v[50:51] offset0:6 offset1:7
	;; [unrolled: 5-line block ×5, first 2 shown]
	v_mov_b32_e32 v48, v22
	v_mov_b32_e32 v49, v23
	;; [unrolled: 1-line block ×5, first 2 shown]
	ds_write2_b64 v42, v[48:49], v[50:51] offset0:14 offset1:15
	ds_write_b64 v42, v[36:37] offset:128
.LBB32_61:
	s_or_b64 exec, exec, s[0:1]
	v_cmp_lt_i32_e32 vcc, 3, v43
	s_waitcnt lgkmcnt(0)
	s_barrier
	s_and_saveexec_b64 s[0:1], vcc
	s_cbranch_execz .LBB32_63
; %bb.62:
	ds_read2_b64 v[48:51], v42 offset0:4 offset1:5
	ds_read2_b64 v[52:55], v42 offset0:6 offset1:7
	;; [unrolled: 1-line block ×3, first 2 shown]
	v_mul_f64 v[0:1], v[38:39], v[0:1]
	ds_read_b64 v[38:39], v42 offset:128
	s_waitcnt lgkmcnt(0)
	v_fma_f64 v[26:27], -v[0:1], v[48:49], v[26:27]
	v_fma_f64 v[20:21], -v[0:1], v[50:51], v[20:21]
	ds_read2_b64 v[48:51], v42 offset0:10 offset1:11
	v_fma_f64 v[10:11], -v[0:1], v[52:53], v[10:11]
	v_fma_f64 v[4:5], -v[0:1], v[54:55], v[4:5]
	;; [unrolled: 1-line block ×4, first 2 shown]
	ds_read2_b64 v[52:55], v42 offset0:12 offset1:13
	ds_read2_b64 v[56:59], v42 offset0:14 offset1:15
	s_waitcnt lgkmcnt(0)
	v_fma_f64 v[16:17], -v[0:1], v[48:49], v[16:17]
	v_fma_f64 v[8:9], -v[0:1], v[50:51], v[8:9]
	v_fma_f64 v[36:37], -v[0:1], v[38:39], v[36:37]
	v_fma_f64 v[32:33], -v[0:1], v[52:53], v[32:33]
	v_fma_f64 v[28:29], -v[0:1], v[54:55], v[28:29]
	v_fma_f64 v[22:23], -v[0:1], v[56:57], v[22:23]
	v_fma_f64 v[14:15], -v[0:1], v[58:59], v[14:15]
.LBB32_63:
	s_or_b64 exec, exec, s[0:1]
	v_lshl_add_u32 v38, v43, 3, v42
	s_barrier
	ds_write_b64 v38, v[26:27]
	s_waitcnt lgkmcnt(0)
	s_barrier
	ds_read_b64 v[38:39], v42 offset:32
	s_cmp_lt_i32 s12, 6
	v_mov_b32_e32 v40, 4
	s_cbranch_scc1 .LBB32_66
; %bb.64:
	v_add3_u32 v48, v47, 0, 40
	s_mov_b32 s0, 5
	v_mov_b32_e32 v40, 4
.LBB32_65:                              ; =>This Inner Loop Header: Depth=1
	ds_read_b64 v[50:51], v48
	v_mov_b32_e32 v49, s0
	s_add_i32 s0, s0, 1
	v_add_u32_e32 v48, 8, v48
	s_cmp_lg_u32 s12, s0
	s_waitcnt lgkmcnt(0)
	v_cmp_lt_f64_e64 vcc, |v[38:39]|, |v[50:51]|
	v_cndmask_b32_e32 v39, v39, v51, vcc
	v_cndmask_b32_e32 v38, v38, v50, vcc
	;; [unrolled: 1-line block ×3, first 2 shown]
	s_cbranch_scc1 .LBB32_65
.LBB32_66:
	s_waitcnt lgkmcnt(0)
	v_cmp_eq_f64_e32 vcc, 0, v[38:39]
	s_and_saveexec_b64 s[0:1], vcc
	s_xor_b64 s[0:1], exec, s[0:1]
; %bb.67:
	v_cmp_ne_u32_e32 vcc, 0, v46
	v_cndmask_b32_e32 v46, 5, v46, vcc
; %bb.68:
	s_andn2_saveexec_b64 s[0:1], s[0:1]
; %bb.69:
	v_div_scale_f64 v[48:49], s[2:3], v[38:39], v[38:39], 1.0
	v_rcp_f64_e32 v[50:51], v[48:49]
	v_div_scale_f64 v[52:53], vcc, 1.0, v[38:39], 1.0
	v_fma_f64 v[54:55], -v[48:49], v[50:51], 1.0
	v_fmac_f64_e32 v[50:51], v[50:51], v[54:55]
	v_fma_f64 v[54:55], -v[48:49], v[50:51], 1.0
	v_fmac_f64_e32 v[50:51], v[50:51], v[54:55]
	v_mul_f64 v[54:55], v[52:53], v[50:51]
	v_fma_f64 v[48:49], -v[48:49], v[54:55], v[52:53]
	v_div_fmas_f64 v[48:49], v[48:49], v[50:51], v[54:55]
	v_div_fixup_f64 v[38:39], v[48:49], v[38:39], 1.0
; %bb.70:
	s_or_b64 exec, exec, s[0:1]
	v_cmp_ne_u32_e32 vcc, v43, v40
	s_and_saveexec_b64 s[0:1], vcc
	s_xor_b64 s[0:1], exec, s[0:1]
	s_cbranch_execz .LBB32_76
; %bb.71:
	v_cmp_eq_u32_e32 vcc, 4, v43
	s_and_saveexec_b64 s[2:3], vcc
	s_cbranch_execz .LBB32_75
; %bb.72:
	v_cmp_ne_u32_e32 vcc, 4, v40
	s_xor_b64 s[14:15], s[6:7], -1
	s_and_b64 s[16:17], s[14:15], vcc
	s_and_saveexec_b64 s[14:15], s[16:17]
	s_cbranch_execz .LBB32_74
; %bb.73:
	v_ashrrev_i32_e32 v41, 31, v40
	v_lshlrev_b64 v[48:49], 2, v[40:41]
	v_add_co_u32_e32 v48, vcc, v34, v48
	v_addc_co_u32_e32 v49, vcc, v35, v49, vcc
	flat_load_dword v41, v[48:49]
	flat_load_dword v43, v[34:35] offset:16
	s_waitcnt vmcnt(0) lgkmcnt(0)
	flat_store_dword v[34:35], v41 offset:16
	flat_store_dword v[48:49], v43
.LBB32_74:
	s_or_b64 exec, exec, s[14:15]
	v_mov_b32_e32 v41, v40
	v_mov_b32_e32 v43, v40
.LBB32_75:
	s_or_b64 exec, exec, s[2:3]
.LBB32_76:
	s_andn2_saveexec_b64 s[0:1], s[0:1]
	s_cbranch_execz .LBB32_78
; %bb.77:
	v_mov_b32_e32 v43, 4
	ds_write2_b64 v42, v[20:21], v[10:11] offset0:5 offset1:6
	ds_write2_b64 v42, v[4:5], v[30:31] offset0:7 offset1:8
	;; [unrolled: 1-line block ×6, first 2 shown]
.LBB32_78:
	s_or_b64 exec, exec, s[0:1]
	v_cmp_lt_i32_e32 vcc, 4, v43
	s_waitcnt lgkmcnt(0)
	s_barrier
	s_and_saveexec_b64 s[0:1], vcc
	s_cbranch_execz .LBB32_80
; %bb.79:
	ds_read2_b64 v[48:51], v42 offset0:5 offset1:6
	ds_read2_b64 v[52:55], v42 offset0:7 offset1:8
	;; [unrolled: 1-line block ×3, first 2 shown]
	v_mul_f64 v[26:27], v[38:39], v[26:27]
	s_waitcnt lgkmcnt(0)
	v_fma_f64 v[20:21], -v[26:27], v[48:49], v[20:21]
	v_fma_f64 v[10:11], -v[26:27], v[50:51], v[10:11]
	ds_read2_b64 v[48:51], v42 offset0:11 offset1:12
	v_fma_f64 v[4:5], -v[26:27], v[52:53], v[4:5]
	v_fma_f64 v[30:31], -v[26:27], v[54:55], v[30:31]
	;; [unrolled: 1-line block ×3, first 2 shown]
	ds_read2_b64 v[52:55], v42 offset0:13 offset1:14
	v_fma_f64 v[16:17], -v[26:27], v[58:59], v[16:17]
	ds_read2_b64 v[56:59], v42 offset0:15 offset1:16
	s_waitcnt lgkmcnt(0)
	v_fma_f64 v[8:9], -v[26:27], v[48:49], v[8:9]
	v_fma_f64 v[32:33], -v[26:27], v[50:51], v[32:33]
	;; [unrolled: 1-line block ×6, first 2 shown]
.LBB32_80:
	s_or_b64 exec, exec, s[0:1]
	v_lshl_add_u32 v38, v43, 3, v42
	s_barrier
	ds_write_b64 v38, v[20:21]
	s_waitcnt lgkmcnt(0)
	s_barrier
	ds_read_b64 v[38:39], v42 offset:40
	s_cmp_lt_i32 s12, 7
	v_mov_b32_e32 v40, 5
	s_cbranch_scc1 .LBB32_83
; %bb.81:
	v_add3_u32 v48, v47, 0, 48
	s_mov_b32 s0, 6
	v_mov_b32_e32 v40, 5
.LBB32_82:                              ; =>This Inner Loop Header: Depth=1
	ds_read_b64 v[50:51], v48
	v_mov_b32_e32 v49, s0
	s_add_i32 s0, s0, 1
	v_add_u32_e32 v48, 8, v48
	s_cmp_lg_u32 s12, s0
	s_waitcnt lgkmcnt(0)
	v_cmp_lt_f64_e64 vcc, |v[38:39]|, |v[50:51]|
	v_cndmask_b32_e32 v39, v39, v51, vcc
	v_cndmask_b32_e32 v38, v38, v50, vcc
	;; [unrolled: 1-line block ×3, first 2 shown]
	s_cbranch_scc1 .LBB32_82
.LBB32_83:
	s_waitcnt lgkmcnt(0)
	v_cmp_eq_f64_e32 vcc, 0, v[38:39]
	s_and_saveexec_b64 s[0:1], vcc
	s_xor_b64 s[0:1], exec, s[0:1]
; %bb.84:
	v_cmp_ne_u32_e32 vcc, 0, v46
	v_cndmask_b32_e32 v46, 6, v46, vcc
; %bb.85:
	s_andn2_saveexec_b64 s[0:1], s[0:1]
; %bb.86:
	v_div_scale_f64 v[48:49], s[2:3], v[38:39], v[38:39], 1.0
	v_rcp_f64_e32 v[50:51], v[48:49]
	v_div_scale_f64 v[52:53], vcc, 1.0, v[38:39], 1.0
	v_fma_f64 v[54:55], -v[48:49], v[50:51], 1.0
	v_fmac_f64_e32 v[50:51], v[50:51], v[54:55]
	v_fma_f64 v[54:55], -v[48:49], v[50:51], 1.0
	v_fmac_f64_e32 v[50:51], v[50:51], v[54:55]
	v_mul_f64 v[54:55], v[52:53], v[50:51]
	v_fma_f64 v[48:49], -v[48:49], v[54:55], v[52:53]
	v_div_fmas_f64 v[48:49], v[48:49], v[50:51], v[54:55]
	v_div_fixup_f64 v[38:39], v[48:49], v[38:39], 1.0
; %bb.87:
	s_or_b64 exec, exec, s[0:1]
	v_cmp_ne_u32_e32 vcc, v43, v40
	s_and_saveexec_b64 s[0:1], vcc
	s_xor_b64 s[0:1], exec, s[0:1]
	s_cbranch_execz .LBB32_93
; %bb.88:
	v_cmp_eq_u32_e32 vcc, 5, v43
	s_and_saveexec_b64 s[2:3], vcc
	s_cbranch_execz .LBB32_92
; %bb.89:
	v_cmp_ne_u32_e32 vcc, 5, v40
	s_xor_b64 s[14:15], s[6:7], -1
	s_and_b64 s[16:17], s[14:15], vcc
	s_and_saveexec_b64 s[14:15], s[16:17]
	s_cbranch_execz .LBB32_91
; %bb.90:
	v_ashrrev_i32_e32 v41, 31, v40
	v_lshlrev_b64 v[48:49], 2, v[40:41]
	v_add_co_u32_e32 v48, vcc, v34, v48
	v_addc_co_u32_e32 v49, vcc, v35, v49, vcc
	flat_load_dword v41, v[48:49]
	flat_load_dword v43, v[34:35] offset:20
	s_waitcnt vmcnt(0) lgkmcnt(0)
	flat_store_dword v[34:35], v41 offset:20
	flat_store_dword v[48:49], v43
.LBB32_91:
	s_or_b64 exec, exec, s[14:15]
	v_mov_b32_e32 v41, v40
	v_mov_b32_e32 v43, v40
.LBB32_92:
	s_or_b64 exec, exec, s[2:3]
.LBB32_93:
	s_andn2_saveexec_b64 s[0:1], s[0:1]
	s_cbranch_execz .LBB32_95
; %bb.94:
	v_mov_b32_e32 v48, v10
	v_mov_b32_e32 v49, v11
	v_mov_b32_e32 v50, v4
	v_mov_b32_e32 v51, v5
	ds_write2_b64 v42, v[48:49], v[50:51] offset0:6 offset1:7
	v_mov_b32_e32 v48, v30
	v_mov_b32_e32 v49, v31
	v_mov_b32_e32 v50, v24
	v_mov_b32_e32 v51, v25
	ds_write2_b64 v42, v[48:49], v[50:51] offset0:8 offset1:9
	;; [unrolled: 5-line block ×4, first 2 shown]
	v_mov_b32_e32 v48, v22
	v_mov_b32_e32 v49, v23
	;; [unrolled: 1-line block ×5, first 2 shown]
	ds_write2_b64 v42, v[48:49], v[50:51] offset0:14 offset1:15
	ds_write_b64 v42, v[36:37] offset:128
.LBB32_95:
	s_or_b64 exec, exec, s[0:1]
	v_cmp_lt_i32_e32 vcc, 5, v43
	s_waitcnt lgkmcnt(0)
	s_barrier
	s_and_saveexec_b64 s[0:1], vcc
	s_cbranch_execz .LBB32_97
; %bb.96:
	ds_read2_b64 v[48:51], v42 offset0:6 offset1:7
	ds_read2_b64 v[52:55], v42 offset0:8 offset1:9
	v_mul_f64 v[20:21], v[38:39], v[20:21]
	ds_read2_b64 v[56:59], v42 offset0:10 offset1:11
	ds_read_b64 v[38:39], v42 offset:128
	s_waitcnt lgkmcnt(0)
	v_fma_f64 v[10:11], -v[20:21], v[48:49], v[10:11]
	v_fma_f64 v[4:5], -v[20:21], v[50:51], v[4:5]
	ds_read2_b64 v[48:51], v42 offset0:12 offset1:13
	v_fma_f64 v[30:31], -v[20:21], v[52:53], v[30:31]
	v_fma_f64 v[24:25], -v[20:21], v[54:55], v[24:25]
	ds_read2_b64 v[52:55], v42 offset0:14 offset1:15
	v_fma_f64 v[16:17], -v[20:21], v[56:57], v[16:17]
	v_fma_f64 v[8:9], -v[20:21], v[58:59], v[8:9]
	s_waitcnt lgkmcnt(0)
	v_fma_f64 v[32:33], -v[20:21], v[48:49], v[32:33]
	v_fma_f64 v[28:29], -v[20:21], v[50:51], v[28:29]
	;; [unrolled: 1-line block ×5, first 2 shown]
.LBB32_97:
	s_or_b64 exec, exec, s[0:1]
	v_lshl_add_u32 v38, v43, 3, v42
	s_barrier
	ds_write_b64 v38, v[10:11]
	s_waitcnt lgkmcnt(0)
	s_barrier
	ds_read_b64 v[38:39], v42 offset:48
	s_cmp_lt_i32 s12, 8
	v_mov_b32_e32 v40, 6
	s_cbranch_scc1 .LBB32_100
; %bb.98:
	v_add3_u32 v48, v47, 0, 56
	s_mov_b32 s0, 7
	v_mov_b32_e32 v40, 6
.LBB32_99:                              ; =>This Inner Loop Header: Depth=1
	ds_read_b64 v[50:51], v48
	v_mov_b32_e32 v49, s0
	s_add_i32 s0, s0, 1
	v_add_u32_e32 v48, 8, v48
	s_cmp_lg_u32 s12, s0
	s_waitcnt lgkmcnt(0)
	v_cmp_lt_f64_e64 vcc, |v[38:39]|, |v[50:51]|
	v_cndmask_b32_e32 v39, v39, v51, vcc
	v_cndmask_b32_e32 v38, v38, v50, vcc
	;; [unrolled: 1-line block ×3, first 2 shown]
	s_cbranch_scc1 .LBB32_99
.LBB32_100:
	s_waitcnt lgkmcnt(0)
	v_cmp_eq_f64_e32 vcc, 0, v[38:39]
	s_and_saveexec_b64 s[0:1], vcc
	s_xor_b64 s[0:1], exec, s[0:1]
; %bb.101:
	v_cmp_ne_u32_e32 vcc, 0, v46
	v_cndmask_b32_e32 v46, 7, v46, vcc
; %bb.102:
	s_andn2_saveexec_b64 s[0:1], s[0:1]
; %bb.103:
	v_div_scale_f64 v[48:49], s[2:3], v[38:39], v[38:39], 1.0
	v_rcp_f64_e32 v[50:51], v[48:49]
	v_div_scale_f64 v[52:53], vcc, 1.0, v[38:39], 1.0
	v_fma_f64 v[54:55], -v[48:49], v[50:51], 1.0
	v_fmac_f64_e32 v[50:51], v[50:51], v[54:55]
	v_fma_f64 v[54:55], -v[48:49], v[50:51], 1.0
	v_fmac_f64_e32 v[50:51], v[50:51], v[54:55]
	v_mul_f64 v[54:55], v[52:53], v[50:51]
	v_fma_f64 v[48:49], -v[48:49], v[54:55], v[52:53]
	v_div_fmas_f64 v[48:49], v[48:49], v[50:51], v[54:55]
	v_div_fixup_f64 v[38:39], v[48:49], v[38:39], 1.0
; %bb.104:
	s_or_b64 exec, exec, s[0:1]
	v_cmp_ne_u32_e32 vcc, v43, v40
	s_and_saveexec_b64 s[0:1], vcc
	s_xor_b64 s[0:1], exec, s[0:1]
	s_cbranch_execz .LBB32_110
; %bb.105:
	v_cmp_eq_u32_e32 vcc, 6, v43
	s_and_saveexec_b64 s[2:3], vcc
	s_cbranch_execz .LBB32_109
; %bb.106:
	v_cmp_ne_u32_e32 vcc, 6, v40
	s_xor_b64 s[14:15], s[6:7], -1
	s_and_b64 s[16:17], s[14:15], vcc
	s_and_saveexec_b64 s[14:15], s[16:17]
	s_cbranch_execz .LBB32_108
; %bb.107:
	v_ashrrev_i32_e32 v41, 31, v40
	v_lshlrev_b64 v[48:49], 2, v[40:41]
	v_add_co_u32_e32 v48, vcc, v34, v48
	v_addc_co_u32_e32 v49, vcc, v35, v49, vcc
	flat_load_dword v41, v[48:49]
	flat_load_dword v43, v[34:35] offset:24
	s_waitcnt vmcnt(0) lgkmcnt(0)
	flat_store_dword v[34:35], v41 offset:24
	flat_store_dword v[48:49], v43
.LBB32_108:
	s_or_b64 exec, exec, s[14:15]
	v_mov_b32_e32 v41, v40
	v_mov_b32_e32 v43, v40
.LBB32_109:
	s_or_b64 exec, exec, s[2:3]
.LBB32_110:
	s_andn2_saveexec_b64 s[0:1], s[0:1]
	s_cbranch_execz .LBB32_112
; %bb.111:
	v_mov_b32_e32 v43, 6
	ds_write2_b64 v42, v[4:5], v[30:31] offset0:7 offset1:8
	ds_write2_b64 v42, v[24:25], v[16:17] offset0:9 offset1:10
	;; [unrolled: 1-line block ×5, first 2 shown]
.LBB32_112:
	s_or_b64 exec, exec, s[0:1]
	v_cmp_lt_i32_e32 vcc, 6, v43
	s_waitcnt lgkmcnt(0)
	s_barrier
	s_and_saveexec_b64 s[0:1], vcc
	s_cbranch_execz .LBB32_114
; %bb.113:
	ds_read2_b64 v[48:51], v42 offset0:7 offset1:8
	ds_read2_b64 v[52:55], v42 offset0:9 offset1:10
	v_mul_f64 v[10:11], v[38:39], v[10:11]
	ds_read2_b64 v[56:59], v42 offset0:13 offset1:14
	s_waitcnt lgkmcnt(0)
	v_fma_f64 v[4:5], -v[10:11], v[48:49], v[4:5]
	v_fma_f64 v[30:31], -v[10:11], v[50:51], v[30:31]
	ds_read2_b64 v[48:51], v42 offset0:11 offset1:12
	v_fma_f64 v[24:25], -v[10:11], v[52:53], v[24:25]
	v_fma_f64 v[16:17], -v[10:11], v[54:55], v[16:17]
	ds_read2_b64 v[52:55], v42 offset0:15 offset1:16
	v_fma_f64 v[28:29], -v[10:11], v[56:57], v[28:29]
	s_waitcnt lgkmcnt(0)
	v_fma_f64 v[8:9], -v[10:11], v[48:49], v[8:9]
	v_fma_f64 v[32:33], -v[10:11], v[50:51], v[32:33]
	;; [unrolled: 1-line block ×5, first 2 shown]
.LBB32_114:
	s_or_b64 exec, exec, s[0:1]
	v_lshl_add_u32 v38, v43, 3, v42
	s_barrier
	ds_write_b64 v38, v[4:5]
	s_waitcnt lgkmcnt(0)
	s_barrier
	ds_read_b64 v[38:39], v42 offset:56
	s_cmp_lt_i32 s12, 9
	v_mov_b32_e32 v40, 7
	s_cbranch_scc1 .LBB32_117
; %bb.115:
	v_add3_u32 v47, v47, 0, 64
	s_mov_b32 s0, 8
	v_mov_b32_e32 v40, 7
.LBB32_116:                             ; =>This Inner Loop Header: Depth=1
	ds_read_b64 v[48:49], v47
	v_mov_b32_e32 v50, s0
	s_add_i32 s0, s0, 1
	v_add_u32_e32 v47, 8, v47
	s_cmp_lg_u32 s12, s0
	s_waitcnt lgkmcnt(0)
	v_cmp_lt_f64_e64 vcc, |v[38:39]|, |v[48:49]|
	v_cndmask_b32_e32 v39, v39, v49, vcc
	v_cndmask_b32_e32 v38, v38, v48, vcc
	;; [unrolled: 1-line block ×3, first 2 shown]
	s_cbranch_scc1 .LBB32_116
.LBB32_117:
	s_waitcnt lgkmcnt(0)
	v_cmp_eq_f64_e32 vcc, 0, v[38:39]
	s_and_saveexec_b64 s[0:1], vcc
	s_xor_b64 s[0:1], exec, s[0:1]
; %bb.118:
	v_cmp_ne_u32_e32 vcc, 0, v46
	v_cndmask_b32_e32 v46, 8, v46, vcc
; %bb.119:
	s_andn2_saveexec_b64 s[0:1], s[0:1]
; %bb.120:
	v_div_scale_f64 v[48:49], s[2:3], v[38:39], v[38:39], 1.0
	v_rcp_f64_e32 v[50:51], v[48:49]
	v_div_scale_f64 v[52:53], vcc, 1.0, v[38:39], 1.0
	v_fma_f64 v[54:55], -v[48:49], v[50:51], 1.0
	v_fmac_f64_e32 v[50:51], v[50:51], v[54:55]
	v_fma_f64 v[54:55], -v[48:49], v[50:51], 1.0
	v_fmac_f64_e32 v[50:51], v[50:51], v[54:55]
	v_mul_f64 v[54:55], v[52:53], v[50:51]
	v_fma_f64 v[48:49], -v[48:49], v[54:55], v[52:53]
	v_div_fmas_f64 v[48:49], v[48:49], v[50:51], v[54:55]
	v_div_fixup_f64 v[38:39], v[48:49], v[38:39], 1.0
; %bb.121:
	s_or_b64 exec, exec, s[0:1]
	v_cmp_ne_u32_e32 vcc, v43, v40
	s_and_saveexec_b64 s[0:1], vcc
	s_xor_b64 s[0:1], exec, s[0:1]
	s_cbranch_execz .LBB32_127
; %bb.122:
	v_cmp_eq_u32_e32 vcc, 7, v43
	s_and_saveexec_b64 s[2:3], vcc
	s_cbranch_execz .LBB32_126
; %bb.123:
	v_cmp_ne_u32_e32 vcc, 7, v40
	s_xor_b64 s[14:15], s[6:7], -1
	s_and_b64 s[16:17], s[14:15], vcc
	s_and_saveexec_b64 s[14:15], s[16:17]
	s_cbranch_execz .LBB32_125
; %bb.124:
	v_ashrrev_i32_e32 v41, 31, v40
	v_lshlrev_b64 v[48:49], 2, v[40:41]
	v_add_co_u32_e32 v48, vcc, v34, v48
	v_addc_co_u32_e32 v49, vcc, v35, v49, vcc
	flat_load_dword v41, v[48:49]
	flat_load_dword v43, v[34:35] offset:28
	s_waitcnt vmcnt(0) lgkmcnt(0)
	flat_store_dword v[34:35], v41 offset:28
	flat_store_dword v[48:49], v43
.LBB32_125:
	s_or_b64 exec, exec, s[14:15]
	v_mov_b32_e32 v41, v40
	v_mov_b32_e32 v43, v40
.LBB32_126:
	s_or_b64 exec, exec, s[2:3]
.LBB32_127:
	s_andn2_saveexec_b64 s[0:1], s[0:1]
	s_cbranch_execz .LBB32_129
; %bb.128:
	v_mov_b32_e32 v48, v30
	v_mov_b32_e32 v49, v31
	v_mov_b32_e32 v50, v24
	v_mov_b32_e32 v51, v25
	ds_write2_b64 v42, v[48:49], v[50:51] offset0:8 offset1:9
	v_mov_b32_e32 v48, v16
	v_mov_b32_e32 v49, v17
	v_mov_b32_e32 v50, v8
	v_mov_b32_e32 v51, v9
	ds_write2_b64 v42, v[48:49], v[50:51] offset0:10 offset1:11
	;; [unrolled: 5-line block ×3, first 2 shown]
	v_mov_b32_e32 v48, v22
	v_mov_b32_e32 v49, v23
	;; [unrolled: 1-line block ×5, first 2 shown]
	ds_write2_b64 v42, v[48:49], v[50:51] offset0:14 offset1:15
	ds_write_b64 v42, v[36:37] offset:128
.LBB32_129:
	s_or_b64 exec, exec, s[0:1]
	v_cmp_lt_i32_e32 vcc, 7, v43
	s_waitcnt lgkmcnt(0)
	s_barrier
	s_and_saveexec_b64 s[0:1], vcc
	s_cbranch_execz .LBB32_131
; %bb.130:
	ds_read2_b64 v[48:51], v42 offset0:8 offset1:9
	ds_read2_b64 v[52:55], v42 offset0:10 offset1:11
	v_mul_f64 v[4:5], v[38:39], v[4:5]
	ds_read_b64 v[38:39], v42 offset:128
	ds_read2_b64 v[56:59], v42 offset0:14 offset1:15
	s_waitcnt lgkmcnt(0)
	v_fma_f64 v[30:31], -v[4:5], v[48:49], v[30:31]
	v_fma_f64 v[24:25], -v[4:5], v[50:51], v[24:25]
	ds_read2_b64 v[48:51], v42 offset0:12 offset1:13
	v_fma_f64 v[16:17], -v[4:5], v[52:53], v[16:17]
	v_fma_f64 v[8:9], -v[4:5], v[54:55], v[8:9]
	v_fma_f64 v[22:23], -v[4:5], v[56:57], v[22:23]
	v_fma_f64 v[14:15], -v[4:5], v[58:59], v[14:15]
	s_waitcnt lgkmcnt(0)
	v_fma_f64 v[32:33], -v[4:5], v[48:49], v[32:33]
	v_fma_f64 v[28:29], -v[4:5], v[50:51], v[28:29]
	;; [unrolled: 1-line block ×3, first 2 shown]
.LBB32_131:
	s_or_b64 exec, exec, s[0:1]
	v_lshl_add_u32 v38, v43, 3, v42
	s_barrier
	ds_write_b64 v38, v[30:31]
	s_waitcnt lgkmcnt(0)
	s_barrier
	ds_read_b64 v[38:39], v42 offset:64
	s_cmp_lt_i32 s12, 10
	v_mov_b32_e32 v40, 8
	s_cbranch_scc1 .LBB32_134
; %bb.132:
	v_add_u32_e32 v47, 0x48, v42
	s_mov_b32 s0, 9
	v_mov_b32_e32 v40, 8
.LBB32_133:                             ; =>This Inner Loop Header: Depth=1
	ds_read_b64 v[48:49], v47
	v_mov_b32_e32 v50, s0
	s_add_i32 s0, s0, 1
	v_add_u32_e32 v47, 8, v47
	s_cmp_lg_u32 s12, s0
	s_waitcnt lgkmcnt(0)
	v_cmp_lt_f64_e64 vcc, |v[38:39]|, |v[48:49]|
	v_cndmask_b32_e32 v39, v39, v49, vcc
	v_cndmask_b32_e32 v38, v38, v48, vcc
	;; [unrolled: 1-line block ×3, first 2 shown]
	s_cbranch_scc1 .LBB32_133
.LBB32_134:
	s_waitcnt lgkmcnt(0)
	v_cmp_eq_f64_e32 vcc, 0, v[38:39]
	s_and_saveexec_b64 s[0:1], vcc
	s_xor_b64 s[0:1], exec, s[0:1]
; %bb.135:
	v_cmp_ne_u32_e32 vcc, 0, v46
	v_cndmask_b32_e32 v46, 9, v46, vcc
; %bb.136:
	s_andn2_saveexec_b64 s[0:1], s[0:1]
; %bb.137:
	v_div_scale_f64 v[48:49], s[2:3], v[38:39], v[38:39], 1.0
	v_rcp_f64_e32 v[50:51], v[48:49]
	v_div_scale_f64 v[52:53], vcc, 1.0, v[38:39], 1.0
	v_fma_f64 v[54:55], -v[48:49], v[50:51], 1.0
	v_fmac_f64_e32 v[50:51], v[50:51], v[54:55]
	v_fma_f64 v[54:55], -v[48:49], v[50:51], 1.0
	v_fmac_f64_e32 v[50:51], v[50:51], v[54:55]
	v_mul_f64 v[54:55], v[52:53], v[50:51]
	v_fma_f64 v[48:49], -v[48:49], v[54:55], v[52:53]
	v_div_fmas_f64 v[48:49], v[48:49], v[50:51], v[54:55]
	v_div_fixup_f64 v[38:39], v[48:49], v[38:39], 1.0
; %bb.138:
	s_or_b64 exec, exec, s[0:1]
	v_cmp_ne_u32_e32 vcc, v43, v40
	s_and_saveexec_b64 s[0:1], vcc
	s_xor_b64 s[0:1], exec, s[0:1]
	s_cbranch_execz .LBB32_144
; %bb.139:
	v_cmp_eq_u32_e32 vcc, 8, v43
	s_and_saveexec_b64 s[2:3], vcc
	s_cbranch_execz .LBB32_143
; %bb.140:
	v_cmp_ne_u32_e32 vcc, 8, v40
	s_xor_b64 s[14:15], s[6:7], -1
	s_and_b64 s[16:17], s[14:15], vcc
	s_and_saveexec_b64 s[14:15], s[16:17]
	s_cbranch_execz .LBB32_142
; %bb.141:
	v_ashrrev_i32_e32 v41, 31, v40
	v_lshlrev_b64 v[48:49], 2, v[40:41]
	v_add_co_u32_e32 v48, vcc, v34, v48
	v_addc_co_u32_e32 v49, vcc, v35, v49, vcc
	flat_load_dword v41, v[48:49]
	flat_load_dword v43, v[34:35] offset:32
	s_waitcnt vmcnt(0) lgkmcnt(0)
	flat_store_dword v[34:35], v41 offset:32
	flat_store_dword v[48:49], v43
.LBB32_142:
	s_or_b64 exec, exec, s[14:15]
	v_mov_b32_e32 v41, v40
	v_mov_b32_e32 v43, v40
.LBB32_143:
	s_or_b64 exec, exec, s[2:3]
.LBB32_144:
	s_andn2_saveexec_b64 s[0:1], s[0:1]
	s_cbranch_execz .LBB32_146
; %bb.145:
	v_mov_b32_e32 v43, 8
	ds_write2_b64 v42, v[24:25], v[16:17] offset0:9 offset1:10
	ds_write2_b64 v42, v[8:9], v[32:33] offset0:11 offset1:12
	;; [unrolled: 1-line block ×4, first 2 shown]
.LBB32_146:
	s_or_b64 exec, exec, s[0:1]
	v_cmp_lt_i32_e32 vcc, 8, v43
	s_waitcnt lgkmcnt(0)
	s_barrier
	s_and_saveexec_b64 s[0:1], vcc
	s_cbranch_execz .LBB32_148
; %bb.147:
	ds_read2_b64 v[48:51], v42 offset0:9 offset1:10
	ds_read2_b64 v[52:55], v42 offset0:11 offset1:12
	v_mul_f64 v[30:31], v[38:39], v[30:31]
	ds_read2_b64 v[56:59], v42 offset0:13 offset1:14
	s_waitcnt lgkmcnt(0)
	v_fma_f64 v[24:25], -v[30:31], v[48:49], v[24:25]
	v_fma_f64 v[16:17], -v[30:31], v[50:51], v[16:17]
	ds_read2_b64 v[48:51], v42 offset0:15 offset1:16
	v_fma_f64 v[8:9], -v[30:31], v[52:53], v[8:9]
	v_fma_f64 v[32:33], -v[30:31], v[54:55], v[32:33]
	;; [unrolled: 1-line block ×4, first 2 shown]
	s_waitcnt lgkmcnt(0)
	v_fma_f64 v[14:15], -v[30:31], v[48:49], v[14:15]
	v_fma_f64 v[36:37], -v[30:31], v[50:51], v[36:37]
.LBB32_148:
	s_or_b64 exec, exec, s[0:1]
	v_lshl_add_u32 v38, v43, 3, v42
	s_barrier
	ds_write_b64 v38, v[24:25]
	s_waitcnt lgkmcnt(0)
	s_barrier
	ds_read_b64 v[38:39], v42 offset:72
	s_cmp_lt_i32 s12, 11
	v_mov_b32_e32 v40, 9
	s_cbranch_scc1 .LBB32_151
; %bb.149:
	v_add_u32_e32 v47, 0x50, v42
	s_mov_b32 s0, 10
	v_mov_b32_e32 v40, 9
.LBB32_150:                             ; =>This Inner Loop Header: Depth=1
	ds_read_b64 v[48:49], v47
	v_mov_b32_e32 v50, s0
	s_add_i32 s0, s0, 1
	v_add_u32_e32 v47, 8, v47
	s_cmp_lg_u32 s12, s0
	s_waitcnt lgkmcnt(0)
	v_cmp_lt_f64_e64 vcc, |v[38:39]|, |v[48:49]|
	v_cndmask_b32_e32 v39, v39, v49, vcc
	v_cndmask_b32_e32 v38, v38, v48, vcc
	v_cndmask_b32_e32 v40, v40, v50, vcc
	s_cbranch_scc1 .LBB32_150
.LBB32_151:
	s_waitcnt lgkmcnt(0)
	v_cmp_eq_f64_e32 vcc, 0, v[38:39]
	s_and_saveexec_b64 s[0:1], vcc
	s_xor_b64 s[0:1], exec, s[0:1]
; %bb.152:
	v_cmp_ne_u32_e32 vcc, 0, v46
	v_cndmask_b32_e32 v46, 10, v46, vcc
; %bb.153:
	s_andn2_saveexec_b64 s[0:1], s[0:1]
; %bb.154:
	v_div_scale_f64 v[48:49], s[2:3], v[38:39], v[38:39], 1.0
	v_rcp_f64_e32 v[50:51], v[48:49]
	v_div_scale_f64 v[52:53], vcc, 1.0, v[38:39], 1.0
	v_fma_f64 v[54:55], -v[48:49], v[50:51], 1.0
	v_fmac_f64_e32 v[50:51], v[50:51], v[54:55]
	v_fma_f64 v[54:55], -v[48:49], v[50:51], 1.0
	v_fmac_f64_e32 v[50:51], v[50:51], v[54:55]
	v_mul_f64 v[54:55], v[52:53], v[50:51]
	v_fma_f64 v[48:49], -v[48:49], v[54:55], v[52:53]
	v_div_fmas_f64 v[48:49], v[48:49], v[50:51], v[54:55]
	v_div_fixup_f64 v[38:39], v[48:49], v[38:39], 1.0
; %bb.155:
	s_or_b64 exec, exec, s[0:1]
	v_cmp_ne_u32_e32 vcc, v43, v40
	s_and_saveexec_b64 s[0:1], vcc
	s_xor_b64 s[0:1], exec, s[0:1]
	s_cbranch_execz .LBB32_161
; %bb.156:
	v_cmp_eq_u32_e32 vcc, 9, v43
	s_and_saveexec_b64 s[2:3], vcc
	s_cbranch_execz .LBB32_160
; %bb.157:
	v_cmp_ne_u32_e32 vcc, 9, v40
	s_xor_b64 s[14:15], s[6:7], -1
	s_and_b64 s[16:17], s[14:15], vcc
	s_and_saveexec_b64 s[14:15], s[16:17]
	s_cbranch_execz .LBB32_159
; %bb.158:
	v_ashrrev_i32_e32 v41, 31, v40
	v_lshlrev_b64 v[48:49], 2, v[40:41]
	v_add_co_u32_e32 v48, vcc, v34, v48
	v_addc_co_u32_e32 v49, vcc, v35, v49, vcc
	flat_load_dword v41, v[48:49]
	flat_load_dword v43, v[34:35] offset:36
	s_waitcnt vmcnt(0) lgkmcnt(0)
	flat_store_dword v[34:35], v41 offset:36
	flat_store_dword v[48:49], v43
.LBB32_159:
	s_or_b64 exec, exec, s[14:15]
	v_mov_b32_e32 v41, v40
	v_mov_b32_e32 v43, v40
.LBB32_160:
	s_or_b64 exec, exec, s[2:3]
.LBB32_161:
	s_andn2_saveexec_b64 s[0:1], s[0:1]
	s_cbranch_execz .LBB32_163
; %bb.162:
	v_mov_b32_e32 v48, v16
	v_mov_b32_e32 v49, v17
	;; [unrolled: 1-line block ×4, first 2 shown]
	ds_write2_b64 v42, v[48:49], v[50:51] offset0:10 offset1:11
	v_mov_b32_e32 v48, v32
	v_mov_b32_e32 v49, v33
	;; [unrolled: 1-line block ×4, first 2 shown]
	ds_write2_b64 v42, v[48:49], v[50:51] offset0:12 offset1:13
	v_mov_b32_e32 v48, v22
	v_mov_b32_e32 v49, v23
	;; [unrolled: 1-line block ×5, first 2 shown]
	ds_write2_b64 v42, v[48:49], v[50:51] offset0:14 offset1:15
	ds_write_b64 v42, v[36:37] offset:128
.LBB32_163:
	s_or_b64 exec, exec, s[0:1]
	v_cmp_lt_i32_e32 vcc, 9, v43
	s_waitcnt lgkmcnt(0)
	s_barrier
	s_and_saveexec_b64 s[0:1], vcc
	s_cbranch_execz .LBB32_165
; %bb.164:
	ds_read2_b64 v[48:51], v42 offset0:10 offset1:11
	ds_read2_b64 v[52:55], v42 offset0:12 offset1:13
	v_mul_f64 v[24:25], v[38:39], v[24:25]
	ds_read2_b64 v[56:59], v42 offset0:14 offset1:15
	ds_read_b64 v[38:39], v42 offset:128
	s_waitcnt lgkmcnt(0)
	v_fma_f64 v[16:17], -v[24:25], v[48:49], v[16:17]
	v_fma_f64 v[8:9], -v[24:25], v[50:51], v[8:9]
	;; [unrolled: 1-line block ×7, first 2 shown]
.LBB32_165:
	s_or_b64 exec, exec, s[0:1]
	v_lshl_add_u32 v38, v43, 3, v42
	s_barrier
	ds_write_b64 v38, v[16:17]
	s_waitcnt lgkmcnt(0)
	s_barrier
	ds_read_b64 v[38:39], v42 offset:80
	s_cmp_lt_i32 s12, 12
	v_mov_b32_e32 v40, 10
	s_cbranch_scc1 .LBB32_168
; %bb.166:
	v_add_u32_e32 v47, 0x58, v42
	s_mov_b32 s0, 11
	v_mov_b32_e32 v40, 10
.LBB32_167:                             ; =>This Inner Loop Header: Depth=1
	ds_read_b64 v[48:49], v47
	v_mov_b32_e32 v50, s0
	s_add_i32 s0, s0, 1
	v_add_u32_e32 v47, 8, v47
	s_cmp_lg_u32 s12, s0
	s_waitcnt lgkmcnt(0)
	v_cmp_lt_f64_e64 vcc, |v[38:39]|, |v[48:49]|
	v_cndmask_b32_e32 v39, v39, v49, vcc
	v_cndmask_b32_e32 v38, v38, v48, vcc
	;; [unrolled: 1-line block ×3, first 2 shown]
	s_cbranch_scc1 .LBB32_167
.LBB32_168:
	s_waitcnt lgkmcnt(0)
	v_cmp_eq_f64_e32 vcc, 0, v[38:39]
	s_and_saveexec_b64 s[0:1], vcc
	s_xor_b64 s[0:1], exec, s[0:1]
; %bb.169:
	v_cmp_ne_u32_e32 vcc, 0, v46
	v_cndmask_b32_e32 v46, 11, v46, vcc
; %bb.170:
	s_andn2_saveexec_b64 s[0:1], s[0:1]
; %bb.171:
	v_div_scale_f64 v[48:49], s[2:3], v[38:39], v[38:39], 1.0
	v_rcp_f64_e32 v[50:51], v[48:49]
	v_div_scale_f64 v[52:53], vcc, 1.0, v[38:39], 1.0
	v_fma_f64 v[54:55], -v[48:49], v[50:51], 1.0
	v_fmac_f64_e32 v[50:51], v[50:51], v[54:55]
	v_fma_f64 v[54:55], -v[48:49], v[50:51], 1.0
	v_fmac_f64_e32 v[50:51], v[50:51], v[54:55]
	v_mul_f64 v[54:55], v[52:53], v[50:51]
	v_fma_f64 v[48:49], -v[48:49], v[54:55], v[52:53]
	v_div_fmas_f64 v[48:49], v[48:49], v[50:51], v[54:55]
	v_div_fixup_f64 v[38:39], v[48:49], v[38:39], 1.0
; %bb.172:
	s_or_b64 exec, exec, s[0:1]
	v_cmp_ne_u32_e32 vcc, v43, v40
	s_and_saveexec_b64 s[0:1], vcc
	s_xor_b64 s[0:1], exec, s[0:1]
	s_cbranch_execz .LBB32_178
; %bb.173:
	v_cmp_eq_u32_e32 vcc, 10, v43
	s_and_saveexec_b64 s[2:3], vcc
	s_cbranch_execz .LBB32_177
; %bb.174:
	v_cmp_ne_u32_e32 vcc, 10, v40
	s_xor_b64 s[14:15], s[6:7], -1
	s_and_b64 s[16:17], s[14:15], vcc
	s_and_saveexec_b64 s[14:15], s[16:17]
	s_cbranch_execz .LBB32_176
; %bb.175:
	v_ashrrev_i32_e32 v41, 31, v40
	v_lshlrev_b64 v[48:49], 2, v[40:41]
	v_add_co_u32_e32 v48, vcc, v34, v48
	v_addc_co_u32_e32 v49, vcc, v35, v49, vcc
	flat_load_dword v41, v[48:49]
	flat_load_dword v43, v[34:35] offset:40
	s_waitcnt vmcnt(0) lgkmcnt(0)
	flat_store_dword v[34:35], v41 offset:40
	flat_store_dword v[48:49], v43
.LBB32_176:
	s_or_b64 exec, exec, s[14:15]
	v_mov_b32_e32 v41, v40
	v_mov_b32_e32 v43, v40
.LBB32_177:
	s_or_b64 exec, exec, s[2:3]
.LBB32_178:
	s_andn2_saveexec_b64 s[0:1], s[0:1]
	s_cbranch_execz .LBB32_180
; %bb.179:
	v_mov_b32_e32 v43, 10
	ds_write2_b64 v42, v[8:9], v[32:33] offset0:11 offset1:12
	ds_write2_b64 v42, v[28:29], v[22:23] offset0:13 offset1:14
	;; [unrolled: 1-line block ×3, first 2 shown]
.LBB32_180:
	s_or_b64 exec, exec, s[0:1]
	v_cmp_lt_i32_e32 vcc, 10, v43
	s_waitcnt lgkmcnt(0)
	s_barrier
	s_and_saveexec_b64 s[0:1], vcc
	s_cbranch_execz .LBB32_182
; %bb.181:
	ds_read2_b64 v[48:51], v42 offset0:11 offset1:12
	ds_read2_b64 v[52:55], v42 offset0:13 offset1:14
	;; [unrolled: 1-line block ×3, first 2 shown]
	v_mul_f64 v[16:17], v[38:39], v[16:17]
	s_waitcnt lgkmcnt(0)
	v_fma_f64 v[8:9], -v[16:17], v[48:49], v[8:9]
	v_fma_f64 v[32:33], -v[16:17], v[50:51], v[32:33]
	;; [unrolled: 1-line block ×6, first 2 shown]
.LBB32_182:
	s_or_b64 exec, exec, s[0:1]
	v_lshl_add_u32 v38, v43, 3, v42
	s_barrier
	ds_write_b64 v38, v[8:9]
	s_waitcnt lgkmcnt(0)
	s_barrier
	ds_read_b64 v[38:39], v42 offset:88
	s_cmp_lt_i32 s12, 13
	v_mov_b32_e32 v40, 11
	s_cbranch_scc1 .LBB32_185
; %bb.183:
	v_add_u32_e32 v47, 0x60, v42
	s_mov_b32 s0, 12
	v_mov_b32_e32 v40, 11
.LBB32_184:                             ; =>This Inner Loop Header: Depth=1
	ds_read_b64 v[48:49], v47
	v_mov_b32_e32 v50, s0
	s_add_i32 s0, s0, 1
	v_add_u32_e32 v47, 8, v47
	s_cmp_lg_u32 s12, s0
	s_waitcnt lgkmcnt(0)
	v_cmp_lt_f64_e64 vcc, |v[38:39]|, |v[48:49]|
	v_cndmask_b32_e32 v39, v39, v49, vcc
	v_cndmask_b32_e32 v38, v38, v48, vcc
	v_cndmask_b32_e32 v40, v40, v50, vcc
	s_cbranch_scc1 .LBB32_184
.LBB32_185:
	s_waitcnt lgkmcnt(0)
	v_cmp_eq_f64_e32 vcc, 0, v[38:39]
	s_and_saveexec_b64 s[0:1], vcc
	s_xor_b64 s[0:1], exec, s[0:1]
; %bb.186:
	v_cmp_ne_u32_e32 vcc, 0, v46
	v_cndmask_b32_e32 v46, 12, v46, vcc
; %bb.187:
	s_andn2_saveexec_b64 s[0:1], s[0:1]
; %bb.188:
	v_div_scale_f64 v[48:49], s[2:3], v[38:39], v[38:39], 1.0
	v_rcp_f64_e32 v[50:51], v[48:49]
	v_div_scale_f64 v[52:53], vcc, 1.0, v[38:39], 1.0
	v_fma_f64 v[54:55], -v[48:49], v[50:51], 1.0
	v_fmac_f64_e32 v[50:51], v[50:51], v[54:55]
	v_fma_f64 v[54:55], -v[48:49], v[50:51], 1.0
	v_fmac_f64_e32 v[50:51], v[50:51], v[54:55]
	v_mul_f64 v[54:55], v[52:53], v[50:51]
	v_fma_f64 v[48:49], -v[48:49], v[54:55], v[52:53]
	v_div_fmas_f64 v[48:49], v[48:49], v[50:51], v[54:55]
	v_div_fixup_f64 v[38:39], v[48:49], v[38:39], 1.0
; %bb.189:
	s_or_b64 exec, exec, s[0:1]
	v_cmp_ne_u32_e32 vcc, v43, v40
	s_and_saveexec_b64 s[0:1], vcc
	s_xor_b64 s[0:1], exec, s[0:1]
	s_cbranch_execz .LBB32_195
; %bb.190:
	v_cmp_eq_u32_e32 vcc, 11, v43
	s_and_saveexec_b64 s[2:3], vcc
	s_cbranch_execz .LBB32_194
; %bb.191:
	v_cmp_ne_u32_e32 vcc, 11, v40
	s_xor_b64 s[14:15], s[6:7], -1
	s_and_b64 s[16:17], s[14:15], vcc
	s_and_saveexec_b64 s[14:15], s[16:17]
	s_cbranch_execz .LBB32_193
; %bb.192:
	v_ashrrev_i32_e32 v41, 31, v40
	v_lshlrev_b64 v[48:49], 2, v[40:41]
	v_add_co_u32_e32 v48, vcc, v34, v48
	v_addc_co_u32_e32 v49, vcc, v35, v49, vcc
	flat_load_dword v41, v[48:49]
	flat_load_dword v43, v[34:35] offset:44
	s_waitcnt vmcnt(0) lgkmcnt(0)
	flat_store_dword v[34:35], v41 offset:44
	flat_store_dword v[48:49], v43
.LBB32_193:
	s_or_b64 exec, exec, s[14:15]
	v_mov_b32_e32 v41, v40
	v_mov_b32_e32 v43, v40
.LBB32_194:
	s_or_b64 exec, exec, s[2:3]
.LBB32_195:
	s_andn2_saveexec_b64 s[0:1], s[0:1]
	s_cbranch_execz .LBB32_197
; %bb.196:
	v_mov_b32_e32 v48, v32
	v_mov_b32_e32 v49, v33
	v_mov_b32_e32 v50, v28
	v_mov_b32_e32 v51, v29
	ds_write2_b64 v42, v[48:49], v[50:51] offset0:12 offset1:13
	v_mov_b32_e32 v48, v22
	v_mov_b32_e32 v49, v23
	;; [unrolled: 1-line block ×5, first 2 shown]
	ds_write2_b64 v42, v[48:49], v[50:51] offset0:14 offset1:15
	ds_write_b64 v42, v[36:37] offset:128
.LBB32_197:
	s_or_b64 exec, exec, s[0:1]
	v_cmp_lt_i32_e32 vcc, 11, v43
	s_waitcnt lgkmcnt(0)
	s_barrier
	s_and_saveexec_b64 s[0:1], vcc
	s_cbranch_execz .LBB32_199
; %bb.198:
	ds_read2_b64 v[48:51], v42 offset0:12 offset1:13
	ds_read2_b64 v[52:55], v42 offset0:14 offset1:15
	v_mul_f64 v[8:9], v[38:39], v[8:9]
	ds_read_b64 v[38:39], v42 offset:128
	s_waitcnt lgkmcnt(0)
	v_fma_f64 v[32:33], -v[8:9], v[48:49], v[32:33]
	v_fma_f64 v[28:29], -v[8:9], v[50:51], v[28:29]
	;; [unrolled: 1-line block ×5, first 2 shown]
.LBB32_199:
	s_or_b64 exec, exec, s[0:1]
	v_lshl_add_u32 v38, v43, 3, v42
	s_barrier
	ds_write_b64 v38, v[32:33]
	s_waitcnt lgkmcnt(0)
	s_barrier
	ds_read_b64 v[38:39], v42 offset:96
	s_cmp_lt_i32 s12, 14
	v_mov_b32_e32 v40, 12
	s_cbranch_scc1 .LBB32_202
; %bb.200:
	v_add_u32_e32 v47, 0x68, v42
	s_mov_b32 s0, 13
	v_mov_b32_e32 v40, 12
.LBB32_201:                             ; =>This Inner Loop Header: Depth=1
	ds_read_b64 v[48:49], v47
	v_mov_b32_e32 v50, s0
	s_add_i32 s0, s0, 1
	v_add_u32_e32 v47, 8, v47
	s_cmp_lg_u32 s12, s0
	s_waitcnt lgkmcnt(0)
	v_cmp_lt_f64_e64 vcc, |v[38:39]|, |v[48:49]|
	v_cndmask_b32_e32 v39, v39, v49, vcc
	v_cndmask_b32_e32 v38, v38, v48, vcc
	;; [unrolled: 1-line block ×3, first 2 shown]
	s_cbranch_scc1 .LBB32_201
.LBB32_202:
	s_waitcnt lgkmcnt(0)
	v_cmp_eq_f64_e32 vcc, 0, v[38:39]
	s_and_saveexec_b64 s[0:1], vcc
	s_xor_b64 s[0:1], exec, s[0:1]
; %bb.203:
	v_cmp_ne_u32_e32 vcc, 0, v46
	v_cndmask_b32_e32 v46, 13, v46, vcc
; %bb.204:
	s_andn2_saveexec_b64 s[0:1], s[0:1]
; %bb.205:
	v_div_scale_f64 v[48:49], s[2:3], v[38:39], v[38:39], 1.0
	v_rcp_f64_e32 v[50:51], v[48:49]
	v_div_scale_f64 v[52:53], vcc, 1.0, v[38:39], 1.0
	v_fma_f64 v[54:55], -v[48:49], v[50:51], 1.0
	v_fmac_f64_e32 v[50:51], v[50:51], v[54:55]
	v_fma_f64 v[54:55], -v[48:49], v[50:51], 1.0
	v_fmac_f64_e32 v[50:51], v[50:51], v[54:55]
	v_mul_f64 v[54:55], v[52:53], v[50:51]
	v_fma_f64 v[48:49], -v[48:49], v[54:55], v[52:53]
	v_div_fmas_f64 v[48:49], v[48:49], v[50:51], v[54:55]
	v_div_fixup_f64 v[38:39], v[48:49], v[38:39], 1.0
; %bb.206:
	s_or_b64 exec, exec, s[0:1]
	v_cmp_ne_u32_e32 vcc, v43, v40
	s_and_saveexec_b64 s[0:1], vcc
	s_xor_b64 s[0:1], exec, s[0:1]
	s_cbranch_execz .LBB32_212
; %bb.207:
	v_cmp_eq_u32_e32 vcc, 12, v43
	s_and_saveexec_b64 s[2:3], vcc
	s_cbranch_execz .LBB32_211
; %bb.208:
	v_cmp_ne_u32_e32 vcc, 12, v40
	s_xor_b64 s[14:15], s[6:7], -1
	s_and_b64 s[16:17], s[14:15], vcc
	s_and_saveexec_b64 s[14:15], s[16:17]
	s_cbranch_execz .LBB32_210
; %bb.209:
	v_ashrrev_i32_e32 v41, 31, v40
	v_lshlrev_b64 v[48:49], 2, v[40:41]
	v_add_co_u32_e32 v48, vcc, v34, v48
	v_addc_co_u32_e32 v49, vcc, v35, v49, vcc
	flat_load_dword v41, v[48:49]
	flat_load_dword v43, v[34:35] offset:48
	s_waitcnt vmcnt(0) lgkmcnt(0)
	flat_store_dword v[34:35], v41 offset:48
	flat_store_dword v[48:49], v43
.LBB32_210:
	s_or_b64 exec, exec, s[14:15]
	v_mov_b32_e32 v41, v40
	v_mov_b32_e32 v43, v40
.LBB32_211:
	s_or_b64 exec, exec, s[2:3]
.LBB32_212:
	s_andn2_saveexec_b64 s[0:1], s[0:1]
	s_cbranch_execz .LBB32_214
; %bb.213:
	v_mov_b32_e32 v43, 12
	ds_write2_b64 v42, v[28:29], v[22:23] offset0:13 offset1:14
	ds_write2_b64 v42, v[14:15], v[36:37] offset0:15 offset1:16
.LBB32_214:
	s_or_b64 exec, exec, s[0:1]
	v_cmp_lt_i32_e32 vcc, 12, v43
	s_waitcnt lgkmcnt(0)
	s_barrier
	s_and_saveexec_b64 s[0:1], vcc
	s_cbranch_execz .LBB32_216
; %bb.215:
	ds_read2_b64 v[48:51], v42 offset0:13 offset1:14
	ds_read2_b64 v[52:55], v42 offset0:15 offset1:16
	v_mul_f64 v[32:33], v[38:39], v[32:33]
	s_waitcnt lgkmcnt(0)
	v_fma_f64 v[28:29], -v[32:33], v[48:49], v[28:29]
	v_fma_f64 v[22:23], -v[32:33], v[50:51], v[22:23]
	;; [unrolled: 1-line block ×4, first 2 shown]
.LBB32_216:
	s_or_b64 exec, exec, s[0:1]
	v_lshl_add_u32 v38, v43, 3, v42
	s_barrier
	ds_write_b64 v38, v[28:29]
	s_waitcnt lgkmcnt(0)
	s_barrier
	ds_read_b64 v[38:39], v42 offset:104
	s_cmp_lt_i32 s12, 15
	v_mov_b32_e32 v40, 13
	s_cbranch_scc1 .LBB32_219
; %bb.217:
	v_add_u32_e32 v47, 0x70, v42
	s_mov_b32 s0, 14
	v_mov_b32_e32 v40, 13
.LBB32_218:                             ; =>This Inner Loop Header: Depth=1
	ds_read_b64 v[48:49], v47
	v_mov_b32_e32 v50, s0
	s_add_i32 s0, s0, 1
	v_add_u32_e32 v47, 8, v47
	s_cmp_lg_u32 s12, s0
	s_waitcnt lgkmcnt(0)
	v_cmp_lt_f64_e64 vcc, |v[38:39]|, |v[48:49]|
	v_cndmask_b32_e32 v39, v39, v49, vcc
	v_cndmask_b32_e32 v38, v38, v48, vcc
	;; [unrolled: 1-line block ×3, first 2 shown]
	s_cbranch_scc1 .LBB32_218
.LBB32_219:
	s_waitcnt lgkmcnt(0)
	v_cmp_eq_f64_e32 vcc, 0, v[38:39]
	s_and_saveexec_b64 s[0:1], vcc
	s_xor_b64 s[0:1], exec, s[0:1]
; %bb.220:
	v_cmp_ne_u32_e32 vcc, 0, v46
	v_cndmask_b32_e32 v46, 14, v46, vcc
; %bb.221:
	s_andn2_saveexec_b64 s[0:1], s[0:1]
; %bb.222:
	v_div_scale_f64 v[48:49], s[2:3], v[38:39], v[38:39], 1.0
	v_rcp_f64_e32 v[50:51], v[48:49]
	v_div_scale_f64 v[52:53], vcc, 1.0, v[38:39], 1.0
	v_fma_f64 v[54:55], -v[48:49], v[50:51], 1.0
	v_fmac_f64_e32 v[50:51], v[50:51], v[54:55]
	v_fma_f64 v[54:55], -v[48:49], v[50:51], 1.0
	v_fmac_f64_e32 v[50:51], v[50:51], v[54:55]
	v_mul_f64 v[54:55], v[52:53], v[50:51]
	v_fma_f64 v[48:49], -v[48:49], v[54:55], v[52:53]
	v_div_fmas_f64 v[48:49], v[48:49], v[50:51], v[54:55]
	v_div_fixup_f64 v[38:39], v[48:49], v[38:39], 1.0
; %bb.223:
	s_or_b64 exec, exec, s[0:1]
	v_cmp_ne_u32_e32 vcc, v43, v40
	s_and_saveexec_b64 s[0:1], vcc
	s_xor_b64 s[0:1], exec, s[0:1]
	s_cbranch_execz .LBB32_229
; %bb.224:
	v_cmp_eq_u32_e32 vcc, 13, v43
	s_and_saveexec_b64 s[2:3], vcc
	s_cbranch_execz .LBB32_228
; %bb.225:
	v_cmp_ne_u32_e32 vcc, 13, v40
	s_xor_b64 s[14:15], s[6:7], -1
	s_and_b64 s[16:17], s[14:15], vcc
	s_and_saveexec_b64 s[14:15], s[16:17]
	s_cbranch_execz .LBB32_227
; %bb.226:
	v_ashrrev_i32_e32 v41, 31, v40
	v_lshlrev_b64 v[48:49], 2, v[40:41]
	v_add_co_u32_e32 v48, vcc, v34, v48
	v_addc_co_u32_e32 v49, vcc, v35, v49, vcc
	flat_load_dword v41, v[48:49]
	flat_load_dword v43, v[34:35] offset:52
	s_waitcnt vmcnt(0) lgkmcnt(0)
	flat_store_dword v[34:35], v41 offset:52
	flat_store_dword v[48:49], v43
.LBB32_227:
	s_or_b64 exec, exec, s[14:15]
	v_mov_b32_e32 v41, v40
	v_mov_b32_e32 v43, v40
.LBB32_228:
	s_or_b64 exec, exec, s[2:3]
.LBB32_229:
	s_andn2_saveexec_b64 s[0:1], s[0:1]
	s_cbranch_execz .LBB32_231
; %bb.230:
	v_mov_b32_e32 v48, v22
	v_mov_b32_e32 v49, v23
	;; [unrolled: 1-line block ×5, first 2 shown]
	ds_write2_b64 v42, v[48:49], v[50:51] offset0:14 offset1:15
	ds_write_b64 v42, v[36:37] offset:128
.LBB32_231:
	s_or_b64 exec, exec, s[0:1]
	v_cmp_lt_i32_e32 vcc, 13, v43
	s_waitcnt lgkmcnt(0)
	s_barrier
	s_and_saveexec_b64 s[0:1], vcc
	s_cbranch_execz .LBB32_233
; %bb.232:
	ds_read2_b64 v[48:51], v42 offset0:14 offset1:15
	ds_read_b64 v[52:53], v42 offset:128
	v_mul_f64 v[28:29], v[38:39], v[28:29]
	s_waitcnt lgkmcnt(0)
	v_fma_f64 v[22:23], -v[28:29], v[48:49], v[22:23]
	v_fma_f64 v[14:15], -v[28:29], v[50:51], v[14:15]
	;; [unrolled: 1-line block ×3, first 2 shown]
.LBB32_233:
	s_or_b64 exec, exec, s[0:1]
	v_lshl_add_u32 v38, v43, 3, v42
	s_barrier
	ds_write_b64 v38, v[22:23]
	s_waitcnt lgkmcnt(0)
	s_barrier
	ds_read_b64 v[38:39], v42 offset:112
	s_cmp_lt_i32 s12, 16
	v_mov_b32_e32 v40, 14
	s_cbranch_scc1 .LBB32_236
; %bb.234:
	v_add_u32_e32 v47, 0x78, v42
	s_mov_b32 s0, 15
	v_mov_b32_e32 v40, 14
.LBB32_235:                             ; =>This Inner Loop Header: Depth=1
	ds_read_b64 v[48:49], v47
	v_mov_b32_e32 v50, s0
	s_add_i32 s0, s0, 1
	v_add_u32_e32 v47, 8, v47
	s_cmp_lg_u32 s12, s0
	s_waitcnt lgkmcnt(0)
	v_cmp_lt_f64_e64 vcc, |v[38:39]|, |v[48:49]|
	v_cndmask_b32_e32 v39, v39, v49, vcc
	v_cndmask_b32_e32 v38, v38, v48, vcc
	v_cndmask_b32_e32 v40, v40, v50, vcc
	s_cbranch_scc1 .LBB32_235
.LBB32_236:
	s_waitcnt lgkmcnt(0)
	v_cmp_eq_f64_e32 vcc, 0, v[38:39]
	s_and_saveexec_b64 s[0:1], vcc
	s_xor_b64 s[0:1], exec, s[0:1]
; %bb.237:
	v_cmp_ne_u32_e32 vcc, 0, v46
	v_cndmask_b32_e32 v46, 15, v46, vcc
; %bb.238:
	s_andn2_saveexec_b64 s[0:1], s[0:1]
; %bb.239:
	v_div_scale_f64 v[48:49], s[2:3], v[38:39], v[38:39], 1.0
	v_rcp_f64_e32 v[50:51], v[48:49]
	v_div_scale_f64 v[52:53], vcc, 1.0, v[38:39], 1.0
	v_fma_f64 v[54:55], -v[48:49], v[50:51], 1.0
	v_fmac_f64_e32 v[50:51], v[50:51], v[54:55]
	v_fma_f64 v[54:55], -v[48:49], v[50:51], 1.0
	v_fmac_f64_e32 v[50:51], v[50:51], v[54:55]
	v_mul_f64 v[54:55], v[52:53], v[50:51]
	v_fma_f64 v[48:49], -v[48:49], v[54:55], v[52:53]
	v_div_fmas_f64 v[48:49], v[48:49], v[50:51], v[54:55]
	v_div_fixup_f64 v[38:39], v[48:49], v[38:39], 1.0
; %bb.240:
	s_or_b64 exec, exec, s[0:1]
	v_cmp_ne_u32_e32 vcc, v43, v40
	s_and_saveexec_b64 s[0:1], vcc
	s_xor_b64 s[0:1], exec, s[0:1]
	s_cbranch_execz .LBB32_246
; %bb.241:
	v_cmp_eq_u32_e32 vcc, 14, v43
	s_and_saveexec_b64 s[2:3], vcc
	s_cbranch_execz .LBB32_245
; %bb.242:
	v_cmp_ne_u32_e32 vcc, 14, v40
	s_xor_b64 s[14:15], s[6:7], -1
	s_and_b64 s[16:17], s[14:15], vcc
	s_and_saveexec_b64 s[14:15], s[16:17]
	s_cbranch_execz .LBB32_244
; %bb.243:
	v_ashrrev_i32_e32 v41, 31, v40
	v_lshlrev_b64 v[48:49], 2, v[40:41]
	v_add_co_u32_e32 v48, vcc, v34, v48
	v_addc_co_u32_e32 v49, vcc, v35, v49, vcc
	flat_load_dword v41, v[48:49]
	flat_load_dword v43, v[34:35] offset:56
	s_waitcnt vmcnt(0) lgkmcnt(0)
	flat_store_dword v[34:35], v41 offset:56
	flat_store_dword v[48:49], v43
.LBB32_244:
	s_or_b64 exec, exec, s[14:15]
	v_mov_b32_e32 v41, v40
	v_mov_b32_e32 v43, v40
.LBB32_245:
	s_or_b64 exec, exec, s[2:3]
.LBB32_246:
	s_andn2_saveexec_b64 s[0:1], s[0:1]
	s_cbranch_execz .LBB32_248
; %bb.247:
	v_mov_b32_e32 v43, 14
	ds_write2_b64 v42, v[14:15], v[36:37] offset0:15 offset1:16
.LBB32_248:
	s_or_b64 exec, exec, s[0:1]
	v_cmp_lt_i32_e32 vcc, 14, v43
	s_waitcnt lgkmcnt(0)
	s_barrier
	s_and_saveexec_b64 s[0:1], vcc
	s_cbranch_execz .LBB32_250
; %bb.249:
	ds_read2_b64 v[48:51], v42 offset0:15 offset1:16
	v_mul_f64 v[22:23], v[38:39], v[22:23]
	s_waitcnt lgkmcnt(0)
	v_fma_f64 v[14:15], -v[22:23], v[48:49], v[14:15]
	v_fma_f64 v[36:37], -v[22:23], v[50:51], v[36:37]
.LBB32_250:
	s_or_b64 exec, exec, s[0:1]
	v_lshl_add_u32 v38, v43, 3, v42
	s_barrier
	ds_write_b64 v38, v[14:15]
	s_waitcnt lgkmcnt(0)
	s_barrier
	ds_read_b64 v[38:39], v42 offset:120
	s_cmp_lt_i32 s12, 17
	v_mov_b32_e32 v40, 15
	s_cbranch_scc1 .LBB32_253
; %bb.251:
	v_add_u32_e32 v47, 0x80, v42
	s_mov_b32 s0, 16
	v_mov_b32_e32 v40, 15
.LBB32_252:                             ; =>This Inner Loop Header: Depth=1
	ds_read_b64 v[48:49], v47
	v_mov_b32_e32 v50, s0
	s_add_i32 s0, s0, 1
	v_add_u32_e32 v47, 8, v47
	s_cmp_lg_u32 s12, s0
	s_waitcnt lgkmcnt(0)
	v_cmp_lt_f64_e64 vcc, |v[38:39]|, |v[48:49]|
	v_cndmask_b32_e32 v39, v39, v49, vcc
	v_cndmask_b32_e32 v38, v38, v48, vcc
	;; [unrolled: 1-line block ×3, first 2 shown]
	s_cbranch_scc1 .LBB32_252
.LBB32_253:
	s_waitcnt lgkmcnt(0)
	v_cmp_eq_f64_e32 vcc, 0, v[38:39]
	s_and_saveexec_b64 s[0:1], vcc
	s_xor_b64 s[0:1], exec, s[0:1]
; %bb.254:
	v_cmp_ne_u32_e32 vcc, 0, v46
	v_cndmask_b32_e32 v46, 16, v46, vcc
; %bb.255:
	s_andn2_saveexec_b64 s[0:1], s[0:1]
; %bb.256:
	v_div_scale_f64 v[48:49], s[2:3], v[38:39], v[38:39], 1.0
	v_rcp_f64_e32 v[50:51], v[48:49]
	v_div_scale_f64 v[52:53], vcc, 1.0, v[38:39], 1.0
	v_fma_f64 v[54:55], -v[48:49], v[50:51], 1.0
	v_fmac_f64_e32 v[50:51], v[50:51], v[54:55]
	v_fma_f64 v[54:55], -v[48:49], v[50:51], 1.0
	v_fmac_f64_e32 v[50:51], v[50:51], v[54:55]
	v_mul_f64 v[54:55], v[52:53], v[50:51]
	v_fma_f64 v[48:49], -v[48:49], v[54:55], v[52:53]
	v_div_fmas_f64 v[48:49], v[48:49], v[50:51], v[54:55]
	v_div_fixup_f64 v[38:39], v[48:49], v[38:39], 1.0
; %bb.257:
	s_or_b64 exec, exec, s[0:1]
	v_cmp_ne_u32_e32 vcc, v43, v40
	s_and_saveexec_b64 s[0:1], vcc
	s_xor_b64 s[0:1], exec, s[0:1]
	s_cbranch_execz .LBB32_263
; %bb.258:
	v_cmp_eq_u32_e32 vcc, 15, v43
	s_and_saveexec_b64 s[2:3], vcc
	s_cbranch_execz .LBB32_262
; %bb.259:
	v_cmp_ne_u32_e32 vcc, 15, v40
	s_xor_b64 s[14:15], s[6:7], -1
	s_and_b64 s[16:17], s[14:15], vcc
	s_and_saveexec_b64 s[14:15], s[16:17]
	s_cbranch_execz .LBB32_261
; %bb.260:
	v_ashrrev_i32_e32 v41, 31, v40
	v_lshlrev_b64 v[48:49], 2, v[40:41]
	v_add_co_u32_e32 v48, vcc, v34, v48
	v_addc_co_u32_e32 v49, vcc, v35, v49, vcc
	flat_load_dword v41, v[48:49]
	flat_load_dword v43, v[34:35] offset:60
	s_waitcnt vmcnt(0) lgkmcnt(0)
	flat_store_dword v[34:35], v41 offset:60
	flat_store_dword v[48:49], v43
.LBB32_261:
	s_or_b64 exec, exec, s[14:15]
	v_mov_b32_e32 v41, v40
	v_mov_b32_e32 v43, v40
.LBB32_262:
	s_or_b64 exec, exec, s[2:3]
.LBB32_263:
	s_andn2_saveexec_b64 s[0:1], s[0:1]
	s_cbranch_execz .LBB32_265
; %bb.264:
	v_mov_b32_e32 v43, 15
	ds_write_b64 v42, v[36:37] offset:128
.LBB32_265:
	s_or_b64 exec, exec, s[0:1]
	v_cmp_lt_i32_e32 vcc, 15, v43
	s_waitcnt lgkmcnt(0)
	s_barrier
	s_and_saveexec_b64 s[0:1], vcc
	s_cbranch_execz .LBB32_267
; %bb.266:
	ds_read_b64 v[48:49], v42 offset:128
	v_mul_f64 v[14:15], v[38:39], v[14:15]
	s_waitcnt lgkmcnt(0)
	v_fma_f64 v[36:37], -v[14:15], v[48:49], v[36:37]
.LBB32_267:
	s_or_b64 exec, exec, s[0:1]
	v_lshl_add_u32 v38, v43, 3, v42
	s_barrier
	ds_write_b64 v38, v[36:37]
	s_waitcnt lgkmcnt(0)
	s_barrier
	ds_read_b64 v[38:39], v42 offset:128
	s_cmp_lt_i32 s12, 18
	v_mov_b32_e32 v40, 16
	s_cbranch_scc1 .LBB32_270
; %bb.268:
	v_add_u32_e32 v42, 0x88, v42
	s_mov_b32 s0, 17
	v_mov_b32_e32 v40, 16
.LBB32_269:                             ; =>This Inner Loop Header: Depth=1
	ds_read_b64 v[48:49], v42
	v_mov_b32_e32 v47, s0
	s_add_i32 s0, s0, 1
	v_add_u32_e32 v42, 8, v42
	s_cmp_lg_u32 s12, s0
	s_waitcnt lgkmcnt(0)
	v_cmp_lt_f64_e64 vcc, |v[38:39]|, |v[48:49]|
	v_cndmask_b32_e32 v39, v39, v49, vcc
	v_cndmask_b32_e32 v38, v38, v48, vcc
	;; [unrolled: 1-line block ×3, first 2 shown]
	s_cbranch_scc1 .LBB32_269
.LBB32_270:
	s_waitcnt lgkmcnt(0)
	v_cmp_eq_f64_e32 vcc, 0, v[38:39]
	s_and_saveexec_b64 s[0:1], vcc
	s_xor_b64 s[0:1], exec, s[0:1]
; %bb.271:
	v_cmp_ne_u32_e32 vcc, 0, v46
	v_cndmask_b32_e32 v46, 17, v46, vcc
; %bb.272:
	s_andn2_saveexec_b64 s[0:1], s[0:1]
; %bb.273:
	v_div_scale_f64 v[48:49], s[2:3], v[38:39], v[38:39], 1.0
	v_rcp_f64_e32 v[50:51], v[48:49]
	v_div_scale_f64 v[52:53], vcc, 1.0, v[38:39], 1.0
	v_fma_f64 v[54:55], -v[48:49], v[50:51], 1.0
	v_fmac_f64_e32 v[50:51], v[50:51], v[54:55]
	v_fma_f64 v[54:55], -v[48:49], v[50:51], 1.0
	v_fmac_f64_e32 v[50:51], v[50:51], v[54:55]
	v_mul_f64 v[54:55], v[52:53], v[50:51]
	v_fma_f64 v[48:49], -v[48:49], v[54:55], v[52:53]
	v_div_fmas_f64 v[48:49], v[48:49], v[50:51], v[54:55]
	v_div_fixup_f64 v[38:39], v[48:49], v[38:39], 1.0
; %bb.274:
	s_or_b64 exec, exec, s[0:1]
	v_cmp_ne_u32_e32 vcc, v43, v40
	v_mov_b32_e32 v42, 16
	s_and_saveexec_b64 s[0:1], vcc
	s_cbranch_execz .LBB32_280
; %bb.275:
	v_cmp_eq_u32_e32 vcc, 16, v43
	s_and_saveexec_b64 s[2:3], vcc
	s_cbranch_execz .LBB32_279
; %bb.276:
	v_cmp_ne_u32_e32 vcc, 16, v40
	s_xor_b64 s[6:7], s[6:7], -1
	s_and_b64 s[14:15], s[6:7], vcc
	s_and_saveexec_b64 s[6:7], s[14:15]
	s_cbranch_execz .LBB32_278
; %bb.277:
	v_ashrrev_i32_e32 v41, 31, v40
	v_lshlrev_b64 v[42:43], 2, v[40:41]
	v_add_co_u32_e32 v42, vcc, v34, v42
	v_addc_co_u32_e32 v43, vcc, v35, v43, vcc
	flat_load_dword v41, v[42:43]
	flat_load_dword v47, v[34:35] offset:64
	s_waitcnt vmcnt(0) lgkmcnt(0)
	flat_store_dword v[34:35], v41 offset:64
	flat_store_dword v[42:43], v47
.LBB32_278:
	s_or_b64 exec, exec, s[6:7]
	v_mov_b32_e32 v41, v40
	v_mov_b32_e32 v43, v40
.LBB32_279:
	s_or_b64 exec, exec, s[2:3]
	v_mov_b32_e32 v42, v43
.LBB32_280:
	s_or_b64 exec, exec, s[0:1]
	s_load_dwordx8 s[0:7], s[4:5], 0x28
	v_cmp_gt_i32_e32 vcc, 17, v42
	v_ashrrev_i32_e32 v43, 31, v42
	s_waitcnt lgkmcnt(0)
	s_barrier
	s_barrier
	s_and_saveexec_b64 s[14:15], vcc
	s_cbranch_execz .LBB32_282
; %bb.281:
	v_mul_lo_u32 v40, v3, s4
	v_mul_lo_u32 v47, v2, s5
	v_mad_u64_u32 v[34:35], s[4:5], v2, s4, 0
	s_lshl_b64 s[2:3], s[2:3], 2
	v_add3_u32 v35, v35, v47, v40
	s_add_u32 s0, s2, s0
	v_lshlrev_b64 v[34:35], 2, v[34:35]
	s_addc_u32 s1, s3, s1
	v_mov_b32_e32 v40, s1
	v_add_co_u32_e32 v47, vcc, s0, v34
	v_addc_co_u32_e32 v40, vcc, v40, v35, vcc
	v_lshlrev_b64 v[34:35], 2, v[42:43]
	v_add_co_u32_e32 v34, vcc, v47, v34
	v_addc_co_u32_e32 v35, vcc, v40, v35, vcc
	v_add3_u32 v40, v41, s13, 1
	global_store_dword v[34:35], v40, off
.LBB32_282:
	s_or_b64 exec, exec, s[14:15]
	v_cmp_eq_u32_e32 vcc, 0, v42
	s_and_saveexec_b64 s[2:3], vcc
	s_cbranch_execz .LBB32_285
; %bb.283:
	v_lshlrev_b64 v[2:3], 2, v[2:3]
	v_mov_b32_e32 v34, s7
	v_add_co_u32_e32 v2, vcc, s6, v2
	v_addc_co_u32_e32 v3, vcc, v34, v3, vcc
	global_load_dword v34, v[2:3], off
	v_cmp_lt_i32_e64 s[0:1], 0, v46
	s_waitcnt vmcnt(0)
	v_cmp_eq_u32_e32 vcc, 0, v34
	s_and_b64 s[0:1], vcc, s[0:1]
	s_and_b64 exec, exec, s[0:1]
	s_cbranch_execz .LBB32_285
; %bb.284:
	v_add_u32_e32 v34, s13, v46
	global_store_dword v[2:3], v34, off
.LBB32_285:
	s_or_b64 exec, exec, s[2:3]
	v_mul_f64 v[2:3], v[38:39], v[36:37]
	v_cmp_lt_i32_e32 vcc, 16, v42
	v_lshlrev_b64 v[34:35], 3, v[42:43]
	v_cndmask_b32_e32 v3, v37, v3, vcc
	v_cndmask_b32_e32 v2, v36, v2, vcc
	v_add_co_u32_e32 v34, vcc, v44, v34
	v_addc_co_u32_e32 v35, vcc, v45, v35, vcc
	global_store_dwordx2 v[34:35], v[18:19], off
	v_mov_b32_e32 v19, s11
	v_add_co_u32_e32 v18, vcc, s10, v34
	v_addc_co_u32_e32 v19, vcc, v35, v19, vcc
	global_store_dwordx2 v[18:19], v[12:13], off
	v_add_u32_e32 v12, s9, v42
	v_ashrrev_i32_e32 v13, 31, v12
	v_lshlrev_b64 v[18:19], 3, v[12:13]
	v_add_co_u32_e32 v18, vcc, v44, v18
	v_addc_co_u32_e32 v19, vcc, v45, v19, vcc
	global_store_dwordx2 v[18:19], v[6:7], off
	v_add_u32_e32 v6, s8, v12
	v_ashrrev_i32_e32 v7, 31, v6
	v_lshlrev_b64 v[12:13], 3, v[6:7]
	;; [unrolled: 6-line block ×3, first 2 shown]
	v_add_co_u32_e32 v6, vcc, v44, v6
	v_add_u32_e32 v0, s8, v0
	v_addc_co_u32_e32 v7, vcc, v45, v7, vcc
	v_ashrrev_i32_e32 v1, 31, v0
	global_store_dwordx2 v[6:7], v[26:27], off
	v_lshlrev_b64 v[6:7], 3, v[0:1]
	v_add_co_u32_e32 v6, vcc, v44, v6
	v_add_u32_e32 v0, s8, v0
	v_addc_co_u32_e32 v7, vcc, v45, v7, vcc
	v_ashrrev_i32_e32 v1, 31, v0
	global_store_dwordx2 v[6:7], v[20:21], off
	v_lshlrev_b64 v[6:7], 3, v[0:1]
	;; [unrolled: 6-line block ×11, first 2 shown]
	v_add_u32_e32 v0, s8, v0
	v_add_co_u32_e32 v4, vcc, v44, v4
	v_ashrrev_i32_e32 v1, 31, v0
	v_addc_co_u32_e32 v5, vcc, v45, v5, vcc
	v_lshlrev_b64 v[0:1], 3, v[0:1]
	v_add_co_u32_e32 v0, vcc, v44, v0
	v_addc_co_u32_e32 v1, vcc, v45, v1, vcc
	global_store_dwordx2 v[4:5], v[14:15], off
	global_store_dwordx2 v[0:1], v[2:3], off
.LBB32_286:
	s_endpgm
	.section	.rodata,"a",@progbits
	.p2align	6, 0x0
	.amdhsa_kernel _ZN9rocsolver6v33100L18getf2_small_kernelILi17EdiiPKPdEEvT1_T3_lS5_lPS5_llPT2_S5_S5_S7_l
		.amdhsa_group_segment_fixed_size 0
		.amdhsa_private_segment_fixed_size 0
		.amdhsa_kernarg_size 352
		.amdhsa_user_sgpr_count 6
		.amdhsa_user_sgpr_private_segment_buffer 1
		.amdhsa_user_sgpr_dispatch_ptr 0
		.amdhsa_user_sgpr_queue_ptr 0
		.amdhsa_user_sgpr_kernarg_segment_ptr 1
		.amdhsa_user_sgpr_dispatch_id 0
		.amdhsa_user_sgpr_flat_scratch_init 0
		.amdhsa_user_sgpr_kernarg_preload_length 0
		.amdhsa_user_sgpr_kernarg_preload_offset 0
		.amdhsa_user_sgpr_private_segment_size 0
		.amdhsa_uses_dynamic_stack 0
		.amdhsa_system_sgpr_private_segment_wavefront_offset 0
		.amdhsa_system_sgpr_workgroup_id_x 1
		.amdhsa_system_sgpr_workgroup_id_y 1
		.amdhsa_system_sgpr_workgroup_id_z 0
		.amdhsa_system_sgpr_workgroup_info 0
		.amdhsa_system_vgpr_workitem_id 1
		.amdhsa_next_free_vgpr 60
		.amdhsa_next_free_sgpr 20
		.amdhsa_accum_offset 60
		.amdhsa_reserve_vcc 1
		.amdhsa_reserve_flat_scratch 0
		.amdhsa_float_round_mode_32 0
		.amdhsa_float_round_mode_16_64 0
		.amdhsa_float_denorm_mode_32 3
		.amdhsa_float_denorm_mode_16_64 3
		.amdhsa_dx10_clamp 1
		.amdhsa_ieee_mode 1
		.amdhsa_fp16_overflow 0
		.amdhsa_tg_split 0
		.amdhsa_exception_fp_ieee_invalid_op 0
		.amdhsa_exception_fp_denorm_src 0
		.amdhsa_exception_fp_ieee_div_zero 0
		.amdhsa_exception_fp_ieee_overflow 0
		.amdhsa_exception_fp_ieee_underflow 0
		.amdhsa_exception_fp_ieee_inexact 0
		.amdhsa_exception_int_div_zero 0
	.end_amdhsa_kernel
	.section	.text._ZN9rocsolver6v33100L18getf2_small_kernelILi17EdiiPKPdEEvT1_T3_lS5_lPS5_llPT2_S5_S5_S7_l,"axG",@progbits,_ZN9rocsolver6v33100L18getf2_small_kernelILi17EdiiPKPdEEvT1_T3_lS5_lPS5_llPT2_S5_S5_S7_l,comdat
.Lfunc_end32:
	.size	_ZN9rocsolver6v33100L18getf2_small_kernelILi17EdiiPKPdEEvT1_T3_lS5_lPS5_llPT2_S5_S5_S7_l, .Lfunc_end32-_ZN9rocsolver6v33100L18getf2_small_kernelILi17EdiiPKPdEEvT1_T3_lS5_lPS5_llPT2_S5_S5_S7_l
                                        ; -- End function
	.section	.AMDGPU.csdata,"",@progbits
; Kernel info:
; codeLenInByte = 11012
; NumSgprs: 24
; NumVgprs: 60
; NumAgprs: 0
; TotalNumVgprs: 60
; ScratchSize: 0
; MemoryBound: 0
; FloatMode: 240
; IeeeMode: 1
; LDSByteSize: 0 bytes/workgroup (compile time only)
; SGPRBlocks: 2
; VGPRBlocks: 7
; NumSGPRsForWavesPerEU: 24
; NumVGPRsForWavesPerEU: 60
; AccumOffset: 60
; Occupancy: 8
; WaveLimiterHint : 1
; COMPUTE_PGM_RSRC2:SCRATCH_EN: 0
; COMPUTE_PGM_RSRC2:USER_SGPR: 6
; COMPUTE_PGM_RSRC2:TRAP_HANDLER: 0
; COMPUTE_PGM_RSRC2:TGID_X_EN: 1
; COMPUTE_PGM_RSRC2:TGID_Y_EN: 1
; COMPUTE_PGM_RSRC2:TGID_Z_EN: 0
; COMPUTE_PGM_RSRC2:TIDIG_COMP_CNT: 1
; COMPUTE_PGM_RSRC3_GFX90A:ACCUM_OFFSET: 14
; COMPUTE_PGM_RSRC3_GFX90A:TG_SPLIT: 0
	.section	.text._ZN9rocsolver6v33100L23getf2_npvt_small_kernelILi17EdiiPKPdEEvT1_T3_lS5_lPT2_S5_S5_,"axG",@progbits,_ZN9rocsolver6v33100L23getf2_npvt_small_kernelILi17EdiiPKPdEEvT1_T3_lS5_lPT2_S5_S5_,comdat
	.globl	_ZN9rocsolver6v33100L23getf2_npvt_small_kernelILi17EdiiPKPdEEvT1_T3_lS5_lPT2_S5_S5_ ; -- Begin function _ZN9rocsolver6v33100L23getf2_npvt_small_kernelILi17EdiiPKPdEEvT1_T3_lS5_lPT2_S5_S5_
	.p2align	8
	.type	_ZN9rocsolver6v33100L23getf2_npvt_small_kernelILi17EdiiPKPdEEvT1_T3_lS5_lPT2_S5_S5_,@function
_ZN9rocsolver6v33100L23getf2_npvt_small_kernelILi17EdiiPKPdEEvT1_T3_lS5_lPT2_S5_S5_: ; @_ZN9rocsolver6v33100L23getf2_npvt_small_kernelILi17EdiiPKPdEEvT1_T3_lS5_lPT2_S5_S5_
; %bb.0:
	s_load_dword s0, s[4:5], 0x44
	s_load_dwordx2 s[34:35], s[4:5], 0x30
	v_bfe_u32 v70, v0, 10, 10
	s_waitcnt lgkmcnt(0)
	s_lshr_b32 s8, s0, 16
	s_mul_i32 s7, s7, s8
	v_add_u32_e32 v2, s7, v70
	v_cmp_gt_i32_e32 vcc, s34, v2
	s_and_saveexec_b64 s[0:1], vcc
	s_cbranch_execz .LBB33_88
; %bb.1:
	s_load_dwordx4 s[12:15], s[4:5], 0x8
	s_load_dword s0, s[4:5], 0x18
	v_ashrrev_i32_e32 v3, 31, v2
	v_lshlrev_b64 v[4:5], 3, v[2:3]
	v_and_b32_e32 v104, 0x3ff, v0
	s_waitcnt lgkmcnt(0)
	v_mov_b32_e32 v1, s13
	v_add_co_u32_e32 v4, vcc, s12, v4
	v_addc_co_u32_e32 v5, vcc, v1, v5, vcc
	global_load_dwordx2 v[4:5], v[4:5], off
	s_add_i32 s9, s0, s0
	v_add_u32_e32 v0, s9, v104
	v_ashrrev_i32_e32 v1, 31, v0
	v_add_u32_e32 v6, s0, v0
	v_lshlrev_b64 v[8:9], 3, v[0:1]
	v_add_u32_e32 v0, s0, v6
	v_ashrrev_i32_e32 v1, 31, v0
	v_add_u32_e32 v10, s0, v0
	v_lshlrev_b64 v[12:13], 3, v[0:1]
	v_add_u32_e32 v0, s0, v10
	s_lshl_b64 s[6:7], s[14:15], 3
	v_ashrrev_i32_e32 v1, 31, v0
	v_add_u32_e32 v14, s0, v0
	v_mov_b32_e32 v21, s7
	v_lshlrev_b64 v[16:17], 3, v[0:1]
	v_add_u32_e32 v0, s0, v14
	v_lshlrev_b32_e32 v20, 3, v104
	v_ashrrev_i32_e32 v1, 31, v0
	v_add_u32_e32 v38, s0, v0
	v_lshlrev_b64 v[18:19], 3, v[0:1]
	v_ashrrev_i32_e32 v7, 31, v6
	v_lshlrev_b64 v[6:7], 3, v[6:7]
	v_ashrrev_i32_e32 v11, 31, v10
	;; [unrolled: 2-line block ×3, first 2 shown]
	v_lshlrev_b64 v[14:15], 3, v[14:15]
	s_ashr_i32 s1, s0, 31
	s_lshl_b64 s[2:3], s[0:1], 3
	v_mov_b32_e32 v22, s3
	v_ashrrev_i32_e32 v39, 31, v38
	v_lshlrev_b64 v[28:29], 3, v[38:39]
	v_add_u32_e32 v40, s0, v38
	v_ashrrev_i32_e32 v41, 31, v40
	v_lshlrev_b64 v[38:39], 3, v[40:41]
	v_add_u32_e32 v42, s0, v40
	;; [unrolled: 3-line block ×7, first 2 shown]
	v_ashrrev_i32_e32 v51, 31, v50
	v_lshlrev_b64 v[50:51], 3, v[50:51]
	s_mulk_i32 s8, 0x88
	s_movk_i32 s0, 0x88
	s_add_i32 s1, s8, 0
	v_mad_u32_u24 v106, v70, s0, 0
	v_lshl_add_u32 v105, v70, 3, s1
	v_cmp_eq_u32_e64 s[0:1], 0, v104
	s_waitcnt vmcnt(0)
	v_add_co_u32_e32 v52, vcc, s6, v4
	v_addc_co_u32_e32 v53, vcc, v5, v21, vcc
	v_add_co_u32_e32 v0, vcc, v52, v20
	v_addc_co_u32_e32 v1, vcc, 0, v53, vcc
	;; [unrolled: 2-line block ×17, first 2 shown]
	v_add_co_u32_e32 v50, vcc, v52, v50
	global_load_dwordx2 v[24:25], v[8:9], off
	global_load_dwordx2 v[20:21], v[10:11], off
	;; [unrolled: 1-line block ×8, first 2 shown]
	v_addc_co_u32_e32 v51, vcc, v53, v51, vcc
	global_load_dwordx2 v[66:67], v[16:17], off
	global_load_dwordx2 v[58:59], v[28:29], off
	;; [unrolled: 1-line block ×9, first 2 shown]
	v_cmp_ne_u32_e64 s[2:3], 0, v104
	s_and_saveexec_b64 s[6:7], s[0:1]
	s_cbranch_execz .LBB33_4
; %bb.2:
	s_waitcnt vmcnt(12)
	ds_write_b64 v105, v[30:31]
	s_waitcnt vmcnt(10)
	ds_write2_b64 v106, v[34:35], v[36:37] offset0:1 offset1:2
	s_waitcnt vmcnt(9)
	ds_write2_b64 v106, v[32:33], v[24:25] offset0:3 offset1:4
	ds_write2_b64 v106, v[20:21], v[22:23] offset0:5 offset1:6
	s_waitcnt vmcnt(8)
	ds_write2_b64 v106, v[18:19], v[66:67] offset0:7 offset1:8
	s_waitcnt vmcnt(6)
	;; [unrolled: 2-line block ×5, first 2 shown]
	ds_write2_b64 v106, v[52:53], v[68:69] offset0:15 offset1:16
	ds_read_b64 v[70:71], v105
	s_waitcnt lgkmcnt(0)
	v_cmp_neq_f64_e32 vcc, 0, v[70:71]
	s_and_b64 exec, exec, vcc
	s_cbranch_execz .LBB33_4
; %bb.3:
	v_div_scale_f64 v[72:73], s[8:9], v[70:71], v[70:71], 1.0
	v_rcp_f64_e32 v[74:75], v[72:73]
	v_div_scale_f64 v[76:77], vcc, 1.0, v[70:71], 1.0
	v_fma_f64 v[78:79], -v[72:73], v[74:75], 1.0
	v_fmac_f64_e32 v[74:75], v[74:75], v[78:79]
	v_fma_f64 v[78:79], -v[72:73], v[74:75], 1.0
	v_fmac_f64_e32 v[74:75], v[74:75], v[78:79]
	v_mul_f64 v[78:79], v[76:77], v[74:75]
	v_fma_f64 v[72:73], -v[72:73], v[78:79], v[76:77]
	v_div_fmas_f64 v[72:73], v[72:73], v[74:75], v[78:79]
	v_div_fixup_f64 v[70:71], v[72:73], v[70:71], 1.0
	ds_write_b64 v105, v[70:71]
.LBB33_4:
	s_or_b64 exec, exec, s[6:7]
	s_waitcnt lgkmcnt(0)
	s_barrier
	ds_read_b64 v[70:71], v105
	s_and_saveexec_b64 s[6:7], s[2:3]
	s_cbranch_execz .LBB33_6
; %bb.5:
	ds_read2_b64 v[72:75], v106 offset0:1 offset1:2
	ds_read2_b64 v[76:79], v106 offset0:3 offset1:4
	s_waitcnt vmcnt(12) lgkmcnt(2)
	v_mul_f64 v[30:31], v[70:71], v[30:31]
	ds_read2_b64 v[80:83], v106 offset0:5 offset1:6
	s_waitcnt vmcnt(11) lgkmcnt(2)
	v_fma_f64 v[34:35], -v[30:31], v[72:73], v[34:35]
	s_waitcnt vmcnt(10)
	v_fma_f64 v[36:37], -v[30:31], v[74:75], v[36:37]
	ds_read2_b64 v[72:75], v106 offset0:7 offset1:8
	s_waitcnt vmcnt(9) lgkmcnt(2)
	v_fma_f64 v[32:33], -v[30:31], v[76:77], v[32:33]
	v_fma_f64 v[24:25], -v[30:31], v[78:79], v[24:25]
	ds_read2_b64 v[76:79], v106 offset0:9 offset1:10
	s_waitcnt lgkmcnt(2)
	v_fma_f64 v[20:21], -v[30:31], v[80:81], v[20:21]
	v_fma_f64 v[22:23], -v[30:31], v[82:83], v[22:23]
	s_waitcnt lgkmcnt(1)
	v_fma_f64 v[18:19], -v[30:31], v[72:73], v[18:19]
	s_waitcnt vmcnt(8)
	v_fma_f64 v[66:67], -v[30:31], v[74:75], v[66:67]
	ds_read2_b64 v[72:75], v106 offset0:11 offset1:12
	s_waitcnt vmcnt(7) lgkmcnt(1)
	v_fma_f64 v[58:59], -v[30:31], v[76:77], v[58:59]
	ds_read2_b64 v[80:83], v106 offset0:13 offset1:14
	s_waitcnt vmcnt(6)
	v_fma_f64 v[64:65], -v[30:31], v[78:79], v[64:65]
	ds_read2_b64 v[76:79], v106 offset0:15 offset1:16
	s_waitcnt vmcnt(5) lgkmcnt(2)
	v_fma_f64 v[56:57], -v[30:31], v[72:73], v[56:57]
	s_waitcnt vmcnt(4)
	v_fma_f64 v[62:63], -v[30:31], v[74:75], v[62:63]
	s_waitcnt vmcnt(3) lgkmcnt(1)
	v_fma_f64 v[54:55], -v[30:31], v[80:81], v[54:55]
	s_waitcnt vmcnt(2)
	v_fma_f64 v[60:61], -v[30:31], v[82:83], v[60:61]
	s_waitcnt vmcnt(1) lgkmcnt(0)
	v_fma_f64 v[52:53], -v[30:31], v[76:77], v[52:53]
	s_waitcnt vmcnt(0)
	v_fma_f64 v[68:69], -v[30:31], v[78:79], v[68:69]
.LBB33_6:
	s_or_b64 exec, exec, s[6:7]
	v_cmp_eq_u32_e32 vcc, 1, v104
	s_waitcnt lgkmcnt(0)
	s_barrier
	s_and_saveexec_b64 s[2:3], vcc
	s_cbranch_execz .LBB33_9
; %bb.7:
	s_waitcnt vmcnt(10)
	v_mov_b32_e32 v72, v36
	v_mov_b32_e32 v73, v37
	s_waitcnt vmcnt(9)
	v_mov_b32_e32 v74, v32
	v_mov_b32_e32 v75, v33
	ds_write_b64 v105, v[34:35]
	ds_write2_b64 v106, v[72:73], v[74:75] offset0:2 offset1:3
	v_mov_b32_e32 v72, v24
	v_mov_b32_e32 v73, v25
	;; [unrolled: 1-line block ×4, first 2 shown]
	ds_write2_b64 v106, v[72:73], v[74:75] offset0:4 offset1:5
	v_mov_b32_e32 v72, v22
	v_mov_b32_e32 v73, v23
	;; [unrolled: 1-line block ×4, first 2 shown]
	ds_write2_b64 v106, v[72:73], v[74:75] offset0:6 offset1:7
	s_waitcnt vmcnt(8)
	v_mov_b32_e32 v72, v66
	v_mov_b32_e32 v73, v67
	s_waitcnt vmcnt(7)
	v_mov_b32_e32 v74, v58
	v_mov_b32_e32 v75, v59
	ds_write2_b64 v106, v[72:73], v[74:75] offset0:8 offset1:9
	s_waitcnt vmcnt(6)
	v_mov_b32_e32 v72, v64
	v_mov_b32_e32 v73, v65
	s_waitcnt vmcnt(5)
	v_mov_b32_e32 v74, v56
	v_mov_b32_e32 v75, v57
	ds_write2_b64 v106, v[72:73], v[74:75] offset0:10 offset1:11
	s_waitcnt vmcnt(4)
	v_mov_b32_e32 v72, v62
	v_mov_b32_e32 v73, v63
	s_waitcnt vmcnt(3)
	v_mov_b32_e32 v74, v54
	v_mov_b32_e32 v75, v55
	ds_write2_b64 v106, v[72:73], v[74:75] offset0:12 offset1:13
	s_waitcnt vmcnt(2)
	v_mov_b32_e32 v72, v60
	v_mov_b32_e32 v73, v61
	s_waitcnt vmcnt(1)
	v_mov_b32_e32 v74, v52
	v_mov_b32_e32 v75, v53
	ds_write2_b64 v106, v[72:73], v[74:75] offset0:14 offset1:15
	s_waitcnt vmcnt(0)
	ds_write_b64 v106, v[68:69] offset:128
	ds_read_b64 v[72:73], v105
	s_waitcnt lgkmcnt(0)
	v_cmp_neq_f64_e32 vcc, 0, v[72:73]
	s_and_b64 exec, exec, vcc
	s_cbranch_execz .LBB33_9
; %bb.8:
	v_div_scale_f64 v[74:75], s[6:7], v[72:73], v[72:73], 1.0
	v_rcp_f64_e32 v[76:77], v[74:75]
	v_div_scale_f64 v[78:79], vcc, 1.0, v[72:73], 1.0
	v_fma_f64 v[80:81], -v[74:75], v[76:77], 1.0
	v_fmac_f64_e32 v[76:77], v[76:77], v[80:81]
	v_fma_f64 v[80:81], -v[74:75], v[76:77], 1.0
	v_fmac_f64_e32 v[76:77], v[76:77], v[80:81]
	v_mul_f64 v[80:81], v[78:79], v[76:77]
	v_fma_f64 v[74:75], -v[74:75], v[80:81], v[78:79]
	v_div_fmas_f64 v[74:75], v[74:75], v[76:77], v[80:81]
	v_div_fixup_f64 v[72:73], v[74:75], v[72:73], 1.0
	ds_write_b64 v105, v[72:73]
.LBB33_9:
	s_or_b64 exec, exec, s[2:3]
	s_waitcnt lgkmcnt(0)
	s_barrier
	ds_read_b64 v[72:73], v105
	v_cmp_lt_u32_e32 vcc, 1, v104
	s_and_saveexec_b64 s[2:3], vcc
	s_cbranch_execz .LBB33_11
; %bb.10:
	ds_read2_b64 v[74:77], v106 offset0:2 offset1:3
	ds_read2_b64 v[78:81], v106 offset0:4 offset1:5
	s_waitcnt vmcnt(11) lgkmcnt(2)
	v_mul_f64 v[34:35], v[72:73], v[34:35]
	ds_read2_b64 v[82:85], v106 offset0:6 offset1:7
	s_waitcnt vmcnt(10) lgkmcnt(2)
	v_fma_f64 v[36:37], -v[34:35], v[74:75], v[36:37]
	s_waitcnt vmcnt(9)
	v_fma_f64 v[32:33], -v[34:35], v[76:77], v[32:33]
	ds_read2_b64 v[74:77], v106 offset0:8 offset1:9
	s_waitcnt lgkmcnt(2)
	v_fma_f64 v[24:25], -v[34:35], v[78:79], v[24:25]
	v_fma_f64 v[20:21], -v[34:35], v[80:81], v[20:21]
	ds_read2_b64 v[78:81], v106 offset0:10 offset1:11
	s_waitcnt lgkmcnt(2)
	v_fma_f64 v[22:23], -v[34:35], v[82:83], v[22:23]
	v_fma_f64 v[18:19], -v[34:35], v[84:85], v[18:19]
	s_waitcnt vmcnt(8) lgkmcnt(1)
	v_fma_f64 v[66:67], -v[34:35], v[74:75], v[66:67]
	s_waitcnt vmcnt(7)
	v_fma_f64 v[58:59], -v[34:35], v[76:77], v[58:59]
	ds_read2_b64 v[74:77], v106 offset0:12 offset1:13
	s_waitcnt vmcnt(6) lgkmcnt(1)
	v_fma_f64 v[64:65], -v[34:35], v[78:79], v[64:65]
	ds_read2_b64 v[82:85], v106 offset0:14 offset1:15
	ds_read_b64 v[78:79], v106 offset:128
	s_waitcnt vmcnt(5)
	v_fma_f64 v[56:57], -v[34:35], v[80:81], v[56:57]
	s_waitcnt vmcnt(4) lgkmcnt(2)
	v_fma_f64 v[62:63], -v[34:35], v[74:75], v[62:63]
	s_waitcnt vmcnt(3)
	v_fma_f64 v[54:55], -v[34:35], v[76:77], v[54:55]
	s_waitcnt vmcnt(2) lgkmcnt(1)
	v_fma_f64 v[60:61], -v[34:35], v[82:83], v[60:61]
	;; [unrolled: 4-line block ×3, first 2 shown]
.LBB33_11:
	s_or_b64 exec, exec, s[2:3]
	v_cmp_eq_u32_e32 vcc, 2, v104
	s_waitcnt lgkmcnt(0)
	s_barrier
	s_and_saveexec_b64 s[2:3], vcc
	s_cbranch_execz .LBB33_14
; %bb.12:
	s_waitcnt vmcnt(10)
	ds_write_b64 v105, v[36:37]
	s_waitcnt vmcnt(9)
	ds_write2_b64 v106, v[32:33], v[24:25] offset0:3 offset1:4
	ds_write2_b64 v106, v[20:21], v[22:23] offset0:5 offset1:6
	s_waitcnt vmcnt(8)
	ds_write2_b64 v106, v[18:19], v[66:67] offset0:7 offset1:8
	s_waitcnt vmcnt(6)
	;; [unrolled: 2-line block ×5, first 2 shown]
	ds_write2_b64 v106, v[52:53], v[68:69] offset0:15 offset1:16
	ds_read_b64 v[74:75], v105
	s_waitcnt lgkmcnt(0)
	v_cmp_neq_f64_e32 vcc, 0, v[74:75]
	s_and_b64 exec, exec, vcc
	s_cbranch_execz .LBB33_14
; %bb.13:
	v_div_scale_f64 v[76:77], s[6:7], v[74:75], v[74:75], 1.0
	v_rcp_f64_e32 v[78:79], v[76:77]
	v_div_scale_f64 v[80:81], vcc, 1.0, v[74:75], 1.0
	v_fma_f64 v[82:83], -v[76:77], v[78:79], 1.0
	v_fmac_f64_e32 v[78:79], v[78:79], v[82:83]
	v_fma_f64 v[82:83], -v[76:77], v[78:79], 1.0
	v_fmac_f64_e32 v[78:79], v[78:79], v[82:83]
	v_mul_f64 v[82:83], v[80:81], v[78:79]
	v_fma_f64 v[76:77], -v[76:77], v[82:83], v[80:81]
	v_div_fmas_f64 v[76:77], v[76:77], v[78:79], v[82:83]
	v_div_fixup_f64 v[74:75], v[76:77], v[74:75], 1.0
	ds_write_b64 v105, v[74:75]
.LBB33_14:
	s_or_b64 exec, exec, s[2:3]
	s_waitcnt lgkmcnt(0)
	s_barrier
	ds_read_b64 v[74:75], v105
	v_cmp_lt_u32_e32 vcc, 2, v104
	s_and_saveexec_b64 s[2:3], vcc
	s_cbranch_execz .LBB33_16
; %bb.15:
	ds_read2_b64 v[76:79], v106 offset0:3 offset1:4
	ds_read2_b64 v[80:83], v106 offset0:5 offset1:6
	s_waitcnt vmcnt(10) lgkmcnt(2)
	v_mul_f64 v[36:37], v[74:75], v[36:37]
	ds_read2_b64 v[84:87], v106 offset0:7 offset1:8
	s_waitcnt vmcnt(9) lgkmcnt(2)
	v_fma_f64 v[32:33], -v[36:37], v[76:77], v[32:33]
	v_fma_f64 v[24:25], -v[36:37], v[78:79], v[24:25]
	ds_read2_b64 v[76:79], v106 offset0:9 offset1:10
	s_waitcnt lgkmcnt(2)
	v_fma_f64 v[20:21], -v[36:37], v[80:81], v[20:21]
	v_fma_f64 v[22:23], -v[36:37], v[82:83], v[22:23]
	s_waitcnt lgkmcnt(1)
	v_fma_f64 v[18:19], -v[36:37], v[84:85], v[18:19]
	s_waitcnt vmcnt(8)
	v_fma_f64 v[66:67], -v[36:37], v[86:87], v[66:67]
	ds_read2_b64 v[80:83], v106 offset0:11 offset1:12
	ds_read2_b64 v[84:87], v106 offset0:13 offset1:14
	s_waitcnt vmcnt(7) lgkmcnt(2)
	v_fma_f64 v[58:59], -v[36:37], v[76:77], v[58:59]
	s_waitcnt vmcnt(6)
	v_fma_f64 v[64:65], -v[36:37], v[78:79], v[64:65]
	ds_read2_b64 v[76:79], v106 offset0:15 offset1:16
	s_waitcnt vmcnt(5) lgkmcnt(2)
	v_fma_f64 v[56:57], -v[36:37], v[80:81], v[56:57]
	s_waitcnt vmcnt(4)
	v_fma_f64 v[62:63], -v[36:37], v[82:83], v[62:63]
	s_waitcnt vmcnt(3) lgkmcnt(1)
	v_fma_f64 v[54:55], -v[36:37], v[84:85], v[54:55]
	s_waitcnt vmcnt(2)
	v_fma_f64 v[60:61], -v[36:37], v[86:87], v[60:61]
	;; [unrolled: 4-line block ×3, first 2 shown]
.LBB33_16:
	s_or_b64 exec, exec, s[2:3]
	v_cmp_eq_u32_e32 vcc, 3, v104
	s_waitcnt lgkmcnt(0)
	s_barrier
	s_and_saveexec_b64 s[2:3], vcc
	s_cbranch_execz .LBB33_19
; %bb.17:
	s_waitcnt vmcnt(16)
	v_mov_b32_e32 v76, v24
	v_mov_b32_e32 v77, v25
	s_waitcnt vmcnt(15)
	v_mov_b32_e32 v78, v20
	v_mov_b32_e32 v79, v21
	s_waitcnt vmcnt(9)
	ds_write_b64 v105, v[32:33]
	ds_write2_b64 v106, v[76:77], v[78:79] offset0:4 offset1:5
	v_mov_b32_e32 v76, v22
	v_mov_b32_e32 v77, v23
	;; [unrolled: 1-line block ×4, first 2 shown]
	ds_write2_b64 v106, v[76:77], v[78:79] offset0:6 offset1:7
	s_waitcnt vmcnt(8)
	v_mov_b32_e32 v76, v66
	v_mov_b32_e32 v77, v67
	s_waitcnt vmcnt(7)
	v_mov_b32_e32 v78, v58
	v_mov_b32_e32 v79, v59
	ds_write2_b64 v106, v[76:77], v[78:79] offset0:8 offset1:9
	s_waitcnt vmcnt(6)
	v_mov_b32_e32 v76, v64
	v_mov_b32_e32 v77, v65
	s_waitcnt vmcnt(5)
	v_mov_b32_e32 v78, v56
	v_mov_b32_e32 v79, v57
	;; [unrolled: 7-line block ×4, first 2 shown]
	ds_write2_b64 v106, v[76:77], v[78:79] offset0:14 offset1:15
	s_waitcnt vmcnt(0)
	ds_write_b64 v106, v[68:69] offset:128
	ds_read_b64 v[76:77], v105
	s_waitcnt lgkmcnt(0)
	v_cmp_neq_f64_e32 vcc, 0, v[76:77]
	s_and_b64 exec, exec, vcc
	s_cbranch_execz .LBB33_19
; %bb.18:
	v_div_scale_f64 v[78:79], s[6:7], v[76:77], v[76:77], 1.0
	v_rcp_f64_e32 v[80:81], v[78:79]
	v_div_scale_f64 v[82:83], vcc, 1.0, v[76:77], 1.0
	v_fma_f64 v[84:85], -v[78:79], v[80:81], 1.0
	v_fmac_f64_e32 v[80:81], v[80:81], v[84:85]
	v_fma_f64 v[84:85], -v[78:79], v[80:81], 1.0
	v_fmac_f64_e32 v[80:81], v[80:81], v[84:85]
	v_mul_f64 v[84:85], v[82:83], v[80:81]
	v_fma_f64 v[78:79], -v[78:79], v[84:85], v[82:83]
	v_div_fmas_f64 v[78:79], v[78:79], v[80:81], v[84:85]
	v_div_fixup_f64 v[76:77], v[78:79], v[76:77], 1.0
	ds_write_b64 v105, v[76:77]
.LBB33_19:
	s_or_b64 exec, exec, s[2:3]
	s_waitcnt lgkmcnt(0)
	s_barrier
	ds_read_b64 v[76:77], v105
	v_cmp_lt_u32_e32 vcc, 3, v104
	s_and_saveexec_b64 s[2:3], vcc
	s_cbranch_execz .LBB33_21
; %bb.20:
	ds_read2_b64 v[78:81], v106 offset0:4 offset1:5
	ds_read2_b64 v[82:85], v106 offset0:6 offset1:7
	s_waitcnt vmcnt(9) lgkmcnt(2)
	v_mul_f64 v[32:33], v[76:77], v[32:33]
	ds_read2_b64 v[86:89], v106 offset0:8 offset1:9
	s_waitcnt lgkmcnt(2)
	v_fma_f64 v[24:25], -v[32:33], v[78:79], v[24:25]
	v_fma_f64 v[20:21], -v[32:33], v[80:81], v[20:21]
	ds_read2_b64 v[78:81], v106 offset0:10 offset1:11
	s_waitcnt lgkmcnt(2)
	v_fma_f64 v[22:23], -v[32:33], v[82:83], v[22:23]
	v_fma_f64 v[18:19], -v[32:33], v[84:85], v[18:19]
	s_waitcnt vmcnt(8) lgkmcnt(1)
	v_fma_f64 v[66:67], -v[32:33], v[86:87], v[66:67]
	s_waitcnt vmcnt(7)
	v_fma_f64 v[58:59], -v[32:33], v[88:89], v[58:59]
	ds_read2_b64 v[82:85], v106 offset0:12 offset1:13
	ds_read2_b64 v[86:89], v106 offset0:14 offset1:15
	s_waitcnt vmcnt(6) lgkmcnt(2)
	v_fma_f64 v[64:65], -v[32:33], v[78:79], v[64:65]
	ds_read_b64 v[78:79], v106 offset:128
	s_waitcnt vmcnt(5)
	v_fma_f64 v[56:57], -v[32:33], v[80:81], v[56:57]
	s_waitcnt vmcnt(4) lgkmcnt(2)
	v_fma_f64 v[62:63], -v[32:33], v[82:83], v[62:63]
	s_waitcnt vmcnt(3)
	v_fma_f64 v[54:55], -v[32:33], v[84:85], v[54:55]
	s_waitcnt vmcnt(2) lgkmcnt(1)
	v_fma_f64 v[60:61], -v[32:33], v[86:87], v[60:61]
	;; [unrolled: 4-line block ×3, first 2 shown]
.LBB33_21:
	s_or_b64 exec, exec, s[2:3]
	v_cmp_eq_u32_e32 vcc, 4, v104
	s_waitcnt lgkmcnt(0)
	s_barrier
	s_and_saveexec_b64 s[2:3], vcc
	s_cbranch_execz .LBB33_24
; %bb.22:
	s_waitcnt vmcnt(16)
	ds_write_b64 v105, v[24:25]
	s_waitcnt vmcnt(14)
	ds_write2_b64 v106, v[20:21], v[22:23] offset0:5 offset1:6
	s_waitcnt vmcnt(8)
	ds_write2_b64 v106, v[18:19], v[66:67] offset0:7 offset1:8
	;; [unrolled: 2-line block ×6, first 2 shown]
	ds_read_b64 v[78:79], v105
	s_waitcnt lgkmcnt(0)
	v_cmp_neq_f64_e32 vcc, 0, v[78:79]
	s_and_b64 exec, exec, vcc
	s_cbranch_execz .LBB33_24
; %bb.23:
	v_div_scale_f64 v[80:81], s[6:7], v[78:79], v[78:79], 1.0
	v_rcp_f64_e32 v[82:83], v[80:81]
	v_div_scale_f64 v[84:85], vcc, 1.0, v[78:79], 1.0
	v_fma_f64 v[86:87], -v[80:81], v[82:83], 1.0
	v_fmac_f64_e32 v[82:83], v[82:83], v[86:87]
	v_fma_f64 v[86:87], -v[80:81], v[82:83], 1.0
	v_fmac_f64_e32 v[82:83], v[82:83], v[86:87]
	v_mul_f64 v[86:87], v[84:85], v[82:83]
	v_fma_f64 v[80:81], -v[80:81], v[86:87], v[84:85]
	v_div_fmas_f64 v[80:81], v[80:81], v[82:83], v[86:87]
	v_div_fixup_f64 v[78:79], v[80:81], v[78:79], 1.0
	ds_write_b64 v105, v[78:79]
.LBB33_24:
	s_or_b64 exec, exec, s[2:3]
	s_waitcnt lgkmcnt(0)
	s_barrier
	ds_read_b64 v[78:79], v105
	v_cmp_lt_u32_e32 vcc, 4, v104
	s_and_saveexec_b64 s[2:3], vcc
	s_cbranch_execz .LBB33_26
; %bb.25:
	ds_read2_b64 v[80:83], v106 offset0:5 offset1:6
	ds_read2_b64 v[84:87], v106 offset0:7 offset1:8
	;; [unrolled: 1-line block ×3, first 2 shown]
	s_waitcnt vmcnt(16) lgkmcnt(3)
	v_mul_f64 v[24:25], v[78:79], v[24:25]
	s_waitcnt vmcnt(15) lgkmcnt(2)
	v_fma_f64 v[20:21], -v[24:25], v[80:81], v[20:21]
	s_waitcnt vmcnt(14)
	v_fma_f64 v[22:23], -v[24:25], v[82:83], v[22:23]
	ds_read2_b64 v[80:83], v106 offset0:11 offset1:12
	s_waitcnt vmcnt(13) lgkmcnt(2)
	v_fma_f64 v[18:19], -v[24:25], v[84:85], v[18:19]
	s_waitcnt vmcnt(8)
	v_fma_f64 v[66:67], -v[24:25], v[86:87], v[66:67]
	s_waitcnt vmcnt(7) lgkmcnt(1)
	v_fma_f64 v[58:59], -v[24:25], v[88:89], v[58:59]
	ds_read2_b64 v[84:87], v106 offset0:13 offset1:14
	s_waitcnt vmcnt(6)
	v_fma_f64 v[64:65], -v[24:25], v[90:91], v[64:65]
	ds_read2_b64 v[88:91], v106 offset0:15 offset1:16
	s_waitcnt vmcnt(5) lgkmcnt(2)
	v_fma_f64 v[56:57], -v[24:25], v[80:81], v[56:57]
	s_waitcnt vmcnt(4)
	v_fma_f64 v[62:63], -v[24:25], v[82:83], v[62:63]
	s_waitcnt vmcnt(3) lgkmcnt(1)
	v_fma_f64 v[54:55], -v[24:25], v[84:85], v[54:55]
	s_waitcnt vmcnt(2)
	v_fma_f64 v[60:61], -v[24:25], v[86:87], v[60:61]
	;; [unrolled: 4-line block ×3, first 2 shown]
.LBB33_26:
	s_or_b64 exec, exec, s[2:3]
	v_cmp_eq_u32_e32 vcc, 5, v104
	s_waitcnt lgkmcnt(0)
	s_barrier
	s_and_saveexec_b64 s[2:3], vcc
	s_cbranch_execz .LBB33_29
; %bb.27:
	s_waitcnt vmcnt(14)
	v_mov_b32_e32 v80, v22
	v_mov_b32_e32 v81, v23
	s_waitcnt vmcnt(13)
	v_mov_b32_e32 v82, v18
	v_mov_b32_e32 v83, v19
	ds_write_b64 v105, v[20:21]
	ds_write2_b64 v106, v[80:81], v[82:83] offset0:6 offset1:7
	s_waitcnt vmcnt(8)
	v_mov_b32_e32 v80, v66
	v_mov_b32_e32 v81, v67
	s_waitcnt vmcnt(7)
	v_mov_b32_e32 v82, v58
	v_mov_b32_e32 v83, v59
	ds_write2_b64 v106, v[80:81], v[82:83] offset0:8 offset1:9
	s_waitcnt vmcnt(6)
	v_mov_b32_e32 v80, v64
	v_mov_b32_e32 v81, v65
	s_waitcnt vmcnt(5)
	v_mov_b32_e32 v82, v56
	v_mov_b32_e32 v83, v57
	;; [unrolled: 7-line block ×4, first 2 shown]
	ds_write2_b64 v106, v[80:81], v[82:83] offset0:14 offset1:15
	s_waitcnt vmcnt(0)
	ds_write_b64 v106, v[68:69] offset:128
	ds_read_b64 v[80:81], v105
	s_waitcnt lgkmcnt(0)
	v_cmp_neq_f64_e32 vcc, 0, v[80:81]
	s_and_b64 exec, exec, vcc
	s_cbranch_execz .LBB33_29
; %bb.28:
	v_div_scale_f64 v[82:83], s[6:7], v[80:81], v[80:81], 1.0
	v_rcp_f64_e32 v[84:85], v[82:83]
	v_div_scale_f64 v[86:87], vcc, 1.0, v[80:81], 1.0
	v_fma_f64 v[88:89], -v[82:83], v[84:85], 1.0
	v_fmac_f64_e32 v[84:85], v[84:85], v[88:89]
	v_fma_f64 v[88:89], -v[82:83], v[84:85], 1.0
	v_fmac_f64_e32 v[84:85], v[84:85], v[88:89]
	v_mul_f64 v[88:89], v[86:87], v[84:85]
	v_fma_f64 v[82:83], -v[82:83], v[88:89], v[86:87]
	v_div_fmas_f64 v[82:83], v[82:83], v[84:85], v[88:89]
	v_div_fixup_f64 v[80:81], v[82:83], v[80:81], 1.0
	ds_write_b64 v105, v[80:81]
.LBB33_29:
	s_or_b64 exec, exec, s[2:3]
	s_waitcnt lgkmcnt(0)
	s_barrier
	ds_read_b64 v[80:81], v105
	v_cmp_lt_u32_e32 vcc, 5, v104
	s_and_saveexec_b64 s[2:3], vcc
	s_cbranch_execz .LBB33_31
; %bb.30:
	ds_read2_b64 v[82:85], v106 offset0:6 offset1:7
	ds_read2_b64 v[86:89], v106 offset0:8 offset1:9
	;; [unrolled: 1-line block ×3, first 2 shown]
	s_waitcnt vmcnt(15) lgkmcnt(3)
	v_mul_f64 v[20:21], v[80:81], v[20:21]
	s_waitcnt vmcnt(14) lgkmcnt(2)
	v_fma_f64 v[22:23], -v[20:21], v[82:83], v[22:23]
	s_waitcnt vmcnt(13)
	v_fma_f64 v[18:19], -v[20:21], v[84:85], v[18:19]
	ds_read2_b64 v[82:85], v106 offset0:12 offset1:13
	s_waitcnt vmcnt(8) lgkmcnt(2)
	v_fma_f64 v[66:67], -v[20:21], v[86:87], v[66:67]
	s_waitcnt vmcnt(7)
	v_fma_f64 v[58:59], -v[20:21], v[88:89], v[58:59]
	s_waitcnt vmcnt(6) lgkmcnt(1)
	v_fma_f64 v[64:65], -v[20:21], v[90:91], v[64:65]
	ds_read2_b64 v[86:89], v106 offset0:14 offset1:15
	ds_read_b64 v[90:91], v106 offset:128
	s_waitcnt vmcnt(5)
	v_fma_f64 v[56:57], -v[20:21], v[92:93], v[56:57]
	s_waitcnt vmcnt(4) lgkmcnt(2)
	v_fma_f64 v[62:63], -v[20:21], v[82:83], v[62:63]
	s_waitcnt vmcnt(3)
	v_fma_f64 v[54:55], -v[20:21], v[84:85], v[54:55]
	s_waitcnt vmcnt(2) lgkmcnt(1)
	v_fma_f64 v[60:61], -v[20:21], v[86:87], v[60:61]
	s_waitcnt vmcnt(1)
	v_fma_f64 v[52:53], -v[20:21], v[88:89], v[52:53]
	s_waitcnt vmcnt(0) lgkmcnt(0)
	v_fma_f64 v[68:69], -v[20:21], v[90:91], v[68:69]
.LBB33_31:
	s_or_b64 exec, exec, s[2:3]
	v_cmp_eq_u32_e32 vcc, 6, v104
	s_waitcnt lgkmcnt(0)
	s_barrier
	s_and_saveexec_b64 s[2:3], vcc
	s_cbranch_execz .LBB33_34
; %bb.32:
	s_waitcnt vmcnt(14)
	ds_write_b64 v105, v[22:23]
	s_waitcnt vmcnt(8)
	ds_write2_b64 v106, v[18:19], v[66:67] offset0:7 offset1:8
	s_waitcnt vmcnt(6)
	ds_write2_b64 v106, v[58:59], v[64:65] offset0:9 offset1:10
	;; [unrolled: 2-line block ×5, first 2 shown]
	ds_read_b64 v[82:83], v105
	s_waitcnt lgkmcnt(0)
	v_cmp_neq_f64_e32 vcc, 0, v[82:83]
	s_and_b64 exec, exec, vcc
	s_cbranch_execz .LBB33_34
; %bb.33:
	v_div_scale_f64 v[84:85], s[6:7], v[82:83], v[82:83], 1.0
	v_rcp_f64_e32 v[86:87], v[84:85]
	v_div_scale_f64 v[88:89], vcc, 1.0, v[82:83], 1.0
	v_fma_f64 v[90:91], -v[84:85], v[86:87], 1.0
	v_fmac_f64_e32 v[86:87], v[86:87], v[90:91]
	v_fma_f64 v[90:91], -v[84:85], v[86:87], 1.0
	v_fmac_f64_e32 v[86:87], v[86:87], v[90:91]
	v_mul_f64 v[90:91], v[88:89], v[86:87]
	v_fma_f64 v[84:85], -v[84:85], v[90:91], v[88:89]
	v_div_fmas_f64 v[84:85], v[84:85], v[86:87], v[90:91]
	v_div_fixup_f64 v[82:83], v[84:85], v[82:83], 1.0
	ds_write_b64 v105, v[82:83]
.LBB33_34:
	s_or_b64 exec, exec, s[2:3]
	s_waitcnt lgkmcnt(0)
	s_barrier
	ds_read_b64 v[82:83], v105
	v_cmp_lt_u32_e32 vcc, 6, v104
	s_and_saveexec_b64 s[2:3], vcc
	s_cbranch_execz .LBB33_36
; %bb.35:
	ds_read2_b64 v[84:87], v106 offset0:7 offset1:8
	ds_read2_b64 v[88:91], v106 offset0:9 offset1:10
	s_waitcnt vmcnt(14) lgkmcnt(2)
	v_mul_f64 v[22:23], v[82:83], v[22:23]
	ds_read2_b64 v[92:95], v106 offset0:13 offset1:14
	s_waitcnt vmcnt(13) lgkmcnt(2)
	v_fma_f64 v[18:19], -v[22:23], v[84:85], v[18:19]
	s_waitcnt vmcnt(8)
	v_fma_f64 v[66:67], -v[22:23], v[86:87], v[66:67]
	ds_read2_b64 v[84:87], v106 offset0:11 offset1:12
	s_waitcnt vmcnt(7) lgkmcnt(2)
	v_fma_f64 v[58:59], -v[22:23], v[88:89], v[58:59]
	s_waitcnt vmcnt(6)
	v_fma_f64 v[64:65], -v[22:23], v[90:91], v[64:65]
	ds_read2_b64 v[88:91], v106 offset0:15 offset1:16
	s_waitcnt vmcnt(3) lgkmcnt(2)
	v_fma_f64 v[54:55], -v[22:23], v[92:93], v[54:55]
	s_waitcnt lgkmcnt(1)
	v_fma_f64 v[56:57], -v[22:23], v[84:85], v[56:57]
	v_fma_f64 v[62:63], -v[22:23], v[86:87], v[62:63]
	s_waitcnt vmcnt(2)
	v_fma_f64 v[60:61], -v[22:23], v[94:95], v[60:61]
	s_waitcnt vmcnt(1) lgkmcnt(0)
	v_fma_f64 v[52:53], -v[22:23], v[88:89], v[52:53]
	s_waitcnt vmcnt(0)
	v_fma_f64 v[68:69], -v[22:23], v[90:91], v[68:69]
.LBB33_36:
	s_or_b64 exec, exec, s[2:3]
	v_cmp_eq_u32_e32 vcc, 7, v104
	s_waitcnt lgkmcnt(0)
	s_barrier
	s_and_saveexec_b64 s[2:3], vcc
	s_cbranch_execz .LBB33_39
; %bb.37:
	s_waitcnt vmcnt(8)
	v_mov_b32_e32 v84, v66
	v_mov_b32_e32 v85, v67
	s_waitcnt vmcnt(7)
	v_mov_b32_e32 v86, v58
	v_mov_b32_e32 v87, v59
	ds_write_b64 v105, v[18:19]
	ds_write2_b64 v106, v[84:85], v[86:87] offset0:8 offset1:9
	s_waitcnt vmcnt(6)
	v_mov_b32_e32 v84, v64
	v_mov_b32_e32 v85, v65
	s_waitcnt vmcnt(5)
	v_mov_b32_e32 v86, v56
	v_mov_b32_e32 v87, v57
	ds_write2_b64 v106, v[84:85], v[86:87] offset0:10 offset1:11
	s_waitcnt vmcnt(4)
	v_mov_b32_e32 v84, v62
	v_mov_b32_e32 v85, v63
	s_waitcnt vmcnt(3)
	v_mov_b32_e32 v86, v54
	v_mov_b32_e32 v87, v55
	;; [unrolled: 7-line block ×3, first 2 shown]
	ds_write2_b64 v106, v[84:85], v[86:87] offset0:14 offset1:15
	s_waitcnt vmcnt(0)
	ds_write_b64 v106, v[68:69] offset:128
	ds_read_b64 v[84:85], v105
	s_waitcnt lgkmcnt(0)
	v_cmp_neq_f64_e32 vcc, 0, v[84:85]
	s_and_b64 exec, exec, vcc
	s_cbranch_execz .LBB33_39
; %bb.38:
	v_div_scale_f64 v[86:87], s[6:7], v[84:85], v[84:85], 1.0
	v_rcp_f64_e32 v[88:89], v[86:87]
	v_div_scale_f64 v[90:91], vcc, 1.0, v[84:85], 1.0
	v_fma_f64 v[92:93], -v[86:87], v[88:89], 1.0
	v_fmac_f64_e32 v[88:89], v[88:89], v[92:93]
	v_fma_f64 v[92:93], -v[86:87], v[88:89], 1.0
	v_fmac_f64_e32 v[88:89], v[88:89], v[92:93]
	v_mul_f64 v[92:93], v[90:91], v[88:89]
	v_fma_f64 v[86:87], -v[86:87], v[92:93], v[90:91]
	v_div_fmas_f64 v[86:87], v[86:87], v[88:89], v[92:93]
	v_div_fixup_f64 v[84:85], v[86:87], v[84:85], 1.0
	ds_write_b64 v105, v[84:85]
.LBB33_39:
	s_or_b64 exec, exec, s[2:3]
	s_waitcnt lgkmcnt(0)
	s_barrier
	ds_read_b64 v[84:85], v105
	v_cmp_lt_u32_e32 vcc, 7, v104
	s_and_saveexec_b64 s[2:3], vcc
	s_cbranch_execz .LBB33_41
; %bb.40:
	ds_read2_b64 v[86:89], v106 offset0:8 offset1:9
	ds_read2_b64 v[90:93], v106 offset0:10 offset1:11
	s_waitcnt vmcnt(13) lgkmcnt(2)
	v_mul_f64 v[18:19], v[84:85], v[18:19]
	ds_read2_b64 v[94:97], v106 offset0:14 offset1:15
	s_waitcnt vmcnt(8) lgkmcnt(2)
	v_fma_f64 v[66:67], -v[18:19], v[86:87], v[66:67]
	s_waitcnt vmcnt(7)
	v_fma_f64 v[58:59], -v[18:19], v[88:89], v[58:59]
	ds_read2_b64 v[86:89], v106 offset0:12 offset1:13
	s_waitcnt vmcnt(6) lgkmcnt(2)
	v_fma_f64 v[64:65], -v[18:19], v[90:91], v[64:65]
	ds_read_b64 v[90:91], v106 offset:128
	s_waitcnt vmcnt(5)
	v_fma_f64 v[56:57], -v[18:19], v[92:93], v[56:57]
	s_waitcnt vmcnt(2) lgkmcnt(2)
	v_fma_f64 v[60:61], -v[18:19], v[94:95], v[60:61]
	s_waitcnt lgkmcnt(1)
	v_fma_f64 v[62:63], -v[18:19], v[86:87], v[62:63]
	v_fma_f64 v[54:55], -v[18:19], v[88:89], v[54:55]
	s_waitcnt vmcnt(1)
	v_fma_f64 v[52:53], -v[18:19], v[96:97], v[52:53]
	s_waitcnt vmcnt(0) lgkmcnt(0)
	v_fma_f64 v[68:69], -v[18:19], v[90:91], v[68:69]
.LBB33_41:
	s_or_b64 exec, exec, s[2:3]
	v_cmp_eq_u32_e32 vcc, 8, v104
	s_waitcnt lgkmcnt(0)
	s_barrier
	s_and_saveexec_b64 s[2:3], vcc
	s_cbranch_execz .LBB33_44
; %bb.42:
	s_waitcnt vmcnt(8)
	ds_write_b64 v105, v[66:67]
	s_waitcnt vmcnt(6)
	ds_write2_b64 v106, v[58:59], v[64:65] offset0:9 offset1:10
	s_waitcnt vmcnt(4)
	ds_write2_b64 v106, v[56:57], v[62:63] offset0:11 offset1:12
	;; [unrolled: 2-line block ×4, first 2 shown]
	ds_read_b64 v[86:87], v105
	s_waitcnt lgkmcnt(0)
	v_cmp_neq_f64_e32 vcc, 0, v[86:87]
	s_and_b64 exec, exec, vcc
	s_cbranch_execz .LBB33_44
; %bb.43:
	v_div_scale_f64 v[88:89], s[6:7], v[86:87], v[86:87], 1.0
	v_rcp_f64_e32 v[90:91], v[88:89]
	v_div_scale_f64 v[92:93], vcc, 1.0, v[86:87], 1.0
	v_fma_f64 v[94:95], -v[88:89], v[90:91], 1.0
	v_fmac_f64_e32 v[90:91], v[90:91], v[94:95]
	v_fma_f64 v[94:95], -v[88:89], v[90:91], 1.0
	v_fmac_f64_e32 v[90:91], v[90:91], v[94:95]
	v_mul_f64 v[94:95], v[92:93], v[90:91]
	v_fma_f64 v[88:89], -v[88:89], v[94:95], v[92:93]
	v_div_fmas_f64 v[88:89], v[88:89], v[90:91], v[94:95]
	v_div_fixup_f64 v[86:87], v[88:89], v[86:87], 1.0
	ds_write_b64 v105, v[86:87]
.LBB33_44:
	s_or_b64 exec, exec, s[2:3]
	s_waitcnt lgkmcnt(0)
	s_barrier
	ds_read_b64 v[86:87], v105
	v_cmp_lt_u32_e32 vcc, 8, v104
	s_and_saveexec_b64 s[2:3], vcc
	s_cbranch_execz .LBB33_46
; %bb.45:
	ds_read2_b64 v[88:91], v106 offset0:9 offset1:10
	ds_read2_b64 v[92:95], v106 offset0:11 offset1:12
	s_waitcnt vmcnt(8) lgkmcnt(2)
	v_mul_f64 v[66:67], v[86:87], v[66:67]
	ds_read2_b64 v[96:99], v106 offset0:13 offset1:14
	s_waitcnt vmcnt(7) lgkmcnt(2)
	v_fma_f64 v[58:59], -v[66:67], v[88:89], v[58:59]
	s_waitcnt vmcnt(6)
	v_fma_f64 v[64:65], -v[66:67], v[90:91], v[64:65]
	ds_read2_b64 v[88:91], v106 offset0:15 offset1:16
	s_waitcnt vmcnt(5) lgkmcnt(2)
	v_fma_f64 v[56:57], -v[66:67], v[92:93], v[56:57]
	s_waitcnt vmcnt(4)
	v_fma_f64 v[62:63], -v[66:67], v[94:95], v[62:63]
	s_waitcnt vmcnt(3) lgkmcnt(1)
	v_fma_f64 v[54:55], -v[66:67], v[96:97], v[54:55]
	s_waitcnt vmcnt(2)
	v_fma_f64 v[60:61], -v[66:67], v[98:99], v[60:61]
	;; [unrolled: 4-line block ×3, first 2 shown]
.LBB33_46:
	s_or_b64 exec, exec, s[2:3]
	v_cmp_eq_u32_e32 vcc, 9, v104
	s_waitcnt lgkmcnt(0)
	s_barrier
	s_and_saveexec_b64 s[2:3], vcc
	s_cbranch_execz .LBB33_49
; %bb.47:
	s_waitcnt vmcnt(6)
	v_mov_b32_e32 v88, v64
	v_mov_b32_e32 v89, v65
	s_waitcnt vmcnt(5)
	v_mov_b32_e32 v90, v56
	v_mov_b32_e32 v91, v57
	ds_write_b64 v105, v[58:59]
	ds_write2_b64 v106, v[88:89], v[90:91] offset0:10 offset1:11
	s_waitcnt vmcnt(4)
	v_mov_b32_e32 v88, v62
	v_mov_b32_e32 v89, v63
	s_waitcnt vmcnt(3)
	v_mov_b32_e32 v90, v54
	v_mov_b32_e32 v91, v55
	ds_write2_b64 v106, v[88:89], v[90:91] offset0:12 offset1:13
	s_waitcnt vmcnt(2)
	v_mov_b32_e32 v88, v60
	v_mov_b32_e32 v89, v61
	s_waitcnt vmcnt(1)
	v_mov_b32_e32 v90, v52
	v_mov_b32_e32 v91, v53
	ds_write2_b64 v106, v[88:89], v[90:91] offset0:14 offset1:15
	s_waitcnt vmcnt(0)
	ds_write_b64 v106, v[68:69] offset:128
	ds_read_b64 v[88:89], v105
	s_waitcnt lgkmcnt(0)
	v_cmp_neq_f64_e32 vcc, 0, v[88:89]
	s_and_b64 exec, exec, vcc
	s_cbranch_execz .LBB33_49
; %bb.48:
	v_div_scale_f64 v[90:91], s[6:7], v[88:89], v[88:89], 1.0
	v_rcp_f64_e32 v[92:93], v[90:91]
	v_div_scale_f64 v[94:95], vcc, 1.0, v[88:89], 1.0
	v_fma_f64 v[96:97], -v[90:91], v[92:93], 1.0
	v_fmac_f64_e32 v[92:93], v[92:93], v[96:97]
	v_fma_f64 v[96:97], -v[90:91], v[92:93], 1.0
	v_fmac_f64_e32 v[92:93], v[92:93], v[96:97]
	v_mul_f64 v[96:97], v[94:95], v[92:93]
	v_fma_f64 v[90:91], -v[90:91], v[96:97], v[94:95]
	v_div_fmas_f64 v[90:91], v[90:91], v[92:93], v[96:97]
	v_div_fixup_f64 v[88:89], v[90:91], v[88:89], 1.0
	ds_write_b64 v105, v[88:89]
.LBB33_49:
	s_or_b64 exec, exec, s[2:3]
	s_waitcnt lgkmcnt(0)
	s_barrier
	ds_read_b64 v[88:89], v105
	v_cmp_lt_u32_e32 vcc, 9, v104
	s_and_saveexec_b64 s[2:3], vcc
	s_cbranch_execz .LBB33_51
; %bb.50:
	ds_read2_b64 v[90:93], v106 offset0:10 offset1:11
	ds_read2_b64 v[94:97], v106 offset0:12 offset1:13
	s_waitcnt vmcnt(7) lgkmcnt(2)
	v_mul_f64 v[58:59], v[88:89], v[58:59]
	ds_read2_b64 v[98:101], v106 offset0:14 offset1:15
	s_waitcnt vmcnt(6) lgkmcnt(2)
	v_fma_f64 v[64:65], -v[58:59], v[90:91], v[64:65]
	ds_read_b64 v[90:91], v106 offset:128
	s_waitcnt vmcnt(5)
	v_fma_f64 v[56:57], -v[58:59], v[92:93], v[56:57]
	s_waitcnt vmcnt(4) lgkmcnt(2)
	v_fma_f64 v[62:63], -v[58:59], v[94:95], v[62:63]
	s_waitcnt vmcnt(3)
	v_fma_f64 v[54:55], -v[58:59], v[96:97], v[54:55]
	s_waitcnt vmcnt(2) lgkmcnt(1)
	v_fma_f64 v[60:61], -v[58:59], v[98:99], v[60:61]
	;; [unrolled: 4-line block ×3, first 2 shown]
.LBB33_51:
	s_or_b64 exec, exec, s[2:3]
	v_cmp_eq_u32_e32 vcc, 10, v104
	s_waitcnt lgkmcnt(0)
	s_barrier
	s_and_saveexec_b64 s[2:3], vcc
	s_cbranch_execz .LBB33_54
; %bb.52:
	s_waitcnt vmcnt(6)
	ds_write_b64 v105, v[64:65]
	s_waitcnt vmcnt(4)
	ds_write2_b64 v106, v[56:57], v[62:63] offset0:11 offset1:12
	s_waitcnt vmcnt(2)
	ds_write2_b64 v106, v[54:55], v[60:61] offset0:13 offset1:14
	;; [unrolled: 2-line block ×3, first 2 shown]
	ds_read_b64 v[90:91], v105
	s_waitcnt lgkmcnt(0)
	v_cmp_neq_f64_e32 vcc, 0, v[90:91]
	s_and_b64 exec, exec, vcc
	s_cbranch_execz .LBB33_54
; %bb.53:
	v_div_scale_f64 v[92:93], s[6:7], v[90:91], v[90:91], 1.0
	v_rcp_f64_e32 v[94:95], v[92:93]
	v_div_scale_f64 v[96:97], vcc, 1.0, v[90:91], 1.0
	v_fma_f64 v[98:99], -v[92:93], v[94:95], 1.0
	v_fmac_f64_e32 v[94:95], v[94:95], v[98:99]
	v_fma_f64 v[98:99], -v[92:93], v[94:95], 1.0
	v_fmac_f64_e32 v[94:95], v[94:95], v[98:99]
	v_mul_f64 v[98:99], v[96:97], v[94:95]
	v_fma_f64 v[92:93], -v[92:93], v[98:99], v[96:97]
	v_div_fmas_f64 v[92:93], v[92:93], v[94:95], v[98:99]
	v_div_fixup_f64 v[90:91], v[92:93], v[90:91], 1.0
	ds_write_b64 v105, v[90:91]
.LBB33_54:
	s_or_b64 exec, exec, s[2:3]
	s_waitcnt lgkmcnt(0)
	s_barrier
	ds_read_b64 v[90:91], v105
	v_cmp_lt_u32_e32 vcc, 10, v104
	s_and_saveexec_b64 s[2:3], vcc
	s_cbranch_execz .LBB33_56
; %bb.55:
	ds_read2_b64 v[92:95], v106 offset0:11 offset1:12
	ds_read2_b64 v[96:99], v106 offset0:13 offset1:14
	;; [unrolled: 1-line block ×3, first 2 shown]
	s_waitcnt vmcnt(6) lgkmcnt(3)
	v_mul_f64 v[64:65], v[90:91], v[64:65]
	s_waitcnt vmcnt(5) lgkmcnt(2)
	v_fma_f64 v[56:57], -v[64:65], v[92:93], v[56:57]
	s_waitcnt vmcnt(4)
	v_fma_f64 v[62:63], -v[64:65], v[94:95], v[62:63]
	s_waitcnt vmcnt(3) lgkmcnt(1)
	v_fma_f64 v[54:55], -v[64:65], v[96:97], v[54:55]
	s_waitcnt vmcnt(2)
	v_fma_f64 v[60:61], -v[64:65], v[98:99], v[60:61]
	;; [unrolled: 4-line block ×3, first 2 shown]
.LBB33_56:
	s_or_b64 exec, exec, s[2:3]
	v_cmp_eq_u32_e32 vcc, 11, v104
	s_waitcnt lgkmcnt(0)
	s_barrier
	s_and_saveexec_b64 s[2:3], vcc
	s_cbranch_execz .LBB33_59
; %bb.57:
	s_waitcnt vmcnt(4)
	v_mov_b32_e32 v92, v62
	v_mov_b32_e32 v93, v63
	s_waitcnt vmcnt(3)
	v_mov_b32_e32 v94, v54
	v_mov_b32_e32 v95, v55
	ds_write_b64 v105, v[56:57]
	ds_write2_b64 v106, v[92:93], v[94:95] offset0:12 offset1:13
	s_waitcnt vmcnt(2)
	v_mov_b32_e32 v92, v60
	v_mov_b32_e32 v93, v61
	s_waitcnt vmcnt(1)
	v_mov_b32_e32 v94, v52
	v_mov_b32_e32 v95, v53
	ds_write2_b64 v106, v[92:93], v[94:95] offset0:14 offset1:15
	s_waitcnt vmcnt(0)
	ds_write_b64 v106, v[68:69] offset:128
	ds_read_b64 v[92:93], v105
	s_waitcnt lgkmcnt(0)
	v_cmp_neq_f64_e32 vcc, 0, v[92:93]
	s_and_b64 exec, exec, vcc
	s_cbranch_execz .LBB33_59
; %bb.58:
	v_div_scale_f64 v[94:95], s[6:7], v[92:93], v[92:93], 1.0
	v_rcp_f64_e32 v[96:97], v[94:95]
	v_div_scale_f64 v[98:99], vcc, 1.0, v[92:93], 1.0
	v_fma_f64 v[100:101], -v[94:95], v[96:97], 1.0
	v_fmac_f64_e32 v[96:97], v[96:97], v[100:101]
	v_fma_f64 v[100:101], -v[94:95], v[96:97], 1.0
	v_fmac_f64_e32 v[96:97], v[96:97], v[100:101]
	v_mul_f64 v[100:101], v[98:99], v[96:97]
	v_fma_f64 v[94:95], -v[94:95], v[100:101], v[98:99]
	v_div_fmas_f64 v[94:95], v[94:95], v[96:97], v[100:101]
	v_div_fixup_f64 v[92:93], v[94:95], v[92:93], 1.0
	ds_write_b64 v105, v[92:93]
.LBB33_59:
	s_or_b64 exec, exec, s[2:3]
	s_waitcnt lgkmcnt(0)
	s_barrier
	ds_read_b64 v[92:93], v105
	v_cmp_lt_u32_e32 vcc, 11, v104
	s_and_saveexec_b64 s[2:3], vcc
	s_cbranch_execz .LBB33_61
; %bb.60:
	ds_read2_b64 v[94:97], v106 offset0:12 offset1:13
	ds_read2_b64 v[98:101], v106 offset0:14 offset1:15
	ds_read_b64 v[102:103], v106 offset:128
	s_waitcnt vmcnt(5) lgkmcnt(3)
	v_mul_f64 v[56:57], v[92:93], v[56:57]
	s_waitcnt vmcnt(4) lgkmcnt(2)
	v_fma_f64 v[62:63], -v[56:57], v[94:95], v[62:63]
	s_waitcnt vmcnt(3)
	v_fma_f64 v[54:55], -v[56:57], v[96:97], v[54:55]
	s_waitcnt vmcnt(2) lgkmcnt(1)
	v_fma_f64 v[60:61], -v[56:57], v[98:99], v[60:61]
	s_waitcnt vmcnt(1)
	v_fma_f64 v[52:53], -v[56:57], v[100:101], v[52:53]
	s_waitcnt vmcnt(0) lgkmcnt(0)
	v_fma_f64 v[68:69], -v[56:57], v[102:103], v[68:69]
.LBB33_61:
	s_or_b64 exec, exec, s[2:3]
	v_cmp_eq_u32_e32 vcc, 12, v104
	s_waitcnt lgkmcnt(0)
	s_barrier
	s_and_saveexec_b64 s[2:3], vcc
	s_cbranch_execz .LBB33_64
; %bb.62:
	s_waitcnt vmcnt(4)
	ds_write_b64 v105, v[62:63]
	s_waitcnt vmcnt(2)
	ds_write2_b64 v106, v[54:55], v[60:61] offset0:13 offset1:14
	s_waitcnt vmcnt(0)
	ds_write2_b64 v106, v[52:53], v[68:69] offset0:15 offset1:16
	ds_read_b64 v[94:95], v105
	s_waitcnt lgkmcnt(0)
	v_cmp_neq_f64_e32 vcc, 0, v[94:95]
	s_and_b64 exec, exec, vcc
	s_cbranch_execz .LBB33_64
; %bb.63:
	v_div_scale_f64 v[96:97], s[6:7], v[94:95], v[94:95], 1.0
	v_rcp_f64_e32 v[98:99], v[96:97]
	v_div_scale_f64 v[100:101], vcc, 1.0, v[94:95], 1.0
	v_fma_f64 v[102:103], -v[96:97], v[98:99], 1.0
	v_fmac_f64_e32 v[98:99], v[98:99], v[102:103]
	v_fma_f64 v[102:103], -v[96:97], v[98:99], 1.0
	v_fmac_f64_e32 v[98:99], v[98:99], v[102:103]
	v_mul_f64 v[102:103], v[100:101], v[98:99]
	v_fma_f64 v[96:97], -v[96:97], v[102:103], v[100:101]
	v_div_fmas_f64 v[96:97], v[96:97], v[98:99], v[102:103]
	v_div_fixup_f64 v[94:95], v[96:97], v[94:95], 1.0
	ds_write_b64 v105, v[94:95]
.LBB33_64:
	s_or_b64 exec, exec, s[2:3]
	s_waitcnt lgkmcnt(0)
	s_barrier
	ds_read_b64 v[94:95], v105
	v_cmp_lt_u32_e32 vcc, 12, v104
	s_and_saveexec_b64 s[2:3], vcc
	s_cbranch_execz .LBB33_66
; %bb.65:
	ds_read2_b64 v[96:99], v106 offset0:13 offset1:14
	ds_read2_b64 v[100:103], v106 offset0:15 offset1:16
	s_waitcnt vmcnt(4) lgkmcnt(2)
	v_mul_f64 v[62:63], v[94:95], v[62:63]
	s_waitcnt vmcnt(3) lgkmcnt(1)
	v_fma_f64 v[54:55], -v[62:63], v[96:97], v[54:55]
	s_waitcnt vmcnt(2)
	v_fma_f64 v[60:61], -v[62:63], v[98:99], v[60:61]
	s_waitcnt vmcnt(1) lgkmcnt(0)
	v_fma_f64 v[52:53], -v[62:63], v[100:101], v[52:53]
	s_waitcnt vmcnt(0)
	v_fma_f64 v[68:69], -v[62:63], v[102:103], v[68:69]
.LBB33_66:
	s_or_b64 exec, exec, s[2:3]
	v_cmp_eq_u32_e32 vcc, 13, v104
	s_waitcnt lgkmcnt(0)
	s_barrier
	s_and_saveexec_b64 s[2:3], vcc
	s_cbranch_execz .LBB33_69
; %bb.67:
	s_waitcnt vmcnt(2)
	v_mov_b32_e32 v96, v60
	v_mov_b32_e32 v97, v61
	s_waitcnt vmcnt(1)
	v_mov_b32_e32 v98, v52
	v_mov_b32_e32 v99, v53
	ds_write_b64 v105, v[54:55]
	ds_write2_b64 v106, v[96:97], v[98:99] offset0:14 offset1:15
	s_waitcnt vmcnt(0)
	ds_write_b64 v106, v[68:69] offset:128
	ds_read_b64 v[96:97], v105
	s_waitcnt lgkmcnt(0)
	v_cmp_neq_f64_e32 vcc, 0, v[96:97]
	s_and_b64 exec, exec, vcc
	s_cbranch_execz .LBB33_69
; %bb.68:
	v_div_scale_f64 v[98:99], s[6:7], v[96:97], v[96:97], 1.0
	v_rcp_f64_e32 v[100:101], v[98:99]
	v_div_scale_f64 v[102:103], vcc, 1.0, v[96:97], 1.0
	v_fma_f64 v[108:109], -v[98:99], v[100:101], 1.0
	v_fmac_f64_e32 v[100:101], v[100:101], v[108:109]
	v_fma_f64 v[108:109], -v[98:99], v[100:101], 1.0
	v_fmac_f64_e32 v[100:101], v[100:101], v[108:109]
	v_mul_f64 v[108:109], v[102:103], v[100:101]
	v_fma_f64 v[98:99], -v[98:99], v[108:109], v[102:103]
	v_div_fmas_f64 v[98:99], v[98:99], v[100:101], v[108:109]
	v_div_fixup_f64 v[96:97], v[98:99], v[96:97], 1.0
	ds_write_b64 v105, v[96:97]
.LBB33_69:
	s_or_b64 exec, exec, s[2:3]
	s_waitcnt lgkmcnt(0)
	s_barrier
	ds_read_b64 v[96:97], v105
	v_cmp_lt_u32_e32 vcc, 13, v104
	s_and_saveexec_b64 s[2:3], vcc
	s_cbranch_execz .LBB33_71
; %bb.70:
	ds_read2_b64 v[98:101], v106 offset0:14 offset1:15
	ds_read_b64 v[102:103], v106 offset:128
	s_waitcnt vmcnt(3) lgkmcnt(2)
	v_mul_f64 v[54:55], v[96:97], v[54:55]
	s_waitcnt vmcnt(2) lgkmcnt(1)
	v_fma_f64 v[60:61], -v[54:55], v[98:99], v[60:61]
	s_waitcnt vmcnt(1)
	v_fma_f64 v[52:53], -v[54:55], v[100:101], v[52:53]
	s_waitcnt vmcnt(0) lgkmcnt(0)
	v_fma_f64 v[68:69], -v[54:55], v[102:103], v[68:69]
.LBB33_71:
	s_or_b64 exec, exec, s[2:3]
	v_cmp_eq_u32_e32 vcc, 14, v104
	s_waitcnt lgkmcnt(0)
	s_barrier
	s_and_saveexec_b64 s[2:3], vcc
	s_cbranch_execz .LBB33_74
; %bb.72:
	s_waitcnt vmcnt(2)
	ds_write_b64 v105, v[60:61]
	s_waitcnt vmcnt(0)
	ds_write2_b64 v106, v[52:53], v[68:69] offset0:15 offset1:16
	ds_read_b64 v[98:99], v105
	s_waitcnt lgkmcnt(0)
	v_cmp_neq_f64_e32 vcc, 0, v[98:99]
	s_and_b64 exec, exec, vcc
	s_cbranch_execz .LBB33_74
; %bb.73:
	v_div_scale_f64 v[100:101], s[6:7], v[98:99], v[98:99], 1.0
	v_rcp_f64_e32 v[102:103], v[100:101]
	v_div_scale_f64 v[108:109], vcc, 1.0, v[98:99], 1.0
	v_fma_f64 v[110:111], -v[100:101], v[102:103], 1.0
	v_fmac_f64_e32 v[102:103], v[102:103], v[110:111]
	v_fma_f64 v[110:111], -v[100:101], v[102:103], 1.0
	v_fmac_f64_e32 v[102:103], v[102:103], v[110:111]
	v_mul_f64 v[110:111], v[108:109], v[102:103]
	v_fma_f64 v[100:101], -v[100:101], v[110:111], v[108:109]
	v_div_fmas_f64 v[100:101], v[100:101], v[102:103], v[110:111]
	v_div_fixup_f64 v[98:99], v[100:101], v[98:99], 1.0
	ds_write_b64 v105, v[98:99]
.LBB33_74:
	s_or_b64 exec, exec, s[2:3]
	s_waitcnt lgkmcnt(0)
	s_barrier
	ds_read_b64 v[98:99], v105
	v_cmp_lt_u32_e32 vcc, 14, v104
	s_and_saveexec_b64 s[2:3], vcc
	s_cbranch_execz .LBB33_76
; %bb.75:
	ds_read2_b64 v[100:103], v106 offset0:15 offset1:16
	s_waitcnt vmcnt(2) lgkmcnt(1)
	v_mul_f64 v[60:61], v[98:99], v[60:61]
	s_waitcnt vmcnt(1) lgkmcnt(0)
	v_fma_f64 v[52:53], -v[60:61], v[100:101], v[52:53]
	s_waitcnt vmcnt(0)
	v_fma_f64 v[68:69], -v[60:61], v[102:103], v[68:69]
.LBB33_76:
	s_or_b64 exec, exec, s[2:3]
	v_cmp_eq_u32_e32 vcc, 15, v104
	s_waitcnt lgkmcnt(0)
	s_barrier
	s_and_saveexec_b64 s[2:3], vcc
	s_cbranch_execz .LBB33_79
; %bb.77:
	s_waitcnt vmcnt(1)
	ds_write_b64 v105, v[52:53]
	s_waitcnt vmcnt(0)
	ds_write_b64 v106, v[68:69] offset:128
	ds_read_b64 v[100:101], v105
	s_waitcnt lgkmcnt(0)
	v_cmp_neq_f64_e32 vcc, 0, v[100:101]
	s_and_b64 exec, exec, vcc
	s_cbranch_execz .LBB33_79
; %bb.78:
	v_div_scale_f64 v[102:103], s[6:7], v[100:101], v[100:101], 1.0
	v_rcp_f64_e32 v[108:109], v[102:103]
	v_div_scale_f64 v[110:111], vcc, 1.0, v[100:101], 1.0
	v_fma_f64 v[112:113], -v[102:103], v[108:109], 1.0
	v_fmac_f64_e32 v[108:109], v[108:109], v[112:113]
	v_fma_f64 v[112:113], -v[102:103], v[108:109], 1.0
	v_fmac_f64_e32 v[108:109], v[108:109], v[112:113]
	v_mul_f64 v[112:113], v[110:111], v[108:109]
	v_fma_f64 v[102:103], -v[102:103], v[112:113], v[110:111]
	v_div_fmas_f64 v[102:103], v[102:103], v[108:109], v[112:113]
	v_div_fixup_f64 v[100:101], v[102:103], v[100:101], 1.0
	ds_write_b64 v105, v[100:101]
.LBB33_79:
	s_or_b64 exec, exec, s[2:3]
	s_waitcnt lgkmcnt(0)
	s_barrier
	ds_read_b64 v[102:103], v105
	v_cmp_lt_u32_e32 vcc, 15, v104
	s_and_saveexec_b64 s[2:3], vcc
	s_cbranch_execz .LBB33_81
; %bb.80:
	ds_read_b64 v[100:101], v106 offset:128
	s_waitcnt vmcnt(1) lgkmcnt(1)
	v_mul_f64 v[52:53], v[102:103], v[52:53]
	s_waitcnt vmcnt(0) lgkmcnt(0)
	v_fma_f64 v[68:69], -v[52:53], v[100:101], v[68:69]
.LBB33_81:
	s_or_b64 exec, exec, s[2:3]
	v_cmp_eq_u32_e32 vcc, 16, v104
	s_waitcnt lgkmcnt(0)
	s_barrier
	s_and_saveexec_b64 s[2:3], vcc
	s_cbranch_execz .LBB33_84
; %bb.82:
	s_waitcnt vmcnt(0)
	v_cmp_neq_f64_e32 vcc, 0, v[68:69]
	ds_write_b64 v105, v[68:69]
	s_and_b64 exec, exec, vcc
	s_cbranch_execz .LBB33_84
; %bb.83:
	v_div_scale_f64 v[100:101], s[6:7], v[68:69], v[68:69], 1.0
	v_rcp_f64_e32 v[106:107], v[100:101]
	v_div_scale_f64 v[108:109], vcc, 1.0, v[68:69], 1.0
	v_fma_f64 v[110:111], -v[100:101], v[106:107], 1.0
	v_fmac_f64_e32 v[106:107], v[106:107], v[110:111]
	v_fma_f64 v[110:111], -v[100:101], v[106:107], 1.0
	v_fmac_f64_e32 v[106:107], v[106:107], v[110:111]
	v_mul_f64 v[110:111], v[108:109], v[106:107]
	v_fma_f64 v[100:101], -v[100:101], v[110:111], v[108:109]
	v_div_fmas_f64 v[100:101], v[100:101], v[106:107], v[110:111]
	v_div_fixup_f64 v[100:101], v[100:101], v[68:69], 1.0
	ds_write_b64 v105, v[100:101]
.LBB33_84:
	s_or_b64 exec, exec, s[2:3]
	s_waitcnt lgkmcnt(0)
	s_barrier
	ds_read_b64 v[100:101], v105
	s_waitcnt lgkmcnt(0)
	s_barrier
	s_and_saveexec_b64 s[36:37], s[0:1]
	s_cbranch_execz .LBB33_87
; %bb.85:
	s_load_dwordx2 s[0:1], s[4:5], 0x28
	v_lshlrev_b64 v[2:3], 2, v[2:3]
	v_cmp_eq_f64_e64 s[2:3], 0, v[74:75]
	v_cmp_eq_f64_e64 s[4:5], 0, v[76:77]
	;; [unrolled: 1-line block ×3, first 2 shown]
	s_waitcnt lgkmcnt(0)
	v_mov_b32_e32 v105, s1
	v_add_co_u32_e32 v2, vcc, s0, v2
	v_addc_co_u32_e32 v3, vcc, v105, v3, vcc
	global_load_dword v105, v[2:3], off
	v_cmp_eq_f64_e32 vcc, 0, v[70:71]
	v_cmp_neq_f64_e64 s[0:1], 0, v[72:73]
	v_cndmask_b32_e64 v70, 0, 1, vcc
	s_or_b64 vcc, s[0:1], vcc
	v_cndmask_b32_e32 v70, 2, v70, vcc
	v_cmp_eq_u32_e32 vcc, 0, v70
	s_and_b64 s[0:1], s[2:3], vcc
	v_cndmask_b32_e64 v70, v70, 3, s[0:1]
	v_cmp_eq_u32_e32 vcc, 0, v70
	s_and_b64 s[0:1], s[4:5], vcc
	v_cndmask_b32_e64 v70, v70, 4, s[0:1]
	;; [unrolled: 3-line block ×3, first 2 shown]
	v_cmp_eq_f64_e64 s[8:9], 0, v[80:81]
	v_cmp_eq_u32_e32 vcc, 0, v70
	s_and_b64 s[0:1], s[8:9], vcc
	v_cndmask_b32_e64 v70, v70, 6, s[0:1]
	v_cmp_eq_f64_e64 s[10:11], 0, v[82:83]
	v_cmp_eq_u32_e32 vcc, 0, v70
	s_and_b64 s[0:1], s[10:11], vcc
	v_cndmask_b32_e64 v70, v70, 7, s[0:1]
	;; [unrolled: 4-line block ×12, first 2 shown]
	v_cmp_ne_u32_e64 s[0:1], 0, v70
	s_waitcnt vmcnt(0)
	v_cmp_eq_u32_e32 vcc, 0, v105
	s_and_b64 s[0:1], vcc, s[0:1]
	s_and_b64 exec, exec, s[0:1]
	s_cbranch_execz .LBB33_87
; %bb.86:
	v_add_u32_e32 v70, s35, v70
	global_store_dword v[2:3], v70, off
.LBB33_87:
	s_or_b64 exec, exec, s[36:37]
	s_waitcnt vmcnt(0)
	v_mul_f64 v[2:3], v[100:101], v[68:69]
	v_cmp_lt_u32_e32 vcc, 16, v104
	v_cndmask_b32_e32 v3, v69, v3, vcc
	v_cndmask_b32_e32 v2, v68, v2, vcc
	global_store_dwordx2 v[0:1], v[30:31], off
	global_store_dwordx2 v[26:27], v[34:35], off
	;; [unrolled: 1-line block ×17, first 2 shown]
.LBB33_88:
	s_endpgm
	.section	.rodata,"a",@progbits
	.p2align	6, 0x0
	.amdhsa_kernel _ZN9rocsolver6v33100L23getf2_npvt_small_kernelILi17EdiiPKPdEEvT1_T3_lS5_lPT2_S5_S5_
		.amdhsa_group_segment_fixed_size 0
		.amdhsa_private_segment_fixed_size 0
		.amdhsa_kernarg_size 312
		.amdhsa_user_sgpr_count 6
		.amdhsa_user_sgpr_private_segment_buffer 1
		.amdhsa_user_sgpr_dispatch_ptr 0
		.amdhsa_user_sgpr_queue_ptr 0
		.amdhsa_user_sgpr_kernarg_segment_ptr 1
		.amdhsa_user_sgpr_dispatch_id 0
		.amdhsa_user_sgpr_flat_scratch_init 0
		.amdhsa_user_sgpr_kernarg_preload_length 0
		.amdhsa_user_sgpr_kernarg_preload_offset 0
		.amdhsa_user_sgpr_private_segment_size 0
		.amdhsa_uses_dynamic_stack 0
		.amdhsa_system_sgpr_private_segment_wavefront_offset 0
		.amdhsa_system_sgpr_workgroup_id_x 1
		.amdhsa_system_sgpr_workgroup_id_y 1
		.amdhsa_system_sgpr_workgroup_id_z 0
		.amdhsa_system_sgpr_workgroup_info 0
		.amdhsa_system_vgpr_workitem_id 1
		.amdhsa_next_free_vgpr 114
		.amdhsa_next_free_sgpr 38
		.amdhsa_accum_offset 116
		.amdhsa_reserve_vcc 1
		.amdhsa_reserve_flat_scratch 0
		.amdhsa_float_round_mode_32 0
		.amdhsa_float_round_mode_16_64 0
		.amdhsa_float_denorm_mode_32 3
		.amdhsa_float_denorm_mode_16_64 3
		.amdhsa_dx10_clamp 1
		.amdhsa_ieee_mode 1
		.amdhsa_fp16_overflow 0
		.amdhsa_tg_split 0
		.amdhsa_exception_fp_ieee_invalid_op 0
		.amdhsa_exception_fp_denorm_src 0
		.amdhsa_exception_fp_ieee_div_zero 0
		.amdhsa_exception_fp_ieee_overflow 0
		.amdhsa_exception_fp_ieee_underflow 0
		.amdhsa_exception_fp_ieee_inexact 0
		.amdhsa_exception_int_div_zero 0
	.end_amdhsa_kernel
	.section	.text._ZN9rocsolver6v33100L23getf2_npvt_small_kernelILi17EdiiPKPdEEvT1_T3_lS5_lPT2_S5_S5_,"axG",@progbits,_ZN9rocsolver6v33100L23getf2_npvt_small_kernelILi17EdiiPKPdEEvT1_T3_lS5_lPT2_S5_S5_,comdat
.Lfunc_end33:
	.size	_ZN9rocsolver6v33100L23getf2_npvt_small_kernelILi17EdiiPKPdEEvT1_T3_lS5_lPT2_S5_S5_, .Lfunc_end33-_ZN9rocsolver6v33100L23getf2_npvt_small_kernelILi17EdiiPKPdEEvT1_T3_lS5_lPT2_S5_S5_
                                        ; -- End function
	.section	.AMDGPU.csdata,"",@progbits
; Kernel info:
; codeLenInByte = 8036
; NumSgprs: 42
; NumVgprs: 114
; NumAgprs: 0
; TotalNumVgprs: 114
; ScratchSize: 0
; MemoryBound: 0
; FloatMode: 240
; IeeeMode: 1
; LDSByteSize: 0 bytes/workgroup (compile time only)
; SGPRBlocks: 5
; VGPRBlocks: 14
; NumSGPRsForWavesPerEU: 42
; NumVGPRsForWavesPerEU: 114
; AccumOffset: 116
; Occupancy: 4
; WaveLimiterHint : 1
; COMPUTE_PGM_RSRC2:SCRATCH_EN: 0
; COMPUTE_PGM_RSRC2:USER_SGPR: 6
; COMPUTE_PGM_RSRC2:TRAP_HANDLER: 0
; COMPUTE_PGM_RSRC2:TGID_X_EN: 1
; COMPUTE_PGM_RSRC2:TGID_Y_EN: 1
; COMPUTE_PGM_RSRC2:TGID_Z_EN: 0
; COMPUTE_PGM_RSRC2:TIDIG_COMP_CNT: 1
; COMPUTE_PGM_RSRC3_GFX90A:ACCUM_OFFSET: 28
; COMPUTE_PGM_RSRC3_GFX90A:TG_SPLIT: 0
	.section	.text._ZN9rocsolver6v33100L18getf2_small_kernelILi18EdiiPKPdEEvT1_T3_lS5_lPS5_llPT2_S5_S5_S7_l,"axG",@progbits,_ZN9rocsolver6v33100L18getf2_small_kernelILi18EdiiPKPdEEvT1_T3_lS5_lPS5_llPT2_S5_S5_S7_l,comdat
	.globl	_ZN9rocsolver6v33100L18getf2_small_kernelILi18EdiiPKPdEEvT1_T3_lS5_lPS5_llPT2_S5_S5_S7_l ; -- Begin function _ZN9rocsolver6v33100L18getf2_small_kernelILi18EdiiPKPdEEvT1_T3_lS5_lPS5_llPT2_S5_S5_S7_l
	.p2align	8
	.type	_ZN9rocsolver6v33100L18getf2_small_kernelILi18EdiiPKPdEEvT1_T3_lS5_lPS5_llPT2_S5_S5_S7_l,@function
_ZN9rocsolver6v33100L18getf2_small_kernelILi18EdiiPKPdEEvT1_T3_lS5_lPS5_llPT2_S5_S5_S7_l: ; @_ZN9rocsolver6v33100L18getf2_small_kernelILi18EdiiPKPdEEvT1_T3_lS5_lPS5_llPT2_S5_S5_S7_l
; %bb.0:
	s_load_dword s0, s[4:5], 0x6c
	s_load_dwordx2 s[12:13], s[4:5], 0x48
	v_bfe_u32 v40, v0, 10, 10
	s_waitcnt lgkmcnt(0)
	s_lshr_b32 s0, s0, 16
	s_mul_i32 s7, s7, s0
	v_add_u32_e32 v2, s7, v40
	v_cmp_gt_i32_e32 vcc, s12, v2
	s_and_saveexec_b64 s[0:1], vcc
	s_cbranch_execz .LBB34_303
; %bb.1:
	s_load_dwordx4 s[0:3], s[4:5], 0x8
	s_load_dwordx4 s[8:11], s[4:5], 0x50
	v_ashrrev_i32_e32 v3, 31, v2
	v_lshlrev_b64 v[4:5], 3, v[2:3]
	v_pk_mov_b32 v[36:37], 0, 0
	s_waitcnt lgkmcnt(0)
	v_mov_b32_e32 v1, s1
	v_add_co_u32_e32 v4, vcc, s0, v4
	v_addc_co_u32_e32 v5, vcc, v1, v5, vcc
	global_load_dwordx2 v[4:5], v[4:5], off
	s_cmp_eq_u64 s[8:9], 0
	s_cselect_b64 s[6:7], -1, 0
	s_and_b64 vcc, exec, s[6:7]
	s_cbranch_vccnz .LBB34_3
; %bb.2:
	v_mul_lo_u32 v1, v3, s10
	v_mul_lo_u32 v8, v2, s11
	v_mad_u64_u32 v[6:7], s[0:1], v2, s10, 0
	v_add3_u32 v7, v7, v8, v1
	v_lshlrev_b64 v[6:7], 2, v[6:7]
	v_mov_b32_e32 v1, s9
	v_add_co_u32_e32 v36, vcc, s8, v6
	v_addc_co_u32_e32 v37, vcc, v1, v7, vcc
.LBB34_3:
	s_load_dword s8, s[4:5], 0x18
	s_load_dword s12, s[4:5], 0x0
	s_lshl_b64 s[0:1], s[2:3], 3
	v_mov_b32_e32 v1, s1
	s_waitcnt vmcnt(0)
	v_add_co_u32_e32 v46, vcc, s0, v4
	v_and_b32_e32 v48, 0x3ff, v0
	v_addc_co_u32_e32 v47, vcc, v5, v1, vcc
	v_lshlrev_b32_e32 v41, 3, v48
	v_add_co_u32_e32 v4, vcc, v46, v41
	s_waitcnt lgkmcnt(0)
	s_ashr_i32 s9, s8, 31
	v_addc_co_u32_e32 v5, vcc, 0, v47, vcc
	s_lshl_b64 s[10:11], s[8:9], 3
	v_mov_b32_e32 v0, s11
	v_add_co_u32_e32 v8, vcc, s10, v4
	s_add_i32 s9, s8, s8
	v_addc_co_u32_e32 v9, vcc, v5, v0, vcc
	v_add_u32_e32 v0, s9, v48
	v_ashrrev_i32_e32 v1, 31, v0
	v_lshlrev_b64 v[6:7], 3, v[0:1]
	v_add_u32_e32 v14, s8, v0
	v_add_co_u32_e32 v10, vcc, v46, v6
	v_ashrrev_i32_e32 v15, 31, v14
	v_addc_co_u32_e32 v11, vcc, v47, v7, vcc
	v_lshlrev_b64 v[0:1], 3, v[14:15]
	v_add_co_u32_e32 v16, vcc, v46, v0
	v_addc_co_u32_e32 v17, vcc, v47, v1, vcc
	global_load_dwordx2 v[18:19], v[4:5], off
	global_load_dwordx2 v[12:13], v[8:9], off
	global_load_dwordx2 v[6:7], v[10:11], off
	global_load_dwordx2 v[0:1], v[16:17], off
	v_add_u32_e32 v4, s8, v14
	v_ashrrev_i32_e32 v5, 31, v4
	v_lshlrev_b64 v[8:9], 3, v[4:5]
	v_add_u32_e32 v4, s8, v4
	v_add_co_u32_e32 v8, vcc, v46, v8
	v_ashrrev_i32_e32 v5, 31, v4
	v_addc_co_u32_e32 v9, vcc, v47, v9, vcc
	v_lshlrev_b64 v[10:11], 3, v[4:5]
	v_add_u32_e32 v4, s8, v4
	v_add_co_u32_e32 v14, vcc, v46, v10
	v_ashrrev_i32_e32 v5, 31, v4
	v_addc_co_u32_e32 v15, vcc, v47, v11, vcc
	v_lshlrev_b64 v[10:11], 3, v[4:5]
	v_add_u32_e32 v22, s8, v4
	v_add_co_u32_e32 v16, vcc, v46, v10
	v_ashrrev_i32_e32 v23, 31, v22
	v_addc_co_u32_e32 v17, vcc, v47, v11, vcc
	v_lshlrev_b64 v[4:5], 3, v[22:23]
	v_add_co_u32_e32 v24, vcc, v46, v4
	v_addc_co_u32_e32 v25, vcc, v47, v5, vcc
	global_load_dwordx2 v[26:27], v[8:9], off
	global_load_dwordx2 v[20:21], v[14:15], off
	global_load_dwordx2 v[10:11], v[16:17], off
	global_load_dwordx2 v[4:5], v[24:25], off
	v_add_u32_e32 v8, s8, v22
	v_ashrrev_i32_e32 v9, 31, v8
	v_lshlrev_b64 v[14:15], 3, v[8:9]
	v_add_u32_e32 v8, s8, v8
	v_add_co_u32_e32 v14, vcc, v46, v14
	v_ashrrev_i32_e32 v9, 31, v8
	v_addc_co_u32_e32 v15, vcc, v47, v15, vcc
	v_lshlrev_b64 v[16:17], 3, v[8:9]
	v_add_u32_e32 v8, s8, v8
	v_add_co_u32_e32 v22, vcc, v46, v16
	v_ashrrev_i32_e32 v9, 31, v8
	v_addc_co_u32_e32 v23, vcc, v47, v17, vcc
	;; [unrolled: 24-line block ×3, first 2 shown]
	v_lshlrev_b64 v[22:23], 3, v[14:15]
	v_add_u32_e32 v44, s8, v14
	v_add_co_u32_e32 v42, vcc, v46, v22
	v_ashrrev_i32_e32 v45, 31, v44
	v_addc_co_u32_e32 v43, vcc, v47, v23, vcc
	v_lshlrev_b64 v[14:15], 3, v[44:45]
	v_add_co_u32_e32 v50, vcc, v46, v14
	v_addc_co_u32_e32 v51, vcc, v47, v15, vcc
	global_load_dwordx2 v[34:35], v[28:29], off
	global_load_dwordx2 v[30:31], v[38:39], off
	;; [unrolled: 1-line block ×4, first 2 shown]
	v_add_u32_e32 v28, s8, v44
	v_ashrrev_i32_e32 v29, 31, v28
	v_lshlrev_b64 v[38:39], 3, v[28:29]
	v_add_u32_e32 v28, s8, v28
	v_add_co_u32_e32 v42, vcc, v46, v38
	v_ashrrev_i32_e32 v29, 31, v28
	v_addc_co_u32_e32 v43, vcc, v47, v39, vcc
	v_lshlrev_b64 v[28:29], 3, v[28:29]
	v_add_co_u32_e32 v44, vcc, v46, v28
	v_addc_co_u32_e32 v45, vcc, v47, v29, vcc
	global_load_dwordx2 v[28:29], v[42:43], off
	global_load_dwordx2 v[38:39], v[44:45], off
	s_max_i32 s0, s12, 18
	v_mul_lo_u32 v43, s0, v40
	v_lshl_add_u32 v44, v43, 3, 0
	v_add_u32_e32 v40, v44, v41
	s_waitcnt vmcnt(17)
	ds_write_b64 v40, v[18:19]
	s_waitcnt lgkmcnt(0)
	s_barrier
	ds_read_b64 v[40:41], v44
	v_mov_b32_e32 v42, 0
	s_cmp_lt_i32 s12, 2
	v_lshlrev_b32_e32 v49, 3, v43
	s_cbranch_scc1 .LBB34_6
; %bb.4:
	v_add3_u32 v43, v49, 0, 8
	s_mov_b32 s0, 1
	v_mov_b32_e32 v42, 0
.LBB34_5:                               ; =>This Inner Loop Header: Depth=1
	ds_read_b64 v[50:51], v43
	v_mov_b32_e32 v45, s0
	s_add_i32 s0, s0, 1
	v_add_u32_e32 v43, 8, v43
	s_cmp_eq_u32 s12, s0
	s_waitcnt lgkmcnt(0)
	v_cmp_lt_f64_e64 vcc, |v[40:41]|, |v[50:51]|
	v_cndmask_b32_e32 v41, v41, v51, vcc
	v_cndmask_b32_e32 v40, v40, v50, vcc
	;; [unrolled: 1-line block ×3, first 2 shown]
	s_cbranch_scc0 .LBB34_5
.LBB34_6:
	v_cmp_ne_u32_e32 vcc, v48, v42
                                        ; implicit-def: $vgpr45
	s_and_saveexec_b64 s[0:1], vcc
	s_xor_b64 s[0:1], exec, s[0:1]
	s_cbranch_execz .LBB34_12
; %bb.7:
	v_cmp_eq_u32_e32 vcc, 0, v48
	s_and_saveexec_b64 s[2:3], vcc
	s_cbranch_execz .LBB34_11
; %bb.8:
	v_cmp_ne_u32_e32 vcc, 0, v42
	s_xor_b64 s[14:15], s[6:7], -1
	s_and_b64 s[16:17], s[14:15], vcc
	s_and_saveexec_b64 s[14:15], s[16:17]
	s_cbranch_execz .LBB34_10
; %bb.9:
	v_ashrrev_i32_e32 v43, 31, v42
	v_lshlrev_b64 v[50:51], 2, v[42:43]
	v_add_co_u32_e32 v50, vcc, v36, v50
	v_addc_co_u32_e32 v51, vcc, v37, v51, vcc
	flat_load_dword v43, v[50:51]
	flat_load_dword v45, v[36:37]
	s_waitcnt vmcnt(0) lgkmcnt(0)
	flat_store_dword v[36:37], v43
	flat_store_dword v[50:51], v45
.LBB34_10:
	s_or_b64 exec, exec, s[14:15]
	v_mov_b32_e32 v48, v42
.LBB34_11:
	s_or_b64 exec, exec, s[2:3]
	v_mov_b32_e32 v45, v48
                                        ; implicit-def: $vgpr48
.LBB34_12:
	s_or_saveexec_b64 s[0:1], s[0:1]
	v_mov_b32_e32 v43, v45
	s_xor_b64 exec, exec, s[0:1]
	s_cbranch_execz .LBB34_14
; %bb.13:
	v_mov_b32_e32 v45, 0
	v_mov_b32_e32 v43, v48
	s_waitcnt vmcnt(0)
	ds_write2_b64 v44, v[12:13], v[6:7] offset0:1 offset1:2
	ds_write2_b64 v44, v[0:1], v[26:27] offset0:3 offset1:4
	;; [unrolled: 1-line block ×8, first 2 shown]
	ds_write_b64 v44, v[38:39] offset:136
.LBB34_14:
	s_or_b64 exec, exec, s[0:1]
	s_waitcnt lgkmcnt(0)
	v_cmp_eq_f64_e64 s[0:1], 0, v[40:41]
	v_cmp_lt_i32_e32 vcc, 0, v45
	s_barrier
	s_and_saveexec_b64 s[2:3], vcc
	s_cbranch_execz .LBB34_16
; %bb.15:
	v_div_scale_f64 v[50:51], s[14:15], v[40:41], v[40:41], 1.0
	v_rcp_f64_e32 v[52:53], v[50:51]
	v_div_scale_f64 v[54:55], vcc, 1.0, v[40:41], 1.0
	ds_read2_b64 v[58:61], v44 offset0:5 offset1:6
	v_fma_f64 v[56:57], -v[50:51], v[52:53], 1.0
	v_fmac_f64_e32 v[52:53], v[52:53], v[56:57]
	v_fma_f64 v[56:57], -v[50:51], v[52:53], 1.0
	v_fmac_f64_e32 v[52:53], v[52:53], v[56:57]
	v_mul_f64 v[56:57], v[54:55], v[52:53]
	v_fma_f64 v[50:51], -v[50:51], v[56:57], v[54:55]
	v_div_fmas_f64 v[50:51], v[50:51], v[52:53], v[56:57]
	v_div_fixup_f64 v[54:55], v[50:51], v[40:41], 1.0
	ds_read2_b64 v[50:53], v44 offset0:1 offset1:2
	v_cndmask_b32_e64 v41, v55, v41, s[0:1]
	v_cndmask_b32_e64 v40, v54, v40, s[0:1]
	ds_read2_b64 v[54:57], v44 offset0:3 offset1:4
	v_mul_f64 v[18:19], v[40:41], v[18:19]
	s_waitcnt vmcnt(0) lgkmcnt(0)
	v_fma_f64 v[12:13], -v[18:19], v[50:51], v[12:13]
	v_fma_f64 v[6:7], -v[18:19], v[52:53], v[6:7]
	ds_read2_b64 v[50:53], v44 offset0:7 offset1:8
	v_fma_f64 v[0:1], -v[18:19], v[54:55], v[0:1]
	v_fma_f64 v[26:27], -v[18:19], v[56:57], v[26:27]
	ds_read2_b64 v[54:57], v44 offset0:9 offset1:10
	;; [unrolled: 3-line block ×3, first 2 shown]
	s_waitcnt lgkmcnt(2)
	v_fma_f64 v[4:5], -v[18:19], v[50:51], v[4:5]
	v_fma_f64 v[32:33], -v[18:19], v[52:53], v[32:33]
	s_waitcnt lgkmcnt(1)
	v_fma_f64 v[24:25], -v[18:19], v[54:55], v[24:25]
	v_fma_f64 v[16:17], -v[18:19], v[56:57], v[16:17]
	ds_read2_b64 v[50:53], v44 offset0:13 offset1:14
	ds_read2_b64 v[54:57], v44 offset0:15 offset1:16
	ds_read_b64 v[40:41], v44 offset:136
	s_waitcnt lgkmcnt(3)
	v_fma_f64 v[8:9], -v[18:19], v[58:59], v[8:9]
	v_fma_f64 v[34:35], -v[18:19], v[60:61], v[34:35]
	s_waitcnt lgkmcnt(2)
	v_fma_f64 v[30:31], -v[18:19], v[50:51], v[30:31]
	v_fma_f64 v[22:23], -v[18:19], v[52:53], v[22:23]
	;; [unrolled: 3-line block ×3, first 2 shown]
	s_waitcnt lgkmcnt(0)
	v_fma_f64 v[38:39], -v[18:19], v[40:41], v[38:39]
.LBB34_16:
	s_or_b64 exec, exec, s[2:3]
	v_lshl_add_u32 v40, v45, 3, v44
	s_barrier
	s_waitcnt vmcnt(0)
	ds_write_b64 v40, v[12:13]
	s_waitcnt lgkmcnt(0)
	s_barrier
	ds_read_b64 v[40:41], v44 offset:8
	s_cmp_lt_i32 s12, 3
	v_mov_b32_e32 v42, 1
	s_cbranch_scc1 .LBB34_19
; %bb.17:
	v_add3_u32 v48, v49, 0, 16
	s_mov_b32 s2, 2
	v_mov_b32_e32 v42, 1
.LBB34_18:                              ; =>This Inner Loop Header: Depth=1
	ds_read_b64 v[50:51], v48
	v_mov_b32_e32 v52, s2
	s_add_i32 s2, s2, 1
	v_add_u32_e32 v48, 8, v48
	s_cmp_lg_u32 s12, s2
	s_waitcnt lgkmcnt(0)
	v_cmp_lt_f64_e64 vcc, |v[40:41]|, |v[50:51]|
	v_cndmask_b32_e32 v41, v41, v51, vcc
	v_cndmask_b32_e32 v40, v40, v50, vcc
	;; [unrolled: 1-line block ×3, first 2 shown]
	s_cbranch_scc1 .LBB34_18
.LBB34_19:
	v_cmp_ne_u32_e32 vcc, v45, v42
	s_and_saveexec_b64 s[2:3], vcc
	s_xor_b64 s[2:3], exec, s[2:3]
	s_cbranch_execz .LBB34_25
; %bb.20:
	v_cmp_eq_u32_e32 vcc, 1, v45
	s_and_saveexec_b64 s[14:15], vcc
	s_cbranch_execz .LBB34_24
; %bb.21:
	v_cmp_ne_u32_e32 vcc, 1, v42
	s_xor_b64 s[16:17], s[6:7], -1
	s_and_b64 s[18:19], s[16:17], vcc
	s_and_saveexec_b64 s[16:17], s[18:19]
	s_cbranch_execz .LBB34_23
; %bb.22:
	v_ashrrev_i32_e32 v43, 31, v42
	v_lshlrev_b64 v[50:51], 2, v[42:43]
	v_add_co_u32_e32 v50, vcc, v36, v50
	v_addc_co_u32_e32 v51, vcc, v37, v51, vcc
	flat_load_dword v43, v[50:51]
	flat_load_dword v45, v[36:37] offset:4
	s_waitcnt vmcnt(0) lgkmcnt(0)
	flat_store_dword v[36:37], v43 offset:4
	flat_store_dword v[50:51], v45
.LBB34_23:
	s_or_b64 exec, exec, s[16:17]
	v_mov_b32_e32 v43, v42
	v_mov_b32_e32 v45, v42
.LBB34_24:
	s_or_b64 exec, exec, s[14:15]
.LBB34_25:
	s_andn2_saveexec_b64 s[2:3], s[2:3]
	s_cbranch_execz .LBB34_27
; %bb.26:
	v_mov_b32_e32 v50, v6
	v_mov_b32_e32 v51, v7
	v_mov_b32_e32 v52, v0
	v_mov_b32_e32 v53, v1
	ds_write2_b64 v44, v[50:51], v[52:53] offset0:2 offset1:3
	v_mov_b32_e32 v50, v26
	v_mov_b32_e32 v51, v27
	v_mov_b32_e32 v52, v20
	v_mov_b32_e32 v53, v21
	ds_write2_b64 v44, v[50:51], v[52:53] offset0:4 offset1:5
	;; [unrolled: 5-line block ×7, first 2 shown]
	v_mov_b32_e32 v50, v28
	v_mov_b32_e32 v51, v29
	;; [unrolled: 1-line block ×3, first 2 shown]
	ds_write2_b64 v44, v[50:51], v[38:39] offset0:16 offset1:17
.LBB34_27:
	s_or_b64 exec, exec, s[2:3]
	s_waitcnt lgkmcnt(0)
	v_cmp_neq_f64_e64 s[2:3], 0, v[40:41]
	v_cmp_lt_i32_e32 vcc, 1, v45
	s_barrier
	s_and_saveexec_b64 s[14:15], vcc
	s_cbranch_execz .LBB34_29
; %bb.28:
	v_div_scale_f64 v[50:51], s[16:17], v[40:41], v[40:41], 1.0
	v_rcp_f64_e32 v[52:53], v[50:51]
	v_div_scale_f64 v[54:55], vcc, 1.0, v[40:41], 1.0
	ds_read2_b64 v[58:61], v44 offset0:6 offset1:7
	v_fma_f64 v[56:57], -v[50:51], v[52:53], 1.0
	v_fmac_f64_e32 v[52:53], v[52:53], v[56:57]
	v_fma_f64 v[56:57], -v[50:51], v[52:53], 1.0
	v_fmac_f64_e32 v[52:53], v[52:53], v[56:57]
	v_mul_f64 v[56:57], v[54:55], v[52:53]
	v_fma_f64 v[50:51], -v[50:51], v[56:57], v[54:55]
	v_div_fmas_f64 v[50:51], v[50:51], v[52:53], v[56:57]
	v_div_fixup_f64 v[54:55], v[50:51], v[40:41], 1.0
	ds_read2_b64 v[50:53], v44 offset0:2 offset1:3
	v_cndmask_b32_e64 v41, v41, v55, s[2:3]
	v_cndmask_b32_e64 v40, v40, v54, s[2:3]
	ds_read2_b64 v[54:57], v44 offset0:4 offset1:5
	v_mul_f64 v[12:13], v[40:41], v[12:13]
	s_waitcnt lgkmcnt(0)
	v_fma_f64 v[6:7], -v[12:13], v[50:51], v[6:7]
	v_fma_f64 v[0:1], -v[12:13], v[52:53], v[0:1]
	ds_read2_b64 v[50:53], v44 offset0:8 offset1:9
	v_fma_f64 v[26:27], -v[12:13], v[54:55], v[26:27]
	v_fma_f64 v[20:21], -v[12:13], v[56:57], v[20:21]
	ds_read2_b64 v[54:57], v44 offset0:10 offset1:11
	v_fma_f64 v[10:11], -v[12:13], v[58:59], v[10:11]
	v_fma_f64 v[4:5], -v[12:13], v[60:61], v[4:5]
	s_waitcnt lgkmcnt(0)
	v_fma_f64 v[32:33], -v[12:13], v[50:51], v[32:33]
	v_fma_f64 v[24:25], -v[12:13], v[52:53], v[24:25]
	ds_read2_b64 v[50:53], v44 offset0:12 offset1:13
	v_fma_f64 v[16:17], -v[12:13], v[54:55], v[16:17]
	ds_read2_b64 v[58:61], v44 offset0:14 offset1:15
	;; [unrolled: 2-line block ×3, first 2 shown]
	s_waitcnt lgkmcnt(0)
	v_fma_f64 v[34:35], -v[12:13], v[50:51], v[34:35]
	v_fma_f64 v[30:31], -v[12:13], v[52:53], v[30:31]
	;; [unrolled: 1-line block ×6, first 2 shown]
.LBB34_29:
	s_or_b64 exec, exec, s[14:15]
	v_lshl_add_u32 v40, v45, 3, v44
	s_barrier
	ds_write_b64 v40, v[6:7]
	s_waitcnt lgkmcnt(0)
	s_barrier
	ds_read_b64 v[40:41], v44 offset:16
	s_mov_b32 s14, 3
	s_cmp_lt_i32 s12, 4
	v_mov_b32_e32 v42, 2
	s_cbranch_scc1 .LBB34_32
; %bb.30:
	v_add3_u32 v48, v49, 0, 24
	v_mov_b32_e32 v42, 2
.LBB34_31:                              ; =>This Inner Loop Header: Depth=1
	ds_read_b64 v[50:51], v48
	v_mov_b32_e32 v52, s14
	s_add_i32 s14, s14, 1
	v_add_u32_e32 v48, 8, v48
	s_cmp_lg_u32 s12, s14
	s_waitcnt lgkmcnt(0)
	v_cmp_lt_f64_e64 vcc, |v[40:41]|, |v[50:51]|
	v_cndmask_b32_e32 v41, v41, v51, vcc
	v_cndmask_b32_e32 v40, v40, v50, vcc
	;; [unrolled: 1-line block ×3, first 2 shown]
	s_cbranch_scc1 .LBB34_31
.LBB34_32:
	v_cndmask_b32_e64 v48, 2, 1, s[0:1]
	v_cndmask_b32_e64 v50, 0, 1, s[0:1]
	;; [unrolled: 1-line block ×3, first 2 shown]
	s_waitcnt lgkmcnt(0)
	v_cmp_eq_f64_e32 vcc, 0, v[40:41]
	s_and_saveexec_b64 s[0:1], vcc
	s_xor_b64 s[0:1], exec, s[0:1]
; %bb.33:
	v_cmp_ne_u32_e32 vcc, 0, v48
	v_cndmask_b32_e32 v48, 3, v48, vcc
; %bb.34:
	s_andn2_saveexec_b64 s[0:1], s[0:1]
; %bb.35:
	v_div_scale_f64 v[50:51], s[2:3], v[40:41], v[40:41], 1.0
	v_rcp_f64_e32 v[52:53], v[50:51]
	v_div_scale_f64 v[54:55], vcc, 1.0, v[40:41], 1.0
	v_fma_f64 v[56:57], -v[50:51], v[52:53], 1.0
	v_fmac_f64_e32 v[52:53], v[52:53], v[56:57]
	v_fma_f64 v[56:57], -v[50:51], v[52:53], 1.0
	v_fmac_f64_e32 v[52:53], v[52:53], v[56:57]
	v_mul_f64 v[56:57], v[54:55], v[52:53]
	v_fma_f64 v[50:51], -v[50:51], v[56:57], v[54:55]
	v_div_fmas_f64 v[50:51], v[50:51], v[52:53], v[56:57]
	v_div_fixup_f64 v[40:41], v[50:51], v[40:41], 1.0
; %bb.36:
	s_or_b64 exec, exec, s[0:1]
	v_cmp_ne_u32_e32 vcc, v45, v42
	s_and_saveexec_b64 s[0:1], vcc
	s_xor_b64 s[0:1], exec, s[0:1]
	s_cbranch_execz .LBB34_42
; %bb.37:
	v_cmp_eq_u32_e32 vcc, 2, v45
	s_and_saveexec_b64 s[2:3], vcc
	s_cbranch_execz .LBB34_41
; %bb.38:
	v_cmp_ne_u32_e32 vcc, 2, v42
	s_xor_b64 s[14:15], s[6:7], -1
	s_and_b64 s[16:17], s[14:15], vcc
	s_and_saveexec_b64 s[14:15], s[16:17]
	s_cbranch_execz .LBB34_40
; %bb.39:
	v_ashrrev_i32_e32 v43, 31, v42
	v_lshlrev_b64 v[50:51], 2, v[42:43]
	v_add_co_u32_e32 v50, vcc, v36, v50
	v_addc_co_u32_e32 v51, vcc, v37, v51, vcc
	flat_load_dword v43, v[50:51]
	flat_load_dword v45, v[36:37] offset:8
	s_waitcnt vmcnt(0) lgkmcnt(0)
	flat_store_dword v[36:37], v43 offset:8
	flat_store_dword v[50:51], v45
.LBB34_40:
	s_or_b64 exec, exec, s[14:15]
	v_mov_b32_e32 v43, v42
	v_mov_b32_e32 v45, v42
.LBB34_41:
	s_or_b64 exec, exec, s[2:3]
.LBB34_42:
	s_andn2_saveexec_b64 s[0:1], s[0:1]
	s_cbranch_execz .LBB34_44
; %bb.43:
	v_mov_b32_e32 v45, 2
	ds_write2_b64 v44, v[0:1], v[26:27] offset0:3 offset1:4
	ds_write2_b64 v44, v[20:21], v[10:11] offset0:5 offset1:6
	;; [unrolled: 1-line block ×7, first 2 shown]
	ds_write_b64 v44, v[38:39] offset:136
.LBB34_44:
	s_or_b64 exec, exec, s[0:1]
	v_cmp_lt_i32_e32 vcc, 2, v45
	s_waitcnt lgkmcnt(0)
	s_barrier
	s_and_saveexec_b64 s[0:1], vcc
	s_cbranch_execz .LBB34_46
; %bb.45:
	ds_read2_b64 v[50:53], v44 offset0:3 offset1:4
	ds_read2_b64 v[54:57], v44 offset0:5 offset1:6
	v_mul_f64 v[6:7], v[40:41], v[6:7]
	ds_read2_b64 v[58:61], v44 offset0:7 offset1:8
	ds_read_b64 v[40:41], v44 offset:136
	s_waitcnt lgkmcnt(0)
	v_fma_f64 v[0:1], -v[6:7], v[50:51], v[0:1]
	v_fma_f64 v[26:27], -v[6:7], v[52:53], v[26:27]
	ds_read2_b64 v[50:53], v44 offset0:9 offset1:10
	v_fma_f64 v[20:21], -v[6:7], v[54:55], v[20:21]
	v_fma_f64 v[10:11], -v[6:7], v[56:57], v[10:11]
	;; [unrolled: 1-line block ×3, first 2 shown]
	ds_read2_b64 v[54:57], v44 offset0:11 offset1:12
	v_fma_f64 v[32:33], -v[6:7], v[60:61], v[32:33]
	s_waitcnt lgkmcnt(0)
	v_fma_f64 v[24:25], -v[6:7], v[50:51], v[24:25]
	v_fma_f64 v[16:17], -v[6:7], v[52:53], v[16:17]
	ds_read2_b64 v[50:53], v44 offset0:13 offset1:14
	ds_read2_b64 v[58:61], v44 offset0:15 offset1:16
	v_fma_f64 v[8:9], -v[6:7], v[54:55], v[8:9]
	v_fma_f64 v[34:35], -v[6:7], v[56:57], v[34:35]
	;; [unrolled: 1-line block ×3, first 2 shown]
	s_waitcnt lgkmcnt(0)
	v_fma_f64 v[30:31], -v[6:7], v[50:51], v[30:31]
	v_fma_f64 v[22:23], -v[6:7], v[52:53], v[22:23]
	;; [unrolled: 1-line block ×4, first 2 shown]
.LBB34_46:
	s_or_b64 exec, exec, s[0:1]
	v_lshl_add_u32 v40, v45, 3, v44
	s_barrier
	ds_write_b64 v40, v[0:1]
	s_waitcnt lgkmcnt(0)
	s_barrier
	ds_read_b64 v[40:41], v44 offset:24
	s_cmp_lt_i32 s12, 5
	v_mov_b32_e32 v42, 3
	s_cbranch_scc1 .LBB34_49
; %bb.47:
	v_add3_u32 v50, v49, 0, 32
	s_mov_b32 s0, 4
	v_mov_b32_e32 v42, 3
.LBB34_48:                              ; =>This Inner Loop Header: Depth=1
	ds_read_b64 v[52:53], v50
	v_mov_b32_e32 v51, s0
	s_add_i32 s0, s0, 1
	v_add_u32_e32 v50, 8, v50
	s_cmp_lg_u32 s12, s0
	s_waitcnt lgkmcnt(0)
	v_cmp_lt_f64_e64 vcc, |v[40:41]|, |v[52:53]|
	v_cndmask_b32_e32 v41, v41, v53, vcc
	v_cndmask_b32_e32 v40, v40, v52, vcc
	;; [unrolled: 1-line block ×3, first 2 shown]
	s_cbranch_scc1 .LBB34_48
.LBB34_49:
	s_waitcnt lgkmcnt(0)
	v_cmp_eq_f64_e32 vcc, 0, v[40:41]
	s_and_saveexec_b64 s[0:1], vcc
	s_xor_b64 s[0:1], exec, s[0:1]
; %bb.50:
	v_cmp_ne_u32_e32 vcc, 0, v48
	v_cndmask_b32_e32 v48, 4, v48, vcc
; %bb.51:
	s_andn2_saveexec_b64 s[0:1], s[0:1]
; %bb.52:
	v_div_scale_f64 v[50:51], s[2:3], v[40:41], v[40:41], 1.0
	v_rcp_f64_e32 v[52:53], v[50:51]
	v_div_scale_f64 v[54:55], vcc, 1.0, v[40:41], 1.0
	v_fma_f64 v[56:57], -v[50:51], v[52:53], 1.0
	v_fmac_f64_e32 v[52:53], v[52:53], v[56:57]
	v_fma_f64 v[56:57], -v[50:51], v[52:53], 1.0
	v_fmac_f64_e32 v[52:53], v[52:53], v[56:57]
	v_mul_f64 v[56:57], v[54:55], v[52:53]
	v_fma_f64 v[50:51], -v[50:51], v[56:57], v[54:55]
	v_div_fmas_f64 v[50:51], v[50:51], v[52:53], v[56:57]
	v_div_fixup_f64 v[40:41], v[50:51], v[40:41], 1.0
; %bb.53:
	s_or_b64 exec, exec, s[0:1]
	v_cmp_ne_u32_e32 vcc, v45, v42
	s_and_saveexec_b64 s[0:1], vcc
	s_xor_b64 s[0:1], exec, s[0:1]
	s_cbranch_execz .LBB34_59
; %bb.54:
	v_cmp_eq_u32_e32 vcc, 3, v45
	s_and_saveexec_b64 s[2:3], vcc
	s_cbranch_execz .LBB34_58
; %bb.55:
	v_cmp_ne_u32_e32 vcc, 3, v42
	s_xor_b64 s[14:15], s[6:7], -1
	s_and_b64 s[16:17], s[14:15], vcc
	s_and_saveexec_b64 s[14:15], s[16:17]
	s_cbranch_execz .LBB34_57
; %bb.56:
	v_ashrrev_i32_e32 v43, 31, v42
	v_lshlrev_b64 v[50:51], 2, v[42:43]
	v_add_co_u32_e32 v50, vcc, v36, v50
	v_addc_co_u32_e32 v51, vcc, v37, v51, vcc
	flat_load_dword v43, v[50:51]
	flat_load_dword v45, v[36:37] offset:12
	s_waitcnt vmcnt(0) lgkmcnt(0)
	flat_store_dword v[36:37], v43 offset:12
	flat_store_dword v[50:51], v45
.LBB34_57:
	s_or_b64 exec, exec, s[14:15]
	v_mov_b32_e32 v43, v42
	v_mov_b32_e32 v45, v42
.LBB34_58:
	s_or_b64 exec, exec, s[2:3]
.LBB34_59:
	s_andn2_saveexec_b64 s[0:1], s[0:1]
	s_cbranch_execz .LBB34_61
; %bb.60:
	v_mov_b32_e32 v50, v26
	v_mov_b32_e32 v51, v27
	v_mov_b32_e32 v52, v20
	v_mov_b32_e32 v53, v21
	ds_write2_b64 v44, v[50:51], v[52:53] offset0:4 offset1:5
	v_mov_b32_e32 v50, v10
	v_mov_b32_e32 v51, v11
	v_mov_b32_e32 v52, v4
	v_mov_b32_e32 v53, v5
	ds_write2_b64 v44, v[50:51], v[52:53] offset0:6 offset1:7
	;; [unrolled: 5-line block ×6, first 2 shown]
	v_mov_b32_e32 v50, v28
	v_mov_b32_e32 v51, v29
	;; [unrolled: 1-line block ×3, first 2 shown]
	ds_write2_b64 v44, v[50:51], v[38:39] offset0:16 offset1:17
.LBB34_61:
	s_or_b64 exec, exec, s[0:1]
	v_cmp_lt_i32_e32 vcc, 3, v45
	s_waitcnt lgkmcnt(0)
	s_barrier
	s_and_saveexec_b64 s[0:1], vcc
	s_cbranch_execz .LBB34_63
; %bb.62:
	ds_read2_b64 v[50:53], v44 offset0:4 offset1:5
	ds_read2_b64 v[54:57], v44 offset0:6 offset1:7
	v_mul_f64 v[0:1], v[40:41], v[0:1]
	ds_read2_b64 v[58:61], v44 offset0:8 offset1:9
	s_waitcnt lgkmcnt(0)
	v_fma_f64 v[26:27], -v[0:1], v[50:51], v[26:27]
	v_fma_f64 v[20:21], -v[0:1], v[52:53], v[20:21]
	ds_read2_b64 v[50:53], v44 offset0:10 offset1:11
	v_fma_f64 v[10:11], -v[0:1], v[54:55], v[10:11]
	v_fma_f64 v[4:5], -v[0:1], v[56:57], v[4:5]
	v_fma_f64 v[32:33], -v[0:1], v[58:59], v[32:33]
	v_fma_f64 v[24:25], -v[0:1], v[60:61], v[24:25]
	ds_read2_b64 v[54:57], v44 offset0:12 offset1:13
	ds_read2_b64 v[58:61], v44 offset0:14 offset1:15
	s_waitcnt lgkmcnt(0)
	v_fma_f64 v[16:17], -v[0:1], v[50:51], v[16:17]
	v_fma_f64 v[8:9], -v[0:1], v[52:53], v[8:9]
	ds_read2_b64 v[50:53], v44 offset0:16 offset1:17
	v_fma_f64 v[34:35], -v[0:1], v[54:55], v[34:35]
	v_fma_f64 v[30:31], -v[0:1], v[56:57], v[30:31]
	;; [unrolled: 1-line block ×4, first 2 shown]
	s_waitcnt lgkmcnt(0)
	v_fma_f64 v[28:29], -v[0:1], v[50:51], v[28:29]
	v_fma_f64 v[38:39], -v[0:1], v[52:53], v[38:39]
.LBB34_63:
	s_or_b64 exec, exec, s[0:1]
	v_lshl_add_u32 v40, v45, 3, v44
	s_barrier
	ds_write_b64 v40, v[26:27]
	s_waitcnt lgkmcnt(0)
	s_barrier
	ds_read_b64 v[40:41], v44 offset:32
	s_cmp_lt_i32 s12, 6
	v_mov_b32_e32 v42, 4
	s_cbranch_scc1 .LBB34_66
; %bb.64:
	v_add3_u32 v50, v49, 0, 40
	s_mov_b32 s0, 5
	v_mov_b32_e32 v42, 4
.LBB34_65:                              ; =>This Inner Loop Header: Depth=1
	ds_read_b64 v[52:53], v50
	v_mov_b32_e32 v51, s0
	s_add_i32 s0, s0, 1
	v_add_u32_e32 v50, 8, v50
	s_cmp_lg_u32 s12, s0
	s_waitcnt lgkmcnt(0)
	v_cmp_lt_f64_e64 vcc, |v[40:41]|, |v[52:53]|
	v_cndmask_b32_e32 v41, v41, v53, vcc
	v_cndmask_b32_e32 v40, v40, v52, vcc
	;; [unrolled: 1-line block ×3, first 2 shown]
	s_cbranch_scc1 .LBB34_65
.LBB34_66:
	s_waitcnt lgkmcnt(0)
	v_cmp_eq_f64_e32 vcc, 0, v[40:41]
	s_and_saveexec_b64 s[0:1], vcc
	s_xor_b64 s[0:1], exec, s[0:1]
; %bb.67:
	v_cmp_ne_u32_e32 vcc, 0, v48
	v_cndmask_b32_e32 v48, 5, v48, vcc
; %bb.68:
	s_andn2_saveexec_b64 s[0:1], s[0:1]
; %bb.69:
	v_div_scale_f64 v[50:51], s[2:3], v[40:41], v[40:41], 1.0
	v_rcp_f64_e32 v[52:53], v[50:51]
	v_div_scale_f64 v[54:55], vcc, 1.0, v[40:41], 1.0
	v_fma_f64 v[56:57], -v[50:51], v[52:53], 1.0
	v_fmac_f64_e32 v[52:53], v[52:53], v[56:57]
	v_fma_f64 v[56:57], -v[50:51], v[52:53], 1.0
	v_fmac_f64_e32 v[52:53], v[52:53], v[56:57]
	v_mul_f64 v[56:57], v[54:55], v[52:53]
	v_fma_f64 v[50:51], -v[50:51], v[56:57], v[54:55]
	v_div_fmas_f64 v[50:51], v[50:51], v[52:53], v[56:57]
	v_div_fixup_f64 v[40:41], v[50:51], v[40:41], 1.0
; %bb.70:
	s_or_b64 exec, exec, s[0:1]
	v_cmp_ne_u32_e32 vcc, v45, v42
	s_and_saveexec_b64 s[0:1], vcc
	s_xor_b64 s[0:1], exec, s[0:1]
	s_cbranch_execz .LBB34_76
; %bb.71:
	v_cmp_eq_u32_e32 vcc, 4, v45
	s_and_saveexec_b64 s[2:3], vcc
	s_cbranch_execz .LBB34_75
; %bb.72:
	v_cmp_ne_u32_e32 vcc, 4, v42
	s_xor_b64 s[14:15], s[6:7], -1
	s_and_b64 s[16:17], s[14:15], vcc
	s_and_saveexec_b64 s[14:15], s[16:17]
	s_cbranch_execz .LBB34_74
; %bb.73:
	v_ashrrev_i32_e32 v43, 31, v42
	v_lshlrev_b64 v[50:51], 2, v[42:43]
	v_add_co_u32_e32 v50, vcc, v36, v50
	v_addc_co_u32_e32 v51, vcc, v37, v51, vcc
	flat_load_dword v43, v[50:51]
	flat_load_dword v45, v[36:37] offset:16
	s_waitcnt vmcnt(0) lgkmcnt(0)
	flat_store_dword v[36:37], v43 offset:16
	flat_store_dword v[50:51], v45
.LBB34_74:
	s_or_b64 exec, exec, s[14:15]
	v_mov_b32_e32 v43, v42
	v_mov_b32_e32 v45, v42
.LBB34_75:
	s_or_b64 exec, exec, s[2:3]
.LBB34_76:
	s_andn2_saveexec_b64 s[0:1], s[0:1]
	s_cbranch_execz .LBB34_78
; %bb.77:
	v_mov_b32_e32 v45, 4
	ds_write2_b64 v44, v[20:21], v[10:11] offset0:5 offset1:6
	ds_write2_b64 v44, v[4:5], v[32:33] offset0:7 offset1:8
	;; [unrolled: 1-line block ×6, first 2 shown]
	ds_write_b64 v44, v[38:39] offset:136
.LBB34_78:
	s_or_b64 exec, exec, s[0:1]
	v_cmp_lt_i32_e32 vcc, 4, v45
	s_waitcnt lgkmcnt(0)
	s_barrier
	s_and_saveexec_b64 s[0:1], vcc
	s_cbranch_execz .LBB34_80
; %bb.79:
	ds_read2_b64 v[50:53], v44 offset0:5 offset1:6
	ds_read2_b64 v[54:57], v44 offset0:7 offset1:8
	ds_read2_b64 v[58:61], v44 offset0:9 offset1:10
	v_mul_f64 v[26:27], v[40:41], v[26:27]
	ds_read_b64 v[40:41], v44 offset:136
	s_waitcnt lgkmcnt(0)
	v_fma_f64 v[20:21], -v[26:27], v[50:51], v[20:21]
	v_fma_f64 v[10:11], -v[26:27], v[52:53], v[10:11]
	ds_read2_b64 v[50:53], v44 offset0:11 offset1:12
	v_fma_f64 v[4:5], -v[26:27], v[54:55], v[4:5]
	v_fma_f64 v[32:33], -v[26:27], v[56:57], v[32:33]
	;; [unrolled: 1-line block ×4, first 2 shown]
	ds_read2_b64 v[54:57], v44 offset0:13 offset1:14
	ds_read2_b64 v[58:61], v44 offset0:15 offset1:16
	s_waitcnt lgkmcnt(0)
	v_fma_f64 v[8:9], -v[26:27], v[50:51], v[8:9]
	v_fma_f64 v[34:35], -v[26:27], v[52:53], v[34:35]
	;; [unrolled: 1-line block ×7, first 2 shown]
.LBB34_80:
	s_or_b64 exec, exec, s[0:1]
	v_lshl_add_u32 v40, v45, 3, v44
	s_barrier
	ds_write_b64 v40, v[20:21]
	s_waitcnt lgkmcnt(0)
	s_barrier
	ds_read_b64 v[40:41], v44 offset:40
	s_cmp_lt_i32 s12, 7
	v_mov_b32_e32 v42, 5
	s_cbranch_scc1 .LBB34_83
; %bb.81:
	v_add3_u32 v50, v49, 0, 48
	s_mov_b32 s0, 6
	v_mov_b32_e32 v42, 5
.LBB34_82:                              ; =>This Inner Loop Header: Depth=1
	ds_read_b64 v[52:53], v50
	v_mov_b32_e32 v51, s0
	s_add_i32 s0, s0, 1
	v_add_u32_e32 v50, 8, v50
	s_cmp_lg_u32 s12, s0
	s_waitcnt lgkmcnt(0)
	v_cmp_lt_f64_e64 vcc, |v[40:41]|, |v[52:53]|
	v_cndmask_b32_e32 v41, v41, v53, vcc
	v_cndmask_b32_e32 v40, v40, v52, vcc
	;; [unrolled: 1-line block ×3, first 2 shown]
	s_cbranch_scc1 .LBB34_82
.LBB34_83:
	s_waitcnt lgkmcnt(0)
	v_cmp_eq_f64_e32 vcc, 0, v[40:41]
	s_and_saveexec_b64 s[0:1], vcc
	s_xor_b64 s[0:1], exec, s[0:1]
; %bb.84:
	v_cmp_ne_u32_e32 vcc, 0, v48
	v_cndmask_b32_e32 v48, 6, v48, vcc
; %bb.85:
	s_andn2_saveexec_b64 s[0:1], s[0:1]
; %bb.86:
	v_div_scale_f64 v[50:51], s[2:3], v[40:41], v[40:41], 1.0
	v_rcp_f64_e32 v[52:53], v[50:51]
	v_div_scale_f64 v[54:55], vcc, 1.0, v[40:41], 1.0
	v_fma_f64 v[56:57], -v[50:51], v[52:53], 1.0
	v_fmac_f64_e32 v[52:53], v[52:53], v[56:57]
	v_fma_f64 v[56:57], -v[50:51], v[52:53], 1.0
	v_fmac_f64_e32 v[52:53], v[52:53], v[56:57]
	v_mul_f64 v[56:57], v[54:55], v[52:53]
	v_fma_f64 v[50:51], -v[50:51], v[56:57], v[54:55]
	v_div_fmas_f64 v[50:51], v[50:51], v[52:53], v[56:57]
	v_div_fixup_f64 v[40:41], v[50:51], v[40:41], 1.0
; %bb.87:
	s_or_b64 exec, exec, s[0:1]
	v_cmp_ne_u32_e32 vcc, v45, v42
	s_and_saveexec_b64 s[0:1], vcc
	s_xor_b64 s[0:1], exec, s[0:1]
	s_cbranch_execz .LBB34_93
; %bb.88:
	v_cmp_eq_u32_e32 vcc, 5, v45
	s_and_saveexec_b64 s[2:3], vcc
	s_cbranch_execz .LBB34_92
; %bb.89:
	v_cmp_ne_u32_e32 vcc, 5, v42
	s_xor_b64 s[14:15], s[6:7], -1
	s_and_b64 s[16:17], s[14:15], vcc
	s_and_saveexec_b64 s[14:15], s[16:17]
	s_cbranch_execz .LBB34_91
; %bb.90:
	v_ashrrev_i32_e32 v43, 31, v42
	v_lshlrev_b64 v[50:51], 2, v[42:43]
	v_add_co_u32_e32 v50, vcc, v36, v50
	v_addc_co_u32_e32 v51, vcc, v37, v51, vcc
	flat_load_dword v43, v[50:51]
	flat_load_dword v45, v[36:37] offset:20
	s_waitcnt vmcnt(0) lgkmcnt(0)
	flat_store_dword v[36:37], v43 offset:20
	flat_store_dword v[50:51], v45
.LBB34_91:
	s_or_b64 exec, exec, s[14:15]
	v_mov_b32_e32 v43, v42
	v_mov_b32_e32 v45, v42
.LBB34_92:
	s_or_b64 exec, exec, s[2:3]
.LBB34_93:
	s_andn2_saveexec_b64 s[0:1], s[0:1]
	s_cbranch_execz .LBB34_95
; %bb.94:
	v_mov_b32_e32 v50, v10
	v_mov_b32_e32 v51, v11
	v_mov_b32_e32 v52, v4
	v_mov_b32_e32 v53, v5
	ds_write2_b64 v44, v[50:51], v[52:53] offset0:6 offset1:7
	v_mov_b32_e32 v50, v32
	v_mov_b32_e32 v51, v33
	v_mov_b32_e32 v52, v24
	v_mov_b32_e32 v53, v25
	ds_write2_b64 v44, v[50:51], v[52:53] offset0:8 offset1:9
	;; [unrolled: 5-line block ×5, first 2 shown]
	v_mov_b32_e32 v50, v28
	v_mov_b32_e32 v51, v29
	v_mov_b32_e32 v45, 5
	ds_write2_b64 v44, v[50:51], v[38:39] offset0:16 offset1:17
.LBB34_95:
	s_or_b64 exec, exec, s[0:1]
	v_cmp_lt_i32_e32 vcc, 5, v45
	s_waitcnt lgkmcnt(0)
	s_barrier
	s_and_saveexec_b64 s[0:1], vcc
	s_cbranch_execz .LBB34_97
; %bb.96:
	ds_read2_b64 v[50:53], v44 offset0:6 offset1:7
	ds_read2_b64 v[54:57], v44 offset0:8 offset1:9
	;; [unrolled: 1-line block ×3, first 2 shown]
	v_mul_f64 v[20:21], v[40:41], v[20:21]
	s_waitcnt lgkmcnt(0)
	v_fma_f64 v[10:11], -v[20:21], v[50:51], v[10:11]
	v_fma_f64 v[4:5], -v[20:21], v[52:53], v[4:5]
	ds_read2_b64 v[50:53], v44 offset0:12 offset1:13
	v_fma_f64 v[32:33], -v[20:21], v[54:55], v[32:33]
	v_fma_f64 v[24:25], -v[20:21], v[56:57], v[24:25]
	v_fma_f64 v[16:17], -v[20:21], v[58:59], v[16:17]
	ds_read2_b64 v[54:57], v44 offset0:14 offset1:15
	v_fma_f64 v[8:9], -v[20:21], v[60:61], v[8:9]
	ds_read2_b64 v[58:61], v44 offset0:16 offset1:17
	s_waitcnt lgkmcnt(0)
	v_fma_f64 v[34:35], -v[20:21], v[50:51], v[34:35]
	v_fma_f64 v[30:31], -v[20:21], v[52:53], v[30:31]
	;; [unrolled: 1-line block ×6, first 2 shown]
.LBB34_97:
	s_or_b64 exec, exec, s[0:1]
	v_lshl_add_u32 v40, v45, 3, v44
	s_barrier
	ds_write_b64 v40, v[10:11]
	s_waitcnt lgkmcnt(0)
	s_barrier
	ds_read_b64 v[40:41], v44 offset:48
	s_cmp_lt_i32 s12, 8
	v_mov_b32_e32 v42, 6
	s_cbranch_scc1 .LBB34_100
; %bb.98:
	v_add3_u32 v50, v49, 0, 56
	s_mov_b32 s0, 7
	v_mov_b32_e32 v42, 6
.LBB34_99:                              ; =>This Inner Loop Header: Depth=1
	ds_read_b64 v[52:53], v50
	v_mov_b32_e32 v51, s0
	s_add_i32 s0, s0, 1
	v_add_u32_e32 v50, 8, v50
	s_cmp_lg_u32 s12, s0
	s_waitcnt lgkmcnt(0)
	v_cmp_lt_f64_e64 vcc, |v[40:41]|, |v[52:53]|
	v_cndmask_b32_e32 v41, v41, v53, vcc
	v_cndmask_b32_e32 v40, v40, v52, vcc
	;; [unrolled: 1-line block ×3, first 2 shown]
	s_cbranch_scc1 .LBB34_99
.LBB34_100:
	s_waitcnt lgkmcnt(0)
	v_cmp_eq_f64_e32 vcc, 0, v[40:41]
	s_and_saveexec_b64 s[0:1], vcc
	s_xor_b64 s[0:1], exec, s[0:1]
; %bb.101:
	v_cmp_ne_u32_e32 vcc, 0, v48
	v_cndmask_b32_e32 v48, 7, v48, vcc
; %bb.102:
	s_andn2_saveexec_b64 s[0:1], s[0:1]
; %bb.103:
	v_div_scale_f64 v[50:51], s[2:3], v[40:41], v[40:41], 1.0
	v_rcp_f64_e32 v[52:53], v[50:51]
	v_div_scale_f64 v[54:55], vcc, 1.0, v[40:41], 1.0
	v_fma_f64 v[56:57], -v[50:51], v[52:53], 1.0
	v_fmac_f64_e32 v[52:53], v[52:53], v[56:57]
	v_fma_f64 v[56:57], -v[50:51], v[52:53], 1.0
	v_fmac_f64_e32 v[52:53], v[52:53], v[56:57]
	v_mul_f64 v[56:57], v[54:55], v[52:53]
	v_fma_f64 v[50:51], -v[50:51], v[56:57], v[54:55]
	v_div_fmas_f64 v[50:51], v[50:51], v[52:53], v[56:57]
	v_div_fixup_f64 v[40:41], v[50:51], v[40:41], 1.0
; %bb.104:
	s_or_b64 exec, exec, s[0:1]
	v_cmp_ne_u32_e32 vcc, v45, v42
	s_and_saveexec_b64 s[0:1], vcc
	s_xor_b64 s[0:1], exec, s[0:1]
	s_cbranch_execz .LBB34_110
; %bb.105:
	v_cmp_eq_u32_e32 vcc, 6, v45
	s_and_saveexec_b64 s[2:3], vcc
	s_cbranch_execz .LBB34_109
; %bb.106:
	v_cmp_ne_u32_e32 vcc, 6, v42
	s_xor_b64 s[14:15], s[6:7], -1
	s_and_b64 s[16:17], s[14:15], vcc
	s_and_saveexec_b64 s[14:15], s[16:17]
	s_cbranch_execz .LBB34_108
; %bb.107:
	v_ashrrev_i32_e32 v43, 31, v42
	v_lshlrev_b64 v[50:51], 2, v[42:43]
	v_add_co_u32_e32 v50, vcc, v36, v50
	v_addc_co_u32_e32 v51, vcc, v37, v51, vcc
	flat_load_dword v43, v[50:51]
	flat_load_dword v45, v[36:37] offset:24
	s_waitcnt vmcnt(0) lgkmcnt(0)
	flat_store_dword v[36:37], v43 offset:24
	flat_store_dword v[50:51], v45
.LBB34_108:
	s_or_b64 exec, exec, s[14:15]
	v_mov_b32_e32 v43, v42
	v_mov_b32_e32 v45, v42
.LBB34_109:
	s_or_b64 exec, exec, s[2:3]
.LBB34_110:
	s_andn2_saveexec_b64 s[0:1], s[0:1]
	s_cbranch_execz .LBB34_112
; %bb.111:
	v_mov_b32_e32 v45, 6
	ds_write2_b64 v44, v[4:5], v[32:33] offset0:7 offset1:8
	ds_write2_b64 v44, v[24:25], v[16:17] offset0:9 offset1:10
	;; [unrolled: 1-line block ×5, first 2 shown]
	ds_write_b64 v44, v[38:39] offset:136
.LBB34_112:
	s_or_b64 exec, exec, s[0:1]
	v_cmp_lt_i32_e32 vcc, 6, v45
	s_waitcnt lgkmcnt(0)
	s_barrier
	s_and_saveexec_b64 s[0:1], vcc
	s_cbranch_execz .LBB34_114
; %bb.113:
	ds_read2_b64 v[50:53], v44 offset0:7 offset1:8
	ds_read2_b64 v[54:57], v44 offset0:9 offset1:10
	v_mul_f64 v[10:11], v[40:41], v[10:11]
	ds_read2_b64 v[58:61], v44 offset0:11 offset1:12
	ds_read_b64 v[40:41], v44 offset:136
	s_waitcnt lgkmcnt(0)
	v_fma_f64 v[4:5], -v[10:11], v[50:51], v[4:5]
	v_fma_f64 v[32:33], -v[10:11], v[52:53], v[32:33]
	ds_read2_b64 v[50:53], v44 offset0:13 offset1:14
	v_fma_f64 v[24:25], -v[10:11], v[54:55], v[24:25]
	v_fma_f64 v[16:17], -v[10:11], v[56:57], v[16:17]
	ds_read2_b64 v[54:57], v44 offset0:15 offset1:16
	v_fma_f64 v[8:9], -v[10:11], v[58:59], v[8:9]
	v_fma_f64 v[34:35], -v[10:11], v[60:61], v[34:35]
	s_waitcnt lgkmcnt(0)
	v_fma_f64 v[30:31], -v[10:11], v[50:51], v[30:31]
	v_fma_f64 v[22:23], -v[10:11], v[52:53], v[22:23]
	v_fma_f64 v[14:15], -v[10:11], v[54:55], v[14:15]
	v_fma_f64 v[28:29], -v[10:11], v[56:57], v[28:29]
	v_fma_f64 v[38:39], -v[10:11], v[40:41], v[38:39]
.LBB34_114:
	s_or_b64 exec, exec, s[0:1]
	v_lshl_add_u32 v40, v45, 3, v44
	s_barrier
	ds_write_b64 v40, v[4:5]
	s_waitcnt lgkmcnt(0)
	s_barrier
	ds_read_b64 v[40:41], v44 offset:56
	s_cmp_lt_i32 s12, 9
	v_mov_b32_e32 v42, 7
	s_cbranch_scc1 .LBB34_117
; %bb.115:
	v_add3_u32 v49, v49, 0, 64
	s_mov_b32 s0, 8
	v_mov_b32_e32 v42, 7
.LBB34_116:                             ; =>This Inner Loop Header: Depth=1
	ds_read_b64 v[50:51], v49
	v_mov_b32_e32 v52, s0
	s_add_i32 s0, s0, 1
	v_add_u32_e32 v49, 8, v49
	s_cmp_lg_u32 s12, s0
	s_waitcnt lgkmcnt(0)
	v_cmp_lt_f64_e64 vcc, |v[40:41]|, |v[50:51]|
	v_cndmask_b32_e32 v41, v41, v51, vcc
	v_cndmask_b32_e32 v40, v40, v50, vcc
	v_cndmask_b32_e32 v42, v42, v52, vcc
	s_cbranch_scc1 .LBB34_116
.LBB34_117:
	s_waitcnt lgkmcnt(0)
	v_cmp_eq_f64_e32 vcc, 0, v[40:41]
	s_and_saveexec_b64 s[0:1], vcc
	s_xor_b64 s[0:1], exec, s[0:1]
; %bb.118:
	v_cmp_ne_u32_e32 vcc, 0, v48
	v_cndmask_b32_e32 v48, 8, v48, vcc
; %bb.119:
	s_andn2_saveexec_b64 s[0:1], s[0:1]
; %bb.120:
	v_div_scale_f64 v[50:51], s[2:3], v[40:41], v[40:41], 1.0
	v_rcp_f64_e32 v[52:53], v[50:51]
	v_div_scale_f64 v[54:55], vcc, 1.0, v[40:41], 1.0
	v_fma_f64 v[56:57], -v[50:51], v[52:53], 1.0
	v_fmac_f64_e32 v[52:53], v[52:53], v[56:57]
	v_fma_f64 v[56:57], -v[50:51], v[52:53], 1.0
	v_fmac_f64_e32 v[52:53], v[52:53], v[56:57]
	v_mul_f64 v[56:57], v[54:55], v[52:53]
	v_fma_f64 v[50:51], -v[50:51], v[56:57], v[54:55]
	v_div_fmas_f64 v[50:51], v[50:51], v[52:53], v[56:57]
	v_div_fixup_f64 v[40:41], v[50:51], v[40:41], 1.0
; %bb.121:
	s_or_b64 exec, exec, s[0:1]
	v_cmp_ne_u32_e32 vcc, v45, v42
	s_and_saveexec_b64 s[0:1], vcc
	s_xor_b64 s[0:1], exec, s[0:1]
	s_cbranch_execz .LBB34_127
; %bb.122:
	v_cmp_eq_u32_e32 vcc, 7, v45
	s_and_saveexec_b64 s[2:3], vcc
	s_cbranch_execz .LBB34_126
; %bb.123:
	v_cmp_ne_u32_e32 vcc, 7, v42
	s_xor_b64 s[14:15], s[6:7], -1
	s_and_b64 s[16:17], s[14:15], vcc
	s_and_saveexec_b64 s[14:15], s[16:17]
	s_cbranch_execz .LBB34_125
; %bb.124:
	v_ashrrev_i32_e32 v43, 31, v42
	v_lshlrev_b64 v[50:51], 2, v[42:43]
	v_add_co_u32_e32 v50, vcc, v36, v50
	v_addc_co_u32_e32 v51, vcc, v37, v51, vcc
	flat_load_dword v43, v[50:51]
	flat_load_dword v45, v[36:37] offset:28
	s_waitcnt vmcnt(0) lgkmcnt(0)
	flat_store_dword v[36:37], v43 offset:28
	flat_store_dword v[50:51], v45
.LBB34_125:
	s_or_b64 exec, exec, s[14:15]
	v_mov_b32_e32 v43, v42
	v_mov_b32_e32 v45, v42
.LBB34_126:
	s_or_b64 exec, exec, s[2:3]
.LBB34_127:
	s_andn2_saveexec_b64 s[0:1], s[0:1]
	s_cbranch_execz .LBB34_129
; %bb.128:
	v_mov_b32_e32 v50, v32
	v_mov_b32_e32 v51, v33
	v_mov_b32_e32 v52, v24
	v_mov_b32_e32 v53, v25
	ds_write2_b64 v44, v[50:51], v[52:53] offset0:8 offset1:9
	v_mov_b32_e32 v50, v16
	v_mov_b32_e32 v51, v17
	v_mov_b32_e32 v52, v8
	v_mov_b32_e32 v53, v9
	ds_write2_b64 v44, v[50:51], v[52:53] offset0:10 offset1:11
	;; [unrolled: 5-line block ×4, first 2 shown]
	v_mov_b32_e32 v50, v28
	v_mov_b32_e32 v51, v29
	v_mov_b32_e32 v45, 7
	ds_write2_b64 v44, v[50:51], v[38:39] offset0:16 offset1:17
.LBB34_129:
	s_or_b64 exec, exec, s[0:1]
	v_cmp_lt_i32_e32 vcc, 7, v45
	s_waitcnt lgkmcnt(0)
	s_barrier
	s_and_saveexec_b64 s[0:1], vcc
	s_cbranch_execz .LBB34_131
; %bb.130:
	ds_read2_b64 v[50:53], v44 offset0:8 offset1:9
	ds_read2_b64 v[54:57], v44 offset0:10 offset1:11
	v_mul_f64 v[4:5], v[40:41], v[4:5]
	ds_read2_b64 v[58:61], v44 offset0:14 offset1:15
	s_waitcnt lgkmcnt(0)
	v_fma_f64 v[32:33], -v[4:5], v[50:51], v[32:33]
	v_fma_f64 v[24:25], -v[4:5], v[52:53], v[24:25]
	ds_read2_b64 v[50:53], v44 offset0:12 offset1:13
	v_fma_f64 v[16:17], -v[4:5], v[54:55], v[16:17]
	v_fma_f64 v[8:9], -v[4:5], v[56:57], v[8:9]
	ds_read2_b64 v[54:57], v44 offset0:16 offset1:17
	v_fma_f64 v[22:23], -v[4:5], v[58:59], v[22:23]
	s_waitcnt lgkmcnt(0)
	v_fma_f64 v[34:35], -v[4:5], v[50:51], v[34:35]
	v_fma_f64 v[30:31], -v[4:5], v[52:53], v[30:31]
	;; [unrolled: 1-line block ×5, first 2 shown]
.LBB34_131:
	s_or_b64 exec, exec, s[0:1]
	v_lshl_add_u32 v40, v45, 3, v44
	s_barrier
	ds_write_b64 v40, v[32:33]
	s_waitcnt lgkmcnt(0)
	s_barrier
	ds_read_b64 v[40:41], v44 offset:64
	s_cmp_lt_i32 s12, 10
	v_mov_b32_e32 v42, 8
	s_cbranch_scc1 .LBB34_134
; %bb.132:
	v_add_u32_e32 v49, 0x48, v44
	s_mov_b32 s0, 9
	v_mov_b32_e32 v42, 8
.LBB34_133:                             ; =>This Inner Loop Header: Depth=1
	ds_read_b64 v[50:51], v49
	v_mov_b32_e32 v52, s0
	s_add_i32 s0, s0, 1
	v_add_u32_e32 v49, 8, v49
	s_cmp_lg_u32 s12, s0
	s_waitcnt lgkmcnt(0)
	v_cmp_lt_f64_e64 vcc, |v[40:41]|, |v[50:51]|
	v_cndmask_b32_e32 v41, v41, v51, vcc
	v_cndmask_b32_e32 v40, v40, v50, vcc
	;; [unrolled: 1-line block ×3, first 2 shown]
	s_cbranch_scc1 .LBB34_133
.LBB34_134:
	s_waitcnt lgkmcnt(0)
	v_cmp_eq_f64_e32 vcc, 0, v[40:41]
	s_and_saveexec_b64 s[0:1], vcc
	s_xor_b64 s[0:1], exec, s[0:1]
; %bb.135:
	v_cmp_ne_u32_e32 vcc, 0, v48
	v_cndmask_b32_e32 v48, 9, v48, vcc
; %bb.136:
	s_andn2_saveexec_b64 s[0:1], s[0:1]
; %bb.137:
	v_div_scale_f64 v[50:51], s[2:3], v[40:41], v[40:41], 1.0
	v_rcp_f64_e32 v[52:53], v[50:51]
	v_div_scale_f64 v[54:55], vcc, 1.0, v[40:41], 1.0
	v_fma_f64 v[56:57], -v[50:51], v[52:53], 1.0
	v_fmac_f64_e32 v[52:53], v[52:53], v[56:57]
	v_fma_f64 v[56:57], -v[50:51], v[52:53], 1.0
	v_fmac_f64_e32 v[52:53], v[52:53], v[56:57]
	v_mul_f64 v[56:57], v[54:55], v[52:53]
	v_fma_f64 v[50:51], -v[50:51], v[56:57], v[54:55]
	v_div_fmas_f64 v[50:51], v[50:51], v[52:53], v[56:57]
	v_div_fixup_f64 v[40:41], v[50:51], v[40:41], 1.0
; %bb.138:
	s_or_b64 exec, exec, s[0:1]
	v_cmp_ne_u32_e32 vcc, v45, v42
	s_and_saveexec_b64 s[0:1], vcc
	s_xor_b64 s[0:1], exec, s[0:1]
	s_cbranch_execz .LBB34_144
; %bb.139:
	v_cmp_eq_u32_e32 vcc, 8, v45
	s_and_saveexec_b64 s[2:3], vcc
	s_cbranch_execz .LBB34_143
; %bb.140:
	v_cmp_ne_u32_e32 vcc, 8, v42
	s_xor_b64 s[14:15], s[6:7], -1
	s_and_b64 s[16:17], s[14:15], vcc
	s_and_saveexec_b64 s[14:15], s[16:17]
	s_cbranch_execz .LBB34_142
; %bb.141:
	v_ashrrev_i32_e32 v43, 31, v42
	v_lshlrev_b64 v[50:51], 2, v[42:43]
	v_add_co_u32_e32 v50, vcc, v36, v50
	v_addc_co_u32_e32 v51, vcc, v37, v51, vcc
	flat_load_dword v43, v[50:51]
	flat_load_dword v45, v[36:37] offset:32
	s_waitcnt vmcnt(0) lgkmcnt(0)
	flat_store_dword v[36:37], v43 offset:32
	flat_store_dword v[50:51], v45
.LBB34_142:
	s_or_b64 exec, exec, s[14:15]
	v_mov_b32_e32 v43, v42
	v_mov_b32_e32 v45, v42
.LBB34_143:
	s_or_b64 exec, exec, s[2:3]
.LBB34_144:
	s_andn2_saveexec_b64 s[0:1], s[0:1]
	s_cbranch_execz .LBB34_146
; %bb.145:
	v_mov_b32_e32 v45, 8
	ds_write2_b64 v44, v[24:25], v[16:17] offset0:9 offset1:10
	ds_write2_b64 v44, v[8:9], v[34:35] offset0:11 offset1:12
	;; [unrolled: 1-line block ×4, first 2 shown]
	ds_write_b64 v44, v[38:39] offset:136
.LBB34_146:
	s_or_b64 exec, exec, s[0:1]
	v_cmp_lt_i32_e32 vcc, 8, v45
	s_waitcnt lgkmcnt(0)
	s_barrier
	s_and_saveexec_b64 s[0:1], vcc
	s_cbranch_execz .LBB34_148
; %bb.147:
	ds_read2_b64 v[50:53], v44 offset0:9 offset1:10
	ds_read2_b64 v[54:57], v44 offset0:11 offset1:12
	v_mul_f64 v[32:33], v[40:41], v[32:33]
	ds_read_b64 v[40:41], v44 offset:136
	ds_read2_b64 v[58:61], v44 offset0:15 offset1:16
	s_waitcnt lgkmcnt(0)
	v_fma_f64 v[24:25], -v[32:33], v[50:51], v[24:25]
	v_fma_f64 v[16:17], -v[32:33], v[52:53], v[16:17]
	ds_read2_b64 v[50:53], v44 offset0:13 offset1:14
	v_fma_f64 v[8:9], -v[32:33], v[54:55], v[8:9]
	v_fma_f64 v[34:35], -v[32:33], v[56:57], v[34:35]
	;; [unrolled: 1-line block ×4, first 2 shown]
	s_waitcnt lgkmcnt(0)
	v_fma_f64 v[30:31], -v[32:33], v[50:51], v[30:31]
	v_fma_f64 v[22:23], -v[32:33], v[52:53], v[22:23]
	;; [unrolled: 1-line block ×3, first 2 shown]
.LBB34_148:
	s_or_b64 exec, exec, s[0:1]
	v_lshl_add_u32 v40, v45, 3, v44
	s_barrier
	ds_write_b64 v40, v[24:25]
	s_waitcnt lgkmcnt(0)
	s_barrier
	ds_read_b64 v[40:41], v44 offset:72
	s_cmp_lt_i32 s12, 11
	v_mov_b32_e32 v42, 9
	s_cbranch_scc1 .LBB34_151
; %bb.149:
	v_add_u32_e32 v49, 0x50, v44
	s_mov_b32 s0, 10
	v_mov_b32_e32 v42, 9
.LBB34_150:                             ; =>This Inner Loop Header: Depth=1
	ds_read_b64 v[50:51], v49
	v_mov_b32_e32 v52, s0
	s_add_i32 s0, s0, 1
	v_add_u32_e32 v49, 8, v49
	s_cmp_lg_u32 s12, s0
	s_waitcnt lgkmcnt(0)
	v_cmp_lt_f64_e64 vcc, |v[40:41]|, |v[50:51]|
	v_cndmask_b32_e32 v41, v41, v51, vcc
	v_cndmask_b32_e32 v40, v40, v50, vcc
	;; [unrolled: 1-line block ×3, first 2 shown]
	s_cbranch_scc1 .LBB34_150
.LBB34_151:
	s_waitcnt lgkmcnt(0)
	v_cmp_eq_f64_e32 vcc, 0, v[40:41]
	s_and_saveexec_b64 s[0:1], vcc
	s_xor_b64 s[0:1], exec, s[0:1]
; %bb.152:
	v_cmp_ne_u32_e32 vcc, 0, v48
	v_cndmask_b32_e32 v48, 10, v48, vcc
; %bb.153:
	s_andn2_saveexec_b64 s[0:1], s[0:1]
; %bb.154:
	v_div_scale_f64 v[50:51], s[2:3], v[40:41], v[40:41], 1.0
	v_rcp_f64_e32 v[52:53], v[50:51]
	v_div_scale_f64 v[54:55], vcc, 1.0, v[40:41], 1.0
	v_fma_f64 v[56:57], -v[50:51], v[52:53], 1.0
	v_fmac_f64_e32 v[52:53], v[52:53], v[56:57]
	v_fma_f64 v[56:57], -v[50:51], v[52:53], 1.0
	v_fmac_f64_e32 v[52:53], v[52:53], v[56:57]
	v_mul_f64 v[56:57], v[54:55], v[52:53]
	v_fma_f64 v[50:51], -v[50:51], v[56:57], v[54:55]
	v_div_fmas_f64 v[50:51], v[50:51], v[52:53], v[56:57]
	v_div_fixup_f64 v[40:41], v[50:51], v[40:41], 1.0
; %bb.155:
	s_or_b64 exec, exec, s[0:1]
	v_cmp_ne_u32_e32 vcc, v45, v42
	s_and_saveexec_b64 s[0:1], vcc
	s_xor_b64 s[0:1], exec, s[0:1]
	s_cbranch_execz .LBB34_161
; %bb.156:
	v_cmp_eq_u32_e32 vcc, 9, v45
	s_and_saveexec_b64 s[2:3], vcc
	s_cbranch_execz .LBB34_160
; %bb.157:
	v_cmp_ne_u32_e32 vcc, 9, v42
	s_xor_b64 s[14:15], s[6:7], -1
	s_and_b64 s[16:17], s[14:15], vcc
	s_and_saveexec_b64 s[14:15], s[16:17]
	s_cbranch_execz .LBB34_159
; %bb.158:
	v_ashrrev_i32_e32 v43, 31, v42
	v_lshlrev_b64 v[50:51], 2, v[42:43]
	v_add_co_u32_e32 v50, vcc, v36, v50
	v_addc_co_u32_e32 v51, vcc, v37, v51, vcc
	flat_load_dword v43, v[50:51]
	flat_load_dword v45, v[36:37] offset:36
	s_waitcnt vmcnt(0) lgkmcnt(0)
	flat_store_dword v[36:37], v43 offset:36
	flat_store_dword v[50:51], v45
.LBB34_159:
	s_or_b64 exec, exec, s[14:15]
	v_mov_b32_e32 v43, v42
	v_mov_b32_e32 v45, v42
.LBB34_160:
	s_or_b64 exec, exec, s[2:3]
.LBB34_161:
	s_andn2_saveexec_b64 s[0:1], s[0:1]
	s_cbranch_execz .LBB34_163
; %bb.162:
	v_mov_b32_e32 v50, v16
	v_mov_b32_e32 v51, v17
	v_mov_b32_e32 v52, v8
	v_mov_b32_e32 v53, v9
	ds_write2_b64 v44, v[50:51], v[52:53] offset0:10 offset1:11
	v_mov_b32_e32 v50, v34
	v_mov_b32_e32 v51, v35
	v_mov_b32_e32 v52, v30
	v_mov_b32_e32 v53, v31
	ds_write2_b64 v44, v[50:51], v[52:53] offset0:12 offset1:13
	;; [unrolled: 5-line block ×3, first 2 shown]
	v_mov_b32_e32 v50, v28
	v_mov_b32_e32 v51, v29
	;; [unrolled: 1-line block ×3, first 2 shown]
	ds_write2_b64 v44, v[50:51], v[38:39] offset0:16 offset1:17
.LBB34_163:
	s_or_b64 exec, exec, s[0:1]
	v_cmp_lt_i32_e32 vcc, 9, v45
	s_waitcnt lgkmcnt(0)
	s_barrier
	s_and_saveexec_b64 s[0:1], vcc
	s_cbranch_execz .LBB34_165
; %bb.164:
	ds_read2_b64 v[50:53], v44 offset0:10 offset1:11
	ds_read2_b64 v[54:57], v44 offset0:12 offset1:13
	v_mul_f64 v[24:25], v[40:41], v[24:25]
	ds_read2_b64 v[58:61], v44 offset0:14 offset1:15
	s_waitcnt lgkmcnt(0)
	v_fma_f64 v[16:17], -v[24:25], v[50:51], v[16:17]
	v_fma_f64 v[8:9], -v[24:25], v[52:53], v[8:9]
	ds_read2_b64 v[50:53], v44 offset0:16 offset1:17
	v_fma_f64 v[34:35], -v[24:25], v[54:55], v[34:35]
	v_fma_f64 v[30:31], -v[24:25], v[56:57], v[30:31]
	v_fma_f64 v[22:23], -v[24:25], v[58:59], v[22:23]
	v_fma_f64 v[14:15], -v[24:25], v[60:61], v[14:15]
	s_waitcnt lgkmcnt(0)
	v_fma_f64 v[28:29], -v[24:25], v[50:51], v[28:29]
	v_fma_f64 v[38:39], -v[24:25], v[52:53], v[38:39]
.LBB34_165:
	s_or_b64 exec, exec, s[0:1]
	v_lshl_add_u32 v40, v45, 3, v44
	s_barrier
	ds_write_b64 v40, v[16:17]
	s_waitcnt lgkmcnt(0)
	s_barrier
	ds_read_b64 v[40:41], v44 offset:80
	s_cmp_lt_i32 s12, 12
	v_mov_b32_e32 v42, 10
	s_cbranch_scc1 .LBB34_168
; %bb.166:
	v_add_u32_e32 v49, 0x58, v44
	s_mov_b32 s0, 11
	v_mov_b32_e32 v42, 10
.LBB34_167:                             ; =>This Inner Loop Header: Depth=1
	ds_read_b64 v[50:51], v49
	v_mov_b32_e32 v52, s0
	s_add_i32 s0, s0, 1
	v_add_u32_e32 v49, 8, v49
	s_cmp_lg_u32 s12, s0
	s_waitcnt lgkmcnt(0)
	v_cmp_lt_f64_e64 vcc, |v[40:41]|, |v[50:51]|
	v_cndmask_b32_e32 v41, v41, v51, vcc
	v_cndmask_b32_e32 v40, v40, v50, vcc
	;; [unrolled: 1-line block ×3, first 2 shown]
	s_cbranch_scc1 .LBB34_167
.LBB34_168:
	s_waitcnt lgkmcnt(0)
	v_cmp_eq_f64_e32 vcc, 0, v[40:41]
	s_and_saveexec_b64 s[0:1], vcc
	s_xor_b64 s[0:1], exec, s[0:1]
; %bb.169:
	v_cmp_ne_u32_e32 vcc, 0, v48
	v_cndmask_b32_e32 v48, 11, v48, vcc
; %bb.170:
	s_andn2_saveexec_b64 s[0:1], s[0:1]
; %bb.171:
	v_div_scale_f64 v[50:51], s[2:3], v[40:41], v[40:41], 1.0
	v_rcp_f64_e32 v[52:53], v[50:51]
	v_div_scale_f64 v[54:55], vcc, 1.0, v[40:41], 1.0
	v_fma_f64 v[56:57], -v[50:51], v[52:53], 1.0
	v_fmac_f64_e32 v[52:53], v[52:53], v[56:57]
	v_fma_f64 v[56:57], -v[50:51], v[52:53], 1.0
	v_fmac_f64_e32 v[52:53], v[52:53], v[56:57]
	v_mul_f64 v[56:57], v[54:55], v[52:53]
	v_fma_f64 v[50:51], -v[50:51], v[56:57], v[54:55]
	v_div_fmas_f64 v[50:51], v[50:51], v[52:53], v[56:57]
	v_div_fixup_f64 v[40:41], v[50:51], v[40:41], 1.0
; %bb.172:
	s_or_b64 exec, exec, s[0:1]
	v_cmp_ne_u32_e32 vcc, v45, v42
	s_and_saveexec_b64 s[0:1], vcc
	s_xor_b64 s[0:1], exec, s[0:1]
	s_cbranch_execz .LBB34_178
; %bb.173:
	v_cmp_eq_u32_e32 vcc, 10, v45
	s_and_saveexec_b64 s[2:3], vcc
	s_cbranch_execz .LBB34_177
; %bb.174:
	v_cmp_ne_u32_e32 vcc, 10, v42
	s_xor_b64 s[14:15], s[6:7], -1
	s_and_b64 s[16:17], s[14:15], vcc
	s_and_saveexec_b64 s[14:15], s[16:17]
	s_cbranch_execz .LBB34_176
; %bb.175:
	v_ashrrev_i32_e32 v43, 31, v42
	v_lshlrev_b64 v[50:51], 2, v[42:43]
	v_add_co_u32_e32 v50, vcc, v36, v50
	v_addc_co_u32_e32 v51, vcc, v37, v51, vcc
	flat_load_dword v43, v[50:51]
	flat_load_dword v45, v[36:37] offset:40
	s_waitcnt vmcnt(0) lgkmcnt(0)
	flat_store_dword v[36:37], v43 offset:40
	flat_store_dword v[50:51], v45
.LBB34_176:
	s_or_b64 exec, exec, s[14:15]
	v_mov_b32_e32 v43, v42
	v_mov_b32_e32 v45, v42
.LBB34_177:
	s_or_b64 exec, exec, s[2:3]
.LBB34_178:
	s_andn2_saveexec_b64 s[0:1], s[0:1]
	s_cbranch_execz .LBB34_180
; %bb.179:
	v_mov_b32_e32 v45, 10
	ds_write2_b64 v44, v[8:9], v[34:35] offset0:11 offset1:12
	ds_write2_b64 v44, v[30:31], v[22:23] offset0:13 offset1:14
	;; [unrolled: 1-line block ×3, first 2 shown]
	ds_write_b64 v44, v[38:39] offset:136
.LBB34_180:
	s_or_b64 exec, exec, s[0:1]
	v_cmp_lt_i32_e32 vcc, 10, v45
	s_waitcnt lgkmcnt(0)
	s_barrier
	s_and_saveexec_b64 s[0:1], vcc
	s_cbranch_execz .LBB34_182
; %bb.181:
	ds_read2_b64 v[50:53], v44 offset0:11 offset1:12
	ds_read2_b64 v[54:57], v44 offset0:13 offset1:14
	v_mul_f64 v[16:17], v[40:41], v[16:17]
	ds_read2_b64 v[58:61], v44 offset0:15 offset1:16
	ds_read_b64 v[40:41], v44 offset:136
	s_waitcnt lgkmcnt(0)
	v_fma_f64 v[8:9], -v[16:17], v[50:51], v[8:9]
	v_fma_f64 v[34:35], -v[16:17], v[52:53], v[34:35]
	;; [unrolled: 1-line block ×7, first 2 shown]
.LBB34_182:
	s_or_b64 exec, exec, s[0:1]
	v_lshl_add_u32 v40, v45, 3, v44
	s_barrier
	ds_write_b64 v40, v[8:9]
	s_waitcnt lgkmcnt(0)
	s_barrier
	ds_read_b64 v[40:41], v44 offset:88
	s_cmp_lt_i32 s12, 13
	v_mov_b32_e32 v42, 11
	s_cbranch_scc1 .LBB34_185
; %bb.183:
	v_add_u32_e32 v49, 0x60, v44
	s_mov_b32 s0, 12
	v_mov_b32_e32 v42, 11
.LBB34_184:                             ; =>This Inner Loop Header: Depth=1
	ds_read_b64 v[50:51], v49
	v_mov_b32_e32 v52, s0
	s_add_i32 s0, s0, 1
	v_add_u32_e32 v49, 8, v49
	s_cmp_lg_u32 s12, s0
	s_waitcnt lgkmcnt(0)
	v_cmp_lt_f64_e64 vcc, |v[40:41]|, |v[50:51]|
	v_cndmask_b32_e32 v41, v41, v51, vcc
	v_cndmask_b32_e32 v40, v40, v50, vcc
	;; [unrolled: 1-line block ×3, first 2 shown]
	s_cbranch_scc1 .LBB34_184
.LBB34_185:
	s_waitcnt lgkmcnt(0)
	v_cmp_eq_f64_e32 vcc, 0, v[40:41]
	s_and_saveexec_b64 s[0:1], vcc
	s_xor_b64 s[0:1], exec, s[0:1]
; %bb.186:
	v_cmp_ne_u32_e32 vcc, 0, v48
	v_cndmask_b32_e32 v48, 12, v48, vcc
; %bb.187:
	s_andn2_saveexec_b64 s[0:1], s[0:1]
; %bb.188:
	v_div_scale_f64 v[50:51], s[2:3], v[40:41], v[40:41], 1.0
	v_rcp_f64_e32 v[52:53], v[50:51]
	v_div_scale_f64 v[54:55], vcc, 1.0, v[40:41], 1.0
	v_fma_f64 v[56:57], -v[50:51], v[52:53], 1.0
	v_fmac_f64_e32 v[52:53], v[52:53], v[56:57]
	v_fma_f64 v[56:57], -v[50:51], v[52:53], 1.0
	v_fmac_f64_e32 v[52:53], v[52:53], v[56:57]
	v_mul_f64 v[56:57], v[54:55], v[52:53]
	v_fma_f64 v[50:51], -v[50:51], v[56:57], v[54:55]
	v_div_fmas_f64 v[50:51], v[50:51], v[52:53], v[56:57]
	v_div_fixup_f64 v[40:41], v[50:51], v[40:41], 1.0
; %bb.189:
	s_or_b64 exec, exec, s[0:1]
	v_cmp_ne_u32_e32 vcc, v45, v42
	s_and_saveexec_b64 s[0:1], vcc
	s_xor_b64 s[0:1], exec, s[0:1]
	s_cbranch_execz .LBB34_195
; %bb.190:
	v_cmp_eq_u32_e32 vcc, 11, v45
	s_and_saveexec_b64 s[2:3], vcc
	s_cbranch_execz .LBB34_194
; %bb.191:
	v_cmp_ne_u32_e32 vcc, 11, v42
	s_xor_b64 s[14:15], s[6:7], -1
	s_and_b64 s[16:17], s[14:15], vcc
	s_and_saveexec_b64 s[14:15], s[16:17]
	s_cbranch_execz .LBB34_193
; %bb.192:
	v_ashrrev_i32_e32 v43, 31, v42
	v_lshlrev_b64 v[50:51], 2, v[42:43]
	v_add_co_u32_e32 v50, vcc, v36, v50
	v_addc_co_u32_e32 v51, vcc, v37, v51, vcc
	flat_load_dword v43, v[50:51]
	flat_load_dword v45, v[36:37] offset:44
	s_waitcnt vmcnt(0) lgkmcnt(0)
	flat_store_dword v[36:37], v43 offset:44
	flat_store_dword v[50:51], v45
.LBB34_193:
	s_or_b64 exec, exec, s[14:15]
	v_mov_b32_e32 v43, v42
	v_mov_b32_e32 v45, v42
.LBB34_194:
	s_or_b64 exec, exec, s[2:3]
.LBB34_195:
	s_andn2_saveexec_b64 s[0:1], s[0:1]
	s_cbranch_execz .LBB34_197
; %bb.196:
	v_mov_b32_e32 v50, v34
	v_mov_b32_e32 v51, v35
	v_mov_b32_e32 v52, v30
	v_mov_b32_e32 v53, v31
	ds_write2_b64 v44, v[50:51], v[52:53] offset0:12 offset1:13
	v_mov_b32_e32 v50, v22
	v_mov_b32_e32 v51, v23
	;; [unrolled: 1-line block ×4, first 2 shown]
	ds_write2_b64 v44, v[50:51], v[52:53] offset0:14 offset1:15
	v_mov_b32_e32 v50, v28
	v_mov_b32_e32 v51, v29
	;; [unrolled: 1-line block ×3, first 2 shown]
	ds_write2_b64 v44, v[50:51], v[38:39] offset0:16 offset1:17
.LBB34_197:
	s_or_b64 exec, exec, s[0:1]
	v_cmp_lt_i32_e32 vcc, 11, v45
	s_waitcnt lgkmcnt(0)
	s_barrier
	s_and_saveexec_b64 s[0:1], vcc
	s_cbranch_execz .LBB34_199
; %bb.198:
	ds_read2_b64 v[50:53], v44 offset0:12 offset1:13
	ds_read2_b64 v[54:57], v44 offset0:14 offset1:15
	;; [unrolled: 1-line block ×3, first 2 shown]
	v_mul_f64 v[8:9], v[40:41], v[8:9]
	s_waitcnt lgkmcnt(0)
	v_fma_f64 v[34:35], -v[8:9], v[50:51], v[34:35]
	v_fma_f64 v[30:31], -v[8:9], v[52:53], v[30:31]
	;; [unrolled: 1-line block ×6, first 2 shown]
.LBB34_199:
	s_or_b64 exec, exec, s[0:1]
	v_lshl_add_u32 v40, v45, 3, v44
	s_barrier
	ds_write_b64 v40, v[34:35]
	s_waitcnt lgkmcnt(0)
	s_barrier
	ds_read_b64 v[40:41], v44 offset:96
	s_cmp_lt_i32 s12, 14
	v_mov_b32_e32 v42, 12
	s_cbranch_scc1 .LBB34_202
; %bb.200:
	v_add_u32_e32 v49, 0x68, v44
	s_mov_b32 s0, 13
	v_mov_b32_e32 v42, 12
.LBB34_201:                             ; =>This Inner Loop Header: Depth=1
	ds_read_b64 v[50:51], v49
	v_mov_b32_e32 v52, s0
	s_add_i32 s0, s0, 1
	v_add_u32_e32 v49, 8, v49
	s_cmp_lg_u32 s12, s0
	s_waitcnt lgkmcnt(0)
	v_cmp_lt_f64_e64 vcc, |v[40:41]|, |v[50:51]|
	v_cndmask_b32_e32 v41, v41, v51, vcc
	v_cndmask_b32_e32 v40, v40, v50, vcc
	;; [unrolled: 1-line block ×3, first 2 shown]
	s_cbranch_scc1 .LBB34_201
.LBB34_202:
	s_waitcnt lgkmcnt(0)
	v_cmp_eq_f64_e32 vcc, 0, v[40:41]
	s_and_saveexec_b64 s[0:1], vcc
	s_xor_b64 s[0:1], exec, s[0:1]
; %bb.203:
	v_cmp_ne_u32_e32 vcc, 0, v48
	v_cndmask_b32_e32 v48, 13, v48, vcc
; %bb.204:
	s_andn2_saveexec_b64 s[0:1], s[0:1]
; %bb.205:
	v_div_scale_f64 v[50:51], s[2:3], v[40:41], v[40:41], 1.0
	v_rcp_f64_e32 v[52:53], v[50:51]
	v_div_scale_f64 v[54:55], vcc, 1.0, v[40:41], 1.0
	v_fma_f64 v[56:57], -v[50:51], v[52:53], 1.0
	v_fmac_f64_e32 v[52:53], v[52:53], v[56:57]
	v_fma_f64 v[56:57], -v[50:51], v[52:53], 1.0
	v_fmac_f64_e32 v[52:53], v[52:53], v[56:57]
	v_mul_f64 v[56:57], v[54:55], v[52:53]
	v_fma_f64 v[50:51], -v[50:51], v[56:57], v[54:55]
	v_div_fmas_f64 v[50:51], v[50:51], v[52:53], v[56:57]
	v_div_fixup_f64 v[40:41], v[50:51], v[40:41], 1.0
; %bb.206:
	s_or_b64 exec, exec, s[0:1]
	v_cmp_ne_u32_e32 vcc, v45, v42
	s_and_saveexec_b64 s[0:1], vcc
	s_xor_b64 s[0:1], exec, s[0:1]
	s_cbranch_execz .LBB34_212
; %bb.207:
	v_cmp_eq_u32_e32 vcc, 12, v45
	s_and_saveexec_b64 s[2:3], vcc
	s_cbranch_execz .LBB34_211
; %bb.208:
	v_cmp_ne_u32_e32 vcc, 12, v42
	s_xor_b64 s[14:15], s[6:7], -1
	s_and_b64 s[16:17], s[14:15], vcc
	s_and_saveexec_b64 s[14:15], s[16:17]
	s_cbranch_execz .LBB34_210
; %bb.209:
	v_ashrrev_i32_e32 v43, 31, v42
	v_lshlrev_b64 v[50:51], 2, v[42:43]
	v_add_co_u32_e32 v50, vcc, v36, v50
	v_addc_co_u32_e32 v51, vcc, v37, v51, vcc
	flat_load_dword v43, v[50:51]
	flat_load_dword v45, v[36:37] offset:48
	s_waitcnt vmcnt(0) lgkmcnt(0)
	flat_store_dword v[36:37], v43 offset:48
	flat_store_dword v[50:51], v45
.LBB34_210:
	s_or_b64 exec, exec, s[14:15]
	v_mov_b32_e32 v43, v42
	v_mov_b32_e32 v45, v42
.LBB34_211:
	s_or_b64 exec, exec, s[2:3]
.LBB34_212:
	s_andn2_saveexec_b64 s[0:1], s[0:1]
	s_cbranch_execz .LBB34_214
; %bb.213:
	v_mov_b32_e32 v45, 12
	ds_write2_b64 v44, v[30:31], v[22:23] offset0:13 offset1:14
	ds_write2_b64 v44, v[14:15], v[28:29] offset0:15 offset1:16
	ds_write_b64 v44, v[38:39] offset:136
.LBB34_214:
	s_or_b64 exec, exec, s[0:1]
	v_cmp_lt_i32_e32 vcc, 12, v45
	s_waitcnt lgkmcnt(0)
	s_barrier
	s_and_saveexec_b64 s[0:1], vcc
	s_cbranch_execz .LBB34_216
; %bb.215:
	ds_read2_b64 v[50:53], v44 offset0:13 offset1:14
	ds_read2_b64 v[54:57], v44 offset0:15 offset1:16
	v_mul_f64 v[34:35], v[40:41], v[34:35]
	ds_read_b64 v[40:41], v44 offset:136
	s_waitcnt lgkmcnt(0)
	v_fma_f64 v[30:31], -v[34:35], v[50:51], v[30:31]
	v_fma_f64 v[22:23], -v[34:35], v[52:53], v[22:23]
	;; [unrolled: 1-line block ×5, first 2 shown]
.LBB34_216:
	s_or_b64 exec, exec, s[0:1]
	v_lshl_add_u32 v40, v45, 3, v44
	s_barrier
	ds_write_b64 v40, v[30:31]
	s_waitcnt lgkmcnt(0)
	s_barrier
	ds_read_b64 v[40:41], v44 offset:104
	s_cmp_lt_i32 s12, 15
	v_mov_b32_e32 v42, 13
	s_cbranch_scc1 .LBB34_219
; %bb.217:
	v_add_u32_e32 v49, 0x70, v44
	s_mov_b32 s0, 14
	v_mov_b32_e32 v42, 13
.LBB34_218:                             ; =>This Inner Loop Header: Depth=1
	ds_read_b64 v[50:51], v49
	v_mov_b32_e32 v52, s0
	s_add_i32 s0, s0, 1
	v_add_u32_e32 v49, 8, v49
	s_cmp_lg_u32 s12, s0
	s_waitcnt lgkmcnt(0)
	v_cmp_lt_f64_e64 vcc, |v[40:41]|, |v[50:51]|
	v_cndmask_b32_e32 v41, v41, v51, vcc
	v_cndmask_b32_e32 v40, v40, v50, vcc
	;; [unrolled: 1-line block ×3, first 2 shown]
	s_cbranch_scc1 .LBB34_218
.LBB34_219:
	s_waitcnt lgkmcnt(0)
	v_cmp_eq_f64_e32 vcc, 0, v[40:41]
	s_and_saveexec_b64 s[0:1], vcc
	s_xor_b64 s[0:1], exec, s[0:1]
; %bb.220:
	v_cmp_ne_u32_e32 vcc, 0, v48
	v_cndmask_b32_e32 v48, 14, v48, vcc
; %bb.221:
	s_andn2_saveexec_b64 s[0:1], s[0:1]
; %bb.222:
	v_div_scale_f64 v[50:51], s[2:3], v[40:41], v[40:41], 1.0
	v_rcp_f64_e32 v[52:53], v[50:51]
	v_div_scale_f64 v[54:55], vcc, 1.0, v[40:41], 1.0
	v_fma_f64 v[56:57], -v[50:51], v[52:53], 1.0
	v_fmac_f64_e32 v[52:53], v[52:53], v[56:57]
	v_fma_f64 v[56:57], -v[50:51], v[52:53], 1.0
	v_fmac_f64_e32 v[52:53], v[52:53], v[56:57]
	v_mul_f64 v[56:57], v[54:55], v[52:53]
	v_fma_f64 v[50:51], -v[50:51], v[56:57], v[54:55]
	v_div_fmas_f64 v[50:51], v[50:51], v[52:53], v[56:57]
	v_div_fixup_f64 v[40:41], v[50:51], v[40:41], 1.0
; %bb.223:
	s_or_b64 exec, exec, s[0:1]
	v_cmp_ne_u32_e32 vcc, v45, v42
	s_and_saveexec_b64 s[0:1], vcc
	s_xor_b64 s[0:1], exec, s[0:1]
	s_cbranch_execz .LBB34_229
; %bb.224:
	v_cmp_eq_u32_e32 vcc, 13, v45
	s_and_saveexec_b64 s[2:3], vcc
	s_cbranch_execz .LBB34_228
; %bb.225:
	v_cmp_ne_u32_e32 vcc, 13, v42
	s_xor_b64 s[14:15], s[6:7], -1
	s_and_b64 s[16:17], s[14:15], vcc
	s_and_saveexec_b64 s[14:15], s[16:17]
	s_cbranch_execz .LBB34_227
; %bb.226:
	v_ashrrev_i32_e32 v43, 31, v42
	v_lshlrev_b64 v[50:51], 2, v[42:43]
	v_add_co_u32_e32 v50, vcc, v36, v50
	v_addc_co_u32_e32 v51, vcc, v37, v51, vcc
	flat_load_dword v43, v[50:51]
	flat_load_dword v45, v[36:37] offset:52
	s_waitcnt vmcnt(0) lgkmcnt(0)
	flat_store_dword v[36:37], v43 offset:52
	flat_store_dword v[50:51], v45
.LBB34_227:
	s_or_b64 exec, exec, s[14:15]
	v_mov_b32_e32 v43, v42
	v_mov_b32_e32 v45, v42
.LBB34_228:
	s_or_b64 exec, exec, s[2:3]
.LBB34_229:
	s_andn2_saveexec_b64 s[0:1], s[0:1]
	s_cbranch_execz .LBB34_231
; %bb.230:
	v_mov_b32_e32 v50, v22
	v_mov_b32_e32 v51, v23
	;; [unrolled: 1-line block ×4, first 2 shown]
	ds_write2_b64 v44, v[50:51], v[52:53] offset0:14 offset1:15
	v_mov_b32_e32 v50, v28
	v_mov_b32_e32 v51, v29
	;; [unrolled: 1-line block ×3, first 2 shown]
	ds_write2_b64 v44, v[50:51], v[38:39] offset0:16 offset1:17
.LBB34_231:
	s_or_b64 exec, exec, s[0:1]
	v_cmp_lt_i32_e32 vcc, 13, v45
	s_waitcnt lgkmcnt(0)
	s_barrier
	s_and_saveexec_b64 s[0:1], vcc
	s_cbranch_execz .LBB34_233
; %bb.232:
	ds_read2_b64 v[50:53], v44 offset0:14 offset1:15
	ds_read2_b64 v[54:57], v44 offset0:16 offset1:17
	v_mul_f64 v[30:31], v[40:41], v[30:31]
	s_waitcnt lgkmcnt(0)
	v_fma_f64 v[22:23], -v[30:31], v[50:51], v[22:23]
	v_fma_f64 v[14:15], -v[30:31], v[52:53], v[14:15]
	v_fma_f64 v[28:29], -v[30:31], v[54:55], v[28:29]
	v_fma_f64 v[38:39], -v[30:31], v[56:57], v[38:39]
.LBB34_233:
	s_or_b64 exec, exec, s[0:1]
	v_lshl_add_u32 v40, v45, 3, v44
	s_barrier
	ds_write_b64 v40, v[22:23]
	s_waitcnt lgkmcnt(0)
	s_barrier
	ds_read_b64 v[40:41], v44 offset:112
	s_cmp_lt_i32 s12, 16
	v_mov_b32_e32 v42, 14
	s_cbranch_scc1 .LBB34_236
; %bb.234:
	v_add_u32_e32 v49, 0x78, v44
	s_mov_b32 s0, 15
	v_mov_b32_e32 v42, 14
.LBB34_235:                             ; =>This Inner Loop Header: Depth=1
	ds_read_b64 v[50:51], v49
	v_mov_b32_e32 v52, s0
	s_add_i32 s0, s0, 1
	v_add_u32_e32 v49, 8, v49
	s_cmp_lg_u32 s12, s0
	s_waitcnt lgkmcnt(0)
	v_cmp_lt_f64_e64 vcc, |v[40:41]|, |v[50:51]|
	v_cndmask_b32_e32 v41, v41, v51, vcc
	v_cndmask_b32_e32 v40, v40, v50, vcc
	;; [unrolled: 1-line block ×3, first 2 shown]
	s_cbranch_scc1 .LBB34_235
.LBB34_236:
	s_waitcnt lgkmcnt(0)
	v_cmp_eq_f64_e32 vcc, 0, v[40:41]
	s_and_saveexec_b64 s[0:1], vcc
	s_xor_b64 s[0:1], exec, s[0:1]
; %bb.237:
	v_cmp_ne_u32_e32 vcc, 0, v48
	v_cndmask_b32_e32 v48, 15, v48, vcc
; %bb.238:
	s_andn2_saveexec_b64 s[0:1], s[0:1]
; %bb.239:
	v_div_scale_f64 v[50:51], s[2:3], v[40:41], v[40:41], 1.0
	v_rcp_f64_e32 v[52:53], v[50:51]
	v_div_scale_f64 v[54:55], vcc, 1.0, v[40:41], 1.0
	v_fma_f64 v[56:57], -v[50:51], v[52:53], 1.0
	v_fmac_f64_e32 v[52:53], v[52:53], v[56:57]
	v_fma_f64 v[56:57], -v[50:51], v[52:53], 1.0
	v_fmac_f64_e32 v[52:53], v[52:53], v[56:57]
	v_mul_f64 v[56:57], v[54:55], v[52:53]
	v_fma_f64 v[50:51], -v[50:51], v[56:57], v[54:55]
	v_div_fmas_f64 v[50:51], v[50:51], v[52:53], v[56:57]
	v_div_fixup_f64 v[40:41], v[50:51], v[40:41], 1.0
; %bb.240:
	s_or_b64 exec, exec, s[0:1]
	v_cmp_ne_u32_e32 vcc, v45, v42
	s_and_saveexec_b64 s[0:1], vcc
	s_xor_b64 s[0:1], exec, s[0:1]
	s_cbranch_execz .LBB34_246
; %bb.241:
	v_cmp_eq_u32_e32 vcc, 14, v45
	s_and_saveexec_b64 s[2:3], vcc
	s_cbranch_execz .LBB34_245
; %bb.242:
	v_cmp_ne_u32_e32 vcc, 14, v42
	s_xor_b64 s[14:15], s[6:7], -1
	s_and_b64 s[16:17], s[14:15], vcc
	s_and_saveexec_b64 s[14:15], s[16:17]
	s_cbranch_execz .LBB34_244
; %bb.243:
	v_ashrrev_i32_e32 v43, 31, v42
	v_lshlrev_b64 v[50:51], 2, v[42:43]
	v_add_co_u32_e32 v50, vcc, v36, v50
	v_addc_co_u32_e32 v51, vcc, v37, v51, vcc
	flat_load_dword v43, v[50:51]
	flat_load_dword v45, v[36:37] offset:56
	s_waitcnt vmcnt(0) lgkmcnt(0)
	flat_store_dword v[36:37], v43 offset:56
	flat_store_dword v[50:51], v45
.LBB34_244:
	s_or_b64 exec, exec, s[14:15]
	v_mov_b32_e32 v43, v42
	v_mov_b32_e32 v45, v42
.LBB34_245:
	s_or_b64 exec, exec, s[2:3]
.LBB34_246:
	s_andn2_saveexec_b64 s[0:1], s[0:1]
	s_cbranch_execz .LBB34_248
; %bb.247:
	v_mov_b32_e32 v45, 14
	ds_write2_b64 v44, v[14:15], v[28:29] offset0:15 offset1:16
	ds_write_b64 v44, v[38:39] offset:136
.LBB34_248:
	s_or_b64 exec, exec, s[0:1]
	v_cmp_lt_i32_e32 vcc, 14, v45
	s_waitcnt lgkmcnt(0)
	s_barrier
	s_and_saveexec_b64 s[0:1], vcc
	s_cbranch_execz .LBB34_250
; %bb.249:
	ds_read2_b64 v[50:53], v44 offset0:15 offset1:16
	ds_read_b64 v[54:55], v44 offset:136
	v_mul_f64 v[22:23], v[40:41], v[22:23]
	s_waitcnt lgkmcnt(0)
	v_fma_f64 v[14:15], -v[22:23], v[50:51], v[14:15]
	v_fma_f64 v[28:29], -v[22:23], v[52:53], v[28:29]
	;; [unrolled: 1-line block ×3, first 2 shown]
.LBB34_250:
	s_or_b64 exec, exec, s[0:1]
	v_lshl_add_u32 v40, v45, 3, v44
	s_barrier
	ds_write_b64 v40, v[14:15]
	s_waitcnt lgkmcnt(0)
	s_barrier
	ds_read_b64 v[40:41], v44 offset:120
	s_cmp_lt_i32 s12, 17
	v_mov_b32_e32 v42, 15
	s_cbranch_scc1 .LBB34_253
; %bb.251:
	v_add_u32_e32 v49, 0x80, v44
	s_mov_b32 s0, 16
	v_mov_b32_e32 v42, 15
.LBB34_252:                             ; =>This Inner Loop Header: Depth=1
	ds_read_b64 v[50:51], v49
	v_mov_b32_e32 v52, s0
	s_add_i32 s0, s0, 1
	v_add_u32_e32 v49, 8, v49
	s_cmp_lg_u32 s12, s0
	s_waitcnt lgkmcnt(0)
	v_cmp_lt_f64_e64 vcc, |v[40:41]|, |v[50:51]|
	v_cndmask_b32_e32 v41, v41, v51, vcc
	v_cndmask_b32_e32 v40, v40, v50, vcc
	;; [unrolled: 1-line block ×3, first 2 shown]
	s_cbranch_scc1 .LBB34_252
.LBB34_253:
	s_waitcnt lgkmcnt(0)
	v_cmp_eq_f64_e32 vcc, 0, v[40:41]
	s_and_saveexec_b64 s[0:1], vcc
	s_xor_b64 s[0:1], exec, s[0:1]
; %bb.254:
	v_cmp_ne_u32_e32 vcc, 0, v48
	v_cndmask_b32_e32 v48, 16, v48, vcc
; %bb.255:
	s_andn2_saveexec_b64 s[0:1], s[0:1]
; %bb.256:
	v_div_scale_f64 v[50:51], s[2:3], v[40:41], v[40:41], 1.0
	v_rcp_f64_e32 v[52:53], v[50:51]
	v_div_scale_f64 v[54:55], vcc, 1.0, v[40:41], 1.0
	v_fma_f64 v[56:57], -v[50:51], v[52:53], 1.0
	v_fmac_f64_e32 v[52:53], v[52:53], v[56:57]
	v_fma_f64 v[56:57], -v[50:51], v[52:53], 1.0
	v_fmac_f64_e32 v[52:53], v[52:53], v[56:57]
	v_mul_f64 v[56:57], v[54:55], v[52:53]
	v_fma_f64 v[50:51], -v[50:51], v[56:57], v[54:55]
	v_div_fmas_f64 v[50:51], v[50:51], v[52:53], v[56:57]
	v_div_fixup_f64 v[40:41], v[50:51], v[40:41], 1.0
; %bb.257:
	s_or_b64 exec, exec, s[0:1]
	v_cmp_ne_u32_e32 vcc, v45, v42
	s_and_saveexec_b64 s[0:1], vcc
	s_xor_b64 s[0:1], exec, s[0:1]
	s_cbranch_execz .LBB34_263
; %bb.258:
	v_cmp_eq_u32_e32 vcc, 15, v45
	s_and_saveexec_b64 s[2:3], vcc
	s_cbranch_execz .LBB34_262
; %bb.259:
	v_cmp_ne_u32_e32 vcc, 15, v42
	s_xor_b64 s[14:15], s[6:7], -1
	s_and_b64 s[16:17], s[14:15], vcc
	s_and_saveexec_b64 s[14:15], s[16:17]
	s_cbranch_execz .LBB34_261
; %bb.260:
	v_ashrrev_i32_e32 v43, 31, v42
	v_lshlrev_b64 v[50:51], 2, v[42:43]
	v_add_co_u32_e32 v50, vcc, v36, v50
	v_addc_co_u32_e32 v51, vcc, v37, v51, vcc
	flat_load_dword v43, v[50:51]
	flat_load_dword v45, v[36:37] offset:60
	s_waitcnt vmcnt(0) lgkmcnt(0)
	flat_store_dword v[36:37], v43 offset:60
	flat_store_dword v[50:51], v45
.LBB34_261:
	s_or_b64 exec, exec, s[14:15]
	v_mov_b32_e32 v43, v42
	v_mov_b32_e32 v45, v42
.LBB34_262:
	s_or_b64 exec, exec, s[2:3]
.LBB34_263:
	s_andn2_saveexec_b64 s[0:1], s[0:1]
	s_cbranch_execz .LBB34_265
; %bb.264:
	v_mov_b32_e32 v50, v28
	v_mov_b32_e32 v51, v29
	;; [unrolled: 1-line block ×3, first 2 shown]
	ds_write2_b64 v44, v[50:51], v[38:39] offset0:16 offset1:17
.LBB34_265:
	s_or_b64 exec, exec, s[0:1]
	v_cmp_lt_i32_e32 vcc, 15, v45
	s_waitcnt lgkmcnt(0)
	s_barrier
	s_and_saveexec_b64 s[0:1], vcc
	s_cbranch_execz .LBB34_267
; %bb.266:
	ds_read2_b64 v[50:53], v44 offset0:16 offset1:17
	v_mul_f64 v[14:15], v[40:41], v[14:15]
	s_waitcnt lgkmcnt(0)
	v_fma_f64 v[28:29], -v[14:15], v[50:51], v[28:29]
	v_fma_f64 v[38:39], -v[14:15], v[52:53], v[38:39]
.LBB34_267:
	s_or_b64 exec, exec, s[0:1]
	v_lshl_add_u32 v40, v45, 3, v44
	s_barrier
	ds_write_b64 v40, v[28:29]
	s_waitcnt lgkmcnt(0)
	s_barrier
	ds_read_b64 v[40:41], v44 offset:128
	s_cmp_lt_i32 s12, 18
	v_mov_b32_e32 v42, 16
	s_cbranch_scc1 .LBB34_270
; %bb.268:
	v_add_u32_e32 v49, 0x88, v44
	s_mov_b32 s0, 17
	v_mov_b32_e32 v42, 16
.LBB34_269:                             ; =>This Inner Loop Header: Depth=1
	ds_read_b64 v[50:51], v49
	v_mov_b32_e32 v52, s0
	s_add_i32 s0, s0, 1
	v_add_u32_e32 v49, 8, v49
	s_cmp_lg_u32 s12, s0
	s_waitcnt lgkmcnt(0)
	v_cmp_lt_f64_e64 vcc, |v[40:41]|, |v[50:51]|
	v_cndmask_b32_e32 v41, v41, v51, vcc
	v_cndmask_b32_e32 v40, v40, v50, vcc
	;; [unrolled: 1-line block ×3, first 2 shown]
	s_cbranch_scc1 .LBB34_269
.LBB34_270:
	s_waitcnt lgkmcnt(0)
	v_cmp_eq_f64_e32 vcc, 0, v[40:41]
	s_and_saveexec_b64 s[0:1], vcc
	s_xor_b64 s[0:1], exec, s[0:1]
; %bb.271:
	v_cmp_ne_u32_e32 vcc, 0, v48
	v_cndmask_b32_e32 v48, 17, v48, vcc
; %bb.272:
	s_andn2_saveexec_b64 s[0:1], s[0:1]
; %bb.273:
	v_div_scale_f64 v[50:51], s[2:3], v[40:41], v[40:41], 1.0
	v_rcp_f64_e32 v[52:53], v[50:51]
	v_div_scale_f64 v[54:55], vcc, 1.0, v[40:41], 1.0
	v_fma_f64 v[56:57], -v[50:51], v[52:53], 1.0
	v_fmac_f64_e32 v[52:53], v[52:53], v[56:57]
	v_fma_f64 v[56:57], -v[50:51], v[52:53], 1.0
	v_fmac_f64_e32 v[52:53], v[52:53], v[56:57]
	v_mul_f64 v[56:57], v[54:55], v[52:53]
	v_fma_f64 v[50:51], -v[50:51], v[56:57], v[54:55]
	v_div_fmas_f64 v[50:51], v[50:51], v[52:53], v[56:57]
	v_div_fixup_f64 v[40:41], v[50:51], v[40:41], 1.0
; %bb.274:
	s_or_b64 exec, exec, s[0:1]
	v_cmp_ne_u32_e32 vcc, v45, v42
	s_and_saveexec_b64 s[0:1], vcc
	s_xor_b64 s[0:1], exec, s[0:1]
	s_cbranch_execz .LBB34_280
; %bb.275:
	v_cmp_eq_u32_e32 vcc, 16, v45
	s_and_saveexec_b64 s[2:3], vcc
	s_cbranch_execz .LBB34_279
; %bb.276:
	v_cmp_ne_u32_e32 vcc, 16, v42
	s_xor_b64 s[14:15], s[6:7], -1
	s_and_b64 s[16:17], s[14:15], vcc
	s_and_saveexec_b64 s[14:15], s[16:17]
	s_cbranch_execz .LBB34_278
; %bb.277:
	v_ashrrev_i32_e32 v43, 31, v42
	v_lshlrev_b64 v[50:51], 2, v[42:43]
	v_add_co_u32_e32 v50, vcc, v36, v50
	v_addc_co_u32_e32 v51, vcc, v37, v51, vcc
	flat_load_dword v43, v[50:51]
	flat_load_dword v45, v[36:37] offset:64
	s_waitcnt vmcnt(0) lgkmcnt(0)
	flat_store_dword v[36:37], v43 offset:64
	flat_store_dword v[50:51], v45
.LBB34_278:
	s_or_b64 exec, exec, s[14:15]
	v_mov_b32_e32 v43, v42
	v_mov_b32_e32 v45, v42
.LBB34_279:
	s_or_b64 exec, exec, s[2:3]
.LBB34_280:
	s_andn2_saveexec_b64 s[0:1], s[0:1]
	s_cbranch_execz .LBB34_282
; %bb.281:
	v_mov_b32_e32 v45, 16
	ds_write_b64 v44, v[38:39] offset:136
.LBB34_282:
	s_or_b64 exec, exec, s[0:1]
	v_cmp_lt_i32_e32 vcc, 16, v45
	s_waitcnt lgkmcnt(0)
	s_barrier
	s_and_saveexec_b64 s[0:1], vcc
	s_cbranch_execz .LBB34_284
; %bb.283:
	ds_read_b64 v[50:51], v44 offset:136
	v_mul_f64 v[28:29], v[40:41], v[28:29]
	s_waitcnt lgkmcnt(0)
	v_fma_f64 v[38:39], -v[28:29], v[50:51], v[38:39]
.LBB34_284:
	s_or_b64 exec, exec, s[0:1]
	v_lshl_add_u32 v40, v45, 3, v44
	s_barrier
	ds_write_b64 v40, v[38:39]
	s_waitcnt lgkmcnt(0)
	s_barrier
	ds_read_b64 v[40:41], v44 offset:136
	s_cmp_lt_i32 s12, 19
	v_mov_b32_e32 v42, 17
	s_cbranch_scc1 .LBB34_287
; %bb.285:
	v_add_u32_e32 v44, 0x90, v44
	s_mov_b32 s0, 18
	v_mov_b32_e32 v42, 17
.LBB34_286:                             ; =>This Inner Loop Header: Depth=1
	ds_read_b64 v[50:51], v44
	v_mov_b32_e32 v49, s0
	s_add_i32 s0, s0, 1
	v_add_u32_e32 v44, 8, v44
	s_cmp_lg_u32 s12, s0
	s_waitcnt lgkmcnt(0)
	v_cmp_lt_f64_e64 vcc, |v[40:41]|, |v[50:51]|
	v_cndmask_b32_e32 v41, v41, v51, vcc
	v_cndmask_b32_e32 v40, v40, v50, vcc
	;; [unrolled: 1-line block ×3, first 2 shown]
	s_cbranch_scc1 .LBB34_286
.LBB34_287:
	s_waitcnt lgkmcnt(0)
	v_cmp_eq_f64_e32 vcc, 0, v[40:41]
	s_and_saveexec_b64 s[0:1], vcc
	s_xor_b64 s[0:1], exec, s[0:1]
; %bb.288:
	v_cmp_ne_u32_e32 vcc, 0, v48
	v_cndmask_b32_e32 v48, 18, v48, vcc
; %bb.289:
	s_andn2_saveexec_b64 s[0:1], s[0:1]
; %bb.290:
	v_div_scale_f64 v[50:51], s[2:3], v[40:41], v[40:41], 1.0
	v_rcp_f64_e32 v[52:53], v[50:51]
	v_div_scale_f64 v[54:55], vcc, 1.0, v[40:41], 1.0
	v_fma_f64 v[56:57], -v[50:51], v[52:53], 1.0
	v_fmac_f64_e32 v[52:53], v[52:53], v[56:57]
	v_fma_f64 v[56:57], -v[50:51], v[52:53], 1.0
	v_fmac_f64_e32 v[52:53], v[52:53], v[56:57]
	v_mul_f64 v[56:57], v[54:55], v[52:53]
	v_fma_f64 v[50:51], -v[50:51], v[56:57], v[54:55]
	v_div_fmas_f64 v[50:51], v[50:51], v[52:53], v[56:57]
	v_div_fixup_f64 v[40:41], v[50:51], v[40:41], 1.0
; %bb.291:
	s_or_b64 exec, exec, s[0:1]
	v_cmp_ne_u32_e32 vcc, v45, v42
	v_mov_b32_e32 v44, 17
	s_and_saveexec_b64 s[0:1], vcc
	s_cbranch_execz .LBB34_297
; %bb.292:
	v_cmp_eq_u32_e32 vcc, 17, v45
	s_and_saveexec_b64 s[2:3], vcc
	s_cbranch_execz .LBB34_296
; %bb.293:
	v_cmp_ne_u32_e32 vcc, 17, v42
	s_xor_b64 s[6:7], s[6:7], -1
	s_and_b64 s[14:15], s[6:7], vcc
	s_and_saveexec_b64 s[6:7], s[14:15]
	s_cbranch_execz .LBB34_295
; %bb.294:
	v_ashrrev_i32_e32 v43, 31, v42
	v_lshlrev_b64 v[44:45], 2, v[42:43]
	v_add_co_u32_e32 v44, vcc, v36, v44
	v_addc_co_u32_e32 v45, vcc, v37, v45, vcc
	flat_load_dword v43, v[44:45]
	flat_load_dword v49, v[36:37] offset:68
	s_waitcnt vmcnt(0) lgkmcnt(0)
	flat_store_dword v[36:37], v43 offset:68
	flat_store_dword v[44:45], v49
.LBB34_295:
	s_or_b64 exec, exec, s[6:7]
	v_mov_b32_e32 v43, v42
	v_mov_b32_e32 v45, v42
.LBB34_296:
	s_or_b64 exec, exec, s[2:3]
	v_mov_b32_e32 v44, v45
.LBB34_297:
	s_or_b64 exec, exec, s[0:1]
	s_load_dwordx8 s[0:7], s[4:5], 0x28
	v_cmp_gt_i32_e32 vcc, 18, v44
	v_ashrrev_i32_e32 v45, 31, v44
	s_waitcnt lgkmcnt(0)
	s_barrier
	s_barrier
	s_and_saveexec_b64 s[14:15], vcc
	s_cbranch_execz .LBB34_299
; %bb.298:
	v_mul_lo_u32 v42, v3, s4
	v_mul_lo_u32 v49, v2, s5
	v_mad_u64_u32 v[36:37], s[4:5], v2, s4, 0
	s_lshl_b64 s[2:3], s[2:3], 2
	v_add3_u32 v37, v37, v49, v42
	s_add_u32 s0, s2, s0
	v_lshlrev_b64 v[36:37], 2, v[36:37]
	s_addc_u32 s1, s3, s1
	v_mov_b32_e32 v42, s1
	v_add_co_u32_e32 v49, vcc, s0, v36
	v_addc_co_u32_e32 v42, vcc, v42, v37, vcc
	v_lshlrev_b64 v[36:37], 2, v[44:45]
	v_add_co_u32_e32 v36, vcc, v49, v36
	v_addc_co_u32_e32 v37, vcc, v42, v37, vcc
	v_add3_u32 v42, v43, s13, 1
	global_store_dword v[36:37], v42, off
.LBB34_299:
	s_or_b64 exec, exec, s[14:15]
	v_cmp_eq_u32_e32 vcc, 0, v44
	s_and_saveexec_b64 s[2:3], vcc
	s_cbranch_execz .LBB34_302
; %bb.300:
	v_lshlrev_b64 v[2:3], 2, v[2:3]
	v_mov_b32_e32 v36, s7
	v_add_co_u32_e32 v2, vcc, s6, v2
	v_addc_co_u32_e32 v3, vcc, v36, v3, vcc
	global_load_dword v36, v[2:3], off
	v_cmp_lt_i32_e64 s[0:1], 0, v48
	s_waitcnt vmcnt(0)
	v_cmp_eq_u32_e32 vcc, 0, v36
	s_and_b64 s[0:1], vcc, s[0:1]
	s_and_b64 exec, exec, s[0:1]
	s_cbranch_execz .LBB34_302
; %bb.301:
	v_add_u32_e32 v36, s13, v48
	global_store_dword v[2:3], v36, off
.LBB34_302:
	s_or_b64 exec, exec, s[2:3]
	v_mul_f64 v[2:3], v[40:41], v[38:39]
	v_cmp_lt_i32_e32 vcc, 17, v44
	v_lshlrev_b64 v[36:37], 3, v[44:45]
	v_cndmask_b32_e32 v3, v39, v3, vcc
	v_cndmask_b32_e32 v2, v38, v2, vcc
	v_add_co_u32_e32 v36, vcc, v46, v36
	v_addc_co_u32_e32 v37, vcc, v47, v37, vcc
	global_store_dwordx2 v[36:37], v[18:19], off
	v_mov_b32_e32 v19, s11
	v_add_co_u32_e32 v18, vcc, s10, v36
	v_addc_co_u32_e32 v19, vcc, v37, v19, vcc
	global_store_dwordx2 v[18:19], v[12:13], off
	v_add_u32_e32 v12, s9, v44
	v_ashrrev_i32_e32 v13, 31, v12
	v_lshlrev_b64 v[18:19], 3, v[12:13]
	v_add_co_u32_e32 v18, vcc, v46, v18
	v_addc_co_u32_e32 v19, vcc, v47, v19, vcc
	global_store_dwordx2 v[18:19], v[6:7], off
	v_add_u32_e32 v6, s8, v12
	v_ashrrev_i32_e32 v7, 31, v6
	v_lshlrev_b64 v[12:13], 3, v[6:7]
	;; [unrolled: 6-line block ×3, first 2 shown]
	v_add_co_u32_e32 v6, vcc, v46, v6
	v_add_u32_e32 v0, s8, v0
	v_addc_co_u32_e32 v7, vcc, v47, v7, vcc
	v_ashrrev_i32_e32 v1, 31, v0
	global_store_dwordx2 v[6:7], v[26:27], off
	v_lshlrev_b64 v[6:7], 3, v[0:1]
	v_add_co_u32_e32 v6, vcc, v46, v6
	v_add_u32_e32 v0, s8, v0
	v_addc_co_u32_e32 v7, vcc, v47, v7, vcc
	v_ashrrev_i32_e32 v1, 31, v0
	global_store_dwordx2 v[6:7], v[20:21], off
	v_lshlrev_b64 v[6:7], 3, v[0:1]
	v_add_co_u32_e32 v6, vcc, v46, v6
	v_add_u32_e32 v0, s8, v0
	v_addc_co_u32_e32 v7, vcc, v47, v7, vcc
	v_ashrrev_i32_e32 v1, 31, v0
	global_store_dwordx2 v[6:7], v[10:11], off
	v_lshlrev_b64 v[6:7], 3, v[0:1]
	v_add_co_u32_e32 v6, vcc, v46, v6
	v_add_u32_e32 v0, s8, v0
	v_addc_co_u32_e32 v7, vcc, v47, v7, vcc
	v_ashrrev_i32_e32 v1, 31, v0
	global_store_dwordx2 v[6:7], v[4:5], off
	v_lshlrev_b64 v[4:5], 3, v[0:1]
	v_add_co_u32_e32 v4, vcc, v46, v4
	v_add_u32_e32 v0, s8, v0
	v_addc_co_u32_e32 v5, vcc, v47, v5, vcc
	v_ashrrev_i32_e32 v1, 31, v0
	global_store_dwordx2 v[4:5], v[32:33], off
	v_lshlrev_b64 v[4:5], 3, v[0:1]
	v_add_co_u32_e32 v4, vcc, v46, v4
	v_add_u32_e32 v0, s8, v0
	v_addc_co_u32_e32 v5, vcc, v47, v5, vcc
	v_ashrrev_i32_e32 v1, 31, v0
	global_store_dwordx2 v[4:5], v[24:25], off
	v_lshlrev_b64 v[4:5], 3, v[0:1]
	v_add_co_u32_e32 v4, vcc, v46, v4
	v_add_u32_e32 v0, s8, v0
	v_addc_co_u32_e32 v5, vcc, v47, v5, vcc
	v_ashrrev_i32_e32 v1, 31, v0
	global_store_dwordx2 v[4:5], v[16:17], off
	v_lshlrev_b64 v[4:5], 3, v[0:1]
	v_add_co_u32_e32 v4, vcc, v46, v4
	v_add_u32_e32 v0, s8, v0
	v_addc_co_u32_e32 v5, vcc, v47, v5, vcc
	v_ashrrev_i32_e32 v1, 31, v0
	global_store_dwordx2 v[4:5], v[8:9], off
	v_lshlrev_b64 v[4:5], 3, v[0:1]
	v_add_co_u32_e32 v4, vcc, v46, v4
	v_add_u32_e32 v0, s8, v0
	v_addc_co_u32_e32 v5, vcc, v47, v5, vcc
	v_ashrrev_i32_e32 v1, 31, v0
	global_store_dwordx2 v[4:5], v[34:35], off
	v_lshlrev_b64 v[4:5], 3, v[0:1]
	v_add_co_u32_e32 v4, vcc, v46, v4
	v_add_u32_e32 v0, s8, v0
	v_addc_co_u32_e32 v5, vcc, v47, v5, vcc
	v_ashrrev_i32_e32 v1, 31, v0
	global_store_dwordx2 v[4:5], v[30:31], off
	v_lshlrev_b64 v[4:5], 3, v[0:1]
	v_add_co_u32_e32 v4, vcc, v46, v4
	v_add_u32_e32 v0, s8, v0
	v_addc_co_u32_e32 v5, vcc, v47, v5, vcc
	v_ashrrev_i32_e32 v1, 31, v0
	global_store_dwordx2 v[4:5], v[22:23], off
	v_lshlrev_b64 v[4:5], 3, v[0:1]
	v_add_co_u32_e32 v4, vcc, v46, v4
	v_add_u32_e32 v0, s8, v0
	v_addc_co_u32_e32 v5, vcc, v47, v5, vcc
	v_ashrrev_i32_e32 v1, 31, v0
	global_store_dwordx2 v[4:5], v[14:15], off
	v_lshlrev_b64 v[4:5], 3, v[0:1]
	v_add_u32_e32 v0, s8, v0
	v_add_co_u32_e32 v4, vcc, v46, v4
	v_ashrrev_i32_e32 v1, 31, v0
	v_addc_co_u32_e32 v5, vcc, v47, v5, vcc
	v_lshlrev_b64 v[0:1], 3, v[0:1]
	v_add_co_u32_e32 v0, vcc, v46, v0
	v_addc_co_u32_e32 v1, vcc, v47, v1, vcc
	global_store_dwordx2 v[4:5], v[28:29], off
	global_store_dwordx2 v[0:1], v[2:3], off
.LBB34_303:
	s_endpgm
	.section	.rodata,"a",@progbits
	.p2align	6, 0x0
	.amdhsa_kernel _ZN9rocsolver6v33100L18getf2_small_kernelILi18EdiiPKPdEEvT1_T3_lS5_lPS5_llPT2_S5_S5_S7_l
		.amdhsa_group_segment_fixed_size 0
		.amdhsa_private_segment_fixed_size 0
		.amdhsa_kernarg_size 352
		.amdhsa_user_sgpr_count 6
		.amdhsa_user_sgpr_private_segment_buffer 1
		.amdhsa_user_sgpr_dispatch_ptr 0
		.amdhsa_user_sgpr_queue_ptr 0
		.amdhsa_user_sgpr_kernarg_segment_ptr 1
		.amdhsa_user_sgpr_dispatch_id 0
		.amdhsa_user_sgpr_flat_scratch_init 0
		.amdhsa_user_sgpr_kernarg_preload_length 0
		.amdhsa_user_sgpr_kernarg_preload_offset 0
		.amdhsa_user_sgpr_private_segment_size 0
		.amdhsa_uses_dynamic_stack 0
		.amdhsa_system_sgpr_private_segment_wavefront_offset 0
		.amdhsa_system_sgpr_workgroup_id_x 1
		.amdhsa_system_sgpr_workgroup_id_y 1
		.amdhsa_system_sgpr_workgroup_id_z 0
		.amdhsa_system_sgpr_workgroup_info 0
		.amdhsa_system_vgpr_workitem_id 1
		.amdhsa_next_free_vgpr 62
		.amdhsa_next_free_sgpr 20
		.amdhsa_accum_offset 64
		.amdhsa_reserve_vcc 1
		.amdhsa_reserve_flat_scratch 0
		.amdhsa_float_round_mode_32 0
		.amdhsa_float_round_mode_16_64 0
		.amdhsa_float_denorm_mode_32 3
		.amdhsa_float_denorm_mode_16_64 3
		.amdhsa_dx10_clamp 1
		.amdhsa_ieee_mode 1
		.amdhsa_fp16_overflow 0
		.amdhsa_tg_split 0
		.amdhsa_exception_fp_ieee_invalid_op 0
		.amdhsa_exception_fp_denorm_src 0
		.amdhsa_exception_fp_ieee_div_zero 0
		.amdhsa_exception_fp_ieee_overflow 0
		.amdhsa_exception_fp_ieee_underflow 0
		.amdhsa_exception_fp_ieee_inexact 0
		.amdhsa_exception_int_div_zero 0
	.end_amdhsa_kernel
	.section	.text._ZN9rocsolver6v33100L18getf2_small_kernelILi18EdiiPKPdEEvT1_T3_lS5_lPS5_llPT2_S5_S5_S7_l,"axG",@progbits,_ZN9rocsolver6v33100L18getf2_small_kernelILi18EdiiPKPdEEvT1_T3_lS5_lPS5_llPT2_S5_S5_S7_l,comdat
.Lfunc_end34:
	.size	_ZN9rocsolver6v33100L18getf2_small_kernelILi18EdiiPKPdEEvT1_T3_lS5_lPS5_llPT2_S5_S5_S7_l, .Lfunc_end34-_ZN9rocsolver6v33100L18getf2_small_kernelILi18EdiiPKPdEEvT1_T3_lS5_lPS5_llPT2_S5_S5_S7_l
                                        ; -- End function
	.section	.AMDGPU.csdata,"",@progbits
; Kernel info:
; codeLenInByte = 11828
; NumSgprs: 24
; NumVgprs: 62
; NumAgprs: 0
; TotalNumVgprs: 62
; ScratchSize: 0
; MemoryBound: 0
; FloatMode: 240
; IeeeMode: 1
; LDSByteSize: 0 bytes/workgroup (compile time only)
; SGPRBlocks: 2
; VGPRBlocks: 7
; NumSGPRsForWavesPerEU: 24
; NumVGPRsForWavesPerEU: 62
; AccumOffset: 64
; Occupancy: 8
; WaveLimiterHint : 1
; COMPUTE_PGM_RSRC2:SCRATCH_EN: 0
; COMPUTE_PGM_RSRC2:USER_SGPR: 6
; COMPUTE_PGM_RSRC2:TRAP_HANDLER: 0
; COMPUTE_PGM_RSRC2:TGID_X_EN: 1
; COMPUTE_PGM_RSRC2:TGID_Y_EN: 1
; COMPUTE_PGM_RSRC2:TGID_Z_EN: 0
; COMPUTE_PGM_RSRC2:TIDIG_COMP_CNT: 1
; COMPUTE_PGM_RSRC3_GFX90A:ACCUM_OFFSET: 15
; COMPUTE_PGM_RSRC3_GFX90A:TG_SPLIT: 0
	.section	.text._ZN9rocsolver6v33100L23getf2_npvt_small_kernelILi18EdiiPKPdEEvT1_T3_lS5_lPT2_S5_S5_,"axG",@progbits,_ZN9rocsolver6v33100L23getf2_npvt_small_kernelILi18EdiiPKPdEEvT1_T3_lS5_lPT2_S5_S5_,comdat
	.globl	_ZN9rocsolver6v33100L23getf2_npvt_small_kernelILi18EdiiPKPdEEvT1_T3_lS5_lPT2_S5_S5_ ; -- Begin function _ZN9rocsolver6v33100L23getf2_npvt_small_kernelILi18EdiiPKPdEEvT1_T3_lS5_lPT2_S5_S5_
	.p2align	8
	.type	_ZN9rocsolver6v33100L23getf2_npvt_small_kernelILi18EdiiPKPdEEvT1_T3_lS5_lPT2_S5_S5_,@function
_ZN9rocsolver6v33100L23getf2_npvt_small_kernelILi18EdiiPKPdEEvT1_T3_lS5_lPT2_S5_S5_: ; @_ZN9rocsolver6v33100L23getf2_npvt_small_kernelILi18EdiiPKPdEEvT1_T3_lS5_lPT2_S5_S5_
; %bb.0:
	s_load_dword s0, s[4:5], 0x44
	s_load_dwordx2 s[36:37], s[4:5], 0x30
	v_bfe_u32 v74, v0, 10, 10
	s_waitcnt lgkmcnt(0)
	s_lshr_b32 s8, s0, 16
	s_mul_i32 s7, s7, s8
	v_add_u32_e32 v2, s7, v74
	v_cmp_gt_i32_e32 vcc, s36, v2
	s_and_saveexec_b64 s[0:1], vcc
	s_cbranch_execz .LBB35_93
; %bb.1:
	s_load_dwordx4 s[12:15], s[4:5], 0x8
	s_load_dword s0, s[4:5], 0x18
	v_ashrrev_i32_e32 v3, 31, v2
	v_lshlrev_b64 v[4:5], 3, v[2:3]
	v_and_b32_e32 v110, 0x3ff, v0
	s_waitcnt lgkmcnt(0)
	v_mov_b32_e32 v1, s13
	v_add_co_u32_e32 v4, vcc, s12, v4
	v_addc_co_u32_e32 v5, vcc, v1, v5, vcc
	global_load_dwordx2 v[4:5], v[4:5], off
	s_add_i32 s9, s0, s0
	v_add_u32_e32 v0, s9, v110
	v_ashrrev_i32_e32 v1, 31, v0
	v_add_u32_e32 v6, s0, v0
	v_lshlrev_b64 v[8:9], 3, v[0:1]
	v_add_u32_e32 v0, s0, v6
	v_ashrrev_i32_e32 v1, 31, v0
	v_add_u32_e32 v10, s0, v0
	v_lshlrev_b64 v[12:13], 3, v[0:1]
	v_add_u32_e32 v0, s0, v10
	s_lshl_b64 s[6:7], s[14:15], 3
	v_ashrrev_i32_e32 v1, 31, v0
	v_add_u32_e32 v14, s0, v0
	v_mov_b32_e32 v21, s7
	v_lshlrev_b64 v[16:17], 3, v[0:1]
	v_add_u32_e32 v0, s0, v14
	v_lshlrev_b32_e32 v20, 3, v110
	v_ashrrev_i32_e32 v1, 31, v0
	v_add_u32_e32 v38, s0, v0
	v_lshlrev_b64 v[18:19], 3, v[0:1]
	v_ashrrev_i32_e32 v7, 31, v6
	v_lshlrev_b64 v[6:7], 3, v[6:7]
	v_ashrrev_i32_e32 v11, 31, v10
	;; [unrolled: 2-line block ×3, first 2 shown]
	v_lshlrev_b64 v[14:15], 3, v[14:15]
	s_ashr_i32 s1, s0, 31
	s_lshl_b64 s[2:3], s[0:1], 3
	v_mov_b32_e32 v22, s3
	v_ashrrev_i32_e32 v39, 31, v38
	v_lshlrev_b64 v[28:29], 3, v[38:39]
	v_add_u32_e32 v40, s0, v38
	v_ashrrev_i32_e32 v41, 31, v40
	v_lshlrev_b64 v[38:39], 3, v[40:41]
	v_add_u32_e32 v42, s0, v40
	;; [unrolled: 3-line block ×8, first 2 shown]
	v_ashrrev_i32_e32 v53, 31, v52
	v_lshlrev_b64 v[52:53], 3, v[52:53]
	s_mulk_i32 s8, 0x90
	s_movk_i32 s0, 0x90
	s_add_i32 s1, s8, 0
	v_mad_u32_u24 v112, v74, s0, 0
	v_lshl_add_u32 v111, v74, 3, s1
	v_cmp_eq_u32_e64 s[0:1], 0, v110
	s_waitcnt vmcnt(0)
	v_add_co_u32_e32 v54, vcc, s6, v4
	v_addc_co_u32_e32 v55, vcc, v5, v21, vcc
	v_add_co_u32_e32 v0, vcc, v54, v20
	v_addc_co_u32_e32 v1, vcc, 0, v55, vcc
	;; [unrolled: 2-line block ×18, first 2 shown]
	v_add_co_u32_e32 v52, vcc, v54, v52
	global_load_dwordx2 v[24:25], v[8:9], off
	global_load_dwordx2 v[20:21], v[10:11], off
	;; [unrolled: 1-line block ×8, first 2 shown]
	v_addc_co_u32_e32 v53, vcc, v55, v53, vcc
	global_load_dwordx2 v[70:71], v[16:17], off
	global_load_dwordx2 v[60:61], v[28:29], off
	;; [unrolled: 1-line block ×10, first 2 shown]
	v_cmp_ne_u32_e64 s[2:3], 0, v110
	s_and_saveexec_b64 s[6:7], s[0:1]
	s_cbranch_execz .LBB35_4
; %bb.2:
	s_waitcnt vmcnt(13)
	ds_write_b64 v111, v[30:31]
	s_waitcnt vmcnt(11)
	ds_write2_b64 v112, v[34:35], v[36:37] offset0:1 offset1:2
	s_waitcnt vmcnt(10)
	ds_write2_b64 v112, v[32:33], v[24:25] offset0:3 offset1:4
	ds_write2_b64 v112, v[20:21], v[22:23] offset0:5 offset1:6
	s_waitcnt vmcnt(9)
	ds_write2_b64 v112, v[18:19], v[70:71] offset0:7 offset1:8
	s_waitcnt vmcnt(7)
	ds_write2_b64 v112, v[60:61], v[68:69] offset0:9 offset1:10
	s_waitcnt vmcnt(5)
	ds_write2_b64 v112, v[58:59], v[66:67] offset0:11 offset1:12
	s_waitcnt vmcnt(3)
	ds_write2_b64 v112, v[56:57], v[64:65] offset0:13 offset1:14
	s_waitcnt vmcnt(1)
	ds_write2_b64 v112, v[54:55], v[62:63] offset0:15 offset1:16
	s_waitcnt vmcnt(0)
	ds_write_b64 v112, v[72:73] offset:136
	ds_read_b64 v[74:75], v111
	s_waitcnt lgkmcnt(0)
	v_cmp_neq_f64_e32 vcc, 0, v[74:75]
	s_and_b64 exec, exec, vcc
	s_cbranch_execz .LBB35_4
; %bb.3:
	v_div_scale_f64 v[76:77], s[8:9], v[74:75], v[74:75], 1.0
	v_rcp_f64_e32 v[78:79], v[76:77]
	v_div_scale_f64 v[80:81], vcc, 1.0, v[74:75], 1.0
	v_fma_f64 v[82:83], -v[76:77], v[78:79], 1.0
	v_fmac_f64_e32 v[78:79], v[78:79], v[82:83]
	v_fma_f64 v[82:83], -v[76:77], v[78:79], 1.0
	v_fmac_f64_e32 v[78:79], v[78:79], v[82:83]
	v_mul_f64 v[82:83], v[80:81], v[78:79]
	v_fma_f64 v[76:77], -v[76:77], v[82:83], v[80:81]
	v_div_fmas_f64 v[76:77], v[76:77], v[78:79], v[82:83]
	v_div_fixup_f64 v[74:75], v[76:77], v[74:75], 1.0
	ds_write_b64 v111, v[74:75]
.LBB35_4:
	s_or_b64 exec, exec, s[6:7]
	s_waitcnt lgkmcnt(0)
	s_barrier
	ds_read_b64 v[74:75], v111
	s_and_saveexec_b64 s[6:7], s[2:3]
	s_cbranch_execz .LBB35_6
; %bb.5:
	ds_read2_b64 v[76:79], v112 offset0:1 offset1:2
	ds_read2_b64 v[80:83], v112 offset0:3 offset1:4
	;; [unrolled: 1-line block ×3, first 2 shown]
	s_waitcnt vmcnt(13) lgkmcnt(3)
	v_mul_f64 v[30:31], v[74:75], v[30:31]
	s_waitcnt vmcnt(12) lgkmcnt(2)
	v_fma_f64 v[34:35], -v[30:31], v[76:77], v[34:35]
	s_waitcnt vmcnt(11)
	v_fma_f64 v[36:37], -v[30:31], v[78:79], v[36:37]
	ds_read2_b64 v[76:79], v112 offset0:7 offset1:8
	s_waitcnt vmcnt(10) lgkmcnt(2)
	v_fma_f64 v[32:33], -v[30:31], v[80:81], v[32:33]
	v_fma_f64 v[24:25], -v[30:31], v[82:83], v[24:25]
	s_waitcnt lgkmcnt(1)
	v_fma_f64 v[20:21], -v[30:31], v[84:85], v[20:21]
	ds_read2_b64 v[80:83], v112 offset0:9 offset1:10
	v_fma_f64 v[22:23], -v[30:31], v[86:87], v[22:23]
	ds_read2_b64 v[84:87], v112 offset0:11 offset1:12
	s_waitcnt lgkmcnt(2)
	v_fma_f64 v[18:19], -v[30:31], v[76:77], v[18:19]
	s_waitcnt vmcnt(9)
	v_fma_f64 v[70:71], -v[30:31], v[78:79], v[70:71]
	s_waitcnt vmcnt(8) lgkmcnt(1)
	v_fma_f64 v[60:61], -v[30:31], v[80:81], v[60:61]
	s_waitcnt vmcnt(7)
	v_fma_f64 v[68:69], -v[30:31], v[82:83], v[68:69]
	ds_read2_b64 v[76:79], v112 offset0:13 offset1:14
	ds_read2_b64 v[80:83], v112 offset0:15 offset1:16
	s_waitcnt vmcnt(6) lgkmcnt(2)
	v_fma_f64 v[58:59], -v[30:31], v[84:85], v[58:59]
	ds_read_b64 v[84:85], v112 offset:136
	s_waitcnt vmcnt(5)
	v_fma_f64 v[66:67], -v[30:31], v[86:87], v[66:67]
	s_waitcnt vmcnt(4) lgkmcnt(2)
	v_fma_f64 v[56:57], -v[30:31], v[76:77], v[56:57]
	s_waitcnt vmcnt(3)
	v_fma_f64 v[64:65], -v[30:31], v[78:79], v[64:65]
	s_waitcnt vmcnt(2) lgkmcnt(1)
	v_fma_f64 v[54:55], -v[30:31], v[80:81], v[54:55]
	;; [unrolled: 4-line block ×3, first 2 shown]
.LBB35_6:
	s_or_b64 exec, exec, s[6:7]
	v_cmp_eq_u32_e32 vcc, 1, v110
	s_waitcnt lgkmcnt(0)
	s_barrier
	s_and_saveexec_b64 s[2:3], vcc
	s_cbranch_execz .LBB35_9
; %bb.7:
	s_waitcnt vmcnt(11)
	v_mov_b32_e32 v76, v36
	v_mov_b32_e32 v77, v37
	s_waitcnt vmcnt(10)
	v_mov_b32_e32 v78, v32
	v_mov_b32_e32 v79, v33
	ds_write_b64 v111, v[34:35]
	ds_write2_b64 v112, v[76:77], v[78:79] offset0:2 offset1:3
	v_mov_b32_e32 v76, v24
	v_mov_b32_e32 v77, v25
	;; [unrolled: 1-line block ×4, first 2 shown]
	ds_write2_b64 v112, v[76:77], v[78:79] offset0:4 offset1:5
	v_mov_b32_e32 v76, v22
	v_mov_b32_e32 v77, v23
	;; [unrolled: 1-line block ×4, first 2 shown]
	ds_write2_b64 v112, v[76:77], v[78:79] offset0:6 offset1:7
	s_waitcnt vmcnt(9)
	v_mov_b32_e32 v76, v70
	v_mov_b32_e32 v77, v71
	s_waitcnt vmcnt(8)
	v_mov_b32_e32 v78, v60
	v_mov_b32_e32 v79, v61
	ds_write2_b64 v112, v[76:77], v[78:79] offset0:8 offset1:9
	s_waitcnt vmcnt(7)
	v_mov_b32_e32 v76, v68
	v_mov_b32_e32 v77, v69
	s_waitcnt vmcnt(6)
	v_mov_b32_e32 v78, v58
	v_mov_b32_e32 v79, v59
	ds_write2_b64 v112, v[76:77], v[78:79] offset0:10 offset1:11
	s_waitcnt vmcnt(5)
	v_mov_b32_e32 v76, v66
	v_mov_b32_e32 v77, v67
	s_waitcnt vmcnt(4)
	v_mov_b32_e32 v78, v56
	v_mov_b32_e32 v79, v57
	ds_write2_b64 v112, v[76:77], v[78:79] offset0:12 offset1:13
	s_waitcnt vmcnt(3)
	v_mov_b32_e32 v76, v64
	v_mov_b32_e32 v77, v65
	s_waitcnt vmcnt(2)
	v_mov_b32_e32 v78, v54
	v_mov_b32_e32 v79, v55
	ds_write2_b64 v112, v[76:77], v[78:79] offset0:14 offset1:15
	s_waitcnt vmcnt(1)
	v_mov_b32_e32 v76, v62
	v_mov_b32_e32 v77, v63
	s_waitcnt vmcnt(0)
	ds_write2_b64 v112, v[76:77], v[72:73] offset0:16 offset1:17
	ds_read_b64 v[76:77], v111
	s_waitcnt lgkmcnt(0)
	v_cmp_neq_f64_e32 vcc, 0, v[76:77]
	s_and_b64 exec, exec, vcc
	s_cbranch_execz .LBB35_9
; %bb.8:
	v_div_scale_f64 v[78:79], s[6:7], v[76:77], v[76:77], 1.0
	v_rcp_f64_e32 v[80:81], v[78:79]
	v_div_scale_f64 v[82:83], vcc, 1.0, v[76:77], 1.0
	v_fma_f64 v[84:85], -v[78:79], v[80:81], 1.0
	v_fmac_f64_e32 v[80:81], v[80:81], v[84:85]
	v_fma_f64 v[84:85], -v[78:79], v[80:81], 1.0
	v_fmac_f64_e32 v[80:81], v[80:81], v[84:85]
	v_mul_f64 v[84:85], v[82:83], v[80:81]
	v_fma_f64 v[78:79], -v[78:79], v[84:85], v[82:83]
	v_div_fmas_f64 v[78:79], v[78:79], v[80:81], v[84:85]
	v_div_fixup_f64 v[76:77], v[78:79], v[76:77], 1.0
	ds_write_b64 v111, v[76:77]
.LBB35_9:
	s_or_b64 exec, exec, s[2:3]
	s_waitcnt lgkmcnt(0)
	s_barrier
	ds_read_b64 v[76:77], v111
	v_cmp_lt_u32_e32 vcc, 1, v110
	s_and_saveexec_b64 s[2:3], vcc
	s_cbranch_execz .LBB35_11
; %bb.10:
	ds_read2_b64 v[78:81], v112 offset0:2 offset1:3
	ds_read2_b64 v[82:85], v112 offset0:4 offset1:5
	s_waitcnt vmcnt(12) lgkmcnt(2)
	v_mul_f64 v[34:35], v[76:77], v[34:35]
	ds_read2_b64 v[86:89], v112 offset0:6 offset1:7
	s_waitcnt vmcnt(11) lgkmcnt(2)
	v_fma_f64 v[36:37], -v[34:35], v[78:79], v[36:37]
	s_waitcnt vmcnt(10)
	v_fma_f64 v[32:33], -v[34:35], v[80:81], v[32:33]
	ds_read2_b64 v[78:81], v112 offset0:8 offset1:9
	s_waitcnt lgkmcnt(2)
	v_fma_f64 v[24:25], -v[34:35], v[82:83], v[24:25]
	v_fma_f64 v[20:21], -v[34:35], v[84:85], v[20:21]
	ds_read2_b64 v[82:85], v112 offset0:10 offset1:11
	s_waitcnt lgkmcnt(2)
	v_fma_f64 v[22:23], -v[34:35], v[86:87], v[22:23]
	v_fma_f64 v[18:19], -v[34:35], v[88:89], v[18:19]
	s_waitcnt vmcnt(9) lgkmcnt(1)
	v_fma_f64 v[70:71], -v[34:35], v[78:79], v[70:71]
	s_waitcnt vmcnt(8)
	v_fma_f64 v[60:61], -v[34:35], v[80:81], v[60:61]
	ds_read2_b64 v[78:81], v112 offset0:12 offset1:13
	s_waitcnt vmcnt(7) lgkmcnt(1)
	v_fma_f64 v[68:69], -v[34:35], v[82:83], v[68:69]
	ds_read2_b64 v[86:89], v112 offset0:14 offset1:15
	s_waitcnt vmcnt(6)
	v_fma_f64 v[58:59], -v[34:35], v[84:85], v[58:59]
	ds_read2_b64 v[82:85], v112 offset0:16 offset1:17
	s_waitcnt vmcnt(5) lgkmcnt(2)
	v_fma_f64 v[66:67], -v[34:35], v[78:79], v[66:67]
	s_waitcnt vmcnt(4)
	v_fma_f64 v[56:57], -v[34:35], v[80:81], v[56:57]
	s_waitcnt vmcnt(3) lgkmcnt(1)
	v_fma_f64 v[64:65], -v[34:35], v[86:87], v[64:65]
	s_waitcnt vmcnt(2)
	v_fma_f64 v[54:55], -v[34:35], v[88:89], v[54:55]
	;; [unrolled: 4-line block ×3, first 2 shown]
.LBB35_11:
	s_or_b64 exec, exec, s[2:3]
	v_cmp_eq_u32_e32 vcc, 2, v110
	s_waitcnt lgkmcnt(0)
	s_barrier
	s_and_saveexec_b64 s[2:3], vcc
	s_cbranch_execz .LBB35_14
; %bb.12:
	s_waitcnt vmcnt(11)
	ds_write_b64 v111, v[36:37]
	s_waitcnt vmcnt(10)
	ds_write2_b64 v112, v[32:33], v[24:25] offset0:3 offset1:4
	ds_write2_b64 v112, v[20:21], v[22:23] offset0:5 offset1:6
	s_waitcnt vmcnt(9)
	ds_write2_b64 v112, v[18:19], v[70:71] offset0:7 offset1:8
	s_waitcnt vmcnt(7)
	;; [unrolled: 2-line block ×6, first 2 shown]
	ds_write_b64 v112, v[72:73] offset:136
	ds_read_b64 v[78:79], v111
	s_waitcnt lgkmcnt(0)
	v_cmp_neq_f64_e32 vcc, 0, v[78:79]
	s_and_b64 exec, exec, vcc
	s_cbranch_execz .LBB35_14
; %bb.13:
	v_div_scale_f64 v[80:81], s[6:7], v[78:79], v[78:79], 1.0
	v_rcp_f64_e32 v[82:83], v[80:81]
	v_div_scale_f64 v[84:85], vcc, 1.0, v[78:79], 1.0
	v_fma_f64 v[86:87], -v[80:81], v[82:83], 1.0
	v_fmac_f64_e32 v[82:83], v[82:83], v[86:87]
	v_fma_f64 v[86:87], -v[80:81], v[82:83], 1.0
	v_fmac_f64_e32 v[82:83], v[82:83], v[86:87]
	v_mul_f64 v[86:87], v[84:85], v[82:83]
	v_fma_f64 v[80:81], -v[80:81], v[86:87], v[84:85]
	v_div_fmas_f64 v[80:81], v[80:81], v[82:83], v[86:87]
	v_div_fixup_f64 v[78:79], v[80:81], v[78:79], 1.0
	ds_write_b64 v111, v[78:79]
.LBB35_14:
	s_or_b64 exec, exec, s[2:3]
	s_waitcnt lgkmcnt(0)
	s_barrier
	ds_read_b64 v[78:79], v111
	v_cmp_lt_u32_e32 vcc, 2, v110
	s_and_saveexec_b64 s[2:3], vcc
	s_cbranch_execz .LBB35_16
; %bb.15:
	ds_read2_b64 v[80:83], v112 offset0:3 offset1:4
	ds_read2_b64 v[84:87], v112 offset0:5 offset1:6
	s_waitcnt vmcnt(11) lgkmcnt(2)
	v_mul_f64 v[36:37], v[78:79], v[36:37]
	ds_read2_b64 v[88:91], v112 offset0:7 offset1:8
	s_waitcnt vmcnt(10) lgkmcnt(2)
	v_fma_f64 v[32:33], -v[36:37], v[80:81], v[32:33]
	v_fma_f64 v[24:25], -v[36:37], v[82:83], v[24:25]
	ds_read2_b64 v[80:83], v112 offset0:9 offset1:10
	s_waitcnt lgkmcnt(2)
	v_fma_f64 v[20:21], -v[36:37], v[84:85], v[20:21]
	v_fma_f64 v[22:23], -v[36:37], v[86:87], v[22:23]
	ds_read2_b64 v[84:87], v112 offset0:11 offset1:12
	s_waitcnt lgkmcnt(2)
	v_fma_f64 v[18:19], -v[36:37], v[88:89], v[18:19]
	s_waitcnt vmcnt(9)
	v_fma_f64 v[70:71], -v[36:37], v[90:91], v[70:71]
	s_waitcnt vmcnt(8) lgkmcnt(1)
	v_fma_f64 v[60:61], -v[36:37], v[80:81], v[60:61]
	s_waitcnt vmcnt(7)
	v_fma_f64 v[68:69], -v[36:37], v[82:83], v[68:69]
	ds_read2_b64 v[80:83], v112 offset0:13 offset1:14
	s_waitcnt vmcnt(6) lgkmcnt(1)
	v_fma_f64 v[58:59], -v[36:37], v[84:85], v[58:59]
	ds_read2_b64 v[88:91], v112 offset0:15 offset1:16
	ds_read_b64 v[84:85], v112 offset:136
	s_waitcnt vmcnt(5)
	v_fma_f64 v[66:67], -v[36:37], v[86:87], v[66:67]
	s_waitcnt vmcnt(4) lgkmcnt(2)
	v_fma_f64 v[56:57], -v[36:37], v[80:81], v[56:57]
	s_waitcnt vmcnt(3)
	v_fma_f64 v[64:65], -v[36:37], v[82:83], v[64:65]
	s_waitcnt vmcnt(2) lgkmcnt(1)
	v_fma_f64 v[54:55], -v[36:37], v[88:89], v[54:55]
	;; [unrolled: 4-line block ×3, first 2 shown]
.LBB35_16:
	s_or_b64 exec, exec, s[2:3]
	v_cmp_eq_u32_e32 vcc, 3, v110
	s_waitcnt lgkmcnt(0)
	s_barrier
	s_and_saveexec_b64 s[2:3], vcc
	s_cbranch_execz .LBB35_19
; %bb.17:
	s_waitcnt vmcnt(17)
	v_mov_b32_e32 v80, v24
	v_mov_b32_e32 v81, v25
	s_waitcnt vmcnt(16)
	v_mov_b32_e32 v82, v20
	v_mov_b32_e32 v83, v21
	s_waitcnt vmcnt(10)
	ds_write_b64 v111, v[32:33]
	ds_write2_b64 v112, v[80:81], v[82:83] offset0:4 offset1:5
	v_mov_b32_e32 v80, v22
	v_mov_b32_e32 v81, v23
	;; [unrolled: 1-line block ×4, first 2 shown]
	ds_write2_b64 v112, v[80:81], v[82:83] offset0:6 offset1:7
	s_waitcnt vmcnt(9)
	v_mov_b32_e32 v80, v70
	v_mov_b32_e32 v81, v71
	s_waitcnt vmcnt(8)
	v_mov_b32_e32 v82, v60
	v_mov_b32_e32 v83, v61
	ds_write2_b64 v112, v[80:81], v[82:83] offset0:8 offset1:9
	s_waitcnt vmcnt(7)
	v_mov_b32_e32 v80, v68
	v_mov_b32_e32 v81, v69
	s_waitcnt vmcnt(6)
	v_mov_b32_e32 v82, v58
	v_mov_b32_e32 v83, v59
	;; [unrolled: 7-line block ×4, first 2 shown]
	ds_write2_b64 v112, v[80:81], v[82:83] offset0:14 offset1:15
	s_waitcnt vmcnt(1)
	v_mov_b32_e32 v80, v62
	v_mov_b32_e32 v81, v63
	s_waitcnt vmcnt(0)
	ds_write2_b64 v112, v[80:81], v[72:73] offset0:16 offset1:17
	ds_read_b64 v[80:81], v111
	s_waitcnt lgkmcnt(0)
	v_cmp_neq_f64_e32 vcc, 0, v[80:81]
	s_and_b64 exec, exec, vcc
	s_cbranch_execz .LBB35_19
; %bb.18:
	v_div_scale_f64 v[82:83], s[6:7], v[80:81], v[80:81], 1.0
	v_rcp_f64_e32 v[84:85], v[82:83]
	v_div_scale_f64 v[86:87], vcc, 1.0, v[80:81], 1.0
	v_fma_f64 v[88:89], -v[82:83], v[84:85], 1.0
	v_fmac_f64_e32 v[84:85], v[84:85], v[88:89]
	v_fma_f64 v[88:89], -v[82:83], v[84:85], 1.0
	v_fmac_f64_e32 v[84:85], v[84:85], v[88:89]
	v_mul_f64 v[88:89], v[86:87], v[84:85]
	v_fma_f64 v[82:83], -v[82:83], v[88:89], v[86:87]
	v_div_fmas_f64 v[82:83], v[82:83], v[84:85], v[88:89]
	v_div_fixup_f64 v[80:81], v[82:83], v[80:81], 1.0
	ds_write_b64 v111, v[80:81]
.LBB35_19:
	s_or_b64 exec, exec, s[2:3]
	s_waitcnt lgkmcnt(0)
	s_barrier
	ds_read_b64 v[80:81], v111
	v_cmp_lt_u32_e32 vcc, 3, v110
	s_and_saveexec_b64 s[2:3], vcc
	s_cbranch_execz .LBB35_21
; %bb.20:
	ds_read2_b64 v[82:85], v112 offset0:4 offset1:5
	ds_read2_b64 v[86:89], v112 offset0:6 offset1:7
	s_waitcnt vmcnt(10) lgkmcnt(2)
	v_mul_f64 v[32:33], v[80:81], v[32:33]
	ds_read2_b64 v[90:93], v112 offset0:8 offset1:9
	s_waitcnt lgkmcnt(2)
	v_fma_f64 v[24:25], -v[32:33], v[82:83], v[24:25]
	v_fma_f64 v[20:21], -v[32:33], v[84:85], v[20:21]
	ds_read2_b64 v[82:85], v112 offset0:10 offset1:11
	s_waitcnt lgkmcnt(2)
	v_fma_f64 v[22:23], -v[32:33], v[86:87], v[22:23]
	v_fma_f64 v[18:19], -v[32:33], v[88:89], v[18:19]
	s_waitcnt vmcnt(9) lgkmcnt(1)
	v_fma_f64 v[70:71], -v[32:33], v[90:91], v[70:71]
	s_waitcnt vmcnt(8)
	v_fma_f64 v[60:61], -v[32:33], v[92:93], v[60:61]
	ds_read2_b64 v[86:89], v112 offset0:12 offset1:13
	ds_read2_b64 v[90:93], v112 offset0:14 offset1:15
	s_waitcnt vmcnt(7) lgkmcnt(2)
	v_fma_f64 v[68:69], -v[32:33], v[82:83], v[68:69]
	s_waitcnt vmcnt(6)
	v_fma_f64 v[58:59], -v[32:33], v[84:85], v[58:59]
	ds_read2_b64 v[82:85], v112 offset0:16 offset1:17
	s_waitcnt vmcnt(5) lgkmcnt(2)
	v_fma_f64 v[66:67], -v[32:33], v[86:87], v[66:67]
	s_waitcnt vmcnt(4)
	v_fma_f64 v[56:57], -v[32:33], v[88:89], v[56:57]
	s_waitcnt vmcnt(3) lgkmcnt(1)
	v_fma_f64 v[64:65], -v[32:33], v[90:91], v[64:65]
	s_waitcnt vmcnt(2)
	v_fma_f64 v[54:55], -v[32:33], v[92:93], v[54:55]
	;; [unrolled: 4-line block ×3, first 2 shown]
.LBB35_21:
	s_or_b64 exec, exec, s[2:3]
	v_cmp_eq_u32_e32 vcc, 4, v110
	s_waitcnt lgkmcnt(0)
	s_barrier
	s_and_saveexec_b64 s[2:3], vcc
	s_cbranch_execz .LBB35_24
; %bb.22:
	s_waitcnt vmcnt(17)
	ds_write_b64 v111, v[24:25]
	s_waitcnt vmcnt(15)
	ds_write2_b64 v112, v[20:21], v[22:23] offset0:5 offset1:6
	s_waitcnt vmcnt(9)
	ds_write2_b64 v112, v[18:19], v[70:71] offset0:7 offset1:8
	;; [unrolled: 2-line block ×6, first 2 shown]
	s_waitcnt vmcnt(0)
	ds_write_b64 v112, v[72:73] offset:136
	ds_read_b64 v[82:83], v111
	s_waitcnt lgkmcnt(0)
	v_cmp_neq_f64_e32 vcc, 0, v[82:83]
	s_and_b64 exec, exec, vcc
	s_cbranch_execz .LBB35_24
; %bb.23:
	v_div_scale_f64 v[84:85], s[6:7], v[82:83], v[82:83], 1.0
	v_rcp_f64_e32 v[86:87], v[84:85]
	v_div_scale_f64 v[88:89], vcc, 1.0, v[82:83], 1.0
	v_fma_f64 v[90:91], -v[84:85], v[86:87], 1.0
	v_fmac_f64_e32 v[86:87], v[86:87], v[90:91]
	v_fma_f64 v[90:91], -v[84:85], v[86:87], 1.0
	v_fmac_f64_e32 v[86:87], v[86:87], v[90:91]
	v_mul_f64 v[90:91], v[88:89], v[86:87]
	v_fma_f64 v[84:85], -v[84:85], v[90:91], v[88:89]
	v_div_fmas_f64 v[84:85], v[84:85], v[86:87], v[90:91]
	v_div_fixup_f64 v[82:83], v[84:85], v[82:83], 1.0
	ds_write_b64 v111, v[82:83]
.LBB35_24:
	s_or_b64 exec, exec, s[2:3]
	s_waitcnt lgkmcnt(0)
	s_barrier
	ds_read_b64 v[82:83], v111
	v_cmp_lt_u32_e32 vcc, 4, v110
	s_and_saveexec_b64 s[2:3], vcc
	s_cbranch_execz .LBB35_26
; %bb.25:
	ds_read2_b64 v[84:87], v112 offset0:5 offset1:6
	ds_read2_b64 v[88:91], v112 offset0:7 offset1:8
	s_waitcnt vmcnt(17) lgkmcnt(2)
	v_mul_f64 v[24:25], v[82:83], v[24:25]
	ds_read2_b64 v[92:95], v112 offset0:9 offset1:10
	s_waitcnt vmcnt(16) lgkmcnt(2)
	v_fma_f64 v[20:21], -v[24:25], v[84:85], v[20:21]
	s_waitcnt vmcnt(15)
	v_fma_f64 v[22:23], -v[24:25], v[86:87], v[22:23]
	ds_read2_b64 v[84:87], v112 offset0:11 offset1:12
	s_waitcnt vmcnt(14) lgkmcnt(2)
	v_fma_f64 v[18:19], -v[24:25], v[88:89], v[18:19]
	s_waitcnt vmcnt(9)
	v_fma_f64 v[70:71], -v[24:25], v[90:91], v[70:71]
	s_waitcnt vmcnt(8) lgkmcnt(1)
	v_fma_f64 v[60:61], -v[24:25], v[92:93], v[60:61]
	s_waitcnt vmcnt(7)
	v_fma_f64 v[68:69], -v[24:25], v[94:95], v[68:69]
	ds_read2_b64 v[88:91], v112 offset0:13 offset1:14
	ds_read2_b64 v[92:95], v112 offset0:15 offset1:16
	s_waitcnt vmcnt(6) lgkmcnt(2)
	v_fma_f64 v[58:59], -v[24:25], v[84:85], v[58:59]
	ds_read_b64 v[84:85], v112 offset:136
	s_waitcnt vmcnt(5)
	v_fma_f64 v[66:67], -v[24:25], v[86:87], v[66:67]
	s_waitcnt vmcnt(4) lgkmcnt(2)
	v_fma_f64 v[56:57], -v[24:25], v[88:89], v[56:57]
	s_waitcnt vmcnt(3)
	v_fma_f64 v[64:65], -v[24:25], v[90:91], v[64:65]
	s_waitcnt vmcnt(2) lgkmcnt(1)
	v_fma_f64 v[54:55], -v[24:25], v[92:93], v[54:55]
	;; [unrolled: 4-line block ×3, first 2 shown]
.LBB35_26:
	s_or_b64 exec, exec, s[2:3]
	v_cmp_eq_u32_e32 vcc, 5, v110
	s_waitcnt lgkmcnt(0)
	s_barrier
	s_and_saveexec_b64 s[2:3], vcc
	s_cbranch_execz .LBB35_29
; %bb.27:
	s_waitcnt vmcnt(15)
	v_mov_b32_e32 v84, v22
	v_mov_b32_e32 v85, v23
	s_waitcnt vmcnt(14)
	v_mov_b32_e32 v86, v18
	v_mov_b32_e32 v87, v19
	ds_write_b64 v111, v[20:21]
	ds_write2_b64 v112, v[84:85], v[86:87] offset0:6 offset1:7
	s_waitcnt vmcnt(9)
	v_mov_b32_e32 v84, v70
	v_mov_b32_e32 v85, v71
	s_waitcnt vmcnt(8)
	v_mov_b32_e32 v86, v60
	v_mov_b32_e32 v87, v61
	ds_write2_b64 v112, v[84:85], v[86:87] offset0:8 offset1:9
	s_waitcnt vmcnt(7)
	v_mov_b32_e32 v84, v68
	v_mov_b32_e32 v85, v69
	s_waitcnt vmcnt(6)
	v_mov_b32_e32 v86, v58
	v_mov_b32_e32 v87, v59
	;; [unrolled: 7-line block ×4, first 2 shown]
	ds_write2_b64 v112, v[84:85], v[86:87] offset0:14 offset1:15
	s_waitcnt vmcnt(1)
	v_mov_b32_e32 v84, v62
	v_mov_b32_e32 v85, v63
	s_waitcnt vmcnt(0)
	ds_write2_b64 v112, v[84:85], v[72:73] offset0:16 offset1:17
	ds_read_b64 v[84:85], v111
	s_waitcnt lgkmcnt(0)
	v_cmp_neq_f64_e32 vcc, 0, v[84:85]
	s_and_b64 exec, exec, vcc
	s_cbranch_execz .LBB35_29
; %bb.28:
	v_div_scale_f64 v[86:87], s[6:7], v[84:85], v[84:85], 1.0
	v_rcp_f64_e32 v[88:89], v[86:87]
	v_div_scale_f64 v[90:91], vcc, 1.0, v[84:85], 1.0
	v_fma_f64 v[92:93], -v[86:87], v[88:89], 1.0
	v_fmac_f64_e32 v[88:89], v[88:89], v[92:93]
	v_fma_f64 v[92:93], -v[86:87], v[88:89], 1.0
	v_fmac_f64_e32 v[88:89], v[88:89], v[92:93]
	v_mul_f64 v[92:93], v[90:91], v[88:89]
	v_fma_f64 v[86:87], -v[86:87], v[92:93], v[90:91]
	v_div_fmas_f64 v[86:87], v[86:87], v[88:89], v[92:93]
	v_div_fixup_f64 v[84:85], v[86:87], v[84:85], 1.0
	ds_write_b64 v111, v[84:85]
.LBB35_29:
	s_or_b64 exec, exec, s[2:3]
	s_waitcnt lgkmcnt(0)
	s_barrier
	ds_read_b64 v[84:85], v111
	v_cmp_lt_u32_e32 vcc, 5, v110
	s_and_saveexec_b64 s[2:3], vcc
	s_cbranch_execz .LBB35_31
; %bb.30:
	ds_read2_b64 v[86:89], v112 offset0:6 offset1:7
	ds_read2_b64 v[90:93], v112 offset0:8 offset1:9
	;; [unrolled: 1-line block ×3, first 2 shown]
	s_waitcnt vmcnt(16) lgkmcnt(3)
	v_mul_f64 v[20:21], v[84:85], v[20:21]
	s_waitcnt vmcnt(15) lgkmcnt(2)
	v_fma_f64 v[22:23], -v[20:21], v[86:87], v[22:23]
	s_waitcnt vmcnt(14)
	v_fma_f64 v[18:19], -v[20:21], v[88:89], v[18:19]
	ds_read2_b64 v[86:89], v112 offset0:12 offset1:13
	s_waitcnt vmcnt(9) lgkmcnt(2)
	v_fma_f64 v[70:71], -v[20:21], v[90:91], v[70:71]
	s_waitcnt vmcnt(8)
	v_fma_f64 v[60:61], -v[20:21], v[92:93], v[60:61]
	s_waitcnt vmcnt(7) lgkmcnt(1)
	v_fma_f64 v[68:69], -v[20:21], v[94:95], v[68:69]
	ds_read2_b64 v[90:93], v112 offset0:14 offset1:15
	s_waitcnt vmcnt(6)
	v_fma_f64 v[58:59], -v[20:21], v[96:97], v[58:59]
	ds_read2_b64 v[94:97], v112 offset0:16 offset1:17
	s_waitcnt vmcnt(5) lgkmcnt(2)
	v_fma_f64 v[66:67], -v[20:21], v[86:87], v[66:67]
	s_waitcnt vmcnt(4)
	v_fma_f64 v[56:57], -v[20:21], v[88:89], v[56:57]
	s_waitcnt vmcnt(3) lgkmcnt(1)
	v_fma_f64 v[64:65], -v[20:21], v[90:91], v[64:65]
	s_waitcnt vmcnt(2)
	v_fma_f64 v[54:55], -v[20:21], v[92:93], v[54:55]
	;; [unrolled: 4-line block ×3, first 2 shown]
.LBB35_31:
	s_or_b64 exec, exec, s[2:3]
	v_cmp_eq_u32_e32 vcc, 6, v110
	s_waitcnt lgkmcnt(0)
	s_barrier
	s_and_saveexec_b64 s[2:3], vcc
	s_cbranch_execz .LBB35_34
; %bb.32:
	s_waitcnt vmcnt(15)
	ds_write_b64 v111, v[22:23]
	s_waitcnt vmcnt(9)
	ds_write2_b64 v112, v[18:19], v[70:71] offset0:7 offset1:8
	s_waitcnt vmcnt(7)
	ds_write2_b64 v112, v[60:61], v[68:69] offset0:9 offset1:10
	;; [unrolled: 2-line block ×5, first 2 shown]
	s_waitcnt vmcnt(0)
	ds_write_b64 v112, v[72:73] offset:136
	ds_read_b64 v[86:87], v111
	s_waitcnt lgkmcnt(0)
	v_cmp_neq_f64_e32 vcc, 0, v[86:87]
	s_and_b64 exec, exec, vcc
	s_cbranch_execz .LBB35_34
; %bb.33:
	v_div_scale_f64 v[88:89], s[6:7], v[86:87], v[86:87], 1.0
	v_rcp_f64_e32 v[90:91], v[88:89]
	v_div_scale_f64 v[92:93], vcc, 1.0, v[86:87], 1.0
	v_fma_f64 v[94:95], -v[88:89], v[90:91], 1.0
	v_fmac_f64_e32 v[90:91], v[90:91], v[94:95]
	v_fma_f64 v[94:95], -v[88:89], v[90:91], 1.0
	v_fmac_f64_e32 v[90:91], v[90:91], v[94:95]
	v_mul_f64 v[94:95], v[92:93], v[90:91]
	v_fma_f64 v[88:89], -v[88:89], v[94:95], v[92:93]
	v_div_fmas_f64 v[88:89], v[88:89], v[90:91], v[94:95]
	v_div_fixup_f64 v[86:87], v[88:89], v[86:87], 1.0
	ds_write_b64 v111, v[86:87]
.LBB35_34:
	s_or_b64 exec, exec, s[2:3]
	s_waitcnt lgkmcnt(0)
	s_barrier
	ds_read_b64 v[86:87], v111
	v_cmp_lt_u32_e32 vcc, 6, v110
	s_and_saveexec_b64 s[2:3], vcc
	s_cbranch_execz .LBB35_36
; %bb.35:
	ds_read2_b64 v[88:91], v112 offset0:7 offset1:8
	ds_read2_b64 v[92:95], v112 offset0:9 offset1:10
	;; [unrolled: 1-line block ×3, first 2 shown]
	s_waitcnt vmcnt(15) lgkmcnt(3)
	v_mul_f64 v[22:23], v[86:87], v[22:23]
	s_waitcnt vmcnt(14) lgkmcnt(2)
	v_fma_f64 v[18:19], -v[22:23], v[88:89], v[18:19]
	s_waitcnt vmcnt(9)
	v_fma_f64 v[70:71], -v[22:23], v[90:91], v[70:71]
	ds_read2_b64 v[88:91], v112 offset0:13 offset1:14
	s_waitcnt vmcnt(8) lgkmcnt(2)
	v_fma_f64 v[60:61], -v[22:23], v[92:93], v[60:61]
	s_waitcnt vmcnt(7)
	v_fma_f64 v[68:69], -v[22:23], v[94:95], v[68:69]
	s_waitcnt vmcnt(6) lgkmcnt(1)
	v_fma_f64 v[58:59], -v[22:23], v[96:97], v[58:59]
	ds_read2_b64 v[92:95], v112 offset0:15 offset1:16
	ds_read_b64 v[96:97], v112 offset:136
	s_waitcnt vmcnt(5)
	v_fma_f64 v[66:67], -v[22:23], v[98:99], v[66:67]
	s_waitcnt vmcnt(4) lgkmcnt(2)
	v_fma_f64 v[56:57], -v[22:23], v[88:89], v[56:57]
	s_waitcnt vmcnt(3)
	v_fma_f64 v[64:65], -v[22:23], v[90:91], v[64:65]
	s_waitcnt vmcnt(2) lgkmcnt(1)
	v_fma_f64 v[54:55], -v[22:23], v[92:93], v[54:55]
	;; [unrolled: 4-line block ×3, first 2 shown]
.LBB35_36:
	s_or_b64 exec, exec, s[2:3]
	v_cmp_eq_u32_e32 vcc, 7, v110
	s_waitcnt lgkmcnt(0)
	s_barrier
	s_and_saveexec_b64 s[2:3], vcc
	s_cbranch_execz .LBB35_39
; %bb.37:
	s_waitcnt vmcnt(9)
	v_mov_b32_e32 v88, v70
	v_mov_b32_e32 v89, v71
	s_waitcnt vmcnt(8)
	v_mov_b32_e32 v90, v60
	v_mov_b32_e32 v91, v61
	ds_write_b64 v111, v[18:19]
	ds_write2_b64 v112, v[88:89], v[90:91] offset0:8 offset1:9
	s_waitcnt vmcnt(7)
	v_mov_b32_e32 v88, v68
	v_mov_b32_e32 v89, v69
	s_waitcnt vmcnt(6)
	v_mov_b32_e32 v90, v58
	v_mov_b32_e32 v91, v59
	ds_write2_b64 v112, v[88:89], v[90:91] offset0:10 offset1:11
	s_waitcnt vmcnt(5)
	v_mov_b32_e32 v88, v66
	v_mov_b32_e32 v89, v67
	s_waitcnt vmcnt(4)
	v_mov_b32_e32 v90, v56
	v_mov_b32_e32 v91, v57
	;; [unrolled: 7-line block ×3, first 2 shown]
	ds_write2_b64 v112, v[88:89], v[90:91] offset0:14 offset1:15
	s_waitcnt vmcnt(1)
	v_mov_b32_e32 v88, v62
	v_mov_b32_e32 v89, v63
	s_waitcnt vmcnt(0)
	ds_write2_b64 v112, v[88:89], v[72:73] offset0:16 offset1:17
	ds_read_b64 v[88:89], v111
	s_waitcnt lgkmcnt(0)
	v_cmp_neq_f64_e32 vcc, 0, v[88:89]
	s_and_b64 exec, exec, vcc
	s_cbranch_execz .LBB35_39
; %bb.38:
	v_div_scale_f64 v[90:91], s[6:7], v[88:89], v[88:89], 1.0
	v_rcp_f64_e32 v[92:93], v[90:91]
	v_div_scale_f64 v[94:95], vcc, 1.0, v[88:89], 1.0
	v_fma_f64 v[96:97], -v[90:91], v[92:93], 1.0
	v_fmac_f64_e32 v[92:93], v[92:93], v[96:97]
	v_fma_f64 v[96:97], -v[90:91], v[92:93], 1.0
	v_fmac_f64_e32 v[92:93], v[92:93], v[96:97]
	v_mul_f64 v[96:97], v[94:95], v[92:93]
	v_fma_f64 v[90:91], -v[90:91], v[96:97], v[94:95]
	v_div_fmas_f64 v[90:91], v[90:91], v[92:93], v[96:97]
	v_div_fixup_f64 v[88:89], v[90:91], v[88:89], 1.0
	ds_write_b64 v111, v[88:89]
.LBB35_39:
	s_or_b64 exec, exec, s[2:3]
	s_waitcnt lgkmcnt(0)
	s_barrier
	ds_read_b64 v[88:89], v111
	v_cmp_lt_u32_e32 vcc, 7, v110
	s_and_saveexec_b64 s[2:3], vcc
	s_cbranch_execz .LBB35_41
; %bb.40:
	ds_read2_b64 v[90:93], v112 offset0:8 offset1:9
	ds_read2_b64 v[94:97], v112 offset0:10 offset1:11
	s_waitcnt vmcnt(14) lgkmcnt(2)
	v_mul_f64 v[18:19], v[88:89], v[18:19]
	ds_read2_b64 v[98:101], v112 offset0:14 offset1:15
	s_waitcnt vmcnt(9) lgkmcnt(2)
	v_fma_f64 v[70:71], -v[18:19], v[90:91], v[70:71]
	s_waitcnt vmcnt(8)
	v_fma_f64 v[60:61], -v[18:19], v[92:93], v[60:61]
	ds_read2_b64 v[90:93], v112 offset0:12 offset1:13
	s_waitcnt vmcnt(7) lgkmcnt(2)
	v_fma_f64 v[68:69], -v[18:19], v[94:95], v[68:69]
	s_waitcnt vmcnt(6)
	v_fma_f64 v[58:59], -v[18:19], v[96:97], v[58:59]
	ds_read2_b64 v[94:97], v112 offset0:16 offset1:17
	s_waitcnt vmcnt(3) lgkmcnt(2)
	v_fma_f64 v[64:65], -v[18:19], v[98:99], v[64:65]
	s_waitcnt lgkmcnt(1)
	v_fma_f64 v[66:67], -v[18:19], v[90:91], v[66:67]
	v_fma_f64 v[56:57], -v[18:19], v[92:93], v[56:57]
	s_waitcnt vmcnt(2)
	v_fma_f64 v[54:55], -v[18:19], v[100:101], v[54:55]
	s_waitcnt vmcnt(1) lgkmcnt(0)
	v_fma_f64 v[62:63], -v[18:19], v[94:95], v[62:63]
	s_waitcnt vmcnt(0)
	v_fma_f64 v[72:73], -v[18:19], v[96:97], v[72:73]
.LBB35_41:
	s_or_b64 exec, exec, s[2:3]
	v_cmp_eq_u32_e32 vcc, 8, v110
	s_waitcnt lgkmcnt(0)
	s_barrier
	s_and_saveexec_b64 s[2:3], vcc
	s_cbranch_execz .LBB35_44
; %bb.42:
	s_waitcnt vmcnt(9)
	ds_write_b64 v111, v[70:71]
	s_waitcnt vmcnt(7)
	ds_write2_b64 v112, v[60:61], v[68:69] offset0:9 offset1:10
	s_waitcnt vmcnt(5)
	ds_write2_b64 v112, v[58:59], v[66:67] offset0:11 offset1:12
	;; [unrolled: 2-line block ×4, first 2 shown]
	s_waitcnt vmcnt(0)
	ds_write_b64 v112, v[72:73] offset:136
	ds_read_b64 v[90:91], v111
	s_waitcnt lgkmcnt(0)
	v_cmp_neq_f64_e32 vcc, 0, v[90:91]
	s_and_b64 exec, exec, vcc
	s_cbranch_execz .LBB35_44
; %bb.43:
	v_div_scale_f64 v[92:93], s[6:7], v[90:91], v[90:91], 1.0
	v_rcp_f64_e32 v[94:95], v[92:93]
	v_div_scale_f64 v[96:97], vcc, 1.0, v[90:91], 1.0
	v_fma_f64 v[98:99], -v[92:93], v[94:95], 1.0
	v_fmac_f64_e32 v[94:95], v[94:95], v[98:99]
	v_fma_f64 v[98:99], -v[92:93], v[94:95], 1.0
	v_fmac_f64_e32 v[94:95], v[94:95], v[98:99]
	v_mul_f64 v[98:99], v[96:97], v[94:95]
	v_fma_f64 v[92:93], -v[92:93], v[98:99], v[96:97]
	v_div_fmas_f64 v[92:93], v[92:93], v[94:95], v[98:99]
	v_div_fixup_f64 v[90:91], v[92:93], v[90:91], 1.0
	ds_write_b64 v111, v[90:91]
.LBB35_44:
	s_or_b64 exec, exec, s[2:3]
	s_waitcnt lgkmcnt(0)
	s_barrier
	ds_read_b64 v[90:91], v111
	v_cmp_lt_u32_e32 vcc, 8, v110
	s_and_saveexec_b64 s[2:3], vcc
	s_cbranch_execz .LBB35_46
; %bb.45:
	ds_read2_b64 v[92:95], v112 offset0:9 offset1:10
	ds_read2_b64 v[96:99], v112 offset0:11 offset1:12
	s_waitcnt vmcnt(9) lgkmcnt(2)
	v_mul_f64 v[70:71], v[90:91], v[70:71]
	ds_read2_b64 v[100:103], v112 offset0:15 offset1:16
	s_waitcnt vmcnt(8) lgkmcnt(2)
	v_fma_f64 v[60:61], -v[70:71], v[92:93], v[60:61]
	s_waitcnt vmcnt(7)
	v_fma_f64 v[68:69], -v[70:71], v[94:95], v[68:69]
	ds_read2_b64 v[92:95], v112 offset0:13 offset1:14
	s_waitcnt vmcnt(6) lgkmcnt(2)
	v_fma_f64 v[58:59], -v[70:71], v[96:97], v[58:59]
	ds_read_b64 v[96:97], v112 offset:136
	s_waitcnt vmcnt(5)
	v_fma_f64 v[66:67], -v[70:71], v[98:99], v[66:67]
	s_waitcnt vmcnt(2) lgkmcnt(2)
	v_fma_f64 v[54:55], -v[70:71], v[100:101], v[54:55]
	s_waitcnt lgkmcnt(1)
	v_fma_f64 v[56:57], -v[70:71], v[92:93], v[56:57]
	v_fma_f64 v[64:65], -v[70:71], v[94:95], v[64:65]
	s_waitcnt vmcnt(1)
	v_fma_f64 v[62:63], -v[70:71], v[102:103], v[62:63]
	s_waitcnt vmcnt(0) lgkmcnt(0)
	v_fma_f64 v[72:73], -v[70:71], v[96:97], v[72:73]
.LBB35_46:
	s_or_b64 exec, exec, s[2:3]
	v_cmp_eq_u32_e32 vcc, 9, v110
	s_waitcnt lgkmcnt(0)
	s_barrier
	s_and_saveexec_b64 s[2:3], vcc
	s_cbranch_execz .LBB35_49
; %bb.47:
	s_waitcnt vmcnt(7)
	v_mov_b32_e32 v92, v68
	v_mov_b32_e32 v93, v69
	s_waitcnt vmcnt(6)
	v_mov_b32_e32 v94, v58
	v_mov_b32_e32 v95, v59
	ds_write_b64 v111, v[60:61]
	ds_write2_b64 v112, v[92:93], v[94:95] offset0:10 offset1:11
	s_waitcnt vmcnt(5)
	v_mov_b32_e32 v92, v66
	v_mov_b32_e32 v93, v67
	s_waitcnt vmcnt(4)
	v_mov_b32_e32 v94, v56
	v_mov_b32_e32 v95, v57
	ds_write2_b64 v112, v[92:93], v[94:95] offset0:12 offset1:13
	s_waitcnt vmcnt(3)
	v_mov_b32_e32 v92, v64
	v_mov_b32_e32 v93, v65
	s_waitcnt vmcnt(2)
	v_mov_b32_e32 v94, v54
	v_mov_b32_e32 v95, v55
	ds_write2_b64 v112, v[92:93], v[94:95] offset0:14 offset1:15
	s_waitcnt vmcnt(1)
	v_mov_b32_e32 v92, v62
	v_mov_b32_e32 v93, v63
	s_waitcnt vmcnt(0)
	ds_write2_b64 v112, v[92:93], v[72:73] offset0:16 offset1:17
	ds_read_b64 v[92:93], v111
	s_waitcnt lgkmcnt(0)
	v_cmp_neq_f64_e32 vcc, 0, v[92:93]
	s_and_b64 exec, exec, vcc
	s_cbranch_execz .LBB35_49
; %bb.48:
	v_div_scale_f64 v[94:95], s[6:7], v[92:93], v[92:93], 1.0
	v_rcp_f64_e32 v[96:97], v[94:95]
	v_div_scale_f64 v[98:99], vcc, 1.0, v[92:93], 1.0
	v_fma_f64 v[100:101], -v[94:95], v[96:97], 1.0
	v_fmac_f64_e32 v[96:97], v[96:97], v[100:101]
	v_fma_f64 v[100:101], -v[94:95], v[96:97], 1.0
	v_fmac_f64_e32 v[96:97], v[96:97], v[100:101]
	v_mul_f64 v[100:101], v[98:99], v[96:97]
	v_fma_f64 v[94:95], -v[94:95], v[100:101], v[98:99]
	v_div_fmas_f64 v[94:95], v[94:95], v[96:97], v[100:101]
	v_div_fixup_f64 v[92:93], v[94:95], v[92:93], 1.0
	ds_write_b64 v111, v[92:93]
.LBB35_49:
	s_or_b64 exec, exec, s[2:3]
	s_waitcnt lgkmcnt(0)
	s_barrier
	ds_read_b64 v[92:93], v111
	v_cmp_lt_u32_e32 vcc, 9, v110
	s_and_saveexec_b64 s[2:3], vcc
	s_cbranch_execz .LBB35_51
; %bb.50:
	ds_read2_b64 v[94:97], v112 offset0:10 offset1:11
	ds_read2_b64 v[98:101], v112 offset0:12 offset1:13
	s_waitcnt vmcnt(8) lgkmcnt(2)
	v_mul_f64 v[60:61], v[92:93], v[60:61]
	ds_read2_b64 v[102:105], v112 offset0:14 offset1:15
	s_waitcnt vmcnt(7) lgkmcnt(2)
	v_fma_f64 v[68:69], -v[60:61], v[94:95], v[68:69]
	s_waitcnt vmcnt(6)
	v_fma_f64 v[58:59], -v[60:61], v[96:97], v[58:59]
	ds_read2_b64 v[94:97], v112 offset0:16 offset1:17
	s_waitcnt vmcnt(5) lgkmcnt(2)
	v_fma_f64 v[66:67], -v[60:61], v[98:99], v[66:67]
	s_waitcnt vmcnt(4)
	v_fma_f64 v[56:57], -v[60:61], v[100:101], v[56:57]
	s_waitcnt vmcnt(3) lgkmcnt(1)
	v_fma_f64 v[64:65], -v[60:61], v[102:103], v[64:65]
	s_waitcnt vmcnt(2)
	v_fma_f64 v[54:55], -v[60:61], v[104:105], v[54:55]
	;; [unrolled: 4-line block ×3, first 2 shown]
.LBB35_51:
	s_or_b64 exec, exec, s[2:3]
	v_cmp_eq_u32_e32 vcc, 10, v110
	s_waitcnt lgkmcnt(0)
	s_barrier
	s_and_saveexec_b64 s[2:3], vcc
	s_cbranch_execz .LBB35_54
; %bb.52:
	s_waitcnt vmcnt(7)
	ds_write_b64 v111, v[68:69]
	s_waitcnt vmcnt(5)
	ds_write2_b64 v112, v[58:59], v[66:67] offset0:11 offset1:12
	s_waitcnt vmcnt(3)
	ds_write2_b64 v112, v[56:57], v[64:65] offset0:13 offset1:14
	;; [unrolled: 2-line block ×3, first 2 shown]
	s_waitcnt vmcnt(0)
	ds_write_b64 v112, v[72:73] offset:136
	ds_read_b64 v[94:95], v111
	s_waitcnt lgkmcnt(0)
	v_cmp_neq_f64_e32 vcc, 0, v[94:95]
	s_and_b64 exec, exec, vcc
	s_cbranch_execz .LBB35_54
; %bb.53:
	v_div_scale_f64 v[96:97], s[6:7], v[94:95], v[94:95], 1.0
	v_rcp_f64_e32 v[98:99], v[96:97]
	v_div_scale_f64 v[100:101], vcc, 1.0, v[94:95], 1.0
	v_fma_f64 v[102:103], -v[96:97], v[98:99], 1.0
	v_fmac_f64_e32 v[98:99], v[98:99], v[102:103]
	v_fma_f64 v[102:103], -v[96:97], v[98:99], 1.0
	v_fmac_f64_e32 v[98:99], v[98:99], v[102:103]
	v_mul_f64 v[102:103], v[100:101], v[98:99]
	v_fma_f64 v[96:97], -v[96:97], v[102:103], v[100:101]
	v_div_fmas_f64 v[96:97], v[96:97], v[98:99], v[102:103]
	v_div_fixup_f64 v[94:95], v[96:97], v[94:95], 1.0
	ds_write_b64 v111, v[94:95]
.LBB35_54:
	s_or_b64 exec, exec, s[2:3]
	s_waitcnt lgkmcnt(0)
	s_barrier
	ds_read_b64 v[94:95], v111
	v_cmp_lt_u32_e32 vcc, 10, v110
	s_and_saveexec_b64 s[2:3], vcc
	s_cbranch_execz .LBB35_56
; %bb.55:
	ds_read2_b64 v[96:99], v112 offset0:11 offset1:12
	ds_read2_b64 v[100:103], v112 offset0:13 offset1:14
	s_waitcnt vmcnt(7) lgkmcnt(2)
	v_mul_f64 v[68:69], v[94:95], v[68:69]
	ds_read2_b64 v[104:107], v112 offset0:15 offset1:16
	s_waitcnt vmcnt(6) lgkmcnt(2)
	v_fma_f64 v[58:59], -v[68:69], v[96:97], v[58:59]
	ds_read_b64 v[96:97], v112 offset:136
	s_waitcnt vmcnt(5)
	v_fma_f64 v[66:67], -v[68:69], v[98:99], v[66:67]
	s_waitcnt vmcnt(4) lgkmcnt(2)
	v_fma_f64 v[56:57], -v[68:69], v[100:101], v[56:57]
	s_waitcnt vmcnt(3)
	v_fma_f64 v[64:65], -v[68:69], v[102:103], v[64:65]
	s_waitcnt vmcnt(2) lgkmcnt(1)
	v_fma_f64 v[54:55], -v[68:69], v[104:105], v[54:55]
	;; [unrolled: 4-line block ×3, first 2 shown]
.LBB35_56:
	s_or_b64 exec, exec, s[2:3]
	v_cmp_eq_u32_e32 vcc, 11, v110
	s_waitcnt lgkmcnt(0)
	s_barrier
	s_and_saveexec_b64 s[2:3], vcc
	s_cbranch_execz .LBB35_59
; %bb.57:
	s_waitcnt vmcnt(5)
	v_mov_b32_e32 v96, v66
	v_mov_b32_e32 v97, v67
	s_waitcnt vmcnt(4)
	v_mov_b32_e32 v98, v56
	v_mov_b32_e32 v99, v57
	ds_write_b64 v111, v[58:59]
	ds_write2_b64 v112, v[96:97], v[98:99] offset0:12 offset1:13
	s_waitcnt vmcnt(3)
	v_mov_b32_e32 v96, v64
	v_mov_b32_e32 v97, v65
	s_waitcnt vmcnt(2)
	v_mov_b32_e32 v98, v54
	v_mov_b32_e32 v99, v55
	ds_write2_b64 v112, v[96:97], v[98:99] offset0:14 offset1:15
	s_waitcnt vmcnt(1)
	v_mov_b32_e32 v96, v62
	v_mov_b32_e32 v97, v63
	s_waitcnt vmcnt(0)
	ds_write2_b64 v112, v[96:97], v[72:73] offset0:16 offset1:17
	ds_read_b64 v[96:97], v111
	s_waitcnt lgkmcnt(0)
	v_cmp_neq_f64_e32 vcc, 0, v[96:97]
	s_and_b64 exec, exec, vcc
	s_cbranch_execz .LBB35_59
; %bb.58:
	v_div_scale_f64 v[98:99], s[6:7], v[96:97], v[96:97], 1.0
	v_rcp_f64_e32 v[100:101], v[98:99]
	v_div_scale_f64 v[102:103], vcc, 1.0, v[96:97], 1.0
	v_fma_f64 v[104:105], -v[98:99], v[100:101], 1.0
	v_fmac_f64_e32 v[100:101], v[100:101], v[104:105]
	v_fma_f64 v[104:105], -v[98:99], v[100:101], 1.0
	v_fmac_f64_e32 v[100:101], v[100:101], v[104:105]
	v_mul_f64 v[104:105], v[102:103], v[100:101]
	v_fma_f64 v[98:99], -v[98:99], v[104:105], v[102:103]
	v_div_fmas_f64 v[98:99], v[98:99], v[100:101], v[104:105]
	v_div_fixup_f64 v[96:97], v[98:99], v[96:97], 1.0
	ds_write_b64 v111, v[96:97]
.LBB35_59:
	s_or_b64 exec, exec, s[2:3]
	s_waitcnt lgkmcnt(0)
	s_barrier
	ds_read_b64 v[96:97], v111
	v_cmp_lt_u32_e32 vcc, 11, v110
	s_and_saveexec_b64 s[2:3], vcc
	s_cbranch_execz .LBB35_61
; %bb.60:
	ds_read2_b64 v[98:101], v112 offset0:12 offset1:13
	ds_read2_b64 v[102:105], v112 offset0:14 offset1:15
	;; [unrolled: 1-line block ×3, first 2 shown]
	s_waitcnt vmcnt(6) lgkmcnt(3)
	v_mul_f64 v[58:59], v[96:97], v[58:59]
	s_waitcnt vmcnt(5) lgkmcnt(2)
	v_fma_f64 v[66:67], -v[58:59], v[98:99], v[66:67]
	s_waitcnt vmcnt(4)
	v_fma_f64 v[56:57], -v[58:59], v[100:101], v[56:57]
	s_waitcnt vmcnt(3) lgkmcnt(1)
	v_fma_f64 v[64:65], -v[58:59], v[102:103], v[64:65]
	s_waitcnt vmcnt(2)
	v_fma_f64 v[54:55], -v[58:59], v[104:105], v[54:55]
	;; [unrolled: 4-line block ×3, first 2 shown]
.LBB35_61:
	s_or_b64 exec, exec, s[2:3]
	v_cmp_eq_u32_e32 vcc, 12, v110
	s_waitcnt lgkmcnt(0)
	s_barrier
	s_and_saveexec_b64 s[2:3], vcc
	s_cbranch_execz .LBB35_64
; %bb.62:
	s_waitcnt vmcnt(5)
	ds_write_b64 v111, v[66:67]
	s_waitcnt vmcnt(3)
	ds_write2_b64 v112, v[56:57], v[64:65] offset0:13 offset1:14
	s_waitcnt vmcnt(1)
	ds_write2_b64 v112, v[54:55], v[62:63] offset0:15 offset1:16
	s_waitcnt vmcnt(0)
	ds_write_b64 v112, v[72:73] offset:136
	ds_read_b64 v[98:99], v111
	s_waitcnt lgkmcnt(0)
	v_cmp_neq_f64_e32 vcc, 0, v[98:99]
	s_and_b64 exec, exec, vcc
	s_cbranch_execz .LBB35_64
; %bb.63:
	v_div_scale_f64 v[100:101], s[6:7], v[98:99], v[98:99], 1.0
	v_rcp_f64_e32 v[102:103], v[100:101]
	v_div_scale_f64 v[104:105], vcc, 1.0, v[98:99], 1.0
	v_fma_f64 v[106:107], -v[100:101], v[102:103], 1.0
	v_fmac_f64_e32 v[102:103], v[102:103], v[106:107]
	v_fma_f64 v[106:107], -v[100:101], v[102:103], 1.0
	v_fmac_f64_e32 v[102:103], v[102:103], v[106:107]
	v_mul_f64 v[106:107], v[104:105], v[102:103]
	v_fma_f64 v[100:101], -v[100:101], v[106:107], v[104:105]
	v_div_fmas_f64 v[100:101], v[100:101], v[102:103], v[106:107]
	v_div_fixup_f64 v[98:99], v[100:101], v[98:99], 1.0
	ds_write_b64 v111, v[98:99]
.LBB35_64:
	s_or_b64 exec, exec, s[2:3]
	s_waitcnt lgkmcnt(0)
	s_barrier
	ds_read_b64 v[98:99], v111
	v_cmp_lt_u32_e32 vcc, 12, v110
	s_and_saveexec_b64 s[2:3], vcc
	s_cbranch_execz .LBB35_66
; %bb.65:
	ds_read2_b64 v[100:103], v112 offset0:13 offset1:14
	ds_read2_b64 v[104:107], v112 offset0:15 offset1:16
	ds_read_b64 v[108:109], v112 offset:136
	s_waitcnt vmcnt(5) lgkmcnt(3)
	v_mul_f64 v[66:67], v[98:99], v[66:67]
	s_waitcnt vmcnt(4) lgkmcnt(2)
	v_fma_f64 v[56:57], -v[66:67], v[100:101], v[56:57]
	s_waitcnt vmcnt(3)
	v_fma_f64 v[64:65], -v[66:67], v[102:103], v[64:65]
	s_waitcnt vmcnt(2) lgkmcnt(1)
	v_fma_f64 v[54:55], -v[66:67], v[104:105], v[54:55]
	s_waitcnt vmcnt(1)
	v_fma_f64 v[62:63], -v[66:67], v[106:107], v[62:63]
	s_waitcnt vmcnt(0) lgkmcnt(0)
	v_fma_f64 v[72:73], -v[66:67], v[108:109], v[72:73]
.LBB35_66:
	s_or_b64 exec, exec, s[2:3]
	v_cmp_eq_u32_e32 vcc, 13, v110
	s_waitcnt lgkmcnt(0)
	s_barrier
	s_and_saveexec_b64 s[2:3], vcc
	s_cbranch_execz .LBB35_69
; %bb.67:
	s_waitcnt vmcnt(3)
	v_mov_b32_e32 v100, v64
	v_mov_b32_e32 v101, v65
	s_waitcnt vmcnt(2)
	v_mov_b32_e32 v102, v54
	v_mov_b32_e32 v103, v55
	ds_write_b64 v111, v[56:57]
	ds_write2_b64 v112, v[100:101], v[102:103] offset0:14 offset1:15
	s_waitcnt vmcnt(1)
	v_mov_b32_e32 v100, v62
	v_mov_b32_e32 v101, v63
	s_waitcnt vmcnt(0)
	ds_write2_b64 v112, v[100:101], v[72:73] offset0:16 offset1:17
	ds_read_b64 v[100:101], v111
	s_waitcnt lgkmcnt(0)
	v_cmp_neq_f64_e32 vcc, 0, v[100:101]
	s_and_b64 exec, exec, vcc
	s_cbranch_execz .LBB35_69
; %bb.68:
	v_div_scale_f64 v[102:103], s[6:7], v[100:101], v[100:101], 1.0
	v_rcp_f64_e32 v[104:105], v[102:103]
	v_div_scale_f64 v[106:107], vcc, 1.0, v[100:101], 1.0
	v_fma_f64 v[108:109], -v[102:103], v[104:105], 1.0
	v_fmac_f64_e32 v[104:105], v[104:105], v[108:109]
	v_fma_f64 v[108:109], -v[102:103], v[104:105], 1.0
	v_fmac_f64_e32 v[104:105], v[104:105], v[108:109]
	v_mul_f64 v[108:109], v[106:107], v[104:105]
	v_fma_f64 v[102:103], -v[102:103], v[108:109], v[106:107]
	v_div_fmas_f64 v[102:103], v[102:103], v[104:105], v[108:109]
	v_div_fixup_f64 v[100:101], v[102:103], v[100:101], 1.0
	ds_write_b64 v111, v[100:101]
.LBB35_69:
	s_or_b64 exec, exec, s[2:3]
	s_waitcnt lgkmcnt(0)
	s_barrier
	ds_read_b64 v[100:101], v111
	v_cmp_lt_u32_e32 vcc, 13, v110
	s_and_saveexec_b64 s[2:3], vcc
	s_cbranch_execz .LBB35_71
; %bb.70:
	ds_read2_b64 v[102:105], v112 offset0:14 offset1:15
	ds_read2_b64 v[106:109], v112 offset0:16 offset1:17
	s_waitcnt vmcnt(4) lgkmcnt(2)
	v_mul_f64 v[56:57], v[100:101], v[56:57]
	s_waitcnt vmcnt(3) lgkmcnt(1)
	v_fma_f64 v[64:65], -v[56:57], v[102:103], v[64:65]
	s_waitcnt vmcnt(2)
	v_fma_f64 v[54:55], -v[56:57], v[104:105], v[54:55]
	s_waitcnt vmcnt(1) lgkmcnt(0)
	v_fma_f64 v[62:63], -v[56:57], v[106:107], v[62:63]
	s_waitcnt vmcnt(0)
	v_fma_f64 v[72:73], -v[56:57], v[108:109], v[72:73]
.LBB35_71:
	s_or_b64 exec, exec, s[2:3]
	v_cmp_eq_u32_e32 vcc, 14, v110
	s_waitcnt lgkmcnt(0)
	s_barrier
	s_and_saveexec_b64 s[2:3], vcc
	s_cbranch_execz .LBB35_74
; %bb.72:
	s_waitcnt vmcnt(3)
	ds_write_b64 v111, v[64:65]
	s_waitcnt vmcnt(1)
	ds_write2_b64 v112, v[54:55], v[62:63] offset0:15 offset1:16
	s_waitcnt vmcnt(0)
	ds_write_b64 v112, v[72:73] offset:136
	ds_read_b64 v[102:103], v111
	s_waitcnt lgkmcnt(0)
	v_cmp_neq_f64_e32 vcc, 0, v[102:103]
	s_and_b64 exec, exec, vcc
	s_cbranch_execz .LBB35_74
; %bb.73:
	v_div_scale_f64 v[104:105], s[6:7], v[102:103], v[102:103], 1.0
	v_rcp_f64_e32 v[106:107], v[104:105]
	v_div_scale_f64 v[108:109], vcc, 1.0, v[102:103], 1.0
	v_fma_f64 v[114:115], -v[104:105], v[106:107], 1.0
	v_fmac_f64_e32 v[106:107], v[106:107], v[114:115]
	v_fma_f64 v[114:115], -v[104:105], v[106:107], 1.0
	v_fmac_f64_e32 v[106:107], v[106:107], v[114:115]
	v_mul_f64 v[114:115], v[108:109], v[106:107]
	v_fma_f64 v[104:105], -v[104:105], v[114:115], v[108:109]
	v_div_fmas_f64 v[104:105], v[104:105], v[106:107], v[114:115]
	v_div_fixup_f64 v[102:103], v[104:105], v[102:103], 1.0
	ds_write_b64 v111, v[102:103]
.LBB35_74:
	s_or_b64 exec, exec, s[2:3]
	s_waitcnt lgkmcnt(0)
	s_barrier
	ds_read_b64 v[102:103], v111
	v_cmp_lt_u32_e32 vcc, 14, v110
	s_and_saveexec_b64 s[2:3], vcc
	s_cbranch_execz .LBB35_76
; %bb.75:
	ds_read2_b64 v[104:107], v112 offset0:15 offset1:16
	ds_read_b64 v[108:109], v112 offset:136
	s_waitcnt vmcnt(3) lgkmcnt(2)
	v_mul_f64 v[64:65], v[102:103], v[64:65]
	s_waitcnt vmcnt(2) lgkmcnt(1)
	v_fma_f64 v[54:55], -v[64:65], v[104:105], v[54:55]
	s_waitcnt vmcnt(1)
	v_fma_f64 v[62:63], -v[64:65], v[106:107], v[62:63]
	s_waitcnt vmcnt(0) lgkmcnt(0)
	v_fma_f64 v[72:73], -v[64:65], v[108:109], v[72:73]
.LBB35_76:
	s_or_b64 exec, exec, s[2:3]
	v_cmp_eq_u32_e32 vcc, 15, v110
	s_waitcnt lgkmcnt(0)
	s_barrier
	s_and_saveexec_b64 s[2:3], vcc
	s_cbranch_execz .LBB35_79
; %bb.77:
	s_waitcnt vmcnt(1)
	v_mov_b32_e32 v104, v62
	v_mov_b32_e32 v105, v63
	ds_write_b64 v111, v[54:55]
	s_waitcnt vmcnt(0)
	ds_write2_b64 v112, v[104:105], v[72:73] offset0:16 offset1:17
	ds_read_b64 v[104:105], v111
	s_waitcnt lgkmcnt(0)
	v_cmp_neq_f64_e32 vcc, 0, v[104:105]
	s_and_b64 exec, exec, vcc
	s_cbranch_execz .LBB35_79
; %bb.78:
	v_div_scale_f64 v[106:107], s[6:7], v[104:105], v[104:105], 1.0
	v_rcp_f64_e32 v[108:109], v[106:107]
	v_div_scale_f64 v[114:115], vcc, 1.0, v[104:105], 1.0
	v_fma_f64 v[116:117], -v[106:107], v[108:109], 1.0
	v_fmac_f64_e32 v[108:109], v[108:109], v[116:117]
	v_fma_f64 v[116:117], -v[106:107], v[108:109], 1.0
	v_fmac_f64_e32 v[108:109], v[108:109], v[116:117]
	v_mul_f64 v[116:117], v[114:115], v[108:109]
	v_fma_f64 v[106:107], -v[106:107], v[116:117], v[114:115]
	v_div_fmas_f64 v[106:107], v[106:107], v[108:109], v[116:117]
	v_div_fixup_f64 v[104:105], v[106:107], v[104:105], 1.0
	ds_write_b64 v111, v[104:105]
.LBB35_79:
	s_or_b64 exec, exec, s[2:3]
	s_waitcnt lgkmcnt(0)
	s_barrier
	ds_read_b64 v[104:105], v111
	v_cmp_lt_u32_e32 vcc, 15, v110
	s_and_saveexec_b64 s[2:3], vcc
	s_cbranch_execz .LBB35_81
; %bb.80:
	ds_read2_b64 v[106:109], v112 offset0:16 offset1:17
	s_waitcnt vmcnt(2) lgkmcnt(1)
	v_mul_f64 v[54:55], v[104:105], v[54:55]
	s_waitcnt vmcnt(1) lgkmcnt(0)
	v_fma_f64 v[62:63], -v[54:55], v[106:107], v[62:63]
	s_waitcnt vmcnt(0)
	v_fma_f64 v[72:73], -v[54:55], v[108:109], v[72:73]
.LBB35_81:
	s_or_b64 exec, exec, s[2:3]
	v_cmp_eq_u32_e32 vcc, 16, v110
	s_waitcnt lgkmcnt(0)
	s_barrier
	s_and_saveexec_b64 s[2:3], vcc
	s_cbranch_execz .LBB35_84
; %bb.82:
	s_waitcnt vmcnt(1)
	ds_write_b64 v111, v[62:63]
	s_waitcnt vmcnt(0)
	ds_write_b64 v112, v[72:73] offset:136
	ds_read_b64 v[106:107], v111
	s_waitcnt lgkmcnt(0)
	v_cmp_neq_f64_e32 vcc, 0, v[106:107]
	s_and_b64 exec, exec, vcc
	s_cbranch_execz .LBB35_84
; %bb.83:
	v_div_scale_f64 v[108:109], s[6:7], v[106:107], v[106:107], 1.0
	v_rcp_f64_e32 v[114:115], v[108:109]
	v_div_scale_f64 v[116:117], vcc, 1.0, v[106:107], 1.0
	v_fma_f64 v[118:119], -v[108:109], v[114:115], 1.0
	v_fmac_f64_e32 v[114:115], v[114:115], v[118:119]
	v_fma_f64 v[118:119], -v[108:109], v[114:115], 1.0
	v_fmac_f64_e32 v[114:115], v[114:115], v[118:119]
	v_mul_f64 v[118:119], v[116:117], v[114:115]
	v_fma_f64 v[108:109], -v[108:109], v[118:119], v[116:117]
	v_div_fmas_f64 v[108:109], v[108:109], v[114:115], v[118:119]
	v_div_fixup_f64 v[106:107], v[108:109], v[106:107], 1.0
	ds_write_b64 v111, v[106:107]
.LBB35_84:
	s_or_b64 exec, exec, s[2:3]
	s_waitcnt lgkmcnt(0)
	s_barrier
	ds_read_b64 v[108:109], v111
	v_cmp_lt_u32_e32 vcc, 16, v110
	s_and_saveexec_b64 s[2:3], vcc
	s_cbranch_execz .LBB35_86
; %bb.85:
	ds_read_b64 v[106:107], v112 offset:136
	s_waitcnt vmcnt(1) lgkmcnt(1)
	v_mul_f64 v[62:63], v[108:109], v[62:63]
	s_waitcnt vmcnt(0) lgkmcnt(0)
	v_fma_f64 v[72:73], -v[62:63], v[106:107], v[72:73]
.LBB35_86:
	s_or_b64 exec, exec, s[2:3]
	v_cmp_eq_u32_e32 vcc, 17, v110
	s_waitcnt lgkmcnt(0)
	s_barrier
	s_and_saveexec_b64 s[2:3], vcc
	s_cbranch_execz .LBB35_89
; %bb.87:
	s_waitcnt vmcnt(0)
	v_cmp_neq_f64_e32 vcc, 0, v[72:73]
	ds_write_b64 v111, v[72:73]
	s_and_b64 exec, exec, vcc
	s_cbranch_execz .LBB35_89
; %bb.88:
	v_div_scale_f64 v[106:107], s[6:7], v[72:73], v[72:73], 1.0
	v_rcp_f64_e32 v[112:113], v[106:107]
	v_div_scale_f64 v[114:115], vcc, 1.0, v[72:73], 1.0
	v_fma_f64 v[116:117], -v[106:107], v[112:113], 1.0
	v_fmac_f64_e32 v[112:113], v[112:113], v[116:117]
	v_fma_f64 v[116:117], -v[106:107], v[112:113], 1.0
	v_fmac_f64_e32 v[112:113], v[112:113], v[116:117]
	v_mul_f64 v[116:117], v[114:115], v[112:113]
	v_fma_f64 v[106:107], -v[106:107], v[116:117], v[114:115]
	v_div_fmas_f64 v[106:107], v[106:107], v[112:113], v[116:117]
	v_div_fixup_f64 v[106:107], v[106:107], v[72:73], 1.0
	ds_write_b64 v111, v[106:107]
.LBB35_89:
	s_or_b64 exec, exec, s[2:3]
	s_waitcnt lgkmcnt(0)
	s_barrier
	ds_read_b64 v[106:107], v111
	s_waitcnt lgkmcnt(0)
	s_barrier
	s_and_saveexec_b64 s[38:39], s[0:1]
	s_cbranch_execz .LBB35_92
; %bb.90:
	s_load_dwordx2 s[0:1], s[4:5], 0x28
	v_lshlrev_b64 v[2:3], 2, v[2:3]
	v_cmp_eq_f64_e64 s[2:3], 0, v[78:79]
	v_cmp_eq_f64_e64 s[4:5], 0, v[80:81]
	;; [unrolled: 1-line block ×3, first 2 shown]
	s_waitcnt lgkmcnt(0)
	v_mov_b32_e32 v111, s1
	v_add_co_u32_e32 v2, vcc, s0, v2
	v_addc_co_u32_e32 v3, vcc, v111, v3, vcc
	global_load_dword v111, v[2:3], off
	v_cmp_eq_f64_e32 vcc, 0, v[74:75]
	v_cmp_neq_f64_e64 s[0:1], 0, v[76:77]
	v_cndmask_b32_e64 v74, 0, 1, vcc
	s_or_b64 vcc, s[0:1], vcc
	v_cndmask_b32_e32 v74, 2, v74, vcc
	v_cmp_eq_u32_e32 vcc, 0, v74
	s_and_b64 s[0:1], s[2:3], vcc
	v_cndmask_b32_e64 v74, v74, 3, s[0:1]
	v_cmp_eq_u32_e32 vcc, 0, v74
	s_and_b64 s[0:1], s[4:5], vcc
	v_cndmask_b32_e64 v74, v74, 4, s[0:1]
	;; [unrolled: 3-line block ×3, first 2 shown]
	v_cmp_eq_f64_e64 s[8:9], 0, v[84:85]
	v_cmp_eq_u32_e32 vcc, 0, v74
	s_and_b64 s[0:1], s[8:9], vcc
	v_cndmask_b32_e64 v74, v74, 6, s[0:1]
	v_cmp_eq_f64_e64 s[10:11], 0, v[86:87]
	v_cmp_eq_u32_e32 vcc, 0, v74
	s_and_b64 s[0:1], s[10:11], vcc
	v_cndmask_b32_e64 v74, v74, 7, s[0:1]
	;; [unrolled: 4-line block ×13, first 2 shown]
	v_cmp_ne_u32_e64 s[0:1], 0, v74
	s_waitcnt vmcnt(0)
	v_cmp_eq_u32_e32 vcc, 0, v111
	s_and_b64 s[0:1], vcc, s[0:1]
	s_and_b64 exec, exec, s[0:1]
	s_cbranch_execz .LBB35_92
; %bb.91:
	v_add_u32_e32 v74, s37, v74
	global_store_dword v[2:3], v74, off
.LBB35_92:
	s_or_b64 exec, exec, s[38:39]
	s_waitcnt vmcnt(0)
	v_mul_f64 v[2:3], v[106:107], v[72:73]
	v_cmp_lt_u32_e32 vcc, 17, v110
	v_cndmask_b32_e32 v3, v73, v3, vcc
	v_cndmask_b32_e32 v2, v72, v2, vcc
	global_store_dwordx2 v[0:1], v[30:31], off
	global_store_dwordx2 v[26:27], v[34:35], off
	;; [unrolled: 1-line block ×18, first 2 shown]
.LBB35_93:
	s_endpgm
	.section	.rodata,"a",@progbits
	.p2align	6, 0x0
	.amdhsa_kernel _ZN9rocsolver6v33100L23getf2_npvt_small_kernelILi18EdiiPKPdEEvT1_T3_lS5_lPT2_S5_S5_
		.amdhsa_group_segment_fixed_size 0
		.amdhsa_private_segment_fixed_size 0
		.amdhsa_kernarg_size 312
		.amdhsa_user_sgpr_count 6
		.amdhsa_user_sgpr_private_segment_buffer 1
		.amdhsa_user_sgpr_dispatch_ptr 0
		.amdhsa_user_sgpr_queue_ptr 0
		.amdhsa_user_sgpr_kernarg_segment_ptr 1
		.amdhsa_user_sgpr_dispatch_id 0
		.amdhsa_user_sgpr_flat_scratch_init 0
		.amdhsa_user_sgpr_kernarg_preload_length 0
		.amdhsa_user_sgpr_kernarg_preload_offset 0
		.amdhsa_user_sgpr_private_segment_size 0
		.amdhsa_uses_dynamic_stack 0
		.amdhsa_system_sgpr_private_segment_wavefront_offset 0
		.amdhsa_system_sgpr_workgroup_id_x 1
		.amdhsa_system_sgpr_workgroup_id_y 1
		.amdhsa_system_sgpr_workgroup_id_z 0
		.amdhsa_system_sgpr_workgroup_info 0
		.amdhsa_system_vgpr_workitem_id 1
		.amdhsa_next_free_vgpr 120
		.amdhsa_next_free_sgpr 40
		.amdhsa_accum_offset 120
		.amdhsa_reserve_vcc 1
		.amdhsa_reserve_flat_scratch 0
		.amdhsa_float_round_mode_32 0
		.amdhsa_float_round_mode_16_64 0
		.amdhsa_float_denorm_mode_32 3
		.amdhsa_float_denorm_mode_16_64 3
		.amdhsa_dx10_clamp 1
		.amdhsa_ieee_mode 1
		.amdhsa_fp16_overflow 0
		.amdhsa_tg_split 0
		.amdhsa_exception_fp_ieee_invalid_op 0
		.amdhsa_exception_fp_denorm_src 0
		.amdhsa_exception_fp_ieee_div_zero 0
		.amdhsa_exception_fp_ieee_overflow 0
		.amdhsa_exception_fp_ieee_underflow 0
		.amdhsa_exception_fp_ieee_inexact 0
		.amdhsa_exception_int_div_zero 0
	.end_amdhsa_kernel
	.section	.text._ZN9rocsolver6v33100L23getf2_npvt_small_kernelILi18EdiiPKPdEEvT1_T3_lS5_lPT2_S5_S5_,"axG",@progbits,_ZN9rocsolver6v33100L23getf2_npvt_small_kernelILi18EdiiPKPdEEvT1_T3_lS5_lPT2_S5_S5_,comdat
.Lfunc_end35:
	.size	_ZN9rocsolver6v33100L23getf2_npvt_small_kernelILi18EdiiPKPdEEvT1_T3_lS5_lPT2_S5_S5_, .Lfunc_end35-_ZN9rocsolver6v33100L23getf2_npvt_small_kernelILi18EdiiPKPdEEvT1_T3_lS5_lPT2_S5_S5_
                                        ; -- End function
	.section	.AMDGPU.csdata,"",@progbits
; Kernel info:
; codeLenInByte = 8764
; NumSgprs: 44
; NumVgprs: 120
; NumAgprs: 0
; TotalNumVgprs: 120
; ScratchSize: 0
; MemoryBound: 0
; FloatMode: 240
; IeeeMode: 1
; LDSByteSize: 0 bytes/workgroup (compile time only)
; SGPRBlocks: 5
; VGPRBlocks: 14
; NumSGPRsForWavesPerEU: 44
; NumVGPRsForWavesPerEU: 120
; AccumOffset: 120
; Occupancy: 4
; WaveLimiterHint : 1
; COMPUTE_PGM_RSRC2:SCRATCH_EN: 0
; COMPUTE_PGM_RSRC2:USER_SGPR: 6
; COMPUTE_PGM_RSRC2:TRAP_HANDLER: 0
; COMPUTE_PGM_RSRC2:TGID_X_EN: 1
; COMPUTE_PGM_RSRC2:TGID_Y_EN: 1
; COMPUTE_PGM_RSRC2:TGID_Z_EN: 0
; COMPUTE_PGM_RSRC2:TIDIG_COMP_CNT: 1
; COMPUTE_PGM_RSRC3_GFX90A:ACCUM_OFFSET: 29
; COMPUTE_PGM_RSRC3_GFX90A:TG_SPLIT: 0
	.section	.text._ZN9rocsolver6v33100L18getf2_small_kernelILi19EdiiPKPdEEvT1_T3_lS5_lPS5_llPT2_S5_S5_S7_l,"axG",@progbits,_ZN9rocsolver6v33100L18getf2_small_kernelILi19EdiiPKPdEEvT1_T3_lS5_lPS5_llPT2_S5_S5_S7_l,comdat
	.globl	_ZN9rocsolver6v33100L18getf2_small_kernelILi19EdiiPKPdEEvT1_T3_lS5_lPS5_llPT2_S5_S5_S7_l ; -- Begin function _ZN9rocsolver6v33100L18getf2_small_kernelILi19EdiiPKPdEEvT1_T3_lS5_lPS5_llPT2_S5_S5_S7_l
	.p2align	8
	.type	_ZN9rocsolver6v33100L18getf2_small_kernelILi19EdiiPKPdEEvT1_T3_lS5_lPS5_llPT2_S5_S5_S7_l,@function
_ZN9rocsolver6v33100L18getf2_small_kernelILi19EdiiPKPdEEvT1_T3_lS5_lPS5_llPT2_S5_S5_S7_l: ; @_ZN9rocsolver6v33100L18getf2_small_kernelILi19EdiiPKPdEEvT1_T3_lS5_lPS5_llPT2_S5_S5_S7_l
; %bb.0:
	s_load_dword s0, s[4:5], 0x6c
	s_load_dwordx2 s[12:13], s[4:5], 0x48
	v_bfe_u32 v42, v0, 10, 10
	s_waitcnt lgkmcnt(0)
	s_lshr_b32 s0, s0, 16
	s_mul_i32 s7, s7, s0
	v_add_u32_e32 v2, s7, v42
	v_cmp_gt_i32_e32 vcc, s12, v2
	s_and_saveexec_b64 s[0:1], vcc
	s_cbranch_execz .LBB36_320
; %bb.1:
	s_load_dwordx4 s[0:3], s[4:5], 0x8
	s_load_dwordx4 s[8:11], s[4:5], 0x50
	v_ashrrev_i32_e32 v3, 31, v2
	v_lshlrev_b64 v[4:5], 3, v[2:3]
	v_pk_mov_b32 v[38:39], 0, 0
	s_waitcnt lgkmcnt(0)
	v_mov_b32_e32 v1, s1
	v_add_co_u32_e32 v4, vcc, s0, v4
	v_addc_co_u32_e32 v5, vcc, v1, v5, vcc
	global_load_dwordx2 v[4:5], v[4:5], off
	s_cmp_eq_u64 s[8:9], 0
	s_cselect_b64 s[6:7], -1, 0
	s_and_b64 vcc, exec, s[6:7]
	s_cbranch_vccnz .LBB36_3
; %bb.2:
	v_mul_lo_u32 v1, v3, s10
	v_mul_lo_u32 v8, v2, s11
	v_mad_u64_u32 v[6:7], s[0:1], v2, s10, 0
	v_add3_u32 v7, v7, v8, v1
	v_lshlrev_b64 v[6:7], 2, v[6:7]
	v_mov_b32_e32 v1, s9
	v_add_co_u32_e32 v38, vcc, s8, v6
	v_addc_co_u32_e32 v39, vcc, v1, v7, vcc
.LBB36_3:
	s_load_dword s8, s[4:5], 0x18
	s_load_dword s12, s[4:5], 0x0
	s_lshl_b64 s[0:1], s[2:3], 3
	v_mov_b32_e32 v1, s1
	s_waitcnt vmcnt(0)
	v_add_co_u32_e32 v48, vcc, s0, v4
	v_and_b32_e32 v50, 0x3ff, v0
	v_addc_co_u32_e32 v49, vcc, v5, v1, vcc
	v_lshlrev_b32_e32 v43, 3, v50
	v_add_co_u32_e32 v4, vcc, v48, v43
	s_waitcnt lgkmcnt(0)
	s_ashr_i32 s9, s8, 31
	v_addc_co_u32_e32 v5, vcc, 0, v49, vcc
	s_lshl_b64 s[10:11], s[8:9], 3
	v_mov_b32_e32 v0, s11
	v_add_co_u32_e32 v8, vcc, s10, v4
	s_add_i32 s9, s8, s8
	v_addc_co_u32_e32 v9, vcc, v5, v0, vcc
	v_add_u32_e32 v0, s9, v50
	v_ashrrev_i32_e32 v1, 31, v0
	v_lshlrev_b64 v[6:7], 3, v[0:1]
	v_add_u32_e32 v14, s8, v0
	v_add_co_u32_e32 v10, vcc, v48, v6
	v_ashrrev_i32_e32 v15, 31, v14
	v_addc_co_u32_e32 v11, vcc, v49, v7, vcc
	v_lshlrev_b64 v[0:1], 3, v[14:15]
	v_add_co_u32_e32 v16, vcc, v48, v0
	v_addc_co_u32_e32 v17, vcc, v49, v1, vcc
	global_load_dwordx2 v[18:19], v[4:5], off
	global_load_dwordx2 v[12:13], v[8:9], off
	global_load_dwordx2 v[6:7], v[10:11], off
	global_load_dwordx2 v[0:1], v[16:17], off
	v_add_u32_e32 v4, s8, v14
	v_ashrrev_i32_e32 v5, 31, v4
	v_lshlrev_b64 v[8:9], 3, v[4:5]
	v_add_u32_e32 v4, s8, v4
	v_add_co_u32_e32 v8, vcc, v48, v8
	v_ashrrev_i32_e32 v5, 31, v4
	v_addc_co_u32_e32 v9, vcc, v49, v9, vcc
	v_lshlrev_b64 v[10:11], 3, v[4:5]
	v_add_u32_e32 v4, s8, v4
	v_add_co_u32_e32 v14, vcc, v48, v10
	v_ashrrev_i32_e32 v5, 31, v4
	v_addc_co_u32_e32 v15, vcc, v49, v11, vcc
	v_lshlrev_b64 v[10:11], 3, v[4:5]
	v_add_u32_e32 v22, s8, v4
	v_add_co_u32_e32 v16, vcc, v48, v10
	v_ashrrev_i32_e32 v23, 31, v22
	v_addc_co_u32_e32 v17, vcc, v49, v11, vcc
	v_lshlrev_b64 v[4:5], 3, v[22:23]
	v_add_co_u32_e32 v24, vcc, v48, v4
	v_addc_co_u32_e32 v25, vcc, v49, v5, vcc
	global_load_dwordx2 v[26:27], v[8:9], off
	global_load_dwordx2 v[20:21], v[14:15], off
	global_load_dwordx2 v[10:11], v[16:17], off
	global_load_dwordx2 v[4:5], v[24:25], off
	v_add_u32_e32 v8, s8, v22
	v_ashrrev_i32_e32 v9, 31, v8
	v_lshlrev_b64 v[14:15], 3, v[8:9]
	v_add_u32_e32 v8, s8, v8
	v_add_co_u32_e32 v14, vcc, v48, v14
	v_ashrrev_i32_e32 v9, 31, v8
	v_addc_co_u32_e32 v15, vcc, v49, v15, vcc
	v_lshlrev_b64 v[16:17], 3, v[8:9]
	v_add_u32_e32 v8, s8, v8
	v_add_co_u32_e32 v22, vcc, v48, v16
	v_ashrrev_i32_e32 v9, 31, v8
	v_addc_co_u32_e32 v23, vcc, v49, v17, vcc
	;; [unrolled: 24-line block ×4, first 2 shown]
	v_lshlrev_b64 v[28:29], 3, v[28:29]
	v_add_co_u32_e32 v52, vcc, v48, v28
	v_addc_co_u32_e32 v53, vcc, v49, v29, vcc
	global_load_dwordx2 v[34:35], v[44:45], off
	global_load_dwordx2 v[28:29], v[46:47], off
	global_load_dwordx2 v[40:41], v[52:53], off
	s_max_i32 s0, s12, 19
	v_mul_lo_u32 v45, s0, v42
	v_lshl_add_u32 v46, v45, 3, 0
	v_add_u32_e32 v42, v46, v43
	s_waitcnt vmcnt(18)
	ds_write_b64 v42, v[18:19]
	s_waitcnt lgkmcnt(0)
	s_barrier
	ds_read_b64 v[42:43], v46
	v_mov_b32_e32 v44, 0
	s_cmp_lt_i32 s12, 2
	v_lshlrev_b32_e32 v51, 3, v45
	s_cbranch_scc1 .LBB36_6
; %bb.4:
	v_add3_u32 v45, v51, 0, 8
	s_mov_b32 s0, 1
	v_mov_b32_e32 v44, 0
.LBB36_5:                               ; =>This Inner Loop Header: Depth=1
	ds_read_b64 v[52:53], v45
	v_mov_b32_e32 v47, s0
	s_add_i32 s0, s0, 1
	v_add_u32_e32 v45, 8, v45
	s_cmp_eq_u32 s12, s0
	s_waitcnt lgkmcnt(0)
	v_cmp_lt_f64_e64 vcc, |v[42:43]|, |v[52:53]|
	v_cndmask_b32_e32 v43, v43, v53, vcc
	v_cndmask_b32_e32 v42, v42, v52, vcc
	v_cndmask_b32_e32 v44, v44, v47, vcc
	s_cbranch_scc0 .LBB36_5
.LBB36_6:
	v_cmp_ne_u32_e32 vcc, v50, v44
                                        ; implicit-def: $vgpr47
	s_and_saveexec_b64 s[0:1], vcc
	s_xor_b64 s[0:1], exec, s[0:1]
	s_cbranch_execz .LBB36_12
; %bb.7:
	v_cmp_eq_u32_e32 vcc, 0, v50
	s_and_saveexec_b64 s[2:3], vcc
	s_cbranch_execz .LBB36_11
; %bb.8:
	v_cmp_ne_u32_e32 vcc, 0, v44
	s_xor_b64 s[14:15], s[6:7], -1
	s_and_b64 s[16:17], s[14:15], vcc
	s_and_saveexec_b64 s[14:15], s[16:17]
	s_cbranch_execz .LBB36_10
; %bb.9:
	v_ashrrev_i32_e32 v45, 31, v44
	v_lshlrev_b64 v[52:53], 2, v[44:45]
	v_add_co_u32_e32 v52, vcc, v38, v52
	v_addc_co_u32_e32 v53, vcc, v39, v53, vcc
	flat_load_dword v45, v[52:53]
	flat_load_dword v47, v[38:39]
	s_waitcnt vmcnt(0) lgkmcnt(0)
	flat_store_dword v[38:39], v45
	flat_store_dword v[52:53], v47
.LBB36_10:
	s_or_b64 exec, exec, s[14:15]
	v_mov_b32_e32 v50, v44
.LBB36_11:
	s_or_b64 exec, exec, s[2:3]
	v_mov_b32_e32 v47, v50
                                        ; implicit-def: $vgpr50
.LBB36_12:
	s_or_saveexec_b64 s[0:1], s[0:1]
	v_mov_b32_e32 v45, v47
	s_xor_b64 exec, exec, s[0:1]
	s_cbranch_execz .LBB36_14
; %bb.13:
	v_mov_b32_e32 v47, 0
	v_mov_b32_e32 v45, v50
	s_waitcnt vmcnt(0)
	ds_write2_b64 v46, v[12:13], v[6:7] offset0:1 offset1:2
	ds_write2_b64 v46, v[0:1], v[26:27] offset0:3 offset1:4
	;; [unrolled: 1-line block ×9, first 2 shown]
.LBB36_14:
	s_or_b64 exec, exec, s[0:1]
	s_waitcnt lgkmcnt(0)
	v_cmp_eq_f64_e64 s[0:1], 0, v[42:43]
	v_cmp_lt_i32_e32 vcc, 0, v47
	s_barrier
	s_and_saveexec_b64 s[2:3], vcc
	s_cbranch_execz .LBB36_16
; %bb.15:
	v_div_scale_f64 v[52:53], s[14:15], v[42:43], v[42:43], 1.0
	v_rcp_f64_e32 v[54:55], v[52:53]
	v_div_scale_f64 v[56:57], vcc, 1.0, v[42:43], 1.0
	ds_read2_b64 v[60:63], v46 offset0:5 offset1:6
	v_fma_f64 v[58:59], -v[52:53], v[54:55], 1.0
	v_fmac_f64_e32 v[54:55], v[54:55], v[58:59]
	v_fma_f64 v[58:59], -v[52:53], v[54:55], 1.0
	v_fmac_f64_e32 v[54:55], v[54:55], v[58:59]
	v_mul_f64 v[58:59], v[56:57], v[54:55]
	v_fma_f64 v[52:53], -v[52:53], v[58:59], v[56:57]
	v_div_fmas_f64 v[52:53], v[52:53], v[54:55], v[58:59]
	v_div_fixup_f64 v[56:57], v[52:53], v[42:43], 1.0
	ds_read2_b64 v[52:55], v46 offset0:1 offset1:2
	v_cndmask_b32_e64 v43, v57, v43, s[0:1]
	v_cndmask_b32_e64 v42, v56, v42, s[0:1]
	ds_read2_b64 v[56:59], v46 offset0:3 offset1:4
	v_mul_f64 v[18:19], v[42:43], v[18:19]
	s_waitcnt vmcnt(0) lgkmcnt(0)
	v_fma_f64 v[12:13], -v[18:19], v[52:53], v[12:13]
	v_fma_f64 v[6:7], -v[18:19], v[54:55], v[6:7]
	ds_read2_b64 v[52:55], v46 offset0:7 offset1:8
	v_fma_f64 v[0:1], -v[18:19], v[56:57], v[0:1]
	v_fma_f64 v[26:27], -v[18:19], v[58:59], v[26:27]
	;; [unrolled: 1-line block ×3, first 2 shown]
	ds_read2_b64 v[56:59], v46 offset0:9 offset1:10
	v_fma_f64 v[10:11], -v[18:19], v[62:63], v[10:11]
	ds_read2_b64 v[60:63], v46 offset0:11 offset1:12
	s_waitcnt lgkmcnt(2)
	v_fma_f64 v[4:5], -v[18:19], v[52:53], v[4:5]
	v_fma_f64 v[32:33], -v[18:19], v[54:55], v[32:33]
	s_waitcnt lgkmcnt(1)
	v_fma_f64 v[24:25], -v[18:19], v[56:57], v[24:25]
	v_fma_f64 v[16:17], -v[18:19], v[58:59], v[16:17]
	ds_read2_b64 v[52:55], v46 offset0:13 offset1:14
	ds_read2_b64 v[56:59], v46 offset0:15 offset1:16
	s_waitcnt lgkmcnt(2)
	v_fma_f64 v[8:9], -v[18:19], v[60:61], v[8:9]
	v_fma_f64 v[36:37], -v[18:19], v[62:63], v[36:37]
	ds_read2_b64 v[60:63], v46 offset0:17 offset1:18
	s_waitcnt lgkmcnt(2)
	v_fma_f64 v[30:31], -v[18:19], v[52:53], v[30:31]
	v_fma_f64 v[22:23], -v[18:19], v[54:55], v[22:23]
	s_waitcnt lgkmcnt(1)
	v_fma_f64 v[14:15], -v[18:19], v[56:57], v[14:15]
	v_fma_f64 v[34:35], -v[18:19], v[58:59], v[34:35]
	;; [unrolled: 3-line block ×3, first 2 shown]
.LBB36_16:
	s_or_b64 exec, exec, s[2:3]
	v_lshl_add_u32 v42, v47, 3, v46
	s_barrier
	s_waitcnt vmcnt(0)
	ds_write_b64 v42, v[12:13]
	s_waitcnt lgkmcnt(0)
	s_barrier
	ds_read_b64 v[42:43], v46 offset:8
	s_cmp_lt_i32 s12, 3
	v_mov_b32_e32 v44, 1
	s_cbranch_scc1 .LBB36_19
; %bb.17:
	v_add3_u32 v50, v51, 0, 16
	s_mov_b32 s2, 2
	v_mov_b32_e32 v44, 1
.LBB36_18:                              ; =>This Inner Loop Header: Depth=1
	ds_read_b64 v[52:53], v50
	v_mov_b32_e32 v54, s2
	s_add_i32 s2, s2, 1
	v_add_u32_e32 v50, 8, v50
	s_cmp_lg_u32 s12, s2
	s_waitcnt lgkmcnt(0)
	v_cmp_lt_f64_e64 vcc, |v[42:43]|, |v[52:53]|
	v_cndmask_b32_e32 v43, v43, v53, vcc
	v_cndmask_b32_e32 v42, v42, v52, vcc
	;; [unrolled: 1-line block ×3, first 2 shown]
	s_cbranch_scc1 .LBB36_18
.LBB36_19:
	v_cmp_ne_u32_e32 vcc, v47, v44
	s_and_saveexec_b64 s[2:3], vcc
	s_xor_b64 s[2:3], exec, s[2:3]
	s_cbranch_execz .LBB36_25
; %bb.20:
	v_cmp_eq_u32_e32 vcc, 1, v47
	s_and_saveexec_b64 s[14:15], vcc
	s_cbranch_execz .LBB36_24
; %bb.21:
	v_cmp_ne_u32_e32 vcc, 1, v44
	s_xor_b64 s[16:17], s[6:7], -1
	s_and_b64 s[18:19], s[16:17], vcc
	s_and_saveexec_b64 s[16:17], s[18:19]
	s_cbranch_execz .LBB36_23
; %bb.22:
	v_ashrrev_i32_e32 v45, 31, v44
	v_lshlrev_b64 v[52:53], 2, v[44:45]
	v_add_co_u32_e32 v52, vcc, v38, v52
	v_addc_co_u32_e32 v53, vcc, v39, v53, vcc
	flat_load_dword v45, v[52:53]
	flat_load_dword v47, v[38:39] offset:4
	s_waitcnt vmcnt(0) lgkmcnt(0)
	flat_store_dword v[38:39], v45 offset:4
	flat_store_dword v[52:53], v47
.LBB36_23:
	s_or_b64 exec, exec, s[16:17]
	v_mov_b32_e32 v45, v44
	v_mov_b32_e32 v47, v44
.LBB36_24:
	s_or_b64 exec, exec, s[14:15]
.LBB36_25:
	s_andn2_saveexec_b64 s[2:3], s[2:3]
	s_cbranch_execz .LBB36_27
; %bb.26:
	v_mov_b32_e32 v52, v6
	v_mov_b32_e32 v53, v7
	v_mov_b32_e32 v54, v0
	v_mov_b32_e32 v55, v1
	ds_write2_b64 v46, v[52:53], v[54:55] offset0:2 offset1:3
	v_mov_b32_e32 v52, v26
	v_mov_b32_e32 v53, v27
	v_mov_b32_e32 v54, v20
	v_mov_b32_e32 v55, v21
	ds_write2_b64 v46, v[52:53], v[54:55] offset0:4 offset1:5
	;; [unrolled: 5-line block ×7, first 2 shown]
	v_mov_b32_e32 v52, v34
	v_mov_b32_e32 v53, v35
	;; [unrolled: 1-line block ×5, first 2 shown]
	ds_write2_b64 v46, v[52:53], v[54:55] offset0:16 offset1:17
	ds_write_b64 v46, v[40:41] offset:144
.LBB36_27:
	s_or_b64 exec, exec, s[2:3]
	s_waitcnt lgkmcnt(0)
	v_cmp_neq_f64_e64 s[2:3], 0, v[42:43]
	v_cmp_lt_i32_e32 vcc, 1, v47
	s_barrier
	s_and_saveexec_b64 s[14:15], vcc
	s_cbranch_execz .LBB36_29
; %bb.28:
	v_div_scale_f64 v[52:53], s[16:17], v[42:43], v[42:43], 1.0
	v_rcp_f64_e32 v[54:55], v[52:53]
	v_div_scale_f64 v[56:57], vcc, 1.0, v[42:43], 1.0
	ds_read2_b64 v[60:63], v46 offset0:6 offset1:7
	v_fma_f64 v[58:59], -v[52:53], v[54:55], 1.0
	v_fmac_f64_e32 v[54:55], v[54:55], v[58:59]
	v_fma_f64 v[58:59], -v[52:53], v[54:55], 1.0
	v_fmac_f64_e32 v[54:55], v[54:55], v[58:59]
	v_mul_f64 v[58:59], v[56:57], v[54:55]
	v_fma_f64 v[52:53], -v[52:53], v[58:59], v[56:57]
	v_div_fmas_f64 v[52:53], v[52:53], v[54:55], v[58:59]
	v_div_fixup_f64 v[56:57], v[52:53], v[42:43], 1.0
	ds_read2_b64 v[52:55], v46 offset0:2 offset1:3
	v_cndmask_b32_e64 v43, v43, v57, s[2:3]
	v_cndmask_b32_e64 v42, v42, v56, s[2:3]
	ds_read2_b64 v[56:59], v46 offset0:4 offset1:5
	v_mul_f64 v[12:13], v[42:43], v[12:13]
	s_waitcnt lgkmcnt(0)
	v_fma_f64 v[6:7], -v[12:13], v[52:53], v[6:7]
	v_fma_f64 v[0:1], -v[12:13], v[54:55], v[0:1]
	ds_read2_b64 v[52:55], v46 offset0:8 offset1:9
	v_fma_f64 v[26:27], -v[12:13], v[56:57], v[26:27]
	v_fma_f64 v[20:21], -v[12:13], v[58:59], v[20:21]
	ds_read2_b64 v[56:59], v46 offset0:10 offset1:11
	;; [unrolled: 3-line block ×3, first 2 shown]
	s_waitcnt lgkmcnt(0)
	v_fma_f64 v[32:33], -v[12:13], v[52:53], v[32:33]
	v_fma_f64 v[24:25], -v[12:13], v[54:55], v[24:25]
	;; [unrolled: 1-line block ×4, first 2 shown]
	ds_read2_b64 v[52:55], v46 offset0:14 offset1:15
	ds_read2_b64 v[56:59], v46 offset0:16 offset1:17
	ds_read_b64 v[42:43], v46 offset:144
	v_fma_f64 v[36:37], -v[12:13], v[60:61], v[36:37]
	v_fma_f64 v[30:31], -v[12:13], v[62:63], v[30:31]
	s_waitcnt lgkmcnt(0)
	v_fma_f64 v[22:23], -v[12:13], v[52:53], v[22:23]
	v_fma_f64 v[14:15], -v[12:13], v[54:55], v[14:15]
	;; [unrolled: 1-line block ×5, first 2 shown]
.LBB36_29:
	s_or_b64 exec, exec, s[14:15]
	v_lshl_add_u32 v42, v47, 3, v46
	s_barrier
	ds_write_b64 v42, v[6:7]
	s_waitcnt lgkmcnt(0)
	s_barrier
	ds_read_b64 v[42:43], v46 offset:16
	s_mov_b32 s14, 3
	s_cmp_lt_i32 s12, 4
	v_mov_b32_e32 v44, 2
	s_cbranch_scc1 .LBB36_32
; %bb.30:
	v_add3_u32 v50, v51, 0, 24
	v_mov_b32_e32 v44, 2
.LBB36_31:                              ; =>This Inner Loop Header: Depth=1
	ds_read_b64 v[52:53], v50
	v_mov_b32_e32 v54, s14
	s_add_i32 s14, s14, 1
	v_add_u32_e32 v50, 8, v50
	s_cmp_lg_u32 s12, s14
	s_waitcnt lgkmcnt(0)
	v_cmp_lt_f64_e64 vcc, |v[42:43]|, |v[52:53]|
	v_cndmask_b32_e32 v43, v43, v53, vcc
	v_cndmask_b32_e32 v42, v42, v52, vcc
	;; [unrolled: 1-line block ×3, first 2 shown]
	s_cbranch_scc1 .LBB36_31
.LBB36_32:
	v_cndmask_b32_e64 v50, 2, 1, s[0:1]
	v_cndmask_b32_e64 v52, 0, 1, s[0:1]
	;; [unrolled: 1-line block ×3, first 2 shown]
	s_waitcnt lgkmcnt(0)
	v_cmp_eq_f64_e32 vcc, 0, v[42:43]
	s_and_saveexec_b64 s[0:1], vcc
	s_xor_b64 s[0:1], exec, s[0:1]
; %bb.33:
	v_cmp_ne_u32_e32 vcc, 0, v50
	v_cndmask_b32_e32 v50, 3, v50, vcc
; %bb.34:
	s_andn2_saveexec_b64 s[0:1], s[0:1]
; %bb.35:
	v_div_scale_f64 v[52:53], s[2:3], v[42:43], v[42:43], 1.0
	v_rcp_f64_e32 v[54:55], v[52:53]
	v_div_scale_f64 v[56:57], vcc, 1.0, v[42:43], 1.0
	v_fma_f64 v[58:59], -v[52:53], v[54:55], 1.0
	v_fmac_f64_e32 v[54:55], v[54:55], v[58:59]
	v_fma_f64 v[58:59], -v[52:53], v[54:55], 1.0
	v_fmac_f64_e32 v[54:55], v[54:55], v[58:59]
	v_mul_f64 v[58:59], v[56:57], v[54:55]
	v_fma_f64 v[52:53], -v[52:53], v[58:59], v[56:57]
	v_div_fmas_f64 v[52:53], v[52:53], v[54:55], v[58:59]
	v_div_fixup_f64 v[42:43], v[52:53], v[42:43], 1.0
; %bb.36:
	s_or_b64 exec, exec, s[0:1]
	v_cmp_ne_u32_e32 vcc, v47, v44
	s_and_saveexec_b64 s[0:1], vcc
	s_xor_b64 s[0:1], exec, s[0:1]
	s_cbranch_execz .LBB36_42
; %bb.37:
	v_cmp_eq_u32_e32 vcc, 2, v47
	s_and_saveexec_b64 s[2:3], vcc
	s_cbranch_execz .LBB36_41
; %bb.38:
	v_cmp_ne_u32_e32 vcc, 2, v44
	s_xor_b64 s[14:15], s[6:7], -1
	s_and_b64 s[16:17], s[14:15], vcc
	s_and_saveexec_b64 s[14:15], s[16:17]
	s_cbranch_execz .LBB36_40
; %bb.39:
	v_ashrrev_i32_e32 v45, 31, v44
	v_lshlrev_b64 v[52:53], 2, v[44:45]
	v_add_co_u32_e32 v52, vcc, v38, v52
	v_addc_co_u32_e32 v53, vcc, v39, v53, vcc
	flat_load_dword v45, v[52:53]
	flat_load_dword v47, v[38:39] offset:8
	s_waitcnt vmcnt(0) lgkmcnt(0)
	flat_store_dword v[38:39], v45 offset:8
	flat_store_dword v[52:53], v47
.LBB36_40:
	s_or_b64 exec, exec, s[14:15]
	v_mov_b32_e32 v45, v44
	v_mov_b32_e32 v47, v44
.LBB36_41:
	s_or_b64 exec, exec, s[2:3]
.LBB36_42:
	s_andn2_saveexec_b64 s[0:1], s[0:1]
	s_cbranch_execz .LBB36_44
; %bb.43:
	v_mov_b32_e32 v47, 2
	ds_write2_b64 v46, v[0:1], v[26:27] offset0:3 offset1:4
	ds_write2_b64 v46, v[20:21], v[10:11] offset0:5 offset1:6
	;; [unrolled: 1-line block ×8, first 2 shown]
.LBB36_44:
	s_or_b64 exec, exec, s[0:1]
	v_cmp_lt_i32_e32 vcc, 2, v47
	s_waitcnt lgkmcnt(0)
	s_barrier
	s_and_saveexec_b64 s[0:1], vcc
	s_cbranch_execz .LBB36_46
; %bb.45:
	ds_read2_b64 v[52:55], v46 offset0:3 offset1:4
	ds_read2_b64 v[56:59], v46 offset0:5 offset1:6
	v_mul_f64 v[6:7], v[42:43], v[6:7]
	ds_read2_b64 v[60:63], v46 offset0:7 offset1:8
	s_waitcnt lgkmcnt(0)
	v_fma_f64 v[0:1], -v[6:7], v[52:53], v[0:1]
	v_fma_f64 v[26:27], -v[6:7], v[54:55], v[26:27]
	ds_read2_b64 v[52:55], v46 offset0:9 offset1:10
	v_fma_f64 v[20:21], -v[6:7], v[56:57], v[20:21]
	v_fma_f64 v[10:11], -v[6:7], v[58:59], v[10:11]
	ds_read2_b64 v[56:59], v46 offset0:11 offset1:12
	v_fma_f64 v[4:5], -v[6:7], v[60:61], v[4:5]
	v_fma_f64 v[32:33], -v[6:7], v[62:63], v[32:33]
	s_waitcnt lgkmcnt(0)
	v_fma_f64 v[24:25], -v[6:7], v[52:53], v[24:25]
	v_fma_f64 v[16:17], -v[6:7], v[54:55], v[16:17]
	ds_read2_b64 v[52:55], v46 offset0:13 offset1:14
	v_fma_f64 v[8:9], -v[6:7], v[56:57], v[8:9]
	ds_read2_b64 v[60:63], v46 offset0:15 offset1:16
	;; [unrolled: 2-line block ×3, first 2 shown]
	s_waitcnt lgkmcnt(0)
	v_fma_f64 v[30:31], -v[6:7], v[52:53], v[30:31]
	v_fma_f64 v[22:23], -v[6:7], v[54:55], v[22:23]
	;; [unrolled: 1-line block ×6, first 2 shown]
.LBB36_46:
	s_or_b64 exec, exec, s[0:1]
	v_lshl_add_u32 v42, v47, 3, v46
	s_barrier
	ds_write_b64 v42, v[0:1]
	s_waitcnt lgkmcnt(0)
	s_barrier
	ds_read_b64 v[42:43], v46 offset:24
	s_cmp_lt_i32 s12, 5
	v_mov_b32_e32 v44, 3
	s_cbranch_scc1 .LBB36_49
; %bb.47:
	v_add3_u32 v52, v51, 0, 32
	s_mov_b32 s0, 4
	v_mov_b32_e32 v44, 3
.LBB36_48:                              ; =>This Inner Loop Header: Depth=1
	ds_read_b64 v[54:55], v52
	v_mov_b32_e32 v53, s0
	s_add_i32 s0, s0, 1
	v_add_u32_e32 v52, 8, v52
	s_cmp_lg_u32 s12, s0
	s_waitcnt lgkmcnt(0)
	v_cmp_lt_f64_e64 vcc, |v[42:43]|, |v[54:55]|
	v_cndmask_b32_e32 v43, v43, v55, vcc
	v_cndmask_b32_e32 v42, v42, v54, vcc
	;; [unrolled: 1-line block ×3, first 2 shown]
	s_cbranch_scc1 .LBB36_48
.LBB36_49:
	s_waitcnt lgkmcnt(0)
	v_cmp_eq_f64_e32 vcc, 0, v[42:43]
	s_and_saveexec_b64 s[0:1], vcc
	s_xor_b64 s[0:1], exec, s[0:1]
; %bb.50:
	v_cmp_ne_u32_e32 vcc, 0, v50
	v_cndmask_b32_e32 v50, 4, v50, vcc
; %bb.51:
	s_andn2_saveexec_b64 s[0:1], s[0:1]
; %bb.52:
	v_div_scale_f64 v[52:53], s[2:3], v[42:43], v[42:43], 1.0
	v_rcp_f64_e32 v[54:55], v[52:53]
	v_div_scale_f64 v[56:57], vcc, 1.0, v[42:43], 1.0
	v_fma_f64 v[58:59], -v[52:53], v[54:55], 1.0
	v_fmac_f64_e32 v[54:55], v[54:55], v[58:59]
	v_fma_f64 v[58:59], -v[52:53], v[54:55], 1.0
	v_fmac_f64_e32 v[54:55], v[54:55], v[58:59]
	v_mul_f64 v[58:59], v[56:57], v[54:55]
	v_fma_f64 v[52:53], -v[52:53], v[58:59], v[56:57]
	v_div_fmas_f64 v[52:53], v[52:53], v[54:55], v[58:59]
	v_div_fixup_f64 v[42:43], v[52:53], v[42:43], 1.0
; %bb.53:
	s_or_b64 exec, exec, s[0:1]
	v_cmp_ne_u32_e32 vcc, v47, v44
	s_and_saveexec_b64 s[0:1], vcc
	s_xor_b64 s[0:1], exec, s[0:1]
	s_cbranch_execz .LBB36_59
; %bb.54:
	v_cmp_eq_u32_e32 vcc, 3, v47
	s_and_saveexec_b64 s[2:3], vcc
	s_cbranch_execz .LBB36_58
; %bb.55:
	v_cmp_ne_u32_e32 vcc, 3, v44
	s_xor_b64 s[14:15], s[6:7], -1
	s_and_b64 s[16:17], s[14:15], vcc
	s_and_saveexec_b64 s[14:15], s[16:17]
	s_cbranch_execz .LBB36_57
; %bb.56:
	v_ashrrev_i32_e32 v45, 31, v44
	v_lshlrev_b64 v[52:53], 2, v[44:45]
	v_add_co_u32_e32 v52, vcc, v38, v52
	v_addc_co_u32_e32 v53, vcc, v39, v53, vcc
	flat_load_dword v45, v[52:53]
	flat_load_dword v47, v[38:39] offset:12
	s_waitcnt vmcnt(0) lgkmcnt(0)
	flat_store_dword v[38:39], v45 offset:12
	flat_store_dword v[52:53], v47
.LBB36_57:
	s_or_b64 exec, exec, s[14:15]
	v_mov_b32_e32 v45, v44
	v_mov_b32_e32 v47, v44
.LBB36_58:
	s_or_b64 exec, exec, s[2:3]
.LBB36_59:
	s_andn2_saveexec_b64 s[0:1], s[0:1]
	s_cbranch_execz .LBB36_61
; %bb.60:
	v_mov_b32_e32 v52, v26
	v_mov_b32_e32 v53, v27
	v_mov_b32_e32 v54, v20
	v_mov_b32_e32 v55, v21
	ds_write2_b64 v46, v[52:53], v[54:55] offset0:4 offset1:5
	v_mov_b32_e32 v52, v10
	v_mov_b32_e32 v53, v11
	v_mov_b32_e32 v54, v4
	v_mov_b32_e32 v55, v5
	ds_write2_b64 v46, v[52:53], v[54:55] offset0:6 offset1:7
	;; [unrolled: 5-line block ×6, first 2 shown]
	v_mov_b32_e32 v52, v34
	v_mov_b32_e32 v53, v35
	;; [unrolled: 1-line block ×5, first 2 shown]
	ds_write2_b64 v46, v[52:53], v[54:55] offset0:16 offset1:17
	ds_write_b64 v46, v[40:41] offset:144
.LBB36_61:
	s_or_b64 exec, exec, s[0:1]
	v_cmp_lt_i32_e32 vcc, 3, v47
	s_waitcnt lgkmcnt(0)
	s_barrier
	s_and_saveexec_b64 s[0:1], vcc
	s_cbranch_execz .LBB36_63
; %bb.62:
	ds_read2_b64 v[52:55], v46 offset0:4 offset1:5
	ds_read2_b64 v[56:59], v46 offset0:6 offset1:7
	v_mul_f64 v[0:1], v[42:43], v[0:1]
	ds_read2_b64 v[60:63], v46 offset0:8 offset1:9
	ds_read_b64 v[42:43], v46 offset:144
	s_waitcnt lgkmcnt(0)
	v_fma_f64 v[26:27], -v[0:1], v[52:53], v[26:27]
	v_fma_f64 v[20:21], -v[0:1], v[54:55], v[20:21]
	ds_read2_b64 v[52:55], v46 offset0:10 offset1:11
	v_fma_f64 v[10:11], -v[0:1], v[56:57], v[10:11]
	v_fma_f64 v[4:5], -v[0:1], v[58:59], v[4:5]
	;; [unrolled: 1-line block ×3, first 2 shown]
	ds_read2_b64 v[56:59], v46 offset0:12 offset1:13
	v_fma_f64 v[24:25], -v[0:1], v[62:63], v[24:25]
	s_waitcnt lgkmcnt(0)
	v_fma_f64 v[16:17], -v[0:1], v[52:53], v[16:17]
	v_fma_f64 v[8:9], -v[0:1], v[54:55], v[8:9]
	ds_read2_b64 v[52:55], v46 offset0:14 offset1:15
	ds_read2_b64 v[60:63], v46 offset0:16 offset1:17
	v_fma_f64 v[36:37], -v[0:1], v[56:57], v[36:37]
	v_fma_f64 v[30:31], -v[0:1], v[58:59], v[30:31]
	;; [unrolled: 1-line block ×3, first 2 shown]
	s_waitcnt lgkmcnt(0)
	v_fma_f64 v[22:23], -v[0:1], v[52:53], v[22:23]
	v_fma_f64 v[14:15], -v[0:1], v[54:55], v[14:15]
	;; [unrolled: 1-line block ×4, first 2 shown]
.LBB36_63:
	s_or_b64 exec, exec, s[0:1]
	v_lshl_add_u32 v42, v47, 3, v46
	s_barrier
	ds_write_b64 v42, v[26:27]
	s_waitcnt lgkmcnt(0)
	s_barrier
	ds_read_b64 v[42:43], v46 offset:32
	s_cmp_lt_i32 s12, 6
	v_mov_b32_e32 v44, 4
	s_cbranch_scc1 .LBB36_66
; %bb.64:
	v_add3_u32 v52, v51, 0, 40
	s_mov_b32 s0, 5
	v_mov_b32_e32 v44, 4
.LBB36_65:                              ; =>This Inner Loop Header: Depth=1
	ds_read_b64 v[54:55], v52
	v_mov_b32_e32 v53, s0
	s_add_i32 s0, s0, 1
	v_add_u32_e32 v52, 8, v52
	s_cmp_lg_u32 s12, s0
	s_waitcnt lgkmcnt(0)
	v_cmp_lt_f64_e64 vcc, |v[42:43]|, |v[54:55]|
	v_cndmask_b32_e32 v43, v43, v55, vcc
	v_cndmask_b32_e32 v42, v42, v54, vcc
	;; [unrolled: 1-line block ×3, first 2 shown]
	s_cbranch_scc1 .LBB36_65
.LBB36_66:
	s_waitcnt lgkmcnt(0)
	v_cmp_eq_f64_e32 vcc, 0, v[42:43]
	s_and_saveexec_b64 s[0:1], vcc
	s_xor_b64 s[0:1], exec, s[0:1]
; %bb.67:
	v_cmp_ne_u32_e32 vcc, 0, v50
	v_cndmask_b32_e32 v50, 5, v50, vcc
; %bb.68:
	s_andn2_saveexec_b64 s[0:1], s[0:1]
; %bb.69:
	v_div_scale_f64 v[52:53], s[2:3], v[42:43], v[42:43], 1.0
	v_rcp_f64_e32 v[54:55], v[52:53]
	v_div_scale_f64 v[56:57], vcc, 1.0, v[42:43], 1.0
	v_fma_f64 v[58:59], -v[52:53], v[54:55], 1.0
	v_fmac_f64_e32 v[54:55], v[54:55], v[58:59]
	v_fma_f64 v[58:59], -v[52:53], v[54:55], 1.0
	v_fmac_f64_e32 v[54:55], v[54:55], v[58:59]
	v_mul_f64 v[58:59], v[56:57], v[54:55]
	v_fma_f64 v[52:53], -v[52:53], v[58:59], v[56:57]
	v_div_fmas_f64 v[52:53], v[52:53], v[54:55], v[58:59]
	v_div_fixup_f64 v[42:43], v[52:53], v[42:43], 1.0
; %bb.70:
	s_or_b64 exec, exec, s[0:1]
	v_cmp_ne_u32_e32 vcc, v47, v44
	s_and_saveexec_b64 s[0:1], vcc
	s_xor_b64 s[0:1], exec, s[0:1]
	s_cbranch_execz .LBB36_76
; %bb.71:
	v_cmp_eq_u32_e32 vcc, 4, v47
	s_and_saveexec_b64 s[2:3], vcc
	s_cbranch_execz .LBB36_75
; %bb.72:
	v_cmp_ne_u32_e32 vcc, 4, v44
	s_xor_b64 s[14:15], s[6:7], -1
	s_and_b64 s[16:17], s[14:15], vcc
	s_and_saveexec_b64 s[14:15], s[16:17]
	s_cbranch_execz .LBB36_74
; %bb.73:
	v_ashrrev_i32_e32 v45, 31, v44
	v_lshlrev_b64 v[52:53], 2, v[44:45]
	v_add_co_u32_e32 v52, vcc, v38, v52
	v_addc_co_u32_e32 v53, vcc, v39, v53, vcc
	flat_load_dword v45, v[52:53]
	flat_load_dword v47, v[38:39] offset:16
	s_waitcnt vmcnt(0) lgkmcnt(0)
	flat_store_dword v[38:39], v45 offset:16
	flat_store_dword v[52:53], v47
.LBB36_74:
	s_or_b64 exec, exec, s[14:15]
	v_mov_b32_e32 v45, v44
	v_mov_b32_e32 v47, v44
.LBB36_75:
	s_or_b64 exec, exec, s[2:3]
.LBB36_76:
	s_andn2_saveexec_b64 s[0:1], s[0:1]
	s_cbranch_execz .LBB36_78
; %bb.77:
	v_mov_b32_e32 v47, 4
	ds_write2_b64 v46, v[20:21], v[10:11] offset0:5 offset1:6
	ds_write2_b64 v46, v[4:5], v[32:33] offset0:7 offset1:8
	;; [unrolled: 1-line block ×7, first 2 shown]
.LBB36_78:
	s_or_b64 exec, exec, s[0:1]
	v_cmp_lt_i32_e32 vcc, 4, v47
	s_waitcnt lgkmcnt(0)
	s_barrier
	s_and_saveexec_b64 s[0:1], vcc
	s_cbranch_execz .LBB36_80
; %bb.79:
	ds_read2_b64 v[52:55], v46 offset0:5 offset1:6
	ds_read2_b64 v[56:59], v46 offset0:7 offset1:8
	v_mul_f64 v[26:27], v[42:43], v[26:27]
	ds_read2_b64 v[60:63], v46 offset0:9 offset1:10
	s_waitcnt lgkmcnt(0)
	v_fma_f64 v[20:21], -v[26:27], v[52:53], v[20:21]
	v_fma_f64 v[10:11], -v[26:27], v[54:55], v[10:11]
	ds_read2_b64 v[52:55], v46 offset0:11 offset1:12
	v_fma_f64 v[4:5], -v[26:27], v[56:57], v[4:5]
	v_fma_f64 v[32:33], -v[26:27], v[58:59], v[32:33]
	;; [unrolled: 1-line block ×4, first 2 shown]
	ds_read2_b64 v[56:59], v46 offset0:13 offset1:14
	ds_read2_b64 v[60:63], v46 offset0:15 offset1:16
	s_waitcnt lgkmcnt(0)
	v_fma_f64 v[8:9], -v[26:27], v[52:53], v[8:9]
	v_fma_f64 v[36:37], -v[26:27], v[54:55], v[36:37]
	ds_read2_b64 v[52:55], v46 offset0:17 offset1:18
	v_fma_f64 v[30:31], -v[26:27], v[56:57], v[30:31]
	v_fma_f64 v[22:23], -v[26:27], v[58:59], v[22:23]
	;; [unrolled: 1-line block ×4, first 2 shown]
	s_waitcnt lgkmcnt(0)
	v_fma_f64 v[28:29], -v[26:27], v[52:53], v[28:29]
	v_fma_f64 v[40:41], -v[26:27], v[54:55], v[40:41]
.LBB36_80:
	s_or_b64 exec, exec, s[0:1]
	v_lshl_add_u32 v42, v47, 3, v46
	s_barrier
	ds_write_b64 v42, v[20:21]
	s_waitcnt lgkmcnt(0)
	s_barrier
	ds_read_b64 v[42:43], v46 offset:40
	s_cmp_lt_i32 s12, 7
	v_mov_b32_e32 v44, 5
	s_cbranch_scc1 .LBB36_83
; %bb.81:
	v_add3_u32 v52, v51, 0, 48
	s_mov_b32 s0, 6
	v_mov_b32_e32 v44, 5
.LBB36_82:                              ; =>This Inner Loop Header: Depth=1
	ds_read_b64 v[54:55], v52
	v_mov_b32_e32 v53, s0
	s_add_i32 s0, s0, 1
	v_add_u32_e32 v52, 8, v52
	s_cmp_lg_u32 s12, s0
	s_waitcnt lgkmcnt(0)
	v_cmp_lt_f64_e64 vcc, |v[42:43]|, |v[54:55]|
	v_cndmask_b32_e32 v43, v43, v55, vcc
	v_cndmask_b32_e32 v42, v42, v54, vcc
	;; [unrolled: 1-line block ×3, first 2 shown]
	s_cbranch_scc1 .LBB36_82
.LBB36_83:
	s_waitcnt lgkmcnt(0)
	v_cmp_eq_f64_e32 vcc, 0, v[42:43]
	s_and_saveexec_b64 s[0:1], vcc
	s_xor_b64 s[0:1], exec, s[0:1]
; %bb.84:
	v_cmp_ne_u32_e32 vcc, 0, v50
	v_cndmask_b32_e32 v50, 6, v50, vcc
; %bb.85:
	s_andn2_saveexec_b64 s[0:1], s[0:1]
; %bb.86:
	v_div_scale_f64 v[52:53], s[2:3], v[42:43], v[42:43], 1.0
	v_rcp_f64_e32 v[54:55], v[52:53]
	v_div_scale_f64 v[56:57], vcc, 1.0, v[42:43], 1.0
	v_fma_f64 v[58:59], -v[52:53], v[54:55], 1.0
	v_fmac_f64_e32 v[54:55], v[54:55], v[58:59]
	v_fma_f64 v[58:59], -v[52:53], v[54:55], 1.0
	v_fmac_f64_e32 v[54:55], v[54:55], v[58:59]
	v_mul_f64 v[58:59], v[56:57], v[54:55]
	v_fma_f64 v[52:53], -v[52:53], v[58:59], v[56:57]
	v_div_fmas_f64 v[52:53], v[52:53], v[54:55], v[58:59]
	v_div_fixup_f64 v[42:43], v[52:53], v[42:43], 1.0
; %bb.87:
	s_or_b64 exec, exec, s[0:1]
	v_cmp_ne_u32_e32 vcc, v47, v44
	s_and_saveexec_b64 s[0:1], vcc
	s_xor_b64 s[0:1], exec, s[0:1]
	s_cbranch_execz .LBB36_93
; %bb.88:
	v_cmp_eq_u32_e32 vcc, 5, v47
	s_and_saveexec_b64 s[2:3], vcc
	s_cbranch_execz .LBB36_92
; %bb.89:
	v_cmp_ne_u32_e32 vcc, 5, v44
	s_xor_b64 s[14:15], s[6:7], -1
	s_and_b64 s[16:17], s[14:15], vcc
	s_and_saveexec_b64 s[14:15], s[16:17]
	s_cbranch_execz .LBB36_91
; %bb.90:
	v_ashrrev_i32_e32 v45, 31, v44
	v_lshlrev_b64 v[52:53], 2, v[44:45]
	v_add_co_u32_e32 v52, vcc, v38, v52
	v_addc_co_u32_e32 v53, vcc, v39, v53, vcc
	flat_load_dword v45, v[52:53]
	flat_load_dword v47, v[38:39] offset:20
	s_waitcnt vmcnt(0) lgkmcnt(0)
	flat_store_dword v[38:39], v45 offset:20
	flat_store_dword v[52:53], v47
.LBB36_91:
	s_or_b64 exec, exec, s[14:15]
	v_mov_b32_e32 v45, v44
	v_mov_b32_e32 v47, v44
.LBB36_92:
	s_or_b64 exec, exec, s[2:3]
.LBB36_93:
	s_andn2_saveexec_b64 s[0:1], s[0:1]
	s_cbranch_execz .LBB36_95
; %bb.94:
	v_mov_b32_e32 v52, v10
	v_mov_b32_e32 v53, v11
	v_mov_b32_e32 v54, v4
	v_mov_b32_e32 v55, v5
	ds_write2_b64 v46, v[52:53], v[54:55] offset0:6 offset1:7
	v_mov_b32_e32 v52, v32
	v_mov_b32_e32 v53, v33
	v_mov_b32_e32 v54, v24
	v_mov_b32_e32 v55, v25
	ds_write2_b64 v46, v[52:53], v[54:55] offset0:8 offset1:9
	;; [unrolled: 5-line block ×5, first 2 shown]
	v_mov_b32_e32 v52, v34
	v_mov_b32_e32 v53, v35
	;; [unrolled: 1-line block ×5, first 2 shown]
	ds_write2_b64 v46, v[52:53], v[54:55] offset0:16 offset1:17
	ds_write_b64 v46, v[40:41] offset:144
.LBB36_95:
	s_or_b64 exec, exec, s[0:1]
	v_cmp_lt_i32_e32 vcc, 5, v47
	s_waitcnt lgkmcnt(0)
	s_barrier
	s_and_saveexec_b64 s[0:1], vcc
	s_cbranch_execz .LBB36_97
; %bb.96:
	ds_read2_b64 v[52:55], v46 offset0:6 offset1:7
	ds_read2_b64 v[56:59], v46 offset0:8 offset1:9
	;; [unrolled: 1-line block ×3, first 2 shown]
	v_mul_f64 v[20:21], v[42:43], v[20:21]
	ds_read_b64 v[42:43], v46 offset:144
	s_waitcnt lgkmcnt(0)
	v_fma_f64 v[10:11], -v[20:21], v[52:53], v[10:11]
	v_fma_f64 v[4:5], -v[20:21], v[54:55], v[4:5]
	ds_read2_b64 v[52:55], v46 offset0:12 offset1:13
	v_fma_f64 v[32:33], -v[20:21], v[56:57], v[32:33]
	v_fma_f64 v[24:25], -v[20:21], v[58:59], v[24:25]
	;; [unrolled: 1-line block ×4, first 2 shown]
	ds_read2_b64 v[56:59], v46 offset0:14 offset1:15
	ds_read2_b64 v[60:63], v46 offset0:16 offset1:17
	s_waitcnt lgkmcnt(0)
	v_fma_f64 v[36:37], -v[20:21], v[52:53], v[36:37]
	v_fma_f64 v[30:31], -v[20:21], v[54:55], v[30:31]
	;; [unrolled: 1-line block ×7, first 2 shown]
.LBB36_97:
	s_or_b64 exec, exec, s[0:1]
	v_lshl_add_u32 v42, v47, 3, v46
	s_barrier
	ds_write_b64 v42, v[10:11]
	s_waitcnt lgkmcnt(0)
	s_barrier
	ds_read_b64 v[42:43], v46 offset:48
	s_cmp_lt_i32 s12, 8
	v_mov_b32_e32 v44, 6
	s_cbranch_scc1 .LBB36_100
; %bb.98:
	v_add3_u32 v52, v51, 0, 56
	s_mov_b32 s0, 7
	v_mov_b32_e32 v44, 6
.LBB36_99:                              ; =>This Inner Loop Header: Depth=1
	ds_read_b64 v[54:55], v52
	v_mov_b32_e32 v53, s0
	s_add_i32 s0, s0, 1
	v_add_u32_e32 v52, 8, v52
	s_cmp_lg_u32 s12, s0
	s_waitcnt lgkmcnt(0)
	v_cmp_lt_f64_e64 vcc, |v[42:43]|, |v[54:55]|
	v_cndmask_b32_e32 v43, v43, v55, vcc
	v_cndmask_b32_e32 v42, v42, v54, vcc
	;; [unrolled: 1-line block ×3, first 2 shown]
	s_cbranch_scc1 .LBB36_99
.LBB36_100:
	s_waitcnt lgkmcnt(0)
	v_cmp_eq_f64_e32 vcc, 0, v[42:43]
	s_and_saveexec_b64 s[0:1], vcc
	s_xor_b64 s[0:1], exec, s[0:1]
; %bb.101:
	v_cmp_ne_u32_e32 vcc, 0, v50
	v_cndmask_b32_e32 v50, 7, v50, vcc
; %bb.102:
	s_andn2_saveexec_b64 s[0:1], s[0:1]
; %bb.103:
	v_div_scale_f64 v[52:53], s[2:3], v[42:43], v[42:43], 1.0
	v_rcp_f64_e32 v[54:55], v[52:53]
	v_div_scale_f64 v[56:57], vcc, 1.0, v[42:43], 1.0
	v_fma_f64 v[58:59], -v[52:53], v[54:55], 1.0
	v_fmac_f64_e32 v[54:55], v[54:55], v[58:59]
	v_fma_f64 v[58:59], -v[52:53], v[54:55], 1.0
	v_fmac_f64_e32 v[54:55], v[54:55], v[58:59]
	v_mul_f64 v[58:59], v[56:57], v[54:55]
	v_fma_f64 v[52:53], -v[52:53], v[58:59], v[56:57]
	v_div_fmas_f64 v[52:53], v[52:53], v[54:55], v[58:59]
	v_div_fixup_f64 v[42:43], v[52:53], v[42:43], 1.0
; %bb.104:
	s_or_b64 exec, exec, s[0:1]
	v_cmp_ne_u32_e32 vcc, v47, v44
	s_and_saveexec_b64 s[0:1], vcc
	s_xor_b64 s[0:1], exec, s[0:1]
	s_cbranch_execz .LBB36_110
; %bb.105:
	v_cmp_eq_u32_e32 vcc, 6, v47
	s_and_saveexec_b64 s[2:3], vcc
	s_cbranch_execz .LBB36_109
; %bb.106:
	v_cmp_ne_u32_e32 vcc, 6, v44
	s_xor_b64 s[14:15], s[6:7], -1
	s_and_b64 s[16:17], s[14:15], vcc
	s_and_saveexec_b64 s[14:15], s[16:17]
	s_cbranch_execz .LBB36_108
; %bb.107:
	v_ashrrev_i32_e32 v45, 31, v44
	v_lshlrev_b64 v[52:53], 2, v[44:45]
	v_add_co_u32_e32 v52, vcc, v38, v52
	v_addc_co_u32_e32 v53, vcc, v39, v53, vcc
	flat_load_dword v45, v[52:53]
	flat_load_dword v47, v[38:39] offset:24
	s_waitcnt vmcnt(0) lgkmcnt(0)
	flat_store_dword v[38:39], v45 offset:24
	flat_store_dword v[52:53], v47
.LBB36_108:
	s_or_b64 exec, exec, s[14:15]
	v_mov_b32_e32 v45, v44
	v_mov_b32_e32 v47, v44
.LBB36_109:
	s_or_b64 exec, exec, s[2:3]
.LBB36_110:
	s_andn2_saveexec_b64 s[0:1], s[0:1]
	s_cbranch_execz .LBB36_112
; %bb.111:
	v_mov_b32_e32 v47, 6
	ds_write2_b64 v46, v[4:5], v[32:33] offset0:7 offset1:8
	ds_write2_b64 v46, v[24:25], v[16:17] offset0:9 offset1:10
	ds_write2_b64 v46, v[8:9], v[36:37] offset0:11 offset1:12
	ds_write2_b64 v46, v[30:31], v[22:23] offset0:13 offset1:14
	ds_write2_b64 v46, v[14:15], v[34:35] offset0:15 offset1:16
	ds_write2_b64 v46, v[28:29], v[40:41] offset0:17 offset1:18
.LBB36_112:
	s_or_b64 exec, exec, s[0:1]
	v_cmp_lt_i32_e32 vcc, 6, v47
	s_waitcnt lgkmcnt(0)
	s_barrier
	s_and_saveexec_b64 s[0:1], vcc
	s_cbranch_execz .LBB36_114
; %bb.113:
	ds_read2_b64 v[52:55], v46 offset0:7 offset1:8
	ds_read2_b64 v[56:59], v46 offset0:9 offset1:10
	;; [unrolled: 1-line block ×3, first 2 shown]
	v_mul_f64 v[10:11], v[42:43], v[10:11]
	s_waitcnt lgkmcnt(0)
	v_fma_f64 v[4:5], -v[10:11], v[52:53], v[4:5]
	v_fma_f64 v[32:33], -v[10:11], v[54:55], v[32:33]
	ds_read2_b64 v[52:55], v46 offset0:13 offset1:14
	v_fma_f64 v[24:25], -v[10:11], v[56:57], v[24:25]
	v_fma_f64 v[16:17], -v[10:11], v[58:59], v[16:17]
	;; [unrolled: 1-line block ×3, first 2 shown]
	ds_read2_b64 v[56:59], v46 offset0:15 offset1:16
	v_fma_f64 v[36:37], -v[10:11], v[62:63], v[36:37]
	ds_read2_b64 v[60:63], v46 offset0:17 offset1:18
	s_waitcnt lgkmcnt(0)
	v_fma_f64 v[30:31], -v[10:11], v[52:53], v[30:31]
	v_fma_f64 v[22:23], -v[10:11], v[54:55], v[22:23]
	v_fma_f64 v[14:15], -v[10:11], v[56:57], v[14:15]
	v_fma_f64 v[34:35], -v[10:11], v[58:59], v[34:35]
	v_fma_f64 v[28:29], -v[10:11], v[60:61], v[28:29]
	v_fma_f64 v[40:41], -v[10:11], v[62:63], v[40:41]
.LBB36_114:
	s_or_b64 exec, exec, s[0:1]
	v_lshl_add_u32 v42, v47, 3, v46
	s_barrier
	ds_write_b64 v42, v[4:5]
	s_waitcnt lgkmcnt(0)
	s_barrier
	ds_read_b64 v[42:43], v46 offset:56
	s_cmp_lt_i32 s12, 9
	v_mov_b32_e32 v44, 7
	s_cbranch_scc1 .LBB36_117
; %bb.115:
	v_add3_u32 v51, v51, 0, 64
	s_mov_b32 s0, 8
	v_mov_b32_e32 v44, 7
.LBB36_116:                             ; =>This Inner Loop Header: Depth=1
	ds_read_b64 v[52:53], v51
	v_mov_b32_e32 v54, s0
	s_add_i32 s0, s0, 1
	v_add_u32_e32 v51, 8, v51
	s_cmp_lg_u32 s12, s0
	s_waitcnt lgkmcnt(0)
	v_cmp_lt_f64_e64 vcc, |v[42:43]|, |v[52:53]|
	v_cndmask_b32_e32 v43, v43, v53, vcc
	v_cndmask_b32_e32 v42, v42, v52, vcc
	;; [unrolled: 1-line block ×3, first 2 shown]
	s_cbranch_scc1 .LBB36_116
.LBB36_117:
	s_waitcnt lgkmcnt(0)
	v_cmp_eq_f64_e32 vcc, 0, v[42:43]
	s_and_saveexec_b64 s[0:1], vcc
	s_xor_b64 s[0:1], exec, s[0:1]
; %bb.118:
	v_cmp_ne_u32_e32 vcc, 0, v50
	v_cndmask_b32_e32 v50, 8, v50, vcc
; %bb.119:
	s_andn2_saveexec_b64 s[0:1], s[0:1]
; %bb.120:
	v_div_scale_f64 v[52:53], s[2:3], v[42:43], v[42:43], 1.0
	v_rcp_f64_e32 v[54:55], v[52:53]
	v_div_scale_f64 v[56:57], vcc, 1.0, v[42:43], 1.0
	v_fma_f64 v[58:59], -v[52:53], v[54:55], 1.0
	v_fmac_f64_e32 v[54:55], v[54:55], v[58:59]
	v_fma_f64 v[58:59], -v[52:53], v[54:55], 1.0
	v_fmac_f64_e32 v[54:55], v[54:55], v[58:59]
	v_mul_f64 v[58:59], v[56:57], v[54:55]
	v_fma_f64 v[52:53], -v[52:53], v[58:59], v[56:57]
	v_div_fmas_f64 v[52:53], v[52:53], v[54:55], v[58:59]
	v_div_fixup_f64 v[42:43], v[52:53], v[42:43], 1.0
; %bb.121:
	s_or_b64 exec, exec, s[0:1]
	v_cmp_ne_u32_e32 vcc, v47, v44
	s_and_saveexec_b64 s[0:1], vcc
	s_xor_b64 s[0:1], exec, s[0:1]
	s_cbranch_execz .LBB36_127
; %bb.122:
	v_cmp_eq_u32_e32 vcc, 7, v47
	s_and_saveexec_b64 s[2:3], vcc
	s_cbranch_execz .LBB36_126
; %bb.123:
	v_cmp_ne_u32_e32 vcc, 7, v44
	s_xor_b64 s[14:15], s[6:7], -1
	s_and_b64 s[16:17], s[14:15], vcc
	s_and_saveexec_b64 s[14:15], s[16:17]
	s_cbranch_execz .LBB36_125
; %bb.124:
	v_ashrrev_i32_e32 v45, 31, v44
	v_lshlrev_b64 v[52:53], 2, v[44:45]
	v_add_co_u32_e32 v52, vcc, v38, v52
	v_addc_co_u32_e32 v53, vcc, v39, v53, vcc
	flat_load_dword v45, v[52:53]
	flat_load_dword v47, v[38:39] offset:28
	s_waitcnt vmcnt(0) lgkmcnt(0)
	flat_store_dword v[38:39], v45 offset:28
	flat_store_dword v[52:53], v47
.LBB36_125:
	s_or_b64 exec, exec, s[14:15]
	v_mov_b32_e32 v45, v44
	v_mov_b32_e32 v47, v44
.LBB36_126:
	s_or_b64 exec, exec, s[2:3]
.LBB36_127:
	s_andn2_saveexec_b64 s[0:1], s[0:1]
	s_cbranch_execz .LBB36_129
; %bb.128:
	v_mov_b32_e32 v52, v32
	v_mov_b32_e32 v53, v33
	v_mov_b32_e32 v54, v24
	v_mov_b32_e32 v55, v25
	ds_write2_b64 v46, v[52:53], v[54:55] offset0:8 offset1:9
	v_mov_b32_e32 v52, v16
	v_mov_b32_e32 v53, v17
	v_mov_b32_e32 v54, v8
	v_mov_b32_e32 v55, v9
	ds_write2_b64 v46, v[52:53], v[54:55] offset0:10 offset1:11
	;; [unrolled: 5-line block ×4, first 2 shown]
	v_mov_b32_e32 v52, v34
	v_mov_b32_e32 v53, v35
	;; [unrolled: 1-line block ×5, first 2 shown]
	ds_write2_b64 v46, v[52:53], v[54:55] offset0:16 offset1:17
	ds_write_b64 v46, v[40:41] offset:144
.LBB36_129:
	s_or_b64 exec, exec, s[0:1]
	v_cmp_lt_i32_e32 vcc, 7, v47
	s_waitcnt lgkmcnt(0)
	s_barrier
	s_and_saveexec_b64 s[0:1], vcc
	s_cbranch_execz .LBB36_131
; %bb.130:
	ds_read2_b64 v[52:55], v46 offset0:8 offset1:9
	ds_read2_b64 v[56:59], v46 offset0:10 offset1:11
	v_mul_f64 v[4:5], v[42:43], v[4:5]
	ds_read2_b64 v[60:63], v46 offset0:12 offset1:13
	ds_read_b64 v[42:43], v46 offset:144
	s_waitcnt lgkmcnt(0)
	v_fma_f64 v[32:33], -v[4:5], v[52:53], v[32:33]
	v_fma_f64 v[24:25], -v[4:5], v[54:55], v[24:25]
	ds_read2_b64 v[52:55], v46 offset0:14 offset1:15
	v_fma_f64 v[16:17], -v[4:5], v[56:57], v[16:17]
	v_fma_f64 v[8:9], -v[4:5], v[58:59], v[8:9]
	ds_read2_b64 v[56:59], v46 offset0:16 offset1:17
	v_fma_f64 v[36:37], -v[4:5], v[60:61], v[36:37]
	v_fma_f64 v[30:31], -v[4:5], v[62:63], v[30:31]
	s_waitcnt lgkmcnt(0)
	v_fma_f64 v[22:23], -v[4:5], v[52:53], v[22:23]
	v_fma_f64 v[14:15], -v[4:5], v[54:55], v[14:15]
	;; [unrolled: 1-line block ×5, first 2 shown]
.LBB36_131:
	s_or_b64 exec, exec, s[0:1]
	v_lshl_add_u32 v42, v47, 3, v46
	s_barrier
	ds_write_b64 v42, v[32:33]
	s_waitcnt lgkmcnt(0)
	s_barrier
	ds_read_b64 v[42:43], v46 offset:64
	s_cmp_lt_i32 s12, 10
	v_mov_b32_e32 v44, 8
	s_cbranch_scc1 .LBB36_134
; %bb.132:
	v_add_u32_e32 v51, 0x48, v46
	s_mov_b32 s0, 9
	v_mov_b32_e32 v44, 8
.LBB36_133:                             ; =>This Inner Loop Header: Depth=1
	ds_read_b64 v[52:53], v51
	v_mov_b32_e32 v54, s0
	s_add_i32 s0, s0, 1
	v_add_u32_e32 v51, 8, v51
	s_cmp_lg_u32 s12, s0
	s_waitcnt lgkmcnt(0)
	v_cmp_lt_f64_e64 vcc, |v[42:43]|, |v[52:53]|
	v_cndmask_b32_e32 v43, v43, v53, vcc
	v_cndmask_b32_e32 v42, v42, v52, vcc
	;; [unrolled: 1-line block ×3, first 2 shown]
	s_cbranch_scc1 .LBB36_133
.LBB36_134:
	s_waitcnt lgkmcnt(0)
	v_cmp_eq_f64_e32 vcc, 0, v[42:43]
	s_and_saveexec_b64 s[0:1], vcc
	s_xor_b64 s[0:1], exec, s[0:1]
; %bb.135:
	v_cmp_ne_u32_e32 vcc, 0, v50
	v_cndmask_b32_e32 v50, 9, v50, vcc
; %bb.136:
	s_andn2_saveexec_b64 s[0:1], s[0:1]
; %bb.137:
	v_div_scale_f64 v[52:53], s[2:3], v[42:43], v[42:43], 1.0
	v_rcp_f64_e32 v[54:55], v[52:53]
	v_div_scale_f64 v[56:57], vcc, 1.0, v[42:43], 1.0
	v_fma_f64 v[58:59], -v[52:53], v[54:55], 1.0
	v_fmac_f64_e32 v[54:55], v[54:55], v[58:59]
	v_fma_f64 v[58:59], -v[52:53], v[54:55], 1.0
	v_fmac_f64_e32 v[54:55], v[54:55], v[58:59]
	v_mul_f64 v[58:59], v[56:57], v[54:55]
	v_fma_f64 v[52:53], -v[52:53], v[58:59], v[56:57]
	v_div_fmas_f64 v[52:53], v[52:53], v[54:55], v[58:59]
	v_div_fixup_f64 v[42:43], v[52:53], v[42:43], 1.0
; %bb.138:
	s_or_b64 exec, exec, s[0:1]
	v_cmp_ne_u32_e32 vcc, v47, v44
	s_and_saveexec_b64 s[0:1], vcc
	s_xor_b64 s[0:1], exec, s[0:1]
	s_cbranch_execz .LBB36_144
; %bb.139:
	v_cmp_eq_u32_e32 vcc, 8, v47
	s_and_saveexec_b64 s[2:3], vcc
	s_cbranch_execz .LBB36_143
; %bb.140:
	v_cmp_ne_u32_e32 vcc, 8, v44
	s_xor_b64 s[14:15], s[6:7], -1
	s_and_b64 s[16:17], s[14:15], vcc
	s_and_saveexec_b64 s[14:15], s[16:17]
	s_cbranch_execz .LBB36_142
; %bb.141:
	v_ashrrev_i32_e32 v45, 31, v44
	v_lshlrev_b64 v[52:53], 2, v[44:45]
	v_add_co_u32_e32 v52, vcc, v38, v52
	v_addc_co_u32_e32 v53, vcc, v39, v53, vcc
	flat_load_dword v45, v[52:53]
	flat_load_dword v47, v[38:39] offset:32
	s_waitcnt vmcnt(0) lgkmcnt(0)
	flat_store_dword v[38:39], v45 offset:32
	flat_store_dword v[52:53], v47
.LBB36_142:
	s_or_b64 exec, exec, s[14:15]
	v_mov_b32_e32 v45, v44
	v_mov_b32_e32 v47, v44
.LBB36_143:
	s_or_b64 exec, exec, s[2:3]
.LBB36_144:
	s_andn2_saveexec_b64 s[0:1], s[0:1]
	s_cbranch_execz .LBB36_146
; %bb.145:
	v_mov_b32_e32 v47, 8
	ds_write2_b64 v46, v[24:25], v[16:17] offset0:9 offset1:10
	ds_write2_b64 v46, v[8:9], v[36:37] offset0:11 offset1:12
	;; [unrolled: 1-line block ×5, first 2 shown]
.LBB36_146:
	s_or_b64 exec, exec, s[0:1]
	v_cmp_lt_i32_e32 vcc, 8, v47
	s_waitcnt lgkmcnt(0)
	s_barrier
	s_and_saveexec_b64 s[0:1], vcc
	s_cbranch_execz .LBB36_148
; %bb.147:
	ds_read2_b64 v[52:55], v46 offset0:9 offset1:10
	ds_read2_b64 v[56:59], v46 offset0:11 offset1:12
	v_mul_f64 v[32:33], v[42:43], v[32:33]
	ds_read2_b64 v[60:63], v46 offset0:15 offset1:16
	s_waitcnt lgkmcnt(0)
	v_fma_f64 v[24:25], -v[32:33], v[52:53], v[24:25]
	v_fma_f64 v[16:17], -v[32:33], v[54:55], v[16:17]
	ds_read2_b64 v[52:55], v46 offset0:13 offset1:14
	v_fma_f64 v[8:9], -v[32:33], v[56:57], v[8:9]
	v_fma_f64 v[36:37], -v[32:33], v[58:59], v[36:37]
	ds_read2_b64 v[56:59], v46 offset0:17 offset1:18
	v_fma_f64 v[14:15], -v[32:33], v[60:61], v[14:15]
	s_waitcnt lgkmcnt(0)
	v_fma_f64 v[30:31], -v[32:33], v[52:53], v[30:31]
	v_fma_f64 v[22:23], -v[32:33], v[54:55], v[22:23]
	v_fma_f64 v[34:35], -v[32:33], v[62:63], v[34:35]
	v_fma_f64 v[28:29], -v[32:33], v[56:57], v[28:29]
	v_fma_f64 v[40:41], -v[32:33], v[58:59], v[40:41]
.LBB36_148:
	s_or_b64 exec, exec, s[0:1]
	v_lshl_add_u32 v42, v47, 3, v46
	s_barrier
	ds_write_b64 v42, v[24:25]
	s_waitcnt lgkmcnt(0)
	s_barrier
	ds_read_b64 v[42:43], v46 offset:72
	s_cmp_lt_i32 s12, 11
	v_mov_b32_e32 v44, 9
	s_cbranch_scc1 .LBB36_151
; %bb.149:
	v_add_u32_e32 v51, 0x50, v46
	s_mov_b32 s0, 10
	v_mov_b32_e32 v44, 9
.LBB36_150:                             ; =>This Inner Loop Header: Depth=1
	ds_read_b64 v[52:53], v51
	v_mov_b32_e32 v54, s0
	s_add_i32 s0, s0, 1
	v_add_u32_e32 v51, 8, v51
	s_cmp_lg_u32 s12, s0
	s_waitcnt lgkmcnt(0)
	v_cmp_lt_f64_e64 vcc, |v[42:43]|, |v[52:53]|
	v_cndmask_b32_e32 v43, v43, v53, vcc
	v_cndmask_b32_e32 v42, v42, v52, vcc
	;; [unrolled: 1-line block ×3, first 2 shown]
	s_cbranch_scc1 .LBB36_150
.LBB36_151:
	s_waitcnt lgkmcnt(0)
	v_cmp_eq_f64_e32 vcc, 0, v[42:43]
	s_and_saveexec_b64 s[0:1], vcc
	s_xor_b64 s[0:1], exec, s[0:1]
; %bb.152:
	v_cmp_ne_u32_e32 vcc, 0, v50
	v_cndmask_b32_e32 v50, 10, v50, vcc
; %bb.153:
	s_andn2_saveexec_b64 s[0:1], s[0:1]
; %bb.154:
	v_div_scale_f64 v[52:53], s[2:3], v[42:43], v[42:43], 1.0
	v_rcp_f64_e32 v[54:55], v[52:53]
	v_div_scale_f64 v[56:57], vcc, 1.0, v[42:43], 1.0
	v_fma_f64 v[58:59], -v[52:53], v[54:55], 1.0
	v_fmac_f64_e32 v[54:55], v[54:55], v[58:59]
	v_fma_f64 v[58:59], -v[52:53], v[54:55], 1.0
	v_fmac_f64_e32 v[54:55], v[54:55], v[58:59]
	v_mul_f64 v[58:59], v[56:57], v[54:55]
	v_fma_f64 v[52:53], -v[52:53], v[58:59], v[56:57]
	v_div_fmas_f64 v[52:53], v[52:53], v[54:55], v[58:59]
	v_div_fixup_f64 v[42:43], v[52:53], v[42:43], 1.0
; %bb.155:
	s_or_b64 exec, exec, s[0:1]
	v_cmp_ne_u32_e32 vcc, v47, v44
	s_and_saveexec_b64 s[0:1], vcc
	s_xor_b64 s[0:1], exec, s[0:1]
	s_cbranch_execz .LBB36_161
; %bb.156:
	v_cmp_eq_u32_e32 vcc, 9, v47
	s_and_saveexec_b64 s[2:3], vcc
	s_cbranch_execz .LBB36_160
; %bb.157:
	v_cmp_ne_u32_e32 vcc, 9, v44
	s_xor_b64 s[14:15], s[6:7], -1
	s_and_b64 s[16:17], s[14:15], vcc
	s_and_saveexec_b64 s[14:15], s[16:17]
	s_cbranch_execz .LBB36_159
; %bb.158:
	v_ashrrev_i32_e32 v45, 31, v44
	v_lshlrev_b64 v[52:53], 2, v[44:45]
	v_add_co_u32_e32 v52, vcc, v38, v52
	v_addc_co_u32_e32 v53, vcc, v39, v53, vcc
	flat_load_dword v45, v[52:53]
	flat_load_dword v47, v[38:39] offset:36
	s_waitcnt vmcnt(0) lgkmcnt(0)
	flat_store_dword v[38:39], v45 offset:36
	flat_store_dword v[52:53], v47
.LBB36_159:
	s_or_b64 exec, exec, s[14:15]
	v_mov_b32_e32 v45, v44
	v_mov_b32_e32 v47, v44
.LBB36_160:
	s_or_b64 exec, exec, s[2:3]
.LBB36_161:
	s_andn2_saveexec_b64 s[0:1], s[0:1]
	s_cbranch_execz .LBB36_163
; %bb.162:
	v_mov_b32_e32 v52, v16
	v_mov_b32_e32 v53, v17
	v_mov_b32_e32 v54, v8
	v_mov_b32_e32 v55, v9
	ds_write2_b64 v46, v[52:53], v[54:55] offset0:10 offset1:11
	v_mov_b32_e32 v52, v36
	v_mov_b32_e32 v53, v37
	v_mov_b32_e32 v54, v30
	v_mov_b32_e32 v55, v31
	ds_write2_b64 v46, v[52:53], v[54:55] offset0:12 offset1:13
	;; [unrolled: 5-line block ×3, first 2 shown]
	v_mov_b32_e32 v52, v34
	v_mov_b32_e32 v53, v35
	;; [unrolled: 1-line block ×5, first 2 shown]
	ds_write2_b64 v46, v[52:53], v[54:55] offset0:16 offset1:17
	ds_write_b64 v46, v[40:41] offset:144
.LBB36_163:
	s_or_b64 exec, exec, s[0:1]
	v_cmp_lt_i32_e32 vcc, 9, v47
	s_waitcnt lgkmcnt(0)
	s_barrier
	s_and_saveexec_b64 s[0:1], vcc
	s_cbranch_execz .LBB36_165
; %bb.164:
	ds_read2_b64 v[52:55], v46 offset0:10 offset1:11
	ds_read2_b64 v[56:59], v46 offset0:12 offset1:13
	v_mul_f64 v[24:25], v[42:43], v[24:25]
	ds_read_b64 v[42:43], v46 offset:144
	ds_read2_b64 v[60:63], v46 offset0:16 offset1:17
	s_waitcnt lgkmcnt(0)
	v_fma_f64 v[16:17], -v[24:25], v[52:53], v[16:17]
	v_fma_f64 v[8:9], -v[24:25], v[54:55], v[8:9]
	ds_read2_b64 v[52:55], v46 offset0:14 offset1:15
	v_fma_f64 v[36:37], -v[24:25], v[56:57], v[36:37]
	v_fma_f64 v[30:31], -v[24:25], v[58:59], v[30:31]
	;; [unrolled: 1-line block ×4, first 2 shown]
	s_waitcnt lgkmcnt(0)
	v_fma_f64 v[22:23], -v[24:25], v[52:53], v[22:23]
	v_fma_f64 v[14:15], -v[24:25], v[54:55], v[14:15]
	v_fma_f64 v[40:41], -v[24:25], v[42:43], v[40:41]
.LBB36_165:
	s_or_b64 exec, exec, s[0:1]
	v_lshl_add_u32 v42, v47, 3, v46
	s_barrier
	ds_write_b64 v42, v[16:17]
	s_waitcnt lgkmcnt(0)
	s_barrier
	ds_read_b64 v[42:43], v46 offset:80
	s_cmp_lt_i32 s12, 12
	v_mov_b32_e32 v44, 10
	s_cbranch_scc1 .LBB36_168
; %bb.166:
	v_add_u32_e32 v51, 0x58, v46
	s_mov_b32 s0, 11
	v_mov_b32_e32 v44, 10
.LBB36_167:                             ; =>This Inner Loop Header: Depth=1
	ds_read_b64 v[52:53], v51
	v_mov_b32_e32 v54, s0
	s_add_i32 s0, s0, 1
	v_add_u32_e32 v51, 8, v51
	s_cmp_lg_u32 s12, s0
	s_waitcnt lgkmcnt(0)
	v_cmp_lt_f64_e64 vcc, |v[42:43]|, |v[52:53]|
	v_cndmask_b32_e32 v43, v43, v53, vcc
	v_cndmask_b32_e32 v42, v42, v52, vcc
	;; [unrolled: 1-line block ×3, first 2 shown]
	s_cbranch_scc1 .LBB36_167
.LBB36_168:
	s_waitcnt lgkmcnt(0)
	v_cmp_eq_f64_e32 vcc, 0, v[42:43]
	s_and_saveexec_b64 s[0:1], vcc
	s_xor_b64 s[0:1], exec, s[0:1]
; %bb.169:
	v_cmp_ne_u32_e32 vcc, 0, v50
	v_cndmask_b32_e32 v50, 11, v50, vcc
; %bb.170:
	s_andn2_saveexec_b64 s[0:1], s[0:1]
; %bb.171:
	v_div_scale_f64 v[52:53], s[2:3], v[42:43], v[42:43], 1.0
	v_rcp_f64_e32 v[54:55], v[52:53]
	v_div_scale_f64 v[56:57], vcc, 1.0, v[42:43], 1.0
	v_fma_f64 v[58:59], -v[52:53], v[54:55], 1.0
	v_fmac_f64_e32 v[54:55], v[54:55], v[58:59]
	v_fma_f64 v[58:59], -v[52:53], v[54:55], 1.0
	v_fmac_f64_e32 v[54:55], v[54:55], v[58:59]
	v_mul_f64 v[58:59], v[56:57], v[54:55]
	v_fma_f64 v[52:53], -v[52:53], v[58:59], v[56:57]
	v_div_fmas_f64 v[52:53], v[52:53], v[54:55], v[58:59]
	v_div_fixup_f64 v[42:43], v[52:53], v[42:43], 1.0
; %bb.172:
	s_or_b64 exec, exec, s[0:1]
	v_cmp_ne_u32_e32 vcc, v47, v44
	s_and_saveexec_b64 s[0:1], vcc
	s_xor_b64 s[0:1], exec, s[0:1]
	s_cbranch_execz .LBB36_178
; %bb.173:
	v_cmp_eq_u32_e32 vcc, 10, v47
	s_and_saveexec_b64 s[2:3], vcc
	s_cbranch_execz .LBB36_177
; %bb.174:
	v_cmp_ne_u32_e32 vcc, 10, v44
	s_xor_b64 s[14:15], s[6:7], -1
	s_and_b64 s[16:17], s[14:15], vcc
	s_and_saveexec_b64 s[14:15], s[16:17]
	s_cbranch_execz .LBB36_176
; %bb.175:
	v_ashrrev_i32_e32 v45, 31, v44
	v_lshlrev_b64 v[52:53], 2, v[44:45]
	v_add_co_u32_e32 v52, vcc, v38, v52
	v_addc_co_u32_e32 v53, vcc, v39, v53, vcc
	flat_load_dword v45, v[52:53]
	flat_load_dword v47, v[38:39] offset:40
	s_waitcnt vmcnt(0) lgkmcnt(0)
	flat_store_dword v[38:39], v45 offset:40
	flat_store_dword v[52:53], v47
.LBB36_176:
	s_or_b64 exec, exec, s[14:15]
	v_mov_b32_e32 v45, v44
	v_mov_b32_e32 v47, v44
.LBB36_177:
	s_or_b64 exec, exec, s[2:3]
.LBB36_178:
	s_andn2_saveexec_b64 s[0:1], s[0:1]
	s_cbranch_execz .LBB36_180
; %bb.179:
	v_mov_b32_e32 v47, 10
	ds_write2_b64 v46, v[8:9], v[36:37] offset0:11 offset1:12
	ds_write2_b64 v46, v[30:31], v[22:23] offset0:13 offset1:14
	;; [unrolled: 1-line block ×4, first 2 shown]
.LBB36_180:
	s_or_b64 exec, exec, s[0:1]
	v_cmp_lt_i32_e32 vcc, 10, v47
	s_waitcnt lgkmcnt(0)
	s_barrier
	s_and_saveexec_b64 s[0:1], vcc
	s_cbranch_execz .LBB36_182
; %bb.181:
	ds_read2_b64 v[52:55], v46 offset0:11 offset1:12
	ds_read2_b64 v[56:59], v46 offset0:13 offset1:14
	v_mul_f64 v[16:17], v[42:43], v[16:17]
	ds_read2_b64 v[60:63], v46 offset0:15 offset1:16
	s_waitcnt lgkmcnt(0)
	v_fma_f64 v[8:9], -v[16:17], v[52:53], v[8:9]
	v_fma_f64 v[36:37], -v[16:17], v[54:55], v[36:37]
	ds_read2_b64 v[52:55], v46 offset0:17 offset1:18
	v_fma_f64 v[30:31], -v[16:17], v[56:57], v[30:31]
	v_fma_f64 v[22:23], -v[16:17], v[58:59], v[22:23]
	;; [unrolled: 1-line block ×4, first 2 shown]
	s_waitcnt lgkmcnt(0)
	v_fma_f64 v[28:29], -v[16:17], v[52:53], v[28:29]
	v_fma_f64 v[40:41], -v[16:17], v[54:55], v[40:41]
.LBB36_182:
	s_or_b64 exec, exec, s[0:1]
	v_lshl_add_u32 v42, v47, 3, v46
	s_barrier
	ds_write_b64 v42, v[8:9]
	s_waitcnt lgkmcnt(0)
	s_barrier
	ds_read_b64 v[42:43], v46 offset:88
	s_cmp_lt_i32 s12, 13
	v_mov_b32_e32 v44, 11
	s_cbranch_scc1 .LBB36_185
; %bb.183:
	v_add_u32_e32 v51, 0x60, v46
	s_mov_b32 s0, 12
	v_mov_b32_e32 v44, 11
.LBB36_184:                             ; =>This Inner Loop Header: Depth=1
	ds_read_b64 v[52:53], v51
	v_mov_b32_e32 v54, s0
	s_add_i32 s0, s0, 1
	v_add_u32_e32 v51, 8, v51
	s_cmp_lg_u32 s12, s0
	s_waitcnt lgkmcnt(0)
	v_cmp_lt_f64_e64 vcc, |v[42:43]|, |v[52:53]|
	v_cndmask_b32_e32 v43, v43, v53, vcc
	v_cndmask_b32_e32 v42, v42, v52, vcc
	;; [unrolled: 1-line block ×3, first 2 shown]
	s_cbranch_scc1 .LBB36_184
.LBB36_185:
	s_waitcnt lgkmcnt(0)
	v_cmp_eq_f64_e32 vcc, 0, v[42:43]
	s_and_saveexec_b64 s[0:1], vcc
	s_xor_b64 s[0:1], exec, s[0:1]
; %bb.186:
	v_cmp_ne_u32_e32 vcc, 0, v50
	v_cndmask_b32_e32 v50, 12, v50, vcc
; %bb.187:
	s_andn2_saveexec_b64 s[0:1], s[0:1]
; %bb.188:
	v_div_scale_f64 v[52:53], s[2:3], v[42:43], v[42:43], 1.0
	v_rcp_f64_e32 v[54:55], v[52:53]
	v_div_scale_f64 v[56:57], vcc, 1.0, v[42:43], 1.0
	v_fma_f64 v[58:59], -v[52:53], v[54:55], 1.0
	v_fmac_f64_e32 v[54:55], v[54:55], v[58:59]
	v_fma_f64 v[58:59], -v[52:53], v[54:55], 1.0
	v_fmac_f64_e32 v[54:55], v[54:55], v[58:59]
	v_mul_f64 v[58:59], v[56:57], v[54:55]
	v_fma_f64 v[52:53], -v[52:53], v[58:59], v[56:57]
	v_div_fmas_f64 v[52:53], v[52:53], v[54:55], v[58:59]
	v_div_fixup_f64 v[42:43], v[52:53], v[42:43], 1.0
; %bb.189:
	s_or_b64 exec, exec, s[0:1]
	v_cmp_ne_u32_e32 vcc, v47, v44
	s_and_saveexec_b64 s[0:1], vcc
	s_xor_b64 s[0:1], exec, s[0:1]
	s_cbranch_execz .LBB36_195
; %bb.190:
	v_cmp_eq_u32_e32 vcc, 11, v47
	s_and_saveexec_b64 s[2:3], vcc
	s_cbranch_execz .LBB36_194
; %bb.191:
	v_cmp_ne_u32_e32 vcc, 11, v44
	s_xor_b64 s[14:15], s[6:7], -1
	s_and_b64 s[16:17], s[14:15], vcc
	s_and_saveexec_b64 s[14:15], s[16:17]
	s_cbranch_execz .LBB36_193
; %bb.192:
	v_ashrrev_i32_e32 v45, 31, v44
	v_lshlrev_b64 v[52:53], 2, v[44:45]
	v_add_co_u32_e32 v52, vcc, v38, v52
	v_addc_co_u32_e32 v53, vcc, v39, v53, vcc
	flat_load_dword v45, v[52:53]
	flat_load_dword v47, v[38:39] offset:44
	s_waitcnt vmcnt(0) lgkmcnt(0)
	flat_store_dword v[38:39], v45 offset:44
	flat_store_dword v[52:53], v47
.LBB36_193:
	s_or_b64 exec, exec, s[14:15]
	v_mov_b32_e32 v45, v44
	v_mov_b32_e32 v47, v44
.LBB36_194:
	s_or_b64 exec, exec, s[2:3]
.LBB36_195:
	s_andn2_saveexec_b64 s[0:1], s[0:1]
	s_cbranch_execz .LBB36_197
; %bb.196:
	v_mov_b32_e32 v52, v36
	v_mov_b32_e32 v53, v37
	v_mov_b32_e32 v54, v30
	v_mov_b32_e32 v55, v31
	ds_write2_b64 v46, v[52:53], v[54:55] offset0:12 offset1:13
	v_mov_b32_e32 v52, v22
	v_mov_b32_e32 v53, v23
	;; [unrolled: 1-line block ×4, first 2 shown]
	ds_write2_b64 v46, v[52:53], v[54:55] offset0:14 offset1:15
	v_mov_b32_e32 v52, v34
	v_mov_b32_e32 v53, v35
	v_mov_b32_e32 v54, v28
	v_mov_b32_e32 v55, v29
	v_mov_b32_e32 v47, 11
	ds_write2_b64 v46, v[52:53], v[54:55] offset0:16 offset1:17
	ds_write_b64 v46, v[40:41] offset:144
.LBB36_197:
	s_or_b64 exec, exec, s[0:1]
	v_cmp_lt_i32_e32 vcc, 11, v47
	s_waitcnt lgkmcnt(0)
	s_barrier
	s_and_saveexec_b64 s[0:1], vcc
	s_cbranch_execz .LBB36_199
; %bb.198:
	ds_read2_b64 v[52:55], v46 offset0:12 offset1:13
	ds_read2_b64 v[56:59], v46 offset0:14 offset1:15
	v_mul_f64 v[8:9], v[42:43], v[8:9]
	ds_read2_b64 v[60:63], v46 offset0:16 offset1:17
	ds_read_b64 v[42:43], v46 offset:144
	s_waitcnt lgkmcnt(0)
	v_fma_f64 v[36:37], -v[8:9], v[52:53], v[36:37]
	v_fma_f64 v[30:31], -v[8:9], v[54:55], v[30:31]
	;; [unrolled: 1-line block ×7, first 2 shown]
.LBB36_199:
	s_or_b64 exec, exec, s[0:1]
	v_lshl_add_u32 v42, v47, 3, v46
	s_barrier
	ds_write_b64 v42, v[36:37]
	s_waitcnt lgkmcnt(0)
	s_barrier
	ds_read_b64 v[42:43], v46 offset:96
	s_cmp_lt_i32 s12, 14
	v_mov_b32_e32 v44, 12
	s_cbranch_scc1 .LBB36_202
; %bb.200:
	v_add_u32_e32 v51, 0x68, v46
	s_mov_b32 s0, 13
	v_mov_b32_e32 v44, 12
.LBB36_201:                             ; =>This Inner Loop Header: Depth=1
	ds_read_b64 v[52:53], v51
	v_mov_b32_e32 v54, s0
	s_add_i32 s0, s0, 1
	v_add_u32_e32 v51, 8, v51
	s_cmp_lg_u32 s12, s0
	s_waitcnt lgkmcnt(0)
	v_cmp_lt_f64_e64 vcc, |v[42:43]|, |v[52:53]|
	v_cndmask_b32_e32 v43, v43, v53, vcc
	v_cndmask_b32_e32 v42, v42, v52, vcc
	v_cndmask_b32_e32 v44, v44, v54, vcc
	s_cbranch_scc1 .LBB36_201
.LBB36_202:
	s_waitcnt lgkmcnt(0)
	v_cmp_eq_f64_e32 vcc, 0, v[42:43]
	s_and_saveexec_b64 s[0:1], vcc
	s_xor_b64 s[0:1], exec, s[0:1]
; %bb.203:
	v_cmp_ne_u32_e32 vcc, 0, v50
	v_cndmask_b32_e32 v50, 13, v50, vcc
; %bb.204:
	s_andn2_saveexec_b64 s[0:1], s[0:1]
; %bb.205:
	v_div_scale_f64 v[52:53], s[2:3], v[42:43], v[42:43], 1.0
	v_rcp_f64_e32 v[54:55], v[52:53]
	v_div_scale_f64 v[56:57], vcc, 1.0, v[42:43], 1.0
	v_fma_f64 v[58:59], -v[52:53], v[54:55], 1.0
	v_fmac_f64_e32 v[54:55], v[54:55], v[58:59]
	v_fma_f64 v[58:59], -v[52:53], v[54:55], 1.0
	v_fmac_f64_e32 v[54:55], v[54:55], v[58:59]
	v_mul_f64 v[58:59], v[56:57], v[54:55]
	v_fma_f64 v[52:53], -v[52:53], v[58:59], v[56:57]
	v_div_fmas_f64 v[52:53], v[52:53], v[54:55], v[58:59]
	v_div_fixup_f64 v[42:43], v[52:53], v[42:43], 1.0
; %bb.206:
	s_or_b64 exec, exec, s[0:1]
	v_cmp_ne_u32_e32 vcc, v47, v44
	s_and_saveexec_b64 s[0:1], vcc
	s_xor_b64 s[0:1], exec, s[0:1]
	s_cbranch_execz .LBB36_212
; %bb.207:
	v_cmp_eq_u32_e32 vcc, 12, v47
	s_and_saveexec_b64 s[2:3], vcc
	s_cbranch_execz .LBB36_211
; %bb.208:
	v_cmp_ne_u32_e32 vcc, 12, v44
	s_xor_b64 s[14:15], s[6:7], -1
	s_and_b64 s[16:17], s[14:15], vcc
	s_and_saveexec_b64 s[14:15], s[16:17]
	s_cbranch_execz .LBB36_210
; %bb.209:
	v_ashrrev_i32_e32 v45, 31, v44
	v_lshlrev_b64 v[52:53], 2, v[44:45]
	v_add_co_u32_e32 v52, vcc, v38, v52
	v_addc_co_u32_e32 v53, vcc, v39, v53, vcc
	flat_load_dword v45, v[52:53]
	flat_load_dword v47, v[38:39] offset:48
	s_waitcnt vmcnt(0) lgkmcnt(0)
	flat_store_dword v[38:39], v45 offset:48
	flat_store_dword v[52:53], v47
.LBB36_210:
	s_or_b64 exec, exec, s[14:15]
	v_mov_b32_e32 v45, v44
	v_mov_b32_e32 v47, v44
.LBB36_211:
	s_or_b64 exec, exec, s[2:3]
.LBB36_212:
	s_andn2_saveexec_b64 s[0:1], s[0:1]
	s_cbranch_execz .LBB36_214
; %bb.213:
	v_mov_b32_e32 v47, 12
	ds_write2_b64 v46, v[30:31], v[22:23] offset0:13 offset1:14
	ds_write2_b64 v46, v[14:15], v[34:35] offset0:15 offset1:16
	;; [unrolled: 1-line block ×3, first 2 shown]
.LBB36_214:
	s_or_b64 exec, exec, s[0:1]
	v_cmp_lt_i32_e32 vcc, 12, v47
	s_waitcnt lgkmcnt(0)
	s_barrier
	s_and_saveexec_b64 s[0:1], vcc
	s_cbranch_execz .LBB36_216
; %bb.215:
	ds_read2_b64 v[52:55], v46 offset0:13 offset1:14
	ds_read2_b64 v[56:59], v46 offset0:15 offset1:16
	;; [unrolled: 1-line block ×3, first 2 shown]
	v_mul_f64 v[36:37], v[42:43], v[36:37]
	s_waitcnt lgkmcnt(0)
	v_fma_f64 v[30:31], -v[36:37], v[52:53], v[30:31]
	v_fma_f64 v[22:23], -v[36:37], v[54:55], v[22:23]
	;; [unrolled: 1-line block ×6, first 2 shown]
.LBB36_216:
	s_or_b64 exec, exec, s[0:1]
	v_lshl_add_u32 v42, v47, 3, v46
	s_barrier
	ds_write_b64 v42, v[30:31]
	s_waitcnt lgkmcnt(0)
	s_barrier
	ds_read_b64 v[42:43], v46 offset:104
	s_cmp_lt_i32 s12, 15
	v_mov_b32_e32 v44, 13
	s_cbranch_scc1 .LBB36_219
; %bb.217:
	v_add_u32_e32 v51, 0x70, v46
	s_mov_b32 s0, 14
	v_mov_b32_e32 v44, 13
.LBB36_218:                             ; =>This Inner Loop Header: Depth=1
	ds_read_b64 v[52:53], v51
	v_mov_b32_e32 v54, s0
	s_add_i32 s0, s0, 1
	v_add_u32_e32 v51, 8, v51
	s_cmp_lg_u32 s12, s0
	s_waitcnt lgkmcnt(0)
	v_cmp_lt_f64_e64 vcc, |v[42:43]|, |v[52:53]|
	v_cndmask_b32_e32 v43, v43, v53, vcc
	v_cndmask_b32_e32 v42, v42, v52, vcc
	;; [unrolled: 1-line block ×3, first 2 shown]
	s_cbranch_scc1 .LBB36_218
.LBB36_219:
	s_waitcnt lgkmcnt(0)
	v_cmp_eq_f64_e32 vcc, 0, v[42:43]
	s_and_saveexec_b64 s[0:1], vcc
	s_xor_b64 s[0:1], exec, s[0:1]
; %bb.220:
	v_cmp_ne_u32_e32 vcc, 0, v50
	v_cndmask_b32_e32 v50, 14, v50, vcc
; %bb.221:
	s_andn2_saveexec_b64 s[0:1], s[0:1]
; %bb.222:
	v_div_scale_f64 v[52:53], s[2:3], v[42:43], v[42:43], 1.0
	v_rcp_f64_e32 v[54:55], v[52:53]
	v_div_scale_f64 v[56:57], vcc, 1.0, v[42:43], 1.0
	v_fma_f64 v[58:59], -v[52:53], v[54:55], 1.0
	v_fmac_f64_e32 v[54:55], v[54:55], v[58:59]
	v_fma_f64 v[58:59], -v[52:53], v[54:55], 1.0
	v_fmac_f64_e32 v[54:55], v[54:55], v[58:59]
	v_mul_f64 v[58:59], v[56:57], v[54:55]
	v_fma_f64 v[52:53], -v[52:53], v[58:59], v[56:57]
	v_div_fmas_f64 v[52:53], v[52:53], v[54:55], v[58:59]
	v_div_fixup_f64 v[42:43], v[52:53], v[42:43], 1.0
; %bb.223:
	s_or_b64 exec, exec, s[0:1]
	v_cmp_ne_u32_e32 vcc, v47, v44
	s_and_saveexec_b64 s[0:1], vcc
	s_xor_b64 s[0:1], exec, s[0:1]
	s_cbranch_execz .LBB36_229
; %bb.224:
	v_cmp_eq_u32_e32 vcc, 13, v47
	s_and_saveexec_b64 s[2:3], vcc
	s_cbranch_execz .LBB36_228
; %bb.225:
	v_cmp_ne_u32_e32 vcc, 13, v44
	s_xor_b64 s[14:15], s[6:7], -1
	s_and_b64 s[16:17], s[14:15], vcc
	s_and_saveexec_b64 s[14:15], s[16:17]
	s_cbranch_execz .LBB36_227
; %bb.226:
	v_ashrrev_i32_e32 v45, 31, v44
	v_lshlrev_b64 v[52:53], 2, v[44:45]
	v_add_co_u32_e32 v52, vcc, v38, v52
	v_addc_co_u32_e32 v53, vcc, v39, v53, vcc
	flat_load_dword v45, v[52:53]
	flat_load_dword v47, v[38:39] offset:52
	s_waitcnt vmcnt(0) lgkmcnt(0)
	flat_store_dword v[38:39], v45 offset:52
	flat_store_dword v[52:53], v47
.LBB36_227:
	s_or_b64 exec, exec, s[14:15]
	v_mov_b32_e32 v45, v44
	v_mov_b32_e32 v47, v44
.LBB36_228:
	s_or_b64 exec, exec, s[2:3]
.LBB36_229:
	s_andn2_saveexec_b64 s[0:1], s[0:1]
	s_cbranch_execz .LBB36_231
; %bb.230:
	v_mov_b32_e32 v52, v22
	v_mov_b32_e32 v53, v23
	;; [unrolled: 1-line block ×4, first 2 shown]
	ds_write2_b64 v46, v[52:53], v[54:55] offset0:14 offset1:15
	v_mov_b32_e32 v52, v34
	v_mov_b32_e32 v53, v35
	;; [unrolled: 1-line block ×5, first 2 shown]
	ds_write2_b64 v46, v[52:53], v[54:55] offset0:16 offset1:17
	ds_write_b64 v46, v[40:41] offset:144
.LBB36_231:
	s_or_b64 exec, exec, s[0:1]
	v_cmp_lt_i32_e32 vcc, 13, v47
	s_waitcnt lgkmcnt(0)
	s_barrier
	s_and_saveexec_b64 s[0:1], vcc
	s_cbranch_execz .LBB36_233
; %bb.232:
	ds_read2_b64 v[52:55], v46 offset0:14 offset1:15
	ds_read2_b64 v[56:59], v46 offset0:16 offset1:17
	v_mul_f64 v[30:31], v[42:43], v[30:31]
	ds_read_b64 v[42:43], v46 offset:144
	s_waitcnt lgkmcnt(0)
	v_fma_f64 v[22:23], -v[30:31], v[52:53], v[22:23]
	v_fma_f64 v[14:15], -v[30:31], v[54:55], v[14:15]
	;; [unrolled: 1-line block ×5, first 2 shown]
.LBB36_233:
	s_or_b64 exec, exec, s[0:1]
	v_lshl_add_u32 v42, v47, 3, v46
	s_barrier
	ds_write_b64 v42, v[22:23]
	s_waitcnt lgkmcnt(0)
	s_barrier
	ds_read_b64 v[42:43], v46 offset:112
	s_cmp_lt_i32 s12, 16
	v_mov_b32_e32 v44, 14
	s_cbranch_scc1 .LBB36_236
; %bb.234:
	v_add_u32_e32 v51, 0x78, v46
	s_mov_b32 s0, 15
	v_mov_b32_e32 v44, 14
.LBB36_235:                             ; =>This Inner Loop Header: Depth=1
	ds_read_b64 v[52:53], v51
	v_mov_b32_e32 v54, s0
	s_add_i32 s0, s0, 1
	v_add_u32_e32 v51, 8, v51
	s_cmp_lg_u32 s12, s0
	s_waitcnt lgkmcnt(0)
	v_cmp_lt_f64_e64 vcc, |v[42:43]|, |v[52:53]|
	v_cndmask_b32_e32 v43, v43, v53, vcc
	v_cndmask_b32_e32 v42, v42, v52, vcc
	;; [unrolled: 1-line block ×3, first 2 shown]
	s_cbranch_scc1 .LBB36_235
.LBB36_236:
	s_waitcnt lgkmcnt(0)
	v_cmp_eq_f64_e32 vcc, 0, v[42:43]
	s_and_saveexec_b64 s[0:1], vcc
	s_xor_b64 s[0:1], exec, s[0:1]
; %bb.237:
	v_cmp_ne_u32_e32 vcc, 0, v50
	v_cndmask_b32_e32 v50, 15, v50, vcc
; %bb.238:
	s_andn2_saveexec_b64 s[0:1], s[0:1]
; %bb.239:
	v_div_scale_f64 v[52:53], s[2:3], v[42:43], v[42:43], 1.0
	v_rcp_f64_e32 v[54:55], v[52:53]
	v_div_scale_f64 v[56:57], vcc, 1.0, v[42:43], 1.0
	v_fma_f64 v[58:59], -v[52:53], v[54:55], 1.0
	v_fmac_f64_e32 v[54:55], v[54:55], v[58:59]
	v_fma_f64 v[58:59], -v[52:53], v[54:55], 1.0
	v_fmac_f64_e32 v[54:55], v[54:55], v[58:59]
	v_mul_f64 v[58:59], v[56:57], v[54:55]
	v_fma_f64 v[52:53], -v[52:53], v[58:59], v[56:57]
	v_div_fmas_f64 v[52:53], v[52:53], v[54:55], v[58:59]
	v_div_fixup_f64 v[42:43], v[52:53], v[42:43], 1.0
; %bb.240:
	s_or_b64 exec, exec, s[0:1]
	v_cmp_ne_u32_e32 vcc, v47, v44
	s_and_saveexec_b64 s[0:1], vcc
	s_xor_b64 s[0:1], exec, s[0:1]
	s_cbranch_execz .LBB36_246
; %bb.241:
	v_cmp_eq_u32_e32 vcc, 14, v47
	s_and_saveexec_b64 s[2:3], vcc
	s_cbranch_execz .LBB36_245
; %bb.242:
	v_cmp_ne_u32_e32 vcc, 14, v44
	s_xor_b64 s[14:15], s[6:7], -1
	s_and_b64 s[16:17], s[14:15], vcc
	s_and_saveexec_b64 s[14:15], s[16:17]
	s_cbranch_execz .LBB36_244
; %bb.243:
	v_ashrrev_i32_e32 v45, 31, v44
	v_lshlrev_b64 v[52:53], 2, v[44:45]
	v_add_co_u32_e32 v52, vcc, v38, v52
	v_addc_co_u32_e32 v53, vcc, v39, v53, vcc
	flat_load_dword v45, v[52:53]
	flat_load_dword v47, v[38:39] offset:56
	s_waitcnt vmcnt(0) lgkmcnt(0)
	flat_store_dword v[38:39], v45 offset:56
	flat_store_dword v[52:53], v47
.LBB36_244:
	s_or_b64 exec, exec, s[14:15]
	v_mov_b32_e32 v45, v44
	v_mov_b32_e32 v47, v44
.LBB36_245:
	s_or_b64 exec, exec, s[2:3]
.LBB36_246:
	s_andn2_saveexec_b64 s[0:1], s[0:1]
	s_cbranch_execz .LBB36_248
; %bb.247:
	v_mov_b32_e32 v47, 14
	ds_write2_b64 v46, v[14:15], v[34:35] offset0:15 offset1:16
	ds_write2_b64 v46, v[28:29], v[40:41] offset0:17 offset1:18
.LBB36_248:
	s_or_b64 exec, exec, s[0:1]
	v_cmp_lt_i32_e32 vcc, 14, v47
	s_waitcnt lgkmcnt(0)
	s_barrier
	s_and_saveexec_b64 s[0:1], vcc
	s_cbranch_execz .LBB36_250
; %bb.249:
	ds_read2_b64 v[52:55], v46 offset0:15 offset1:16
	ds_read2_b64 v[56:59], v46 offset0:17 offset1:18
	v_mul_f64 v[22:23], v[42:43], v[22:23]
	s_waitcnt lgkmcnt(0)
	v_fma_f64 v[14:15], -v[22:23], v[52:53], v[14:15]
	v_fma_f64 v[34:35], -v[22:23], v[54:55], v[34:35]
	;; [unrolled: 1-line block ×4, first 2 shown]
.LBB36_250:
	s_or_b64 exec, exec, s[0:1]
	v_lshl_add_u32 v42, v47, 3, v46
	s_barrier
	ds_write_b64 v42, v[14:15]
	s_waitcnt lgkmcnt(0)
	s_barrier
	ds_read_b64 v[42:43], v46 offset:120
	s_cmp_lt_i32 s12, 17
	v_mov_b32_e32 v44, 15
	s_cbranch_scc1 .LBB36_253
; %bb.251:
	v_add_u32_e32 v51, 0x80, v46
	s_mov_b32 s0, 16
	v_mov_b32_e32 v44, 15
.LBB36_252:                             ; =>This Inner Loop Header: Depth=1
	ds_read_b64 v[52:53], v51
	v_mov_b32_e32 v54, s0
	s_add_i32 s0, s0, 1
	v_add_u32_e32 v51, 8, v51
	s_cmp_lg_u32 s12, s0
	s_waitcnt lgkmcnt(0)
	v_cmp_lt_f64_e64 vcc, |v[42:43]|, |v[52:53]|
	v_cndmask_b32_e32 v43, v43, v53, vcc
	v_cndmask_b32_e32 v42, v42, v52, vcc
	;; [unrolled: 1-line block ×3, first 2 shown]
	s_cbranch_scc1 .LBB36_252
.LBB36_253:
	s_waitcnt lgkmcnt(0)
	v_cmp_eq_f64_e32 vcc, 0, v[42:43]
	s_and_saveexec_b64 s[0:1], vcc
	s_xor_b64 s[0:1], exec, s[0:1]
; %bb.254:
	v_cmp_ne_u32_e32 vcc, 0, v50
	v_cndmask_b32_e32 v50, 16, v50, vcc
; %bb.255:
	s_andn2_saveexec_b64 s[0:1], s[0:1]
; %bb.256:
	v_div_scale_f64 v[52:53], s[2:3], v[42:43], v[42:43], 1.0
	v_rcp_f64_e32 v[54:55], v[52:53]
	v_div_scale_f64 v[56:57], vcc, 1.0, v[42:43], 1.0
	v_fma_f64 v[58:59], -v[52:53], v[54:55], 1.0
	v_fmac_f64_e32 v[54:55], v[54:55], v[58:59]
	v_fma_f64 v[58:59], -v[52:53], v[54:55], 1.0
	v_fmac_f64_e32 v[54:55], v[54:55], v[58:59]
	v_mul_f64 v[58:59], v[56:57], v[54:55]
	v_fma_f64 v[52:53], -v[52:53], v[58:59], v[56:57]
	v_div_fmas_f64 v[52:53], v[52:53], v[54:55], v[58:59]
	v_div_fixup_f64 v[42:43], v[52:53], v[42:43], 1.0
; %bb.257:
	s_or_b64 exec, exec, s[0:1]
	v_cmp_ne_u32_e32 vcc, v47, v44
	s_and_saveexec_b64 s[0:1], vcc
	s_xor_b64 s[0:1], exec, s[0:1]
	s_cbranch_execz .LBB36_263
; %bb.258:
	v_cmp_eq_u32_e32 vcc, 15, v47
	s_and_saveexec_b64 s[2:3], vcc
	s_cbranch_execz .LBB36_262
; %bb.259:
	v_cmp_ne_u32_e32 vcc, 15, v44
	s_xor_b64 s[14:15], s[6:7], -1
	s_and_b64 s[16:17], s[14:15], vcc
	s_and_saveexec_b64 s[14:15], s[16:17]
	s_cbranch_execz .LBB36_261
; %bb.260:
	v_ashrrev_i32_e32 v45, 31, v44
	v_lshlrev_b64 v[52:53], 2, v[44:45]
	v_add_co_u32_e32 v52, vcc, v38, v52
	v_addc_co_u32_e32 v53, vcc, v39, v53, vcc
	flat_load_dword v45, v[52:53]
	flat_load_dword v47, v[38:39] offset:60
	s_waitcnt vmcnt(0) lgkmcnt(0)
	flat_store_dword v[38:39], v45 offset:60
	flat_store_dword v[52:53], v47
.LBB36_261:
	s_or_b64 exec, exec, s[14:15]
	v_mov_b32_e32 v45, v44
	v_mov_b32_e32 v47, v44
.LBB36_262:
	s_or_b64 exec, exec, s[2:3]
.LBB36_263:
	s_andn2_saveexec_b64 s[0:1], s[0:1]
	s_cbranch_execz .LBB36_265
; %bb.264:
	v_mov_b32_e32 v52, v34
	v_mov_b32_e32 v53, v35
	;; [unrolled: 1-line block ×5, first 2 shown]
	ds_write2_b64 v46, v[52:53], v[54:55] offset0:16 offset1:17
	ds_write_b64 v46, v[40:41] offset:144
.LBB36_265:
	s_or_b64 exec, exec, s[0:1]
	v_cmp_lt_i32_e32 vcc, 15, v47
	s_waitcnt lgkmcnt(0)
	s_barrier
	s_and_saveexec_b64 s[0:1], vcc
	s_cbranch_execz .LBB36_267
; %bb.266:
	ds_read2_b64 v[52:55], v46 offset0:16 offset1:17
	ds_read_b64 v[56:57], v46 offset:144
	v_mul_f64 v[14:15], v[42:43], v[14:15]
	s_waitcnt lgkmcnt(0)
	v_fma_f64 v[34:35], -v[14:15], v[52:53], v[34:35]
	v_fma_f64 v[28:29], -v[14:15], v[54:55], v[28:29]
	;; [unrolled: 1-line block ×3, first 2 shown]
.LBB36_267:
	s_or_b64 exec, exec, s[0:1]
	v_lshl_add_u32 v42, v47, 3, v46
	s_barrier
	ds_write_b64 v42, v[34:35]
	s_waitcnt lgkmcnt(0)
	s_barrier
	ds_read_b64 v[42:43], v46 offset:128
	s_cmp_lt_i32 s12, 18
	v_mov_b32_e32 v44, 16
	s_cbranch_scc1 .LBB36_270
; %bb.268:
	v_add_u32_e32 v51, 0x88, v46
	s_mov_b32 s0, 17
	v_mov_b32_e32 v44, 16
.LBB36_269:                             ; =>This Inner Loop Header: Depth=1
	ds_read_b64 v[52:53], v51
	v_mov_b32_e32 v54, s0
	s_add_i32 s0, s0, 1
	v_add_u32_e32 v51, 8, v51
	s_cmp_lg_u32 s12, s0
	s_waitcnt lgkmcnt(0)
	v_cmp_lt_f64_e64 vcc, |v[42:43]|, |v[52:53]|
	v_cndmask_b32_e32 v43, v43, v53, vcc
	v_cndmask_b32_e32 v42, v42, v52, vcc
	;; [unrolled: 1-line block ×3, first 2 shown]
	s_cbranch_scc1 .LBB36_269
.LBB36_270:
	s_waitcnt lgkmcnt(0)
	v_cmp_eq_f64_e32 vcc, 0, v[42:43]
	s_and_saveexec_b64 s[0:1], vcc
	s_xor_b64 s[0:1], exec, s[0:1]
; %bb.271:
	v_cmp_ne_u32_e32 vcc, 0, v50
	v_cndmask_b32_e32 v50, 17, v50, vcc
; %bb.272:
	s_andn2_saveexec_b64 s[0:1], s[0:1]
; %bb.273:
	v_div_scale_f64 v[52:53], s[2:3], v[42:43], v[42:43], 1.0
	v_rcp_f64_e32 v[54:55], v[52:53]
	v_div_scale_f64 v[56:57], vcc, 1.0, v[42:43], 1.0
	v_fma_f64 v[58:59], -v[52:53], v[54:55], 1.0
	v_fmac_f64_e32 v[54:55], v[54:55], v[58:59]
	v_fma_f64 v[58:59], -v[52:53], v[54:55], 1.0
	v_fmac_f64_e32 v[54:55], v[54:55], v[58:59]
	v_mul_f64 v[58:59], v[56:57], v[54:55]
	v_fma_f64 v[52:53], -v[52:53], v[58:59], v[56:57]
	v_div_fmas_f64 v[52:53], v[52:53], v[54:55], v[58:59]
	v_div_fixup_f64 v[42:43], v[52:53], v[42:43], 1.0
; %bb.274:
	s_or_b64 exec, exec, s[0:1]
	v_cmp_ne_u32_e32 vcc, v47, v44
	s_and_saveexec_b64 s[0:1], vcc
	s_xor_b64 s[0:1], exec, s[0:1]
	s_cbranch_execz .LBB36_280
; %bb.275:
	v_cmp_eq_u32_e32 vcc, 16, v47
	s_and_saveexec_b64 s[2:3], vcc
	s_cbranch_execz .LBB36_279
; %bb.276:
	v_cmp_ne_u32_e32 vcc, 16, v44
	s_xor_b64 s[14:15], s[6:7], -1
	s_and_b64 s[16:17], s[14:15], vcc
	s_and_saveexec_b64 s[14:15], s[16:17]
	s_cbranch_execz .LBB36_278
; %bb.277:
	v_ashrrev_i32_e32 v45, 31, v44
	v_lshlrev_b64 v[52:53], 2, v[44:45]
	v_add_co_u32_e32 v52, vcc, v38, v52
	v_addc_co_u32_e32 v53, vcc, v39, v53, vcc
	flat_load_dword v45, v[52:53]
	flat_load_dword v47, v[38:39] offset:64
	s_waitcnt vmcnt(0) lgkmcnt(0)
	flat_store_dword v[38:39], v45 offset:64
	flat_store_dword v[52:53], v47
.LBB36_278:
	s_or_b64 exec, exec, s[14:15]
	v_mov_b32_e32 v45, v44
	v_mov_b32_e32 v47, v44
.LBB36_279:
	s_or_b64 exec, exec, s[2:3]
.LBB36_280:
	s_andn2_saveexec_b64 s[0:1], s[0:1]
	s_cbranch_execz .LBB36_282
; %bb.281:
	v_mov_b32_e32 v47, 16
	ds_write2_b64 v46, v[28:29], v[40:41] offset0:17 offset1:18
.LBB36_282:
	s_or_b64 exec, exec, s[0:1]
	v_cmp_lt_i32_e32 vcc, 16, v47
	s_waitcnt lgkmcnt(0)
	s_barrier
	s_and_saveexec_b64 s[0:1], vcc
	s_cbranch_execz .LBB36_284
; %bb.283:
	ds_read2_b64 v[52:55], v46 offset0:17 offset1:18
	v_mul_f64 v[34:35], v[42:43], v[34:35]
	s_waitcnt lgkmcnt(0)
	v_fma_f64 v[28:29], -v[34:35], v[52:53], v[28:29]
	v_fma_f64 v[40:41], -v[34:35], v[54:55], v[40:41]
.LBB36_284:
	s_or_b64 exec, exec, s[0:1]
	v_lshl_add_u32 v42, v47, 3, v46
	s_barrier
	ds_write_b64 v42, v[28:29]
	s_waitcnt lgkmcnt(0)
	s_barrier
	ds_read_b64 v[42:43], v46 offset:136
	s_cmp_lt_i32 s12, 19
	v_mov_b32_e32 v44, 17
	s_cbranch_scc1 .LBB36_287
; %bb.285:
	v_add_u32_e32 v51, 0x90, v46
	s_mov_b32 s0, 18
	v_mov_b32_e32 v44, 17
.LBB36_286:                             ; =>This Inner Loop Header: Depth=1
	ds_read_b64 v[52:53], v51
	v_mov_b32_e32 v54, s0
	s_add_i32 s0, s0, 1
	v_add_u32_e32 v51, 8, v51
	s_cmp_lg_u32 s12, s0
	s_waitcnt lgkmcnt(0)
	v_cmp_lt_f64_e64 vcc, |v[42:43]|, |v[52:53]|
	v_cndmask_b32_e32 v43, v43, v53, vcc
	v_cndmask_b32_e32 v42, v42, v52, vcc
	;; [unrolled: 1-line block ×3, first 2 shown]
	s_cbranch_scc1 .LBB36_286
.LBB36_287:
	s_waitcnt lgkmcnt(0)
	v_cmp_eq_f64_e32 vcc, 0, v[42:43]
	s_and_saveexec_b64 s[0:1], vcc
	s_xor_b64 s[0:1], exec, s[0:1]
; %bb.288:
	v_cmp_ne_u32_e32 vcc, 0, v50
	v_cndmask_b32_e32 v50, 18, v50, vcc
; %bb.289:
	s_andn2_saveexec_b64 s[0:1], s[0:1]
; %bb.290:
	v_div_scale_f64 v[52:53], s[2:3], v[42:43], v[42:43], 1.0
	v_rcp_f64_e32 v[54:55], v[52:53]
	v_div_scale_f64 v[56:57], vcc, 1.0, v[42:43], 1.0
	v_fma_f64 v[58:59], -v[52:53], v[54:55], 1.0
	v_fmac_f64_e32 v[54:55], v[54:55], v[58:59]
	v_fma_f64 v[58:59], -v[52:53], v[54:55], 1.0
	v_fmac_f64_e32 v[54:55], v[54:55], v[58:59]
	v_mul_f64 v[58:59], v[56:57], v[54:55]
	v_fma_f64 v[52:53], -v[52:53], v[58:59], v[56:57]
	v_div_fmas_f64 v[52:53], v[52:53], v[54:55], v[58:59]
	v_div_fixup_f64 v[42:43], v[52:53], v[42:43], 1.0
; %bb.291:
	s_or_b64 exec, exec, s[0:1]
	v_cmp_ne_u32_e32 vcc, v47, v44
	s_and_saveexec_b64 s[0:1], vcc
	s_xor_b64 s[0:1], exec, s[0:1]
	s_cbranch_execz .LBB36_297
; %bb.292:
	v_cmp_eq_u32_e32 vcc, 17, v47
	s_and_saveexec_b64 s[2:3], vcc
	s_cbranch_execz .LBB36_296
; %bb.293:
	v_cmp_ne_u32_e32 vcc, 17, v44
	s_xor_b64 s[14:15], s[6:7], -1
	s_and_b64 s[16:17], s[14:15], vcc
	s_and_saveexec_b64 s[14:15], s[16:17]
	s_cbranch_execz .LBB36_295
; %bb.294:
	v_ashrrev_i32_e32 v45, 31, v44
	v_lshlrev_b64 v[52:53], 2, v[44:45]
	v_add_co_u32_e32 v52, vcc, v38, v52
	v_addc_co_u32_e32 v53, vcc, v39, v53, vcc
	flat_load_dword v45, v[52:53]
	flat_load_dword v47, v[38:39] offset:68
	s_waitcnt vmcnt(0) lgkmcnt(0)
	flat_store_dword v[38:39], v45 offset:68
	flat_store_dword v[52:53], v47
.LBB36_295:
	s_or_b64 exec, exec, s[14:15]
	v_mov_b32_e32 v45, v44
	v_mov_b32_e32 v47, v44
.LBB36_296:
	s_or_b64 exec, exec, s[2:3]
.LBB36_297:
	s_andn2_saveexec_b64 s[0:1], s[0:1]
	s_cbranch_execz .LBB36_299
; %bb.298:
	v_mov_b32_e32 v47, 17
	ds_write_b64 v46, v[40:41] offset:144
.LBB36_299:
	s_or_b64 exec, exec, s[0:1]
	v_cmp_lt_i32_e32 vcc, 17, v47
	s_waitcnt lgkmcnt(0)
	s_barrier
	s_and_saveexec_b64 s[0:1], vcc
	s_cbranch_execz .LBB36_301
; %bb.300:
	ds_read_b64 v[52:53], v46 offset:144
	v_mul_f64 v[28:29], v[42:43], v[28:29]
	s_waitcnt lgkmcnt(0)
	v_fma_f64 v[40:41], -v[28:29], v[52:53], v[40:41]
.LBB36_301:
	s_or_b64 exec, exec, s[0:1]
	v_lshl_add_u32 v42, v47, 3, v46
	s_barrier
	ds_write_b64 v42, v[40:41]
	s_waitcnt lgkmcnt(0)
	s_barrier
	ds_read_b64 v[42:43], v46 offset:144
	s_cmp_lt_i32 s12, 20
	v_mov_b32_e32 v44, 18
	s_cbranch_scc1 .LBB36_304
; %bb.302:
	v_add_u32_e32 v46, 0x98, v46
	s_mov_b32 s0, 19
	v_mov_b32_e32 v44, 18
.LBB36_303:                             ; =>This Inner Loop Header: Depth=1
	ds_read_b64 v[52:53], v46
	v_mov_b32_e32 v51, s0
	s_add_i32 s0, s0, 1
	v_add_u32_e32 v46, 8, v46
	s_cmp_lg_u32 s12, s0
	s_waitcnt lgkmcnt(0)
	v_cmp_lt_f64_e64 vcc, |v[42:43]|, |v[52:53]|
	v_cndmask_b32_e32 v43, v43, v53, vcc
	v_cndmask_b32_e32 v42, v42, v52, vcc
	;; [unrolled: 1-line block ×3, first 2 shown]
	s_cbranch_scc1 .LBB36_303
.LBB36_304:
	s_waitcnt lgkmcnt(0)
	v_cmp_eq_f64_e32 vcc, 0, v[42:43]
	s_and_saveexec_b64 s[0:1], vcc
	s_xor_b64 s[0:1], exec, s[0:1]
; %bb.305:
	v_cmp_ne_u32_e32 vcc, 0, v50
	v_cndmask_b32_e32 v50, 19, v50, vcc
; %bb.306:
	s_andn2_saveexec_b64 s[0:1], s[0:1]
; %bb.307:
	v_div_scale_f64 v[52:53], s[2:3], v[42:43], v[42:43], 1.0
	v_rcp_f64_e32 v[54:55], v[52:53]
	v_div_scale_f64 v[56:57], vcc, 1.0, v[42:43], 1.0
	v_fma_f64 v[58:59], -v[52:53], v[54:55], 1.0
	v_fmac_f64_e32 v[54:55], v[54:55], v[58:59]
	v_fma_f64 v[58:59], -v[52:53], v[54:55], 1.0
	v_fmac_f64_e32 v[54:55], v[54:55], v[58:59]
	v_mul_f64 v[58:59], v[56:57], v[54:55]
	v_fma_f64 v[52:53], -v[52:53], v[58:59], v[56:57]
	v_div_fmas_f64 v[52:53], v[52:53], v[54:55], v[58:59]
	v_div_fixup_f64 v[42:43], v[52:53], v[42:43], 1.0
; %bb.308:
	s_or_b64 exec, exec, s[0:1]
	v_cmp_ne_u32_e32 vcc, v47, v44
	v_mov_b32_e32 v46, 18
	s_and_saveexec_b64 s[0:1], vcc
	s_cbranch_execz .LBB36_314
; %bb.309:
	v_cmp_eq_u32_e32 vcc, 18, v47
	s_and_saveexec_b64 s[2:3], vcc
	s_cbranch_execz .LBB36_313
; %bb.310:
	v_cmp_ne_u32_e32 vcc, 18, v44
	s_xor_b64 s[6:7], s[6:7], -1
	s_and_b64 s[14:15], s[6:7], vcc
	s_and_saveexec_b64 s[6:7], s[14:15]
	s_cbranch_execz .LBB36_312
; %bb.311:
	v_ashrrev_i32_e32 v45, 31, v44
	v_lshlrev_b64 v[46:47], 2, v[44:45]
	v_add_co_u32_e32 v46, vcc, v38, v46
	v_addc_co_u32_e32 v47, vcc, v39, v47, vcc
	flat_load_dword v45, v[46:47]
	flat_load_dword v51, v[38:39] offset:72
	s_waitcnt vmcnt(0) lgkmcnt(0)
	flat_store_dword v[38:39], v45 offset:72
	flat_store_dword v[46:47], v51
.LBB36_312:
	s_or_b64 exec, exec, s[6:7]
	v_mov_b32_e32 v45, v44
	v_mov_b32_e32 v47, v44
.LBB36_313:
	s_or_b64 exec, exec, s[2:3]
	v_mov_b32_e32 v46, v47
.LBB36_314:
	s_or_b64 exec, exec, s[0:1]
	s_load_dwordx8 s[0:7], s[4:5], 0x28
	v_cmp_gt_i32_e32 vcc, 19, v46
	v_ashrrev_i32_e32 v47, 31, v46
	s_waitcnt lgkmcnt(0)
	s_barrier
	s_barrier
	s_and_saveexec_b64 s[14:15], vcc
	s_cbranch_execz .LBB36_316
; %bb.315:
	v_mul_lo_u32 v44, v3, s4
	v_mul_lo_u32 v51, v2, s5
	v_mad_u64_u32 v[38:39], s[4:5], v2, s4, 0
	s_lshl_b64 s[2:3], s[2:3], 2
	v_add3_u32 v39, v39, v51, v44
	s_add_u32 s0, s2, s0
	v_lshlrev_b64 v[38:39], 2, v[38:39]
	s_addc_u32 s1, s3, s1
	v_mov_b32_e32 v44, s1
	v_add_co_u32_e32 v51, vcc, s0, v38
	v_addc_co_u32_e32 v44, vcc, v44, v39, vcc
	v_lshlrev_b64 v[38:39], 2, v[46:47]
	v_add_co_u32_e32 v38, vcc, v51, v38
	v_addc_co_u32_e32 v39, vcc, v44, v39, vcc
	v_add3_u32 v44, v45, s13, 1
	global_store_dword v[38:39], v44, off
.LBB36_316:
	s_or_b64 exec, exec, s[14:15]
	v_cmp_eq_u32_e32 vcc, 0, v46
	s_and_saveexec_b64 s[2:3], vcc
	s_cbranch_execz .LBB36_319
; %bb.317:
	v_lshlrev_b64 v[2:3], 2, v[2:3]
	v_mov_b32_e32 v38, s7
	v_add_co_u32_e32 v2, vcc, s6, v2
	v_addc_co_u32_e32 v3, vcc, v38, v3, vcc
	global_load_dword v38, v[2:3], off
	v_cmp_lt_i32_e64 s[0:1], 0, v50
	s_waitcnt vmcnt(0)
	v_cmp_eq_u32_e32 vcc, 0, v38
	s_and_b64 s[0:1], vcc, s[0:1]
	s_and_b64 exec, exec, s[0:1]
	s_cbranch_execz .LBB36_319
; %bb.318:
	v_add_u32_e32 v38, s13, v50
	global_store_dword v[2:3], v38, off
.LBB36_319:
	s_or_b64 exec, exec, s[2:3]
	v_mul_f64 v[2:3], v[42:43], v[40:41]
	v_cmp_lt_i32_e32 vcc, 18, v46
	v_lshlrev_b64 v[38:39], 3, v[46:47]
	v_cndmask_b32_e32 v3, v41, v3, vcc
	v_cndmask_b32_e32 v2, v40, v2, vcc
	v_add_co_u32_e32 v38, vcc, v48, v38
	v_addc_co_u32_e32 v39, vcc, v49, v39, vcc
	global_store_dwordx2 v[38:39], v[18:19], off
	v_mov_b32_e32 v19, s11
	v_add_co_u32_e32 v18, vcc, s10, v38
	v_addc_co_u32_e32 v19, vcc, v39, v19, vcc
	global_store_dwordx2 v[18:19], v[12:13], off
	v_add_u32_e32 v12, s9, v46
	v_ashrrev_i32_e32 v13, 31, v12
	v_lshlrev_b64 v[18:19], 3, v[12:13]
	v_add_co_u32_e32 v18, vcc, v48, v18
	v_addc_co_u32_e32 v19, vcc, v49, v19, vcc
	global_store_dwordx2 v[18:19], v[6:7], off
	v_add_u32_e32 v6, s8, v12
	v_ashrrev_i32_e32 v7, 31, v6
	v_lshlrev_b64 v[12:13], 3, v[6:7]
	;; [unrolled: 6-line block ×3, first 2 shown]
	v_add_co_u32_e32 v6, vcc, v48, v6
	v_add_u32_e32 v0, s8, v0
	v_addc_co_u32_e32 v7, vcc, v49, v7, vcc
	v_ashrrev_i32_e32 v1, 31, v0
	global_store_dwordx2 v[6:7], v[26:27], off
	v_lshlrev_b64 v[6:7], 3, v[0:1]
	v_add_co_u32_e32 v6, vcc, v48, v6
	v_add_u32_e32 v0, s8, v0
	v_addc_co_u32_e32 v7, vcc, v49, v7, vcc
	v_ashrrev_i32_e32 v1, 31, v0
	global_store_dwordx2 v[6:7], v[20:21], off
	v_lshlrev_b64 v[6:7], 3, v[0:1]
	v_add_co_u32_e32 v6, vcc, v48, v6
	v_add_u32_e32 v0, s8, v0
	v_addc_co_u32_e32 v7, vcc, v49, v7, vcc
	v_ashrrev_i32_e32 v1, 31, v0
	global_store_dwordx2 v[6:7], v[10:11], off
	v_lshlrev_b64 v[6:7], 3, v[0:1]
	v_add_co_u32_e32 v6, vcc, v48, v6
	v_add_u32_e32 v0, s8, v0
	v_addc_co_u32_e32 v7, vcc, v49, v7, vcc
	v_ashrrev_i32_e32 v1, 31, v0
	global_store_dwordx2 v[6:7], v[4:5], off
	v_lshlrev_b64 v[4:5], 3, v[0:1]
	v_add_co_u32_e32 v4, vcc, v48, v4
	v_add_u32_e32 v0, s8, v0
	v_addc_co_u32_e32 v5, vcc, v49, v5, vcc
	v_ashrrev_i32_e32 v1, 31, v0
	global_store_dwordx2 v[4:5], v[32:33], off
	v_lshlrev_b64 v[4:5], 3, v[0:1]
	v_add_co_u32_e32 v4, vcc, v48, v4
	v_add_u32_e32 v0, s8, v0
	v_addc_co_u32_e32 v5, vcc, v49, v5, vcc
	v_ashrrev_i32_e32 v1, 31, v0
	global_store_dwordx2 v[4:5], v[24:25], off
	v_lshlrev_b64 v[4:5], 3, v[0:1]
	v_add_co_u32_e32 v4, vcc, v48, v4
	v_add_u32_e32 v0, s8, v0
	v_addc_co_u32_e32 v5, vcc, v49, v5, vcc
	v_ashrrev_i32_e32 v1, 31, v0
	global_store_dwordx2 v[4:5], v[16:17], off
	v_lshlrev_b64 v[4:5], 3, v[0:1]
	v_add_co_u32_e32 v4, vcc, v48, v4
	v_add_u32_e32 v0, s8, v0
	v_addc_co_u32_e32 v5, vcc, v49, v5, vcc
	v_ashrrev_i32_e32 v1, 31, v0
	global_store_dwordx2 v[4:5], v[8:9], off
	v_lshlrev_b64 v[4:5], 3, v[0:1]
	v_add_co_u32_e32 v4, vcc, v48, v4
	v_add_u32_e32 v0, s8, v0
	v_addc_co_u32_e32 v5, vcc, v49, v5, vcc
	v_ashrrev_i32_e32 v1, 31, v0
	global_store_dwordx2 v[4:5], v[36:37], off
	v_lshlrev_b64 v[4:5], 3, v[0:1]
	v_add_co_u32_e32 v4, vcc, v48, v4
	v_add_u32_e32 v0, s8, v0
	v_addc_co_u32_e32 v5, vcc, v49, v5, vcc
	v_ashrrev_i32_e32 v1, 31, v0
	global_store_dwordx2 v[4:5], v[30:31], off
	v_lshlrev_b64 v[4:5], 3, v[0:1]
	v_add_co_u32_e32 v4, vcc, v48, v4
	v_add_u32_e32 v0, s8, v0
	v_addc_co_u32_e32 v5, vcc, v49, v5, vcc
	v_ashrrev_i32_e32 v1, 31, v0
	global_store_dwordx2 v[4:5], v[22:23], off
	v_lshlrev_b64 v[4:5], 3, v[0:1]
	v_add_co_u32_e32 v4, vcc, v48, v4
	v_add_u32_e32 v0, s8, v0
	v_addc_co_u32_e32 v5, vcc, v49, v5, vcc
	v_ashrrev_i32_e32 v1, 31, v0
	global_store_dwordx2 v[4:5], v[14:15], off
	v_lshlrev_b64 v[4:5], 3, v[0:1]
	v_add_co_u32_e32 v4, vcc, v48, v4
	v_add_u32_e32 v0, s8, v0
	v_addc_co_u32_e32 v5, vcc, v49, v5, vcc
	v_ashrrev_i32_e32 v1, 31, v0
	global_store_dwordx2 v[4:5], v[34:35], off
	v_lshlrev_b64 v[4:5], 3, v[0:1]
	v_add_u32_e32 v0, s8, v0
	v_add_co_u32_e32 v4, vcc, v48, v4
	v_ashrrev_i32_e32 v1, 31, v0
	v_addc_co_u32_e32 v5, vcc, v49, v5, vcc
	v_lshlrev_b64 v[0:1], 3, v[0:1]
	v_add_co_u32_e32 v0, vcc, v48, v0
	v_addc_co_u32_e32 v1, vcc, v49, v1, vcc
	global_store_dwordx2 v[4:5], v[28:29], off
	global_store_dwordx2 v[0:1], v[2:3], off
.LBB36_320:
	s_endpgm
	.section	.rodata,"a",@progbits
	.p2align	6, 0x0
	.amdhsa_kernel _ZN9rocsolver6v33100L18getf2_small_kernelILi19EdiiPKPdEEvT1_T3_lS5_lPS5_llPT2_S5_S5_S7_l
		.amdhsa_group_segment_fixed_size 0
		.amdhsa_private_segment_fixed_size 0
		.amdhsa_kernarg_size 352
		.amdhsa_user_sgpr_count 6
		.amdhsa_user_sgpr_private_segment_buffer 1
		.amdhsa_user_sgpr_dispatch_ptr 0
		.amdhsa_user_sgpr_queue_ptr 0
		.amdhsa_user_sgpr_kernarg_segment_ptr 1
		.amdhsa_user_sgpr_dispatch_id 0
		.amdhsa_user_sgpr_flat_scratch_init 0
		.amdhsa_user_sgpr_kernarg_preload_length 0
		.amdhsa_user_sgpr_kernarg_preload_offset 0
		.amdhsa_user_sgpr_private_segment_size 0
		.amdhsa_uses_dynamic_stack 0
		.amdhsa_system_sgpr_private_segment_wavefront_offset 0
		.amdhsa_system_sgpr_workgroup_id_x 1
		.amdhsa_system_sgpr_workgroup_id_y 1
		.amdhsa_system_sgpr_workgroup_id_z 0
		.amdhsa_system_sgpr_workgroup_info 0
		.amdhsa_system_vgpr_workitem_id 1
		.amdhsa_next_free_vgpr 64
		.amdhsa_next_free_sgpr 20
		.amdhsa_accum_offset 64
		.amdhsa_reserve_vcc 1
		.amdhsa_reserve_flat_scratch 0
		.amdhsa_float_round_mode_32 0
		.amdhsa_float_round_mode_16_64 0
		.amdhsa_float_denorm_mode_32 3
		.amdhsa_float_denorm_mode_16_64 3
		.amdhsa_dx10_clamp 1
		.amdhsa_ieee_mode 1
		.amdhsa_fp16_overflow 0
		.amdhsa_tg_split 0
		.amdhsa_exception_fp_ieee_invalid_op 0
		.amdhsa_exception_fp_denorm_src 0
		.amdhsa_exception_fp_ieee_div_zero 0
		.amdhsa_exception_fp_ieee_overflow 0
		.amdhsa_exception_fp_ieee_underflow 0
		.amdhsa_exception_fp_ieee_inexact 0
		.amdhsa_exception_int_div_zero 0
	.end_amdhsa_kernel
	.section	.text._ZN9rocsolver6v33100L18getf2_small_kernelILi19EdiiPKPdEEvT1_T3_lS5_lPS5_llPT2_S5_S5_S7_l,"axG",@progbits,_ZN9rocsolver6v33100L18getf2_small_kernelILi19EdiiPKPdEEvT1_T3_lS5_lPS5_llPT2_S5_S5_S7_l,comdat
.Lfunc_end36:
	.size	_ZN9rocsolver6v33100L18getf2_small_kernelILi19EdiiPKPdEEvT1_T3_lS5_lPS5_llPT2_S5_S5_S7_l, .Lfunc_end36-_ZN9rocsolver6v33100L18getf2_small_kernelILi19EdiiPKPdEEvT1_T3_lS5_lPS5_llPT2_S5_S5_S7_l
                                        ; -- End function
	.section	.AMDGPU.csdata,"",@progbits
; Kernel info:
; codeLenInByte = 12648
; NumSgprs: 24
; NumVgprs: 64
; NumAgprs: 0
; TotalNumVgprs: 64
; ScratchSize: 0
; MemoryBound: 0
; FloatMode: 240
; IeeeMode: 1
; LDSByteSize: 0 bytes/workgroup (compile time only)
; SGPRBlocks: 2
; VGPRBlocks: 7
; NumSGPRsForWavesPerEU: 24
; NumVGPRsForWavesPerEU: 64
; AccumOffset: 64
; Occupancy: 8
; WaveLimiterHint : 1
; COMPUTE_PGM_RSRC2:SCRATCH_EN: 0
; COMPUTE_PGM_RSRC2:USER_SGPR: 6
; COMPUTE_PGM_RSRC2:TRAP_HANDLER: 0
; COMPUTE_PGM_RSRC2:TGID_X_EN: 1
; COMPUTE_PGM_RSRC2:TGID_Y_EN: 1
; COMPUTE_PGM_RSRC2:TGID_Z_EN: 0
; COMPUTE_PGM_RSRC2:TIDIG_COMP_CNT: 1
; COMPUTE_PGM_RSRC3_GFX90A:ACCUM_OFFSET: 15
; COMPUTE_PGM_RSRC3_GFX90A:TG_SPLIT: 0
	.section	.text._ZN9rocsolver6v33100L23getf2_npvt_small_kernelILi19EdiiPKPdEEvT1_T3_lS5_lPT2_S5_S5_,"axG",@progbits,_ZN9rocsolver6v33100L23getf2_npvt_small_kernelILi19EdiiPKPdEEvT1_T3_lS5_lPT2_S5_S5_,comdat
	.globl	_ZN9rocsolver6v33100L23getf2_npvt_small_kernelILi19EdiiPKPdEEvT1_T3_lS5_lPT2_S5_S5_ ; -- Begin function _ZN9rocsolver6v33100L23getf2_npvt_small_kernelILi19EdiiPKPdEEvT1_T3_lS5_lPT2_S5_S5_
	.p2align	8
	.type	_ZN9rocsolver6v33100L23getf2_npvt_small_kernelILi19EdiiPKPdEEvT1_T3_lS5_lPT2_S5_S5_,@function
_ZN9rocsolver6v33100L23getf2_npvt_small_kernelILi19EdiiPKPdEEvT1_T3_lS5_lPT2_S5_S5_: ; @_ZN9rocsolver6v33100L23getf2_npvt_small_kernelILi19EdiiPKPdEEvT1_T3_lS5_lPT2_S5_S5_
; %bb.0:
	s_load_dword s0, s[4:5], 0x44
	s_load_dwordx2 s[38:39], s[4:5], 0x30
	v_bfe_u32 v78, v0, 10, 10
	s_waitcnt lgkmcnt(0)
	s_lshr_b32 s8, s0, 16
	s_mul_i32 s7, s7, s8
	v_add_u32_e32 v2, s7, v78
	v_cmp_gt_i32_e32 vcc, s38, v2
	s_and_saveexec_b64 s[0:1], vcc
	s_cbranch_execz .LBB37_98
; %bb.1:
	s_load_dwordx4 s[12:15], s[4:5], 0x8
	s_load_dword s0, s[4:5], 0x18
	v_ashrrev_i32_e32 v3, 31, v2
	v_lshlrev_b64 v[4:5], 3, v[2:3]
	v_and_b32_e32 v116, 0x3ff, v0
	s_waitcnt lgkmcnt(0)
	v_mov_b32_e32 v1, s13
	v_add_co_u32_e32 v4, vcc, s12, v4
	v_addc_co_u32_e32 v5, vcc, v1, v5, vcc
	global_load_dwordx2 v[4:5], v[4:5], off
	s_add_i32 s9, s0, s0
	v_add_u32_e32 v0, s9, v116
	v_ashrrev_i32_e32 v1, 31, v0
	v_add_u32_e32 v6, s0, v0
	v_lshlrev_b64 v[8:9], 3, v[0:1]
	v_add_u32_e32 v0, s0, v6
	v_ashrrev_i32_e32 v1, 31, v0
	v_add_u32_e32 v10, s0, v0
	v_lshlrev_b64 v[12:13], 3, v[0:1]
	v_add_u32_e32 v0, s0, v10
	s_lshl_b64 s[6:7], s[14:15], 3
	v_ashrrev_i32_e32 v1, 31, v0
	v_add_u32_e32 v14, s0, v0
	v_mov_b32_e32 v23, s7
	v_lshlrev_b64 v[16:17], 3, v[0:1]
	v_add_u32_e32 v0, s0, v14
	v_lshlrev_b32_e32 v22, 3, v116
	v_ashrrev_i32_e32 v1, 31, v0
	v_add_u32_e32 v18, s0, v0
	v_lshlrev_b64 v[20:21], 3, v[0:1]
	v_ashrrev_i32_e32 v7, 31, v6
	v_lshlrev_b64 v[6:7], 3, v[6:7]
	v_ashrrev_i32_e32 v11, 31, v10
	;; [unrolled: 2-line block ×4, first 2 shown]
	v_add_u32_e32 v32, s0, v18
	v_lshlrev_b64 v[18:19], 3, v[18:19]
	s_ashr_i32 s1, s0, 31
	s_lshl_b64 s[2:3], s[0:1], 3
	v_mov_b32_e32 v24, s3
	v_ashrrev_i32_e32 v33, 31, v32
	v_add_u32_e32 v34, s0, v32
	v_ashrrev_i32_e32 v35, 31, v34
	v_add_u32_e32 v36, s0, v34
	;; [unrolled: 2-line block ×7, first 2 shown]
	v_ashrrev_i32_e32 v47, 31, v46
	s_mulk_i32 s8, 0x98
	s_add_i32 s1, s8, 0
	v_lshl_add_u32 v117, v78, 3, s1
	s_waitcnt vmcnt(0)
	v_add_co_u32_e32 v48, vcc, s6, v4
	v_addc_co_u32_e32 v49, vcc, v5, v23, vcc
	v_add_co_u32_e32 v0, vcc, v48, v22
	v_addc_co_u32_e32 v1, vcc, 0, v49, vcc
	;; [unrolled: 2-line block ×11, first 2 shown]
	v_lshlrev_b64 v[22:23], 3, v[32:33]
	v_add_co_u32_e32 v22, vcc, v48, v22
	v_addc_co_u32_e32 v23, vcc, v49, v23, vcc
	v_lshlrev_b64 v[32:33], 3, v[34:35]
	v_add_co_u32_e32 v32, vcc, v48, v32
	v_addc_co_u32_e32 v33, vcc, v49, v33, vcc
	;; [unrolled: 3-line block ×7, first 2 shown]
	v_lshlrev_b64 v[44:45], 3, v[46:47]
	v_add_u32_e32 v46, s0, v46
	v_add_co_u32_e32 v44, vcc, v48, v44
	v_ashrrev_i32_e32 v47, 31, v46
	v_addc_co_u32_e32 v45, vcc, v49, v45, vcc
	v_lshlrev_b64 v[46:47], 3, v[46:47]
	v_add_co_u32_e32 v46, vcc, v48, v46
	global_load_dwordx2 v[24:25], v[0:1], off
	global_load_dwordx2 v[28:29], v[20:21], off
	;; [unrolled: 1-line block ×4, first 2 shown]
	v_addc_co_u32_e32 v47, vcc, v49, v47, vcc
	global_load_dwordx2 v[54:55], v[8:9], off
	global_load_dwordx2 v[50:51], v[10:11], off
	;; [unrolled: 1-line block ×15, first 2 shown]
	s_movk_i32 s0, 0x98
	v_mad_u32_u24 v118, v78, s0, 0
	v_cmp_ne_u32_e64 s[2:3], 0, v116
	v_cmp_eq_u32_e64 s[0:1], 0, v116
	s_and_saveexec_b64 s[6:7], s[0:1]
	s_cbranch_execz .LBB37_4
; %bb.2:
	s_waitcnt vmcnt(18)
	ds_write_b64 v117, v[24:25]
	s_waitcnt vmcnt(16)
	ds_write2_b64 v118, v[28:29], v[30:31] offset0:1 offset1:2
	s_waitcnt vmcnt(14)
	ds_write2_b64 v118, v[26:27], v[54:55] offset0:3 offset1:4
	;; [unrolled: 2-line block ×9, first 2 shown]
	ds_read_b64 v[78:79], v117
	s_waitcnt lgkmcnt(0)
	v_cmp_neq_f64_e32 vcc, 0, v[78:79]
	s_and_b64 exec, exec, vcc
	s_cbranch_execz .LBB37_4
; %bb.3:
	v_div_scale_f64 v[80:81], s[8:9], v[78:79], v[78:79], 1.0
	v_rcp_f64_e32 v[82:83], v[80:81]
	v_div_scale_f64 v[84:85], vcc, 1.0, v[78:79], 1.0
	v_fma_f64 v[86:87], -v[80:81], v[82:83], 1.0
	v_fmac_f64_e32 v[82:83], v[82:83], v[86:87]
	v_fma_f64 v[86:87], -v[80:81], v[82:83], 1.0
	v_fmac_f64_e32 v[82:83], v[82:83], v[86:87]
	v_mul_f64 v[86:87], v[84:85], v[82:83]
	v_fma_f64 v[80:81], -v[80:81], v[86:87], v[84:85]
	v_div_fmas_f64 v[80:81], v[80:81], v[82:83], v[86:87]
	v_div_fixup_f64 v[78:79], v[80:81], v[78:79], 1.0
	ds_write_b64 v117, v[78:79]
.LBB37_4:
	s_or_b64 exec, exec, s[6:7]
	s_waitcnt lgkmcnt(0)
	s_barrier
	ds_read_b64 v[78:79], v117
	s_and_saveexec_b64 s[6:7], s[2:3]
	s_cbranch_execz .LBB37_6
; %bb.5:
	ds_read2_b64 v[80:83], v118 offset0:1 offset1:2
	ds_read2_b64 v[84:87], v118 offset0:3 offset1:4
	ds_read2_b64 v[88:91], v118 offset0:5 offset1:6
	s_waitcnt vmcnt(18) lgkmcnt(3)
	v_mul_f64 v[24:25], v[78:79], v[24:25]
	s_waitcnt vmcnt(17) lgkmcnt(2)
	v_fma_f64 v[28:29], -v[24:25], v[80:81], v[28:29]
	s_waitcnt vmcnt(16)
	v_fma_f64 v[30:31], -v[24:25], v[82:83], v[30:31]
	ds_read2_b64 v[80:83], v118 offset0:7 offset1:8
	s_waitcnt vmcnt(15) lgkmcnt(2)
	v_fma_f64 v[26:27], -v[24:25], v[84:85], v[26:27]
	s_waitcnt vmcnt(14)
	v_fma_f64 v[54:55], -v[24:25], v[86:87], v[54:55]
	s_waitcnt vmcnt(13) lgkmcnt(1)
	v_fma_f64 v[50:51], -v[24:25], v[88:89], v[50:51]
	ds_read2_b64 v[84:87], v118 offset0:9 offset1:10
	s_waitcnt vmcnt(12)
	v_fma_f64 v[52:53], -v[24:25], v[90:91], v[52:53]
	ds_read2_b64 v[88:91], v118 offset0:11 offset1:12
	s_waitcnt vmcnt(11) lgkmcnt(2)
	v_fma_f64 v[48:49], -v[24:25], v[80:81], v[48:49]
	s_waitcnt vmcnt(10)
	v_fma_f64 v[74:75], -v[24:25], v[82:83], v[74:75]
	s_waitcnt vmcnt(9) lgkmcnt(1)
	v_fma_f64 v[64:65], -v[24:25], v[84:85], v[64:65]
	s_waitcnt vmcnt(8)
	v_fma_f64 v[72:73], -v[24:25], v[86:87], v[72:73]
	ds_read2_b64 v[80:83], v118 offset0:13 offset1:14
	ds_read2_b64 v[84:87], v118 offset0:15 offset1:16
	s_waitcnt vmcnt(7) lgkmcnt(2)
	v_fma_f64 v[62:63], -v[24:25], v[88:89], v[62:63]
	s_waitcnt vmcnt(6)
	v_fma_f64 v[70:71], -v[24:25], v[90:91], v[70:71]
	ds_read2_b64 v[88:91], v118 offset0:17 offset1:18
	s_waitcnt vmcnt(5) lgkmcnt(2)
	v_fma_f64 v[60:61], -v[24:25], v[80:81], v[60:61]
	s_waitcnt vmcnt(4)
	v_fma_f64 v[68:69], -v[24:25], v[82:83], v[68:69]
	s_waitcnt vmcnt(3) lgkmcnt(1)
	v_fma_f64 v[58:59], -v[24:25], v[84:85], v[58:59]
	s_waitcnt vmcnt(2)
	v_fma_f64 v[66:67], -v[24:25], v[86:87], v[66:67]
	;; [unrolled: 4-line block ×3, first 2 shown]
.LBB37_6:
	s_or_b64 exec, exec, s[6:7]
	v_cmp_eq_u32_e32 vcc, 1, v116
	s_waitcnt lgkmcnt(0)
	s_barrier
	s_and_saveexec_b64 s[2:3], vcc
	s_cbranch_execz .LBB37_9
; %bb.7:
	s_waitcnt vmcnt(16)
	v_mov_b32_e32 v80, v30
	v_mov_b32_e32 v81, v31
	s_waitcnt vmcnt(15)
	v_mov_b32_e32 v82, v26
	v_mov_b32_e32 v83, v27
	ds_write_b64 v117, v[28:29]
	ds_write2_b64 v118, v[80:81], v[82:83] offset0:2 offset1:3
	s_waitcnt vmcnt(14)
	v_mov_b32_e32 v80, v54
	v_mov_b32_e32 v81, v55
	s_waitcnt vmcnt(13)
	v_mov_b32_e32 v82, v50
	v_mov_b32_e32 v83, v51
	ds_write2_b64 v118, v[80:81], v[82:83] offset0:4 offset1:5
	s_waitcnt vmcnt(12)
	v_mov_b32_e32 v80, v52
	v_mov_b32_e32 v81, v53
	s_waitcnt vmcnt(11)
	v_mov_b32_e32 v82, v48
	v_mov_b32_e32 v83, v49
	;; [unrolled: 7-line block ×7, first 2 shown]
	ds_write2_b64 v118, v[80:81], v[82:83] offset0:16 offset1:17
	s_waitcnt vmcnt(0)
	ds_write_b64 v118, v[76:77] offset:144
	ds_read_b64 v[80:81], v117
	s_waitcnt lgkmcnt(0)
	v_cmp_neq_f64_e32 vcc, 0, v[80:81]
	s_and_b64 exec, exec, vcc
	s_cbranch_execz .LBB37_9
; %bb.8:
	v_div_scale_f64 v[82:83], s[6:7], v[80:81], v[80:81], 1.0
	v_rcp_f64_e32 v[84:85], v[82:83]
	v_div_scale_f64 v[86:87], vcc, 1.0, v[80:81], 1.0
	v_fma_f64 v[88:89], -v[82:83], v[84:85], 1.0
	v_fmac_f64_e32 v[84:85], v[84:85], v[88:89]
	v_fma_f64 v[88:89], -v[82:83], v[84:85], 1.0
	v_fmac_f64_e32 v[84:85], v[84:85], v[88:89]
	v_mul_f64 v[88:89], v[86:87], v[84:85]
	v_fma_f64 v[82:83], -v[82:83], v[88:89], v[86:87]
	v_div_fmas_f64 v[82:83], v[82:83], v[84:85], v[88:89]
	v_div_fixup_f64 v[80:81], v[82:83], v[80:81], 1.0
	ds_write_b64 v117, v[80:81]
.LBB37_9:
	s_or_b64 exec, exec, s[2:3]
	s_waitcnt lgkmcnt(0)
	s_barrier
	ds_read_b64 v[80:81], v117
	v_cmp_lt_u32_e32 vcc, 1, v116
	s_and_saveexec_b64 s[2:3], vcc
	s_cbranch_execz .LBB37_11
; %bb.10:
	ds_read2_b64 v[82:85], v118 offset0:2 offset1:3
	ds_read2_b64 v[86:89], v118 offset0:4 offset1:5
	;; [unrolled: 1-line block ×3, first 2 shown]
	s_waitcnt vmcnt(17) lgkmcnt(3)
	v_mul_f64 v[28:29], v[80:81], v[28:29]
	s_waitcnt vmcnt(16) lgkmcnt(2)
	v_fma_f64 v[30:31], -v[28:29], v[82:83], v[30:31]
	s_waitcnt vmcnt(15)
	v_fma_f64 v[26:27], -v[28:29], v[84:85], v[26:27]
	ds_read2_b64 v[82:85], v118 offset0:8 offset1:9
	s_waitcnt vmcnt(14) lgkmcnt(2)
	v_fma_f64 v[54:55], -v[28:29], v[86:87], v[54:55]
	s_waitcnt vmcnt(13)
	v_fma_f64 v[50:51], -v[28:29], v[88:89], v[50:51]
	s_waitcnt vmcnt(12) lgkmcnt(1)
	v_fma_f64 v[52:53], -v[28:29], v[90:91], v[52:53]
	ds_read2_b64 v[86:89], v118 offset0:10 offset1:11
	s_waitcnt vmcnt(11)
	v_fma_f64 v[48:49], -v[28:29], v[92:93], v[48:49]
	ds_read2_b64 v[90:93], v118 offset0:12 offset1:13
	s_waitcnt vmcnt(10) lgkmcnt(2)
	v_fma_f64 v[74:75], -v[28:29], v[82:83], v[74:75]
	s_waitcnt vmcnt(9)
	v_fma_f64 v[64:65], -v[28:29], v[84:85], v[64:65]
	s_waitcnt vmcnt(8) lgkmcnt(1)
	v_fma_f64 v[72:73], -v[28:29], v[86:87], v[72:73]
	s_waitcnt vmcnt(7)
	v_fma_f64 v[62:63], -v[28:29], v[88:89], v[62:63]
	ds_read2_b64 v[82:85], v118 offset0:14 offset1:15
	ds_read2_b64 v[86:89], v118 offset0:16 offset1:17
	s_waitcnt vmcnt(6) lgkmcnt(2)
	v_fma_f64 v[70:71], -v[28:29], v[90:91], v[70:71]
	ds_read_b64 v[90:91], v118 offset:144
	s_waitcnt vmcnt(5)
	v_fma_f64 v[60:61], -v[28:29], v[92:93], v[60:61]
	s_waitcnt vmcnt(4) lgkmcnt(2)
	v_fma_f64 v[68:69], -v[28:29], v[82:83], v[68:69]
	s_waitcnt vmcnt(3)
	v_fma_f64 v[58:59], -v[28:29], v[84:85], v[58:59]
	s_waitcnt vmcnt(2) lgkmcnt(1)
	v_fma_f64 v[66:67], -v[28:29], v[86:87], v[66:67]
	s_waitcnt vmcnt(1)
	v_fma_f64 v[56:57], -v[28:29], v[88:89], v[56:57]
	s_waitcnt vmcnt(0) lgkmcnt(0)
	v_fma_f64 v[76:77], -v[28:29], v[90:91], v[76:77]
.LBB37_11:
	s_or_b64 exec, exec, s[2:3]
	v_cmp_eq_u32_e32 vcc, 2, v116
	s_waitcnt lgkmcnt(0)
	s_barrier
	s_and_saveexec_b64 s[2:3], vcc
	s_cbranch_execz .LBB37_14
; %bb.12:
	s_waitcnt vmcnt(16)
	ds_write_b64 v117, v[30:31]
	s_waitcnt vmcnt(14)
	ds_write2_b64 v118, v[26:27], v[54:55] offset0:3 offset1:4
	s_waitcnt vmcnt(12)
	ds_write2_b64 v118, v[50:51], v[52:53] offset0:5 offset1:6
	;; [unrolled: 2-line block ×8, first 2 shown]
	ds_read_b64 v[82:83], v117
	s_waitcnt lgkmcnt(0)
	v_cmp_neq_f64_e32 vcc, 0, v[82:83]
	s_and_b64 exec, exec, vcc
	s_cbranch_execz .LBB37_14
; %bb.13:
	v_div_scale_f64 v[84:85], s[6:7], v[82:83], v[82:83], 1.0
	v_rcp_f64_e32 v[86:87], v[84:85]
	v_div_scale_f64 v[88:89], vcc, 1.0, v[82:83], 1.0
	v_fma_f64 v[90:91], -v[84:85], v[86:87], 1.0
	v_fmac_f64_e32 v[86:87], v[86:87], v[90:91]
	v_fma_f64 v[90:91], -v[84:85], v[86:87], 1.0
	v_fmac_f64_e32 v[86:87], v[86:87], v[90:91]
	v_mul_f64 v[90:91], v[88:89], v[86:87]
	v_fma_f64 v[84:85], -v[84:85], v[90:91], v[88:89]
	v_div_fmas_f64 v[84:85], v[84:85], v[86:87], v[90:91]
	v_div_fixup_f64 v[82:83], v[84:85], v[82:83], 1.0
	ds_write_b64 v117, v[82:83]
.LBB37_14:
	s_or_b64 exec, exec, s[2:3]
	s_waitcnt lgkmcnt(0)
	s_barrier
	ds_read_b64 v[82:83], v117
	v_cmp_lt_u32_e32 vcc, 2, v116
	s_and_saveexec_b64 s[2:3], vcc
	s_cbranch_execz .LBB37_16
; %bb.15:
	ds_read2_b64 v[84:87], v118 offset0:3 offset1:4
	ds_read2_b64 v[88:91], v118 offset0:5 offset1:6
	s_waitcnt vmcnt(16) lgkmcnt(2)
	v_mul_f64 v[30:31], v[82:83], v[30:31]
	ds_read2_b64 v[92:95], v118 offset0:7 offset1:8
	s_waitcnt vmcnt(15) lgkmcnt(2)
	v_fma_f64 v[26:27], -v[30:31], v[84:85], v[26:27]
	s_waitcnt vmcnt(14)
	v_fma_f64 v[54:55], -v[30:31], v[86:87], v[54:55]
	ds_read2_b64 v[84:87], v118 offset0:9 offset1:10
	s_waitcnt vmcnt(13) lgkmcnt(2)
	v_fma_f64 v[50:51], -v[30:31], v[88:89], v[50:51]
	s_waitcnt vmcnt(12)
	v_fma_f64 v[52:53], -v[30:31], v[90:91], v[52:53]
	;; [unrolled: 5-line block ×3, first 2 shown]
	s_waitcnt vmcnt(9) lgkmcnt(1)
	v_fma_f64 v[64:65], -v[30:31], v[84:85], v[64:65]
	s_waitcnt vmcnt(8)
	v_fma_f64 v[72:73], -v[30:31], v[86:87], v[72:73]
	ds_read2_b64 v[84:87], v118 offset0:13 offset1:14
	s_waitcnt vmcnt(7) lgkmcnt(1)
	v_fma_f64 v[62:63], -v[30:31], v[88:89], v[62:63]
	ds_read2_b64 v[92:95], v118 offset0:15 offset1:16
	s_waitcnt vmcnt(6)
	v_fma_f64 v[70:71], -v[30:31], v[90:91], v[70:71]
	ds_read2_b64 v[88:91], v118 offset0:17 offset1:18
	s_waitcnt vmcnt(5) lgkmcnt(2)
	v_fma_f64 v[60:61], -v[30:31], v[84:85], v[60:61]
	s_waitcnt vmcnt(4)
	v_fma_f64 v[68:69], -v[30:31], v[86:87], v[68:69]
	s_waitcnt vmcnt(3) lgkmcnt(1)
	v_fma_f64 v[58:59], -v[30:31], v[92:93], v[58:59]
	s_waitcnt vmcnt(2)
	v_fma_f64 v[66:67], -v[30:31], v[94:95], v[66:67]
	;; [unrolled: 4-line block ×3, first 2 shown]
.LBB37_16:
	s_or_b64 exec, exec, s[2:3]
	v_cmp_eq_u32_e32 vcc, 3, v116
	s_waitcnt lgkmcnt(0)
	s_barrier
	s_and_saveexec_b64 s[2:3], vcc
	s_cbranch_execz .LBB37_19
; %bb.17:
	s_waitcnt vmcnt(14)
	v_mov_b32_e32 v84, v54
	v_mov_b32_e32 v85, v55
	s_waitcnt vmcnt(13)
	v_mov_b32_e32 v86, v50
	v_mov_b32_e32 v87, v51
	ds_write_b64 v117, v[26:27]
	ds_write2_b64 v118, v[84:85], v[86:87] offset0:4 offset1:5
	s_waitcnt vmcnt(12)
	v_mov_b32_e32 v84, v52
	v_mov_b32_e32 v85, v53
	s_waitcnt vmcnt(11)
	v_mov_b32_e32 v86, v48
	v_mov_b32_e32 v87, v49
	ds_write2_b64 v118, v[84:85], v[86:87] offset0:6 offset1:7
	s_waitcnt vmcnt(10)
	v_mov_b32_e32 v84, v74
	v_mov_b32_e32 v85, v75
	s_waitcnt vmcnt(9)
	v_mov_b32_e32 v86, v64
	v_mov_b32_e32 v87, v65
	;; [unrolled: 7-line block ×6, first 2 shown]
	ds_write2_b64 v118, v[84:85], v[86:87] offset0:16 offset1:17
	s_waitcnt vmcnt(0)
	ds_write_b64 v118, v[76:77] offset:144
	ds_read_b64 v[84:85], v117
	s_waitcnt lgkmcnt(0)
	v_cmp_neq_f64_e32 vcc, 0, v[84:85]
	s_and_b64 exec, exec, vcc
	s_cbranch_execz .LBB37_19
; %bb.18:
	v_div_scale_f64 v[86:87], s[6:7], v[84:85], v[84:85], 1.0
	v_rcp_f64_e32 v[88:89], v[86:87]
	v_div_scale_f64 v[90:91], vcc, 1.0, v[84:85], 1.0
	v_fma_f64 v[92:93], -v[86:87], v[88:89], 1.0
	v_fmac_f64_e32 v[88:89], v[88:89], v[92:93]
	v_fma_f64 v[92:93], -v[86:87], v[88:89], 1.0
	v_fmac_f64_e32 v[88:89], v[88:89], v[92:93]
	v_mul_f64 v[92:93], v[90:91], v[88:89]
	v_fma_f64 v[86:87], -v[86:87], v[92:93], v[90:91]
	v_div_fmas_f64 v[86:87], v[86:87], v[88:89], v[92:93]
	v_div_fixup_f64 v[84:85], v[86:87], v[84:85], 1.0
	ds_write_b64 v117, v[84:85]
.LBB37_19:
	s_or_b64 exec, exec, s[2:3]
	s_waitcnt lgkmcnt(0)
	s_barrier
	ds_read_b64 v[84:85], v117
	v_cmp_lt_u32_e32 vcc, 3, v116
	s_and_saveexec_b64 s[2:3], vcc
	s_cbranch_execz .LBB37_21
; %bb.20:
	ds_read2_b64 v[86:89], v118 offset0:4 offset1:5
	ds_read2_b64 v[90:93], v118 offset0:6 offset1:7
	s_waitcnt vmcnt(15) lgkmcnt(2)
	v_mul_f64 v[26:27], v[84:85], v[26:27]
	ds_read2_b64 v[94:97], v118 offset0:8 offset1:9
	s_waitcnt vmcnt(14) lgkmcnt(2)
	v_fma_f64 v[54:55], -v[26:27], v[86:87], v[54:55]
	s_waitcnt vmcnt(13)
	v_fma_f64 v[50:51], -v[26:27], v[88:89], v[50:51]
	ds_read2_b64 v[86:89], v118 offset0:10 offset1:11
	s_waitcnt vmcnt(12) lgkmcnt(2)
	v_fma_f64 v[52:53], -v[26:27], v[90:91], v[52:53]
	s_waitcnt vmcnt(11)
	v_fma_f64 v[48:49], -v[26:27], v[92:93], v[48:49]
	ds_read2_b64 v[90:93], v118 offset0:12 offset1:13
	s_waitcnt vmcnt(10) lgkmcnt(2)
	v_fma_f64 v[74:75], -v[26:27], v[94:95], v[74:75]
	s_waitcnt vmcnt(9)
	v_fma_f64 v[64:65], -v[26:27], v[96:97], v[64:65]
	s_waitcnt vmcnt(8) lgkmcnt(1)
	v_fma_f64 v[72:73], -v[26:27], v[86:87], v[72:73]
	s_waitcnt vmcnt(7)
	v_fma_f64 v[62:63], -v[26:27], v[88:89], v[62:63]
	ds_read2_b64 v[86:89], v118 offset0:14 offset1:15
	s_waitcnt vmcnt(6) lgkmcnt(1)
	v_fma_f64 v[70:71], -v[26:27], v[90:91], v[70:71]
	ds_read2_b64 v[94:97], v118 offset0:16 offset1:17
	ds_read_b64 v[90:91], v118 offset:144
	s_waitcnt vmcnt(5)
	v_fma_f64 v[60:61], -v[26:27], v[92:93], v[60:61]
	s_waitcnt vmcnt(4) lgkmcnt(2)
	v_fma_f64 v[68:69], -v[26:27], v[86:87], v[68:69]
	s_waitcnt vmcnt(3)
	v_fma_f64 v[58:59], -v[26:27], v[88:89], v[58:59]
	s_waitcnt vmcnt(2) lgkmcnt(1)
	v_fma_f64 v[66:67], -v[26:27], v[94:95], v[66:67]
	s_waitcnt vmcnt(1)
	v_fma_f64 v[56:57], -v[26:27], v[96:97], v[56:57]
	s_waitcnt vmcnt(0) lgkmcnt(0)
	v_fma_f64 v[76:77], -v[26:27], v[90:91], v[76:77]
.LBB37_21:
	s_or_b64 exec, exec, s[2:3]
	v_cmp_eq_u32_e32 vcc, 4, v116
	s_waitcnt lgkmcnt(0)
	s_barrier
	s_and_saveexec_b64 s[2:3], vcc
	s_cbranch_execz .LBB37_24
; %bb.22:
	s_waitcnt vmcnt(14)
	ds_write_b64 v117, v[54:55]
	s_waitcnt vmcnt(12)
	ds_write2_b64 v118, v[50:51], v[52:53] offset0:5 offset1:6
	s_waitcnt vmcnt(10)
	ds_write2_b64 v118, v[48:49], v[74:75] offset0:7 offset1:8
	;; [unrolled: 2-line block ×7, first 2 shown]
	ds_read_b64 v[86:87], v117
	s_waitcnt lgkmcnt(0)
	v_cmp_neq_f64_e32 vcc, 0, v[86:87]
	s_and_b64 exec, exec, vcc
	s_cbranch_execz .LBB37_24
; %bb.23:
	v_div_scale_f64 v[88:89], s[6:7], v[86:87], v[86:87], 1.0
	v_rcp_f64_e32 v[90:91], v[88:89]
	v_div_scale_f64 v[92:93], vcc, 1.0, v[86:87], 1.0
	v_fma_f64 v[94:95], -v[88:89], v[90:91], 1.0
	v_fmac_f64_e32 v[90:91], v[90:91], v[94:95]
	v_fma_f64 v[94:95], -v[88:89], v[90:91], 1.0
	v_fmac_f64_e32 v[90:91], v[90:91], v[94:95]
	v_mul_f64 v[94:95], v[92:93], v[90:91]
	v_fma_f64 v[88:89], -v[88:89], v[94:95], v[92:93]
	v_div_fmas_f64 v[88:89], v[88:89], v[90:91], v[94:95]
	v_div_fixup_f64 v[86:87], v[88:89], v[86:87], 1.0
	ds_write_b64 v117, v[86:87]
.LBB37_24:
	s_or_b64 exec, exec, s[2:3]
	s_waitcnt lgkmcnt(0)
	s_barrier
	ds_read_b64 v[86:87], v117
	v_cmp_lt_u32_e32 vcc, 4, v116
	s_and_saveexec_b64 s[2:3], vcc
	s_cbranch_execz .LBB37_26
; %bb.25:
	ds_read2_b64 v[88:91], v118 offset0:5 offset1:6
	ds_read2_b64 v[92:95], v118 offset0:7 offset1:8
	s_waitcnt vmcnt(14) lgkmcnt(2)
	v_mul_f64 v[54:55], v[86:87], v[54:55]
	ds_read2_b64 v[96:99], v118 offset0:9 offset1:10
	s_waitcnt vmcnt(13) lgkmcnt(2)
	v_fma_f64 v[50:51], -v[54:55], v[88:89], v[50:51]
	s_waitcnt vmcnt(12)
	v_fma_f64 v[52:53], -v[54:55], v[90:91], v[52:53]
	ds_read2_b64 v[88:91], v118 offset0:11 offset1:12
	s_waitcnt vmcnt(11) lgkmcnt(2)
	v_fma_f64 v[48:49], -v[54:55], v[92:93], v[48:49]
	s_waitcnt vmcnt(10)
	v_fma_f64 v[74:75], -v[54:55], v[94:95], v[74:75]
	s_waitcnt vmcnt(9) lgkmcnt(1)
	v_fma_f64 v[64:65], -v[54:55], v[96:97], v[64:65]
	s_waitcnt vmcnt(8)
	v_fma_f64 v[72:73], -v[54:55], v[98:99], v[72:73]
	ds_read2_b64 v[92:95], v118 offset0:13 offset1:14
	ds_read2_b64 v[96:99], v118 offset0:15 offset1:16
	s_waitcnt vmcnt(7) lgkmcnt(2)
	v_fma_f64 v[62:63], -v[54:55], v[88:89], v[62:63]
	s_waitcnt vmcnt(6)
	v_fma_f64 v[70:71], -v[54:55], v[90:91], v[70:71]
	ds_read2_b64 v[88:91], v118 offset0:17 offset1:18
	s_waitcnt vmcnt(5) lgkmcnt(2)
	v_fma_f64 v[60:61], -v[54:55], v[92:93], v[60:61]
	s_waitcnt vmcnt(4)
	v_fma_f64 v[68:69], -v[54:55], v[94:95], v[68:69]
	s_waitcnt vmcnt(3) lgkmcnt(1)
	v_fma_f64 v[58:59], -v[54:55], v[96:97], v[58:59]
	s_waitcnt vmcnt(2)
	v_fma_f64 v[66:67], -v[54:55], v[98:99], v[66:67]
	;; [unrolled: 4-line block ×3, first 2 shown]
.LBB37_26:
	s_or_b64 exec, exec, s[2:3]
	v_cmp_eq_u32_e32 vcc, 5, v116
	s_waitcnt lgkmcnt(0)
	s_barrier
	s_and_saveexec_b64 s[2:3], vcc
	s_cbranch_execz .LBB37_29
; %bb.27:
	s_waitcnt vmcnt(12)
	v_mov_b32_e32 v88, v52
	v_mov_b32_e32 v89, v53
	s_waitcnt vmcnt(11)
	v_mov_b32_e32 v90, v48
	v_mov_b32_e32 v91, v49
	ds_write_b64 v117, v[50:51]
	ds_write2_b64 v118, v[88:89], v[90:91] offset0:6 offset1:7
	s_waitcnt vmcnt(10)
	v_mov_b32_e32 v88, v74
	v_mov_b32_e32 v89, v75
	s_waitcnt vmcnt(9)
	v_mov_b32_e32 v90, v64
	v_mov_b32_e32 v91, v65
	ds_write2_b64 v118, v[88:89], v[90:91] offset0:8 offset1:9
	s_waitcnt vmcnt(8)
	v_mov_b32_e32 v88, v72
	v_mov_b32_e32 v89, v73
	s_waitcnt vmcnt(7)
	v_mov_b32_e32 v90, v62
	v_mov_b32_e32 v91, v63
	;; [unrolled: 7-line block ×5, first 2 shown]
	ds_write2_b64 v118, v[88:89], v[90:91] offset0:16 offset1:17
	s_waitcnt vmcnt(0)
	ds_write_b64 v118, v[76:77] offset:144
	ds_read_b64 v[88:89], v117
	s_waitcnt lgkmcnt(0)
	v_cmp_neq_f64_e32 vcc, 0, v[88:89]
	s_and_b64 exec, exec, vcc
	s_cbranch_execz .LBB37_29
; %bb.28:
	v_div_scale_f64 v[90:91], s[6:7], v[88:89], v[88:89], 1.0
	v_rcp_f64_e32 v[92:93], v[90:91]
	v_div_scale_f64 v[94:95], vcc, 1.0, v[88:89], 1.0
	v_fma_f64 v[96:97], -v[90:91], v[92:93], 1.0
	v_fmac_f64_e32 v[92:93], v[92:93], v[96:97]
	v_fma_f64 v[96:97], -v[90:91], v[92:93], 1.0
	v_fmac_f64_e32 v[92:93], v[92:93], v[96:97]
	v_mul_f64 v[96:97], v[94:95], v[92:93]
	v_fma_f64 v[90:91], -v[90:91], v[96:97], v[94:95]
	v_div_fmas_f64 v[90:91], v[90:91], v[92:93], v[96:97]
	v_div_fixup_f64 v[88:89], v[90:91], v[88:89], 1.0
	ds_write_b64 v117, v[88:89]
.LBB37_29:
	s_or_b64 exec, exec, s[2:3]
	s_waitcnt lgkmcnt(0)
	s_barrier
	ds_read_b64 v[88:89], v117
	v_cmp_lt_u32_e32 vcc, 5, v116
	s_and_saveexec_b64 s[2:3], vcc
	s_cbranch_execz .LBB37_31
; %bb.30:
	ds_read2_b64 v[90:93], v118 offset0:6 offset1:7
	ds_read2_b64 v[94:97], v118 offset0:8 offset1:9
	s_waitcnt vmcnt(13) lgkmcnt(2)
	v_mul_f64 v[50:51], v[88:89], v[50:51]
	ds_read2_b64 v[98:101], v118 offset0:10 offset1:11
	s_waitcnt vmcnt(12) lgkmcnt(2)
	v_fma_f64 v[52:53], -v[50:51], v[90:91], v[52:53]
	s_waitcnt vmcnt(11)
	v_fma_f64 v[48:49], -v[50:51], v[92:93], v[48:49]
	ds_read2_b64 v[90:93], v118 offset0:12 offset1:13
	s_waitcnt vmcnt(10) lgkmcnt(2)
	v_fma_f64 v[74:75], -v[50:51], v[94:95], v[74:75]
	s_waitcnt vmcnt(9)
	v_fma_f64 v[64:65], -v[50:51], v[96:97], v[64:65]
	s_waitcnt vmcnt(8) lgkmcnt(1)
	v_fma_f64 v[72:73], -v[50:51], v[98:99], v[72:73]
	s_waitcnt vmcnt(7)
	v_fma_f64 v[62:63], -v[50:51], v[100:101], v[62:63]
	ds_read2_b64 v[94:97], v118 offset0:14 offset1:15
	ds_read2_b64 v[98:101], v118 offset0:16 offset1:17
	s_waitcnt vmcnt(6) lgkmcnt(2)
	v_fma_f64 v[70:71], -v[50:51], v[90:91], v[70:71]
	ds_read_b64 v[90:91], v118 offset:144
	s_waitcnt vmcnt(5)
	v_fma_f64 v[60:61], -v[50:51], v[92:93], v[60:61]
	s_waitcnt vmcnt(4) lgkmcnt(2)
	v_fma_f64 v[68:69], -v[50:51], v[94:95], v[68:69]
	s_waitcnt vmcnt(3)
	v_fma_f64 v[58:59], -v[50:51], v[96:97], v[58:59]
	s_waitcnt vmcnt(2) lgkmcnt(1)
	v_fma_f64 v[66:67], -v[50:51], v[98:99], v[66:67]
	;; [unrolled: 4-line block ×3, first 2 shown]
.LBB37_31:
	s_or_b64 exec, exec, s[2:3]
	v_cmp_eq_u32_e32 vcc, 6, v116
	s_waitcnt lgkmcnt(0)
	s_barrier
	s_and_saveexec_b64 s[2:3], vcc
	s_cbranch_execz .LBB37_34
; %bb.32:
	s_waitcnt vmcnt(12)
	ds_write_b64 v117, v[52:53]
	s_waitcnt vmcnt(10)
	ds_write2_b64 v118, v[48:49], v[74:75] offset0:7 offset1:8
	s_waitcnt vmcnt(8)
	ds_write2_b64 v118, v[64:65], v[72:73] offset0:9 offset1:10
	;; [unrolled: 2-line block ×6, first 2 shown]
	ds_read_b64 v[90:91], v117
	s_waitcnt lgkmcnt(0)
	v_cmp_neq_f64_e32 vcc, 0, v[90:91]
	s_and_b64 exec, exec, vcc
	s_cbranch_execz .LBB37_34
; %bb.33:
	v_div_scale_f64 v[92:93], s[6:7], v[90:91], v[90:91], 1.0
	v_rcp_f64_e32 v[94:95], v[92:93]
	v_div_scale_f64 v[96:97], vcc, 1.0, v[90:91], 1.0
	v_fma_f64 v[98:99], -v[92:93], v[94:95], 1.0
	v_fmac_f64_e32 v[94:95], v[94:95], v[98:99]
	v_fma_f64 v[98:99], -v[92:93], v[94:95], 1.0
	v_fmac_f64_e32 v[94:95], v[94:95], v[98:99]
	v_mul_f64 v[98:99], v[96:97], v[94:95]
	v_fma_f64 v[92:93], -v[92:93], v[98:99], v[96:97]
	v_div_fmas_f64 v[92:93], v[92:93], v[94:95], v[98:99]
	v_div_fixup_f64 v[90:91], v[92:93], v[90:91], 1.0
	ds_write_b64 v117, v[90:91]
.LBB37_34:
	s_or_b64 exec, exec, s[2:3]
	s_waitcnt lgkmcnt(0)
	s_barrier
	ds_read_b64 v[90:91], v117
	v_cmp_lt_u32_e32 vcc, 6, v116
	s_and_saveexec_b64 s[2:3], vcc
	s_cbranch_execz .LBB37_36
; %bb.35:
	ds_read2_b64 v[92:95], v118 offset0:7 offset1:8
	ds_read2_b64 v[96:99], v118 offset0:9 offset1:10
	;; [unrolled: 1-line block ×3, first 2 shown]
	s_waitcnt vmcnt(12) lgkmcnt(3)
	v_mul_f64 v[52:53], v[90:91], v[52:53]
	s_waitcnt vmcnt(11) lgkmcnt(2)
	v_fma_f64 v[48:49], -v[52:53], v[92:93], v[48:49]
	s_waitcnt vmcnt(10)
	v_fma_f64 v[74:75], -v[52:53], v[94:95], v[74:75]
	ds_read2_b64 v[92:95], v118 offset0:13 offset1:14
	s_waitcnt vmcnt(9) lgkmcnt(2)
	v_fma_f64 v[64:65], -v[52:53], v[96:97], v[64:65]
	s_waitcnt vmcnt(8)
	v_fma_f64 v[72:73], -v[52:53], v[98:99], v[72:73]
	s_waitcnt vmcnt(7) lgkmcnt(1)
	v_fma_f64 v[62:63], -v[52:53], v[100:101], v[62:63]
	ds_read2_b64 v[96:99], v118 offset0:15 offset1:16
	s_waitcnt vmcnt(6)
	v_fma_f64 v[70:71], -v[52:53], v[102:103], v[70:71]
	ds_read2_b64 v[100:103], v118 offset0:17 offset1:18
	s_waitcnt vmcnt(5) lgkmcnt(2)
	v_fma_f64 v[60:61], -v[52:53], v[92:93], v[60:61]
	s_waitcnt vmcnt(4)
	v_fma_f64 v[68:69], -v[52:53], v[94:95], v[68:69]
	s_waitcnt vmcnt(3) lgkmcnt(1)
	v_fma_f64 v[58:59], -v[52:53], v[96:97], v[58:59]
	s_waitcnt vmcnt(2)
	v_fma_f64 v[66:67], -v[52:53], v[98:99], v[66:67]
	;; [unrolled: 4-line block ×3, first 2 shown]
.LBB37_36:
	s_or_b64 exec, exec, s[2:3]
	v_cmp_eq_u32_e32 vcc, 7, v116
	s_waitcnt lgkmcnt(0)
	s_barrier
	s_and_saveexec_b64 s[2:3], vcc
	s_cbranch_execz .LBB37_39
; %bb.37:
	s_waitcnt vmcnt(10)
	v_mov_b32_e32 v92, v74
	v_mov_b32_e32 v93, v75
	s_waitcnt vmcnt(9)
	v_mov_b32_e32 v94, v64
	v_mov_b32_e32 v95, v65
	ds_write_b64 v117, v[48:49]
	ds_write2_b64 v118, v[92:93], v[94:95] offset0:8 offset1:9
	s_waitcnt vmcnt(8)
	v_mov_b32_e32 v92, v72
	v_mov_b32_e32 v93, v73
	s_waitcnt vmcnt(7)
	v_mov_b32_e32 v94, v62
	v_mov_b32_e32 v95, v63
	ds_write2_b64 v118, v[92:93], v[94:95] offset0:10 offset1:11
	s_waitcnt vmcnt(6)
	v_mov_b32_e32 v92, v70
	v_mov_b32_e32 v93, v71
	s_waitcnt vmcnt(5)
	v_mov_b32_e32 v94, v60
	v_mov_b32_e32 v95, v61
	;; [unrolled: 7-line block ×4, first 2 shown]
	ds_write2_b64 v118, v[92:93], v[94:95] offset0:16 offset1:17
	s_waitcnt vmcnt(0)
	ds_write_b64 v118, v[76:77] offset:144
	ds_read_b64 v[92:93], v117
	s_waitcnt lgkmcnt(0)
	v_cmp_neq_f64_e32 vcc, 0, v[92:93]
	s_and_b64 exec, exec, vcc
	s_cbranch_execz .LBB37_39
; %bb.38:
	v_div_scale_f64 v[94:95], s[6:7], v[92:93], v[92:93], 1.0
	v_rcp_f64_e32 v[96:97], v[94:95]
	v_div_scale_f64 v[98:99], vcc, 1.0, v[92:93], 1.0
	v_fma_f64 v[100:101], -v[94:95], v[96:97], 1.0
	v_fmac_f64_e32 v[96:97], v[96:97], v[100:101]
	v_fma_f64 v[100:101], -v[94:95], v[96:97], 1.0
	v_fmac_f64_e32 v[96:97], v[96:97], v[100:101]
	v_mul_f64 v[100:101], v[98:99], v[96:97]
	v_fma_f64 v[94:95], -v[94:95], v[100:101], v[98:99]
	v_div_fmas_f64 v[94:95], v[94:95], v[96:97], v[100:101]
	v_div_fixup_f64 v[92:93], v[94:95], v[92:93], 1.0
	ds_write_b64 v117, v[92:93]
.LBB37_39:
	s_or_b64 exec, exec, s[2:3]
	s_waitcnt lgkmcnt(0)
	s_barrier
	ds_read_b64 v[92:93], v117
	v_cmp_lt_u32_e32 vcc, 7, v116
	s_and_saveexec_b64 s[2:3], vcc
	s_cbranch_execz .LBB37_41
; %bb.40:
	ds_read2_b64 v[94:97], v118 offset0:8 offset1:9
	ds_read2_b64 v[98:101], v118 offset0:10 offset1:11
	;; [unrolled: 1-line block ×3, first 2 shown]
	s_waitcnt vmcnt(11) lgkmcnt(3)
	v_mul_f64 v[48:49], v[92:93], v[48:49]
	s_waitcnt vmcnt(10) lgkmcnt(2)
	v_fma_f64 v[74:75], -v[48:49], v[94:95], v[74:75]
	s_waitcnt vmcnt(9)
	v_fma_f64 v[64:65], -v[48:49], v[96:97], v[64:65]
	ds_read2_b64 v[94:97], v118 offset0:14 offset1:15
	s_waitcnt vmcnt(8) lgkmcnt(2)
	v_fma_f64 v[72:73], -v[48:49], v[98:99], v[72:73]
	s_waitcnt vmcnt(7)
	v_fma_f64 v[62:63], -v[48:49], v[100:101], v[62:63]
	s_waitcnt vmcnt(6) lgkmcnt(1)
	v_fma_f64 v[70:71], -v[48:49], v[102:103], v[70:71]
	ds_read2_b64 v[98:101], v118 offset0:16 offset1:17
	ds_read_b64 v[102:103], v118 offset:144
	s_waitcnt vmcnt(5)
	v_fma_f64 v[60:61], -v[48:49], v[104:105], v[60:61]
	s_waitcnt vmcnt(4) lgkmcnt(2)
	v_fma_f64 v[68:69], -v[48:49], v[94:95], v[68:69]
	s_waitcnt vmcnt(3)
	v_fma_f64 v[58:59], -v[48:49], v[96:97], v[58:59]
	s_waitcnt vmcnt(2) lgkmcnt(1)
	v_fma_f64 v[66:67], -v[48:49], v[98:99], v[66:67]
	;; [unrolled: 4-line block ×3, first 2 shown]
.LBB37_41:
	s_or_b64 exec, exec, s[2:3]
	v_cmp_eq_u32_e32 vcc, 8, v116
	s_waitcnt lgkmcnt(0)
	s_barrier
	s_and_saveexec_b64 s[2:3], vcc
	s_cbranch_execz .LBB37_44
; %bb.42:
	s_waitcnt vmcnt(10)
	ds_write_b64 v117, v[74:75]
	s_waitcnt vmcnt(8)
	ds_write2_b64 v118, v[64:65], v[72:73] offset0:9 offset1:10
	s_waitcnt vmcnt(6)
	ds_write2_b64 v118, v[62:63], v[70:71] offset0:11 offset1:12
	;; [unrolled: 2-line block ×5, first 2 shown]
	ds_read_b64 v[94:95], v117
	s_waitcnt lgkmcnt(0)
	v_cmp_neq_f64_e32 vcc, 0, v[94:95]
	s_and_b64 exec, exec, vcc
	s_cbranch_execz .LBB37_44
; %bb.43:
	v_div_scale_f64 v[96:97], s[6:7], v[94:95], v[94:95], 1.0
	v_rcp_f64_e32 v[98:99], v[96:97]
	v_div_scale_f64 v[100:101], vcc, 1.0, v[94:95], 1.0
	v_fma_f64 v[102:103], -v[96:97], v[98:99], 1.0
	v_fmac_f64_e32 v[98:99], v[98:99], v[102:103]
	v_fma_f64 v[102:103], -v[96:97], v[98:99], 1.0
	v_fmac_f64_e32 v[98:99], v[98:99], v[102:103]
	v_mul_f64 v[102:103], v[100:101], v[98:99]
	v_fma_f64 v[96:97], -v[96:97], v[102:103], v[100:101]
	v_div_fmas_f64 v[96:97], v[96:97], v[98:99], v[102:103]
	v_div_fixup_f64 v[94:95], v[96:97], v[94:95], 1.0
	ds_write_b64 v117, v[94:95]
.LBB37_44:
	s_or_b64 exec, exec, s[2:3]
	s_waitcnt lgkmcnt(0)
	s_barrier
	ds_read_b64 v[94:95], v117
	v_cmp_lt_u32_e32 vcc, 8, v116
	s_and_saveexec_b64 s[2:3], vcc
	s_cbranch_execz .LBB37_46
; %bb.45:
	ds_read2_b64 v[96:99], v118 offset0:9 offset1:10
	ds_read2_b64 v[100:103], v118 offset0:11 offset1:12
	s_waitcnt vmcnt(10) lgkmcnt(2)
	v_mul_f64 v[74:75], v[94:95], v[74:75]
	ds_read2_b64 v[104:107], v118 offset0:15 offset1:16
	s_waitcnt vmcnt(9) lgkmcnt(2)
	v_fma_f64 v[64:65], -v[74:75], v[96:97], v[64:65]
	s_waitcnt vmcnt(8)
	v_fma_f64 v[72:73], -v[74:75], v[98:99], v[72:73]
	ds_read2_b64 v[96:99], v118 offset0:13 offset1:14
	s_waitcnt vmcnt(7) lgkmcnt(2)
	v_fma_f64 v[62:63], -v[74:75], v[100:101], v[62:63]
	s_waitcnt vmcnt(6)
	v_fma_f64 v[70:71], -v[74:75], v[102:103], v[70:71]
	ds_read2_b64 v[100:103], v118 offset0:17 offset1:18
	s_waitcnt vmcnt(3) lgkmcnt(2)
	v_fma_f64 v[58:59], -v[74:75], v[104:105], v[58:59]
	s_waitcnt lgkmcnt(1)
	v_fma_f64 v[60:61], -v[74:75], v[96:97], v[60:61]
	v_fma_f64 v[68:69], -v[74:75], v[98:99], v[68:69]
	s_waitcnt vmcnt(2)
	v_fma_f64 v[66:67], -v[74:75], v[106:107], v[66:67]
	s_waitcnt vmcnt(1) lgkmcnt(0)
	v_fma_f64 v[56:57], -v[74:75], v[100:101], v[56:57]
	s_waitcnt vmcnt(0)
	v_fma_f64 v[76:77], -v[74:75], v[102:103], v[76:77]
.LBB37_46:
	s_or_b64 exec, exec, s[2:3]
	v_cmp_eq_u32_e32 vcc, 9, v116
	s_waitcnt lgkmcnt(0)
	s_barrier
	s_and_saveexec_b64 s[2:3], vcc
	s_cbranch_execz .LBB37_49
; %bb.47:
	s_waitcnt vmcnt(8)
	v_mov_b32_e32 v96, v72
	v_mov_b32_e32 v97, v73
	s_waitcnt vmcnt(7)
	v_mov_b32_e32 v98, v62
	v_mov_b32_e32 v99, v63
	ds_write_b64 v117, v[64:65]
	ds_write2_b64 v118, v[96:97], v[98:99] offset0:10 offset1:11
	s_waitcnt vmcnt(6)
	v_mov_b32_e32 v96, v70
	v_mov_b32_e32 v97, v71
	s_waitcnt vmcnt(5)
	v_mov_b32_e32 v98, v60
	v_mov_b32_e32 v99, v61
	ds_write2_b64 v118, v[96:97], v[98:99] offset0:12 offset1:13
	s_waitcnt vmcnt(4)
	v_mov_b32_e32 v96, v68
	v_mov_b32_e32 v97, v69
	s_waitcnt vmcnt(3)
	v_mov_b32_e32 v98, v58
	v_mov_b32_e32 v99, v59
	;; [unrolled: 7-line block ×3, first 2 shown]
	ds_write2_b64 v118, v[96:97], v[98:99] offset0:16 offset1:17
	s_waitcnt vmcnt(0)
	ds_write_b64 v118, v[76:77] offset:144
	ds_read_b64 v[96:97], v117
	s_waitcnt lgkmcnt(0)
	v_cmp_neq_f64_e32 vcc, 0, v[96:97]
	s_and_b64 exec, exec, vcc
	s_cbranch_execz .LBB37_49
; %bb.48:
	v_div_scale_f64 v[98:99], s[6:7], v[96:97], v[96:97], 1.0
	v_rcp_f64_e32 v[100:101], v[98:99]
	v_div_scale_f64 v[102:103], vcc, 1.0, v[96:97], 1.0
	v_fma_f64 v[104:105], -v[98:99], v[100:101], 1.0
	v_fmac_f64_e32 v[100:101], v[100:101], v[104:105]
	v_fma_f64 v[104:105], -v[98:99], v[100:101], 1.0
	v_fmac_f64_e32 v[100:101], v[100:101], v[104:105]
	v_mul_f64 v[104:105], v[102:103], v[100:101]
	v_fma_f64 v[98:99], -v[98:99], v[104:105], v[102:103]
	v_div_fmas_f64 v[98:99], v[98:99], v[100:101], v[104:105]
	v_div_fixup_f64 v[96:97], v[98:99], v[96:97], 1.0
	ds_write_b64 v117, v[96:97]
.LBB37_49:
	s_or_b64 exec, exec, s[2:3]
	s_waitcnt lgkmcnt(0)
	s_barrier
	ds_read_b64 v[96:97], v117
	v_cmp_lt_u32_e32 vcc, 9, v116
	s_and_saveexec_b64 s[2:3], vcc
	s_cbranch_execz .LBB37_51
; %bb.50:
	ds_read2_b64 v[98:101], v118 offset0:10 offset1:11
	ds_read2_b64 v[102:105], v118 offset0:12 offset1:13
	s_waitcnt vmcnt(9) lgkmcnt(2)
	v_mul_f64 v[64:65], v[96:97], v[64:65]
	ds_read2_b64 v[106:109], v118 offset0:16 offset1:17
	s_waitcnt vmcnt(8) lgkmcnt(2)
	v_fma_f64 v[72:73], -v[64:65], v[98:99], v[72:73]
	s_waitcnt vmcnt(7)
	v_fma_f64 v[62:63], -v[64:65], v[100:101], v[62:63]
	ds_read2_b64 v[98:101], v118 offset0:14 offset1:15
	s_waitcnt vmcnt(6) lgkmcnt(2)
	v_fma_f64 v[70:71], -v[64:65], v[102:103], v[70:71]
	ds_read_b64 v[102:103], v118 offset:144
	s_waitcnt vmcnt(5)
	v_fma_f64 v[60:61], -v[64:65], v[104:105], v[60:61]
	s_waitcnt vmcnt(2) lgkmcnt(2)
	v_fma_f64 v[66:67], -v[64:65], v[106:107], v[66:67]
	s_waitcnt lgkmcnt(1)
	v_fma_f64 v[68:69], -v[64:65], v[98:99], v[68:69]
	v_fma_f64 v[58:59], -v[64:65], v[100:101], v[58:59]
	s_waitcnt vmcnt(1)
	v_fma_f64 v[56:57], -v[64:65], v[108:109], v[56:57]
	s_waitcnt vmcnt(0) lgkmcnt(0)
	v_fma_f64 v[76:77], -v[64:65], v[102:103], v[76:77]
.LBB37_51:
	s_or_b64 exec, exec, s[2:3]
	v_cmp_eq_u32_e32 vcc, 10, v116
	s_waitcnt lgkmcnt(0)
	s_barrier
	s_and_saveexec_b64 s[2:3], vcc
	s_cbranch_execz .LBB37_54
; %bb.52:
	s_waitcnt vmcnt(8)
	ds_write_b64 v117, v[72:73]
	s_waitcnt vmcnt(6)
	ds_write2_b64 v118, v[62:63], v[70:71] offset0:11 offset1:12
	s_waitcnt vmcnt(4)
	ds_write2_b64 v118, v[60:61], v[68:69] offset0:13 offset1:14
	;; [unrolled: 2-line block ×4, first 2 shown]
	ds_read_b64 v[98:99], v117
	s_waitcnt lgkmcnt(0)
	v_cmp_neq_f64_e32 vcc, 0, v[98:99]
	s_and_b64 exec, exec, vcc
	s_cbranch_execz .LBB37_54
; %bb.53:
	v_div_scale_f64 v[100:101], s[6:7], v[98:99], v[98:99], 1.0
	v_rcp_f64_e32 v[102:103], v[100:101]
	v_div_scale_f64 v[104:105], vcc, 1.0, v[98:99], 1.0
	v_fma_f64 v[106:107], -v[100:101], v[102:103], 1.0
	v_fmac_f64_e32 v[102:103], v[102:103], v[106:107]
	v_fma_f64 v[106:107], -v[100:101], v[102:103], 1.0
	v_fmac_f64_e32 v[102:103], v[102:103], v[106:107]
	v_mul_f64 v[106:107], v[104:105], v[102:103]
	v_fma_f64 v[100:101], -v[100:101], v[106:107], v[104:105]
	v_div_fmas_f64 v[100:101], v[100:101], v[102:103], v[106:107]
	v_div_fixup_f64 v[98:99], v[100:101], v[98:99], 1.0
	ds_write_b64 v117, v[98:99]
.LBB37_54:
	s_or_b64 exec, exec, s[2:3]
	s_waitcnt lgkmcnt(0)
	s_barrier
	ds_read_b64 v[98:99], v117
	v_cmp_lt_u32_e32 vcc, 10, v116
	s_and_saveexec_b64 s[2:3], vcc
	s_cbranch_execz .LBB37_56
; %bb.55:
	ds_read2_b64 v[100:103], v118 offset0:11 offset1:12
	ds_read2_b64 v[104:107], v118 offset0:13 offset1:14
	s_waitcnt vmcnt(8) lgkmcnt(2)
	v_mul_f64 v[72:73], v[98:99], v[72:73]
	ds_read2_b64 v[108:111], v118 offset0:15 offset1:16
	s_waitcnt vmcnt(7) lgkmcnt(2)
	v_fma_f64 v[62:63], -v[72:73], v[100:101], v[62:63]
	s_waitcnt vmcnt(6)
	v_fma_f64 v[70:71], -v[72:73], v[102:103], v[70:71]
	ds_read2_b64 v[100:103], v118 offset0:17 offset1:18
	s_waitcnt vmcnt(5) lgkmcnt(2)
	v_fma_f64 v[60:61], -v[72:73], v[104:105], v[60:61]
	s_waitcnt vmcnt(4)
	v_fma_f64 v[68:69], -v[72:73], v[106:107], v[68:69]
	s_waitcnt vmcnt(3) lgkmcnt(1)
	v_fma_f64 v[58:59], -v[72:73], v[108:109], v[58:59]
	s_waitcnt vmcnt(2)
	v_fma_f64 v[66:67], -v[72:73], v[110:111], v[66:67]
	;; [unrolled: 4-line block ×3, first 2 shown]
.LBB37_56:
	s_or_b64 exec, exec, s[2:3]
	v_cmp_eq_u32_e32 vcc, 11, v116
	s_waitcnt lgkmcnt(0)
	s_barrier
	s_and_saveexec_b64 s[2:3], vcc
	s_cbranch_execz .LBB37_59
; %bb.57:
	s_waitcnt vmcnt(6)
	v_mov_b32_e32 v100, v70
	v_mov_b32_e32 v101, v71
	s_waitcnt vmcnt(5)
	v_mov_b32_e32 v102, v60
	v_mov_b32_e32 v103, v61
	ds_write_b64 v117, v[62:63]
	ds_write2_b64 v118, v[100:101], v[102:103] offset0:12 offset1:13
	s_waitcnt vmcnt(4)
	v_mov_b32_e32 v100, v68
	v_mov_b32_e32 v101, v69
	s_waitcnt vmcnt(3)
	v_mov_b32_e32 v102, v58
	v_mov_b32_e32 v103, v59
	ds_write2_b64 v118, v[100:101], v[102:103] offset0:14 offset1:15
	s_waitcnt vmcnt(2)
	v_mov_b32_e32 v100, v66
	v_mov_b32_e32 v101, v67
	s_waitcnt vmcnt(1)
	v_mov_b32_e32 v102, v56
	v_mov_b32_e32 v103, v57
	ds_write2_b64 v118, v[100:101], v[102:103] offset0:16 offset1:17
	s_waitcnt vmcnt(0)
	ds_write_b64 v118, v[76:77] offset:144
	ds_read_b64 v[100:101], v117
	s_waitcnt lgkmcnt(0)
	v_cmp_neq_f64_e32 vcc, 0, v[100:101]
	s_and_b64 exec, exec, vcc
	s_cbranch_execz .LBB37_59
; %bb.58:
	v_div_scale_f64 v[102:103], s[6:7], v[100:101], v[100:101], 1.0
	v_rcp_f64_e32 v[104:105], v[102:103]
	v_div_scale_f64 v[106:107], vcc, 1.0, v[100:101], 1.0
	v_fma_f64 v[108:109], -v[102:103], v[104:105], 1.0
	v_fmac_f64_e32 v[104:105], v[104:105], v[108:109]
	v_fma_f64 v[108:109], -v[102:103], v[104:105], 1.0
	v_fmac_f64_e32 v[104:105], v[104:105], v[108:109]
	v_mul_f64 v[108:109], v[106:107], v[104:105]
	v_fma_f64 v[102:103], -v[102:103], v[108:109], v[106:107]
	v_div_fmas_f64 v[102:103], v[102:103], v[104:105], v[108:109]
	v_div_fixup_f64 v[100:101], v[102:103], v[100:101], 1.0
	ds_write_b64 v117, v[100:101]
.LBB37_59:
	s_or_b64 exec, exec, s[2:3]
	s_waitcnt lgkmcnt(0)
	s_barrier
	ds_read_b64 v[100:101], v117
	v_cmp_lt_u32_e32 vcc, 11, v116
	s_and_saveexec_b64 s[2:3], vcc
	s_cbranch_execz .LBB37_61
; %bb.60:
	ds_read2_b64 v[102:105], v118 offset0:12 offset1:13
	ds_read2_b64 v[106:109], v118 offset0:14 offset1:15
	s_waitcnt vmcnt(7) lgkmcnt(2)
	v_mul_f64 v[62:63], v[100:101], v[62:63]
	ds_read2_b64 v[110:113], v118 offset0:16 offset1:17
	s_waitcnt vmcnt(6) lgkmcnt(2)
	v_fma_f64 v[70:71], -v[62:63], v[102:103], v[70:71]
	ds_read_b64 v[102:103], v118 offset:144
	s_waitcnt vmcnt(5)
	v_fma_f64 v[60:61], -v[62:63], v[104:105], v[60:61]
	s_waitcnt vmcnt(4) lgkmcnt(2)
	v_fma_f64 v[68:69], -v[62:63], v[106:107], v[68:69]
	s_waitcnt vmcnt(3)
	v_fma_f64 v[58:59], -v[62:63], v[108:109], v[58:59]
	s_waitcnt vmcnt(2) lgkmcnt(1)
	v_fma_f64 v[66:67], -v[62:63], v[110:111], v[66:67]
	;; [unrolled: 4-line block ×3, first 2 shown]
.LBB37_61:
	s_or_b64 exec, exec, s[2:3]
	v_cmp_eq_u32_e32 vcc, 12, v116
	s_waitcnt lgkmcnt(0)
	s_barrier
	s_and_saveexec_b64 s[2:3], vcc
	s_cbranch_execz .LBB37_64
; %bb.62:
	s_waitcnt vmcnt(6)
	ds_write_b64 v117, v[70:71]
	s_waitcnt vmcnt(4)
	ds_write2_b64 v118, v[60:61], v[68:69] offset0:13 offset1:14
	s_waitcnt vmcnt(2)
	ds_write2_b64 v118, v[58:59], v[66:67] offset0:15 offset1:16
	s_waitcnt vmcnt(0)
	ds_write2_b64 v118, v[56:57], v[76:77] offset0:17 offset1:18
	ds_read_b64 v[102:103], v117
	s_waitcnt lgkmcnt(0)
	v_cmp_neq_f64_e32 vcc, 0, v[102:103]
	s_and_b64 exec, exec, vcc
	s_cbranch_execz .LBB37_64
; %bb.63:
	v_div_scale_f64 v[104:105], s[6:7], v[102:103], v[102:103], 1.0
	v_rcp_f64_e32 v[106:107], v[104:105]
	v_div_scale_f64 v[108:109], vcc, 1.0, v[102:103], 1.0
	v_fma_f64 v[110:111], -v[104:105], v[106:107], 1.0
	v_fmac_f64_e32 v[106:107], v[106:107], v[110:111]
	v_fma_f64 v[110:111], -v[104:105], v[106:107], 1.0
	v_fmac_f64_e32 v[106:107], v[106:107], v[110:111]
	v_mul_f64 v[110:111], v[108:109], v[106:107]
	v_fma_f64 v[104:105], -v[104:105], v[110:111], v[108:109]
	v_div_fmas_f64 v[104:105], v[104:105], v[106:107], v[110:111]
	v_div_fixup_f64 v[102:103], v[104:105], v[102:103], 1.0
	ds_write_b64 v117, v[102:103]
.LBB37_64:
	s_or_b64 exec, exec, s[2:3]
	s_waitcnt lgkmcnt(0)
	s_barrier
	ds_read_b64 v[102:103], v117
	v_cmp_lt_u32_e32 vcc, 12, v116
	s_and_saveexec_b64 s[2:3], vcc
	s_cbranch_execz .LBB37_66
; %bb.65:
	ds_read2_b64 v[104:107], v118 offset0:13 offset1:14
	ds_read2_b64 v[108:111], v118 offset0:15 offset1:16
	;; [unrolled: 1-line block ×3, first 2 shown]
	s_waitcnt vmcnt(6) lgkmcnt(3)
	v_mul_f64 v[70:71], v[102:103], v[70:71]
	s_waitcnt vmcnt(5) lgkmcnt(2)
	v_fma_f64 v[60:61], -v[70:71], v[104:105], v[60:61]
	s_waitcnt vmcnt(4)
	v_fma_f64 v[68:69], -v[70:71], v[106:107], v[68:69]
	s_waitcnt vmcnt(3) lgkmcnt(1)
	v_fma_f64 v[58:59], -v[70:71], v[108:109], v[58:59]
	s_waitcnt vmcnt(2)
	v_fma_f64 v[66:67], -v[70:71], v[110:111], v[66:67]
	;; [unrolled: 4-line block ×3, first 2 shown]
.LBB37_66:
	s_or_b64 exec, exec, s[2:3]
	v_cmp_eq_u32_e32 vcc, 13, v116
	s_waitcnt lgkmcnt(0)
	s_barrier
	s_and_saveexec_b64 s[2:3], vcc
	s_cbranch_execz .LBB37_69
; %bb.67:
	s_waitcnt vmcnt(4)
	v_mov_b32_e32 v104, v68
	v_mov_b32_e32 v105, v69
	s_waitcnt vmcnt(3)
	v_mov_b32_e32 v106, v58
	v_mov_b32_e32 v107, v59
	ds_write_b64 v117, v[60:61]
	ds_write2_b64 v118, v[104:105], v[106:107] offset0:14 offset1:15
	s_waitcnt vmcnt(2)
	v_mov_b32_e32 v104, v66
	v_mov_b32_e32 v105, v67
	s_waitcnt vmcnt(1)
	v_mov_b32_e32 v106, v56
	v_mov_b32_e32 v107, v57
	ds_write2_b64 v118, v[104:105], v[106:107] offset0:16 offset1:17
	s_waitcnt vmcnt(0)
	ds_write_b64 v118, v[76:77] offset:144
	ds_read_b64 v[104:105], v117
	s_waitcnt lgkmcnt(0)
	v_cmp_neq_f64_e32 vcc, 0, v[104:105]
	s_and_b64 exec, exec, vcc
	s_cbranch_execz .LBB37_69
; %bb.68:
	v_div_scale_f64 v[106:107], s[6:7], v[104:105], v[104:105], 1.0
	v_rcp_f64_e32 v[108:109], v[106:107]
	v_div_scale_f64 v[110:111], vcc, 1.0, v[104:105], 1.0
	v_fma_f64 v[112:113], -v[106:107], v[108:109], 1.0
	v_fmac_f64_e32 v[108:109], v[108:109], v[112:113]
	v_fma_f64 v[112:113], -v[106:107], v[108:109], 1.0
	v_fmac_f64_e32 v[108:109], v[108:109], v[112:113]
	v_mul_f64 v[112:113], v[110:111], v[108:109]
	v_fma_f64 v[106:107], -v[106:107], v[112:113], v[110:111]
	v_div_fmas_f64 v[106:107], v[106:107], v[108:109], v[112:113]
	v_div_fixup_f64 v[104:105], v[106:107], v[104:105], 1.0
	ds_write_b64 v117, v[104:105]
.LBB37_69:
	s_or_b64 exec, exec, s[2:3]
	s_waitcnt lgkmcnt(0)
	s_barrier
	ds_read_b64 v[104:105], v117
	v_cmp_lt_u32_e32 vcc, 13, v116
	s_and_saveexec_b64 s[2:3], vcc
	s_cbranch_execz .LBB37_71
; %bb.70:
	ds_read2_b64 v[106:109], v118 offset0:14 offset1:15
	ds_read2_b64 v[110:113], v118 offset0:16 offset1:17
	ds_read_b64 v[114:115], v118 offset:144
	s_waitcnt vmcnt(5) lgkmcnt(3)
	v_mul_f64 v[60:61], v[104:105], v[60:61]
	s_waitcnt vmcnt(4) lgkmcnt(2)
	v_fma_f64 v[68:69], -v[60:61], v[106:107], v[68:69]
	s_waitcnt vmcnt(3)
	v_fma_f64 v[58:59], -v[60:61], v[108:109], v[58:59]
	s_waitcnt vmcnt(2) lgkmcnt(1)
	v_fma_f64 v[66:67], -v[60:61], v[110:111], v[66:67]
	s_waitcnt vmcnt(1)
	v_fma_f64 v[56:57], -v[60:61], v[112:113], v[56:57]
	s_waitcnt vmcnt(0) lgkmcnt(0)
	v_fma_f64 v[76:77], -v[60:61], v[114:115], v[76:77]
.LBB37_71:
	s_or_b64 exec, exec, s[2:3]
	v_cmp_eq_u32_e32 vcc, 14, v116
	s_waitcnt lgkmcnt(0)
	s_barrier
	s_and_saveexec_b64 s[2:3], vcc
	s_cbranch_execz .LBB37_74
; %bb.72:
	s_waitcnt vmcnt(4)
	ds_write_b64 v117, v[68:69]
	s_waitcnt vmcnt(2)
	ds_write2_b64 v118, v[58:59], v[66:67] offset0:15 offset1:16
	s_waitcnt vmcnt(0)
	ds_write2_b64 v118, v[56:57], v[76:77] offset0:17 offset1:18
	ds_read_b64 v[106:107], v117
	s_waitcnt lgkmcnt(0)
	v_cmp_neq_f64_e32 vcc, 0, v[106:107]
	s_and_b64 exec, exec, vcc
	s_cbranch_execz .LBB37_74
; %bb.73:
	v_div_scale_f64 v[108:109], s[6:7], v[106:107], v[106:107], 1.0
	v_rcp_f64_e32 v[110:111], v[108:109]
	v_div_scale_f64 v[112:113], vcc, 1.0, v[106:107], 1.0
	v_fma_f64 v[114:115], -v[108:109], v[110:111], 1.0
	v_fmac_f64_e32 v[110:111], v[110:111], v[114:115]
	v_fma_f64 v[114:115], -v[108:109], v[110:111], 1.0
	v_fmac_f64_e32 v[110:111], v[110:111], v[114:115]
	v_mul_f64 v[114:115], v[112:113], v[110:111]
	v_fma_f64 v[108:109], -v[108:109], v[114:115], v[112:113]
	v_div_fmas_f64 v[108:109], v[108:109], v[110:111], v[114:115]
	v_div_fixup_f64 v[106:107], v[108:109], v[106:107], 1.0
	ds_write_b64 v117, v[106:107]
.LBB37_74:
	s_or_b64 exec, exec, s[2:3]
	s_waitcnt lgkmcnt(0)
	s_barrier
	ds_read_b64 v[106:107], v117
	v_cmp_lt_u32_e32 vcc, 14, v116
	s_and_saveexec_b64 s[2:3], vcc
	s_cbranch_execz .LBB37_76
; %bb.75:
	ds_read2_b64 v[108:111], v118 offset0:15 offset1:16
	ds_read2_b64 v[112:115], v118 offset0:17 offset1:18
	s_waitcnt vmcnt(4) lgkmcnt(2)
	v_mul_f64 v[68:69], v[106:107], v[68:69]
	s_waitcnt vmcnt(3) lgkmcnt(1)
	v_fma_f64 v[58:59], -v[68:69], v[108:109], v[58:59]
	s_waitcnt vmcnt(2)
	v_fma_f64 v[66:67], -v[68:69], v[110:111], v[66:67]
	s_waitcnt vmcnt(1) lgkmcnt(0)
	v_fma_f64 v[56:57], -v[68:69], v[112:113], v[56:57]
	s_waitcnt vmcnt(0)
	v_fma_f64 v[76:77], -v[68:69], v[114:115], v[76:77]
.LBB37_76:
	s_or_b64 exec, exec, s[2:3]
	v_cmp_eq_u32_e32 vcc, 15, v116
	s_waitcnt lgkmcnt(0)
	s_barrier
	s_and_saveexec_b64 s[2:3], vcc
	s_cbranch_execz .LBB37_79
; %bb.77:
	s_waitcnt vmcnt(2)
	v_mov_b32_e32 v108, v66
	v_mov_b32_e32 v109, v67
	s_waitcnt vmcnt(1)
	v_mov_b32_e32 v110, v56
	v_mov_b32_e32 v111, v57
	ds_write_b64 v117, v[58:59]
	ds_write2_b64 v118, v[108:109], v[110:111] offset0:16 offset1:17
	s_waitcnt vmcnt(0)
	ds_write_b64 v118, v[76:77] offset:144
	ds_read_b64 v[108:109], v117
	s_waitcnt lgkmcnt(0)
	v_cmp_neq_f64_e32 vcc, 0, v[108:109]
	s_and_b64 exec, exec, vcc
	s_cbranch_execz .LBB37_79
; %bb.78:
	v_div_scale_f64 v[110:111], s[6:7], v[108:109], v[108:109], 1.0
	v_rcp_f64_e32 v[112:113], v[110:111]
	v_div_scale_f64 v[114:115], vcc, 1.0, v[108:109], 1.0
	v_fma_f64 v[120:121], -v[110:111], v[112:113], 1.0
	v_fmac_f64_e32 v[112:113], v[112:113], v[120:121]
	v_fma_f64 v[120:121], -v[110:111], v[112:113], 1.0
	v_fmac_f64_e32 v[112:113], v[112:113], v[120:121]
	v_mul_f64 v[120:121], v[114:115], v[112:113]
	v_fma_f64 v[110:111], -v[110:111], v[120:121], v[114:115]
	v_div_fmas_f64 v[110:111], v[110:111], v[112:113], v[120:121]
	v_div_fixup_f64 v[108:109], v[110:111], v[108:109], 1.0
	ds_write_b64 v117, v[108:109]
.LBB37_79:
	s_or_b64 exec, exec, s[2:3]
	s_waitcnt lgkmcnt(0)
	s_barrier
	ds_read_b64 v[108:109], v117
	v_cmp_lt_u32_e32 vcc, 15, v116
	s_and_saveexec_b64 s[2:3], vcc
	s_cbranch_execz .LBB37_81
; %bb.80:
	ds_read2_b64 v[110:113], v118 offset0:16 offset1:17
	ds_read_b64 v[114:115], v118 offset:144
	s_waitcnt vmcnt(3) lgkmcnt(2)
	v_mul_f64 v[58:59], v[108:109], v[58:59]
	s_waitcnt vmcnt(2) lgkmcnt(1)
	v_fma_f64 v[66:67], -v[58:59], v[110:111], v[66:67]
	s_waitcnt vmcnt(1)
	v_fma_f64 v[56:57], -v[58:59], v[112:113], v[56:57]
	s_waitcnt vmcnt(0) lgkmcnt(0)
	v_fma_f64 v[76:77], -v[58:59], v[114:115], v[76:77]
.LBB37_81:
	s_or_b64 exec, exec, s[2:3]
	v_cmp_eq_u32_e32 vcc, 16, v116
	s_waitcnt lgkmcnt(0)
	s_barrier
	s_and_saveexec_b64 s[2:3], vcc
	s_cbranch_execz .LBB37_84
; %bb.82:
	s_waitcnt vmcnt(2)
	ds_write_b64 v117, v[66:67]
	s_waitcnt vmcnt(0)
	ds_write2_b64 v118, v[56:57], v[76:77] offset0:17 offset1:18
	ds_read_b64 v[110:111], v117
	s_waitcnt lgkmcnt(0)
	v_cmp_neq_f64_e32 vcc, 0, v[110:111]
	s_and_b64 exec, exec, vcc
	s_cbranch_execz .LBB37_84
; %bb.83:
	v_div_scale_f64 v[112:113], s[6:7], v[110:111], v[110:111], 1.0
	v_rcp_f64_e32 v[114:115], v[112:113]
	v_div_scale_f64 v[120:121], vcc, 1.0, v[110:111], 1.0
	v_fma_f64 v[122:123], -v[112:113], v[114:115], 1.0
	v_fmac_f64_e32 v[114:115], v[114:115], v[122:123]
	v_fma_f64 v[122:123], -v[112:113], v[114:115], 1.0
	v_fmac_f64_e32 v[114:115], v[114:115], v[122:123]
	v_mul_f64 v[122:123], v[120:121], v[114:115]
	v_fma_f64 v[112:113], -v[112:113], v[122:123], v[120:121]
	v_div_fmas_f64 v[112:113], v[112:113], v[114:115], v[122:123]
	v_div_fixup_f64 v[110:111], v[112:113], v[110:111], 1.0
	ds_write_b64 v117, v[110:111]
.LBB37_84:
	s_or_b64 exec, exec, s[2:3]
	s_waitcnt lgkmcnt(0)
	s_barrier
	ds_read_b64 v[110:111], v117
	v_cmp_lt_u32_e32 vcc, 16, v116
	s_and_saveexec_b64 s[2:3], vcc
	s_cbranch_execz .LBB37_86
; %bb.85:
	ds_read2_b64 v[112:115], v118 offset0:17 offset1:18
	s_waitcnt vmcnt(2) lgkmcnt(1)
	v_mul_f64 v[66:67], v[110:111], v[66:67]
	s_waitcnt vmcnt(1) lgkmcnt(0)
	v_fma_f64 v[56:57], -v[66:67], v[112:113], v[56:57]
	s_waitcnt vmcnt(0)
	v_fma_f64 v[76:77], -v[66:67], v[114:115], v[76:77]
.LBB37_86:
	s_or_b64 exec, exec, s[2:3]
	v_cmp_eq_u32_e32 vcc, 17, v116
	s_waitcnt lgkmcnt(0)
	s_barrier
	s_and_saveexec_b64 s[2:3], vcc
	s_cbranch_execz .LBB37_89
; %bb.87:
	s_waitcnt vmcnt(1)
	ds_write_b64 v117, v[56:57]
	s_waitcnt vmcnt(0)
	ds_write_b64 v118, v[76:77] offset:144
	ds_read_b64 v[112:113], v117
	s_waitcnt lgkmcnt(0)
	v_cmp_neq_f64_e32 vcc, 0, v[112:113]
	s_and_b64 exec, exec, vcc
	s_cbranch_execz .LBB37_89
; %bb.88:
	v_div_scale_f64 v[114:115], s[6:7], v[112:113], v[112:113], 1.0
	v_rcp_f64_e32 v[120:121], v[114:115]
	v_div_scale_f64 v[122:123], vcc, 1.0, v[112:113], 1.0
	v_fma_f64 v[124:125], -v[114:115], v[120:121], 1.0
	v_fmac_f64_e32 v[120:121], v[120:121], v[124:125]
	v_fma_f64 v[124:125], -v[114:115], v[120:121], 1.0
	v_fmac_f64_e32 v[120:121], v[120:121], v[124:125]
	v_mul_f64 v[124:125], v[122:123], v[120:121]
	v_fma_f64 v[114:115], -v[114:115], v[124:125], v[122:123]
	v_div_fmas_f64 v[114:115], v[114:115], v[120:121], v[124:125]
	v_div_fixup_f64 v[112:113], v[114:115], v[112:113], 1.0
	ds_write_b64 v117, v[112:113]
.LBB37_89:
	s_or_b64 exec, exec, s[2:3]
	s_waitcnt lgkmcnt(0)
	s_barrier
	ds_read_b64 v[114:115], v117
	v_cmp_lt_u32_e32 vcc, 17, v116
	s_and_saveexec_b64 s[2:3], vcc
	s_cbranch_execz .LBB37_91
; %bb.90:
	ds_read_b64 v[112:113], v118 offset:144
	s_waitcnt vmcnt(1) lgkmcnt(1)
	v_mul_f64 v[56:57], v[114:115], v[56:57]
	s_waitcnt vmcnt(0) lgkmcnt(0)
	v_fma_f64 v[76:77], -v[56:57], v[112:113], v[76:77]
.LBB37_91:
	s_or_b64 exec, exec, s[2:3]
	v_cmp_eq_u32_e32 vcc, 18, v116
	s_waitcnt lgkmcnt(0)
	s_barrier
	s_and_saveexec_b64 s[2:3], vcc
	s_cbranch_execz .LBB37_94
; %bb.92:
	s_waitcnt vmcnt(0)
	v_cmp_neq_f64_e32 vcc, 0, v[76:77]
	ds_write_b64 v117, v[76:77]
	s_and_b64 exec, exec, vcc
	s_cbranch_execz .LBB37_94
; %bb.93:
	v_div_scale_f64 v[112:113], s[6:7], v[76:77], v[76:77], 1.0
	v_rcp_f64_e32 v[118:119], v[112:113]
	v_div_scale_f64 v[120:121], vcc, 1.0, v[76:77], 1.0
	v_fma_f64 v[122:123], -v[112:113], v[118:119], 1.0
	v_fmac_f64_e32 v[118:119], v[118:119], v[122:123]
	v_fma_f64 v[122:123], -v[112:113], v[118:119], 1.0
	v_fmac_f64_e32 v[118:119], v[118:119], v[122:123]
	v_mul_f64 v[122:123], v[120:121], v[118:119]
	v_fma_f64 v[112:113], -v[112:113], v[122:123], v[120:121]
	v_div_fmas_f64 v[112:113], v[112:113], v[118:119], v[122:123]
	v_div_fixup_f64 v[112:113], v[112:113], v[76:77], 1.0
	ds_write_b64 v117, v[112:113]
.LBB37_94:
	s_or_b64 exec, exec, s[2:3]
	s_waitcnt lgkmcnt(0)
	s_barrier
	ds_read_b64 v[112:113], v117
	s_waitcnt lgkmcnt(0)
	s_barrier
	s_and_saveexec_b64 s[40:41], s[0:1]
	s_cbranch_execz .LBB37_97
; %bb.95:
	s_load_dwordx2 s[0:1], s[4:5], 0x28
	v_lshlrev_b64 v[2:3], 2, v[2:3]
	v_cmp_eq_f64_e64 s[2:3], 0, v[82:83]
	v_cmp_eq_f64_e64 s[4:5], 0, v[84:85]
	;; [unrolled: 1-line block ×3, first 2 shown]
	s_waitcnt lgkmcnt(0)
	v_mov_b32_e32 v117, s1
	v_add_co_u32_e32 v2, vcc, s0, v2
	v_addc_co_u32_e32 v3, vcc, v117, v3, vcc
	global_load_dword v117, v[2:3], off
	v_cmp_eq_f64_e32 vcc, 0, v[78:79]
	v_cmp_neq_f64_e64 s[0:1], 0, v[80:81]
	v_cndmask_b32_e64 v78, 0, 1, vcc
	s_or_b64 vcc, s[0:1], vcc
	v_cndmask_b32_e32 v78, 2, v78, vcc
	v_cmp_eq_u32_e32 vcc, 0, v78
	s_and_b64 s[0:1], s[2:3], vcc
	v_cndmask_b32_e64 v78, v78, 3, s[0:1]
	v_cmp_eq_u32_e32 vcc, 0, v78
	s_and_b64 s[0:1], s[4:5], vcc
	v_cndmask_b32_e64 v78, v78, 4, s[0:1]
	;; [unrolled: 3-line block ×3, first 2 shown]
	v_cmp_eq_f64_e64 s[8:9], 0, v[88:89]
	v_cmp_eq_u32_e32 vcc, 0, v78
	s_and_b64 s[0:1], s[8:9], vcc
	v_cndmask_b32_e64 v78, v78, 6, s[0:1]
	v_cmp_eq_f64_e64 s[10:11], 0, v[90:91]
	v_cmp_eq_u32_e32 vcc, 0, v78
	s_and_b64 s[0:1], s[10:11], vcc
	v_cndmask_b32_e64 v78, v78, 7, s[0:1]
	;; [unrolled: 4-line block ×14, first 2 shown]
	v_cmp_ne_u32_e64 s[0:1], 0, v78
	s_waitcnt vmcnt(0)
	v_cmp_eq_u32_e32 vcc, 0, v117
	s_and_b64 s[0:1], vcc, s[0:1]
	s_and_b64 exec, exec, s[0:1]
	s_cbranch_execz .LBB37_97
; %bb.96:
	v_add_u32_e32 v78, s39, v78
	global_store_dword v[2:3], v78, off
.LBB37_97:
	s_or_b64 exec, exec, s[40:41]
	s_waitcnt vmcnt(0)
	v_mul_f64 v[2:3], v[112:113], v[76:77]
	v_cmp_lt_u32_e32 vcc, 18, v116
	v_cndmask_b32_e32 v3, v77, v3, vcc
	v_cndmask_b32_e32 v2, v76, v2, vcc
	global_store_dwordx2 v[0:1], v[24:25], off
	global_store_dwordx2 v[20:21], v[28:29], off
	;; [unrolled: 1-line block ×19, first 2 shown]
.LBB37_98:
	s_endpgm
	.section	.rodata,"a",@progbits
	.p2align	6, 0x0
	.amdhsa_kernel _ZN9rocsolver6v33100L23getf2_npvt_small_kernelILi19EdiiPKPdEEvT1_T3_lS5_lPT2_S5_S5_
		.amdhsa_group_segment_fixed_size 0
		.amdhsa_private_segment_fixed_size 0
		.amdhsa_kernarg_size 312
		.amdhsa_user_sgpr_count 6
		.amdhsa_user_sgpr_private_segment_buffer 1
		.amdhsa_user_sgpr_dispatch_ptr 0
		.amdhsa_user_sgpr_queue_ptr 0
		.amdhsa_user_sgpr_kernarg_segment_ptr 1
		.amdhsa_user_sgpr_dispatch_id 0
		.amdhsa_user_sgpr_flat_scratch_init 0
		.amdhsa_user_sgpr_kernarg_preload_length 0
		.amdhsa_user_sgpr_kernarg_preload_offset 0
		.amdhsa_user_sgpr_private_segment_size 0
		.amdhsa_uses_dynamic_stack 0
		.amdhsa_system_sgpr_private_segment_wavefront_offset 0
		.amdhsa_system_sgpr_workgroup_id_x 1
		.amdhsa_system_sgpr_workgroup_id_y 1
		.amdhsa_system_sgpr_workgroup_id_z 0
		.amdhsa_system_sgpr_workgroup_info 0
		.amdhsa_system_vgpr_workitem_id 1
		.amdhsa_next_free_vgpr 126
		.amdhsa_next_free_sgpr 42
		.amdhsa_accum_offset 128
		.amdhsa_reserve_vcc 1
		.amdhsa_reserve_flat_scratch 0
		.amdhsa_float_round_mode_32 0
		.amdhsa_float_round_mode_16_64 0
		.amdhsa_float_denorm_mode_32 3
		.amdhsa_float_denorm_mode_16_64 3
		.amdhsa_dx10_clamp 1
		.amdhsa_ieee_mode 1
		.amdhsa_fp16_overflow 0
		.amdhsa_tg_split 0
		.amdhsa_exception_fp_ieee_invalid_op 0
		.amdhsa_exception_fp_denorm_src 0
		.amdhsa_exception_fp_ieee_div_zero 0
		.amdhsa_exception_fp_ieee_overflow 0
		.amdhsa_exception_fp_ieee_underflow 0
		.amdhsa_exception_fp_ieee_inexact 0
		.amdhsa_exception_int_div_zero 0
	.end_amdhsa_kernel
	.section	.text._ZN9rocsolver6v33100L23getf2_npvt_small_kernelILi19EdiiPKPdEEvT1_T3_lS5_lPT2_S5_S5_,"axG",@progbits,_ZN9rocsolver6v33100L23getf2_npvt_small_kernelILi19EdiiPKPdEEvT1_T3_lS5_lPT2_S5_S5_,comdat
.Lfunc_end37:
	.size	_ZN9rocsolver6v33100L23getf2_npvt_small_kernelILi19EdiiPKPdEEvT1_T3_lS5_lPT2_S5_S5_, .Lfunc_end37-_ZN9rocsolver6v33100L23getf2_npvt_small_kernelILi19EdiiPKPdEEvT1_T3_lS5_lPT2_S5_S5_
                                        ; -- End function
	.section	.AMDGPU.csdata,"",@progbits
; Kernel info:
; codeLenInByte = 9536
; NumSgprs: 46
; NumVgprs: 126
; NumAgprs: 0
; TotalNumVgprs: 126
; ScratchSize: 0
; MemoryBound: 0
; FloatMode: 240
; IeeeMode: 1
; LDSByteSize: 0 bytes/workgroup (compile time only)
; SGPRBlocks: 5
; VGPRBlocks: 15
; NumSGPRsForWavesPerEU: 46
; NumVGPRsForWavesPerEU: 126
; AccumOffset: 128
; Occupancy: 4
; WaveLimiterHint : 1
; COMPUTE_PGM_RSRC2:SCRATCH_EN: 0
; COMPUTE_PGM_RSRC2:USER_SGPR: 6
; COMPUTE_PGM_RSRC2:TRAP_HANDLER: 0
; COMPUTE_PGM_RSRC2:TGID_X_EN: 1
; COMPUTE_PGM_RSRC2:TGID_Y_EN: 1
; COMPUTE_PGM_RSRC2:TGID_Z_EN: 0
; COMPUTE_PGM_RSRC2:TIDIG_COMP_CNT: 1
; COMPUTE_PGM_RSRC3_GFX90A:ACCUM_OFFSET: 31
; COMPUTE_PGM_RSRC3_GFX90A:TG_SPLIT: 0
	.section	.text._ZN9rocsolver6v33100L18getf2_small_kernelILi20EdiiPKPdEEvT1_T3_lS5_lPS5_llPT2_S5_S5_S7_l,"axG",@progbits,_ZN9rocsolver6v33100L18getf2_small_kernelILi20EdiiPKPdEEvT1_T3_lS5_lPS5_llPT2_S5_S5_S7_l,comdat
	.globl	_ZN9rocsolver6v33100L18getf2_small_kernelILi20EdiiPKPdEEvT1_T3_lS5_lPS5_llPT2_S5_S5_S7_l ; -- Begin function _ZN9rocsolver6v33100L18getf2_small_kernelILi20EdiiPKPdEEvT1_T3_lS5_lPS5_llPT2_S5_S5_S7_l
	.p2align	8
	.type	_ZN9rocsolver6v33100L18getf2_small_kernelILi20EdiiPKPdEEvT1_T3_lS5_lPS5_llPT2_S5_S5_S7_l,@function
_ZN9rocsolver6v33100L18getf2_small_kernelILi20EdiiPKPdEEvT1_T3_lS5_lPS5_llPT2_S5_S5_S7_l: ; @_ZN9rocsolver6v33100L18getf2_small_kernelILi20EdiiPKPdEEvT1_T3_lS5_lPS5_llPT2_S5_S5_S7_l
; %bb.0:
	s_load_dword s0, s[4:5], 0x6c
	s_load_dwordx2 s[12:13], s[4:5], 0x48
	v_bfe_u32 v44, v0, 10, 10
	s_waitcnt lgkmcnt(0)
	s_lshr_b32 s0, s0, 16
	s_mul_i32 s7, s7, s0
	v_add_u32_e32 v2, s7, v44
	v_cmp_gt_i32_e32 vcc, s12, v2
	s_and_saveexec_b64 s[0:1], vcc
	s_cbranch_execz .LBB38_337
; %bb.1:
	s_load_dwordx4 s[0:3], s[4:5], 0x8
	s_load_dwordx4 s[8:11], s[4:5], 0x50
	v_ashrrev_i32_e32 v3, 31, v2
	v_lshlrev_b64 v[4:5], 3, v[2:3]
	v_pk_mov_b32 v[40:41], 0, 0
	s_waitcnt lgkmcnt(0)
	v_mov_b32_e32 v1, s1
	v_add_co_u32_e32 v4, vcc, s0, v4
	v_addc_co_u32_e32 v5, vcc, v1, v5, vcc
	global_load_dwordx2 v[4:5], v[4:5], off
	s_cmp_eq_u64 s[8:9], 0
	s_cselect_b64 s[6:7], -1, 0
	s_and_b64 vcc, exec, s[6:7]
	s_cbranch_vccnz .LBB38_3
; %bb.2:
	v_mul_lo_u32 v1, v3, s10
	v_mul_lo_u32 v8, v2, s11
	v_mad_u64_u32 v[6:7], s[0:1], v2, s10, 0
	v_add3_u32 v7, v7, v8, v1
	v_lshlrev_b64 v[6:7], 2, v[6:7]
	v_mov_b32_e32 v1, s9
	v_add_co_u32_e32 v40, vcc, s8, v6
	v_addc_co_u32_e32 v41, vcc, v1, v7, vcc
.LBB38_3:
	s_load_dword s8, s[4:5], 0x18
	s_load_dword s12, s[4:5], 0x0
	s_lshl_b64 s[0:1], s[2:3], 3
	v_mov_b32_e32 v1, s1
	s_waitcnt vmcnt(0)
	v_add_co_u32_e32 v50, vcc, s0, v4
	v_and_b32_e32 v52, 0x3ff, v0
	v_addc_co_u32_e32 v51, vcc, v5, v1, vcc
	v_lshlrev_b32_e32 v45, 3, v52
	v_add_co_u32_e32 v4, vcc, v50, v45
	s_waitcnt lgkmcnt(0)
	s_ashr_i32 s9, s8, 31
	v_addc_co_u32_e32 v5, vcc, 0, v51, vcc
	s_lshl_b64 s[10:11], s[8:9], 3
	v_mov_b32_e32 v0, s11
	v_add_co_u32_e32 v8, vcc, s10, v4
	s_add_i32 s9, s8, s8
	v_addc_co_u32_e32 v9, vcc, v5, v0, vcc
	v_add_u32_e32 v0, s9, v52
	v_ashrrev_i32_e32 v1, 31, v0
	v_lshlrev_b64 v[6:7], 3, v[0:1]
	v_add_u32_e32 v14, s8, v0
	v_add_co_u32_e32 v10, vcc, v50, v6
	v_ashrrev_i32_e32 v15, 31, v14
	v_addc_co_u32_e32 v11, vcc, v51, v7, vcc
	v_lshlrev_b64 v[0:1], 3, v[14:15]
	v_add_co_u32_e32 v16, vcc, v50, v0
	v_addc_co_u32_e32 v17, vcc, v51, v1, vcc
	global_load_dwordx2 v[18:19], v[4:5], off
	global_load_dwordx2 v[12:13], v[8:9], off
	global_load_dwordx2 v[6:7], v[10:11], off
	global_load_dwordx2 v[0:1], v[16:17], off
	v_add_u32_e32 v4, s8, v14
	v_ashrrev_i32_e32 v5, 31, v4
	v_lshlrev_b64 v[8:9], 3, v[4:5]
	v_add_u32_e32 v4, s8, v4
	v_add_co_u32_e32 v8, vcc, v50, v8
	v_ashrrev_i32_e32 v5, 31, v4
	v_addc_co_u32_e32 v9, vcc, v51, v9, vcc
	v_lshlrev_b64 v[10:11], 3, v[4:5]
	v_add_u32_e32 v4, s8, v4
	v_add_co_u32_e32 v14, vcc, v50, v10
	v_ashrrev_i32_e32 v5, 31, v4
	v_addc_co_u32_e32 v15, vcc, v51, v11, vcc
	v_lshlrev_b64 v[10:11], 3, v[4:5]
	v_add_u32_e32 v22, s8, v4
	v_add_co_u32_e32 v16, vcc, v50, v10
	v_ashrrev_i32_e32 v23, 31, v22
	v_addc_co_u32_e32 v17, vcc, v51, v11, vcc
	v_lshlrev_b64 v[4:5], 3, v[22:23]
	v_add_co_u32_e32 v24, vcc, v50, v4
	v_addc_co_u32_e32 v25, vcc, v51, v5, vcc
	global_load_dwordx2 v[26:27], v[8:9], off
	global_load_dwordx2 v[20:21], v[14:15], off
	global_load_dwordx2 v[10:11], v[16:17], off
	global_load_dwordx2 v[4:5], v[24:25], off
	v_add_u32_e32 v8, s8, v22
	v_ashrrev_i32_e32 v9, 31, v8
	v_lshlrev_b64 v[14:15], 3, v[8:9]
	v_add_u32_e32 v8, s8, v8
	v_add_co_u32_e32 v14, vcc, v50, v14
	v_ashrrev_i32_e32 v9, 31, v8
	v_addc_co_u32_e32 v15, vcc, v51, v15, vcc
	v_lshlrev_b64 v[16:17], 3, v[8:9]
	v_add_u32_e32 v8, s8, v8
	v_add_co_u32_e32 v22, vcc, v50, v16
	v_ashrrev_i32_e32 v9, 31, v8
	v_addc_co_u32_e32 v23, vcc, v51, v17, vcc
	;; [unrolled: 24-line block ×4, first 2 shown]
	v_lshlrev_b64 v[34:35], 3, v[28:29]
	v_add_u32_e32 v28, s8, v28
	v_add_co_u32_e32 v54, vcc, v50, v34
	v_ashrrev_i32_e32 v29, 31, v28
	v_addc_co_u32_e32 v55, vcc, v51, v35, vcc
	v_lshlrev_b64 v[28:29], 3, v[28:29]
	v_add_co_u32_e32 v56, vcc, v50, v28
	v_addc_co_u32_e32 v57, vcc, v51, v29, vcc
	global_load_dwordx2 v[38:39], v[46:47], off
	global_load_dwordx2 v[34:35], v[48:49], off
	;; [unrolled: 1-line block ×4, first 2 shown]
	s_max_i32 s0, s12, 20
	v_mul_lo_u32 v47, s0, v44
	v_lshl_add_u32 v48, v47, 3, 0
	v_add_u32_e32 v44, v48, v45
	s_waitcnt vmcnt(19)
	ds_write_b64 v44, v[18:19]
	s_waitcnt lgkmcnt(0)
	s_barrier
	ds_read_b64 v[44:45], v48
	v_mov_b32_e32 v46, 0
	s_cmp_lt_i32 s12, 2
	v_lshlrev_b32_e32 v53, 3, v47
	s_cbranch_scc1 .LBB38_6
; %bb.4:
	v_add3_u32 v47, v53, 0, 8
	s_mov_b32 s0, 1
	v_mov_b32_e32 v46, 0
.LBB38_5:                               ; =>This Inner Loop Header: Depth=1
	ds_read_b64 v[54:55], v47
	v_mov_b32_e32 v49, s0
	s_add_i32 s0, s0, 1
	v_add_u32_e32 v47, 8, v47
	s_cmp_eq_u32 s12, s0
	s_waitcnt lgkmcnt(0)
	v_cmp_lt_f64_e64 vcc, |v[44:45]|, |v[54:55]|
	v_cndmask_b32_e32 v45, v45, v55, vcc
	v_cndmask_b32_e32 v44, v44, v54, vcc
	;; [unrolled: 1-line block ×3, first 2 shown]
	s_cbranch_scc0 .LBB38_5
.LBB38_6:
	v_cmp_ne_u32_e32 vcc, v52, v46
                                        ; implicit-def: $vgpr49
	s_and_saveexec_b64 s[0:1], vcc
	s_xor_b64 s[0:1], exec, s[0:1]
	s_cbranch_execz .LBB38_12
; %bb.7:
	v_cmp_eq_u32_e32 vcc, 0, v52
	s_and_saveexec_b64 s[2:3], vcc
	s_cbranch_execz .LBB38_11
; %bb.8:
	v_cmp_ne_u32_e32 vcc, 0, v46
	s_xor_b64 s[14:15], s[6:7], -1
	s_and_b64 s[16:17], s[14:15], vcc
	s_and_saveexec_b64 s[14:15], s[16:17]
	s_cbranch_execz .LBB38_10
; %bb.9:
	v_ashrrev_i32_e32 v47, 31, v46
	v_lshlrev_b64 v[54:55], 2, v[46:47]
	v_add_co_u32_e32 v54, vcc, v40, v54
	v_addc_co_u32_e32 v55, vcc, v41, v55, vcc
	flat_load_dword v47, v[54:55]
	flat_load_dword v49, v[40:41]
	s_waitcnt vmcnt(0) lgkmcnt(0)
	flat_store_dword v[40:41], v47
	flat_store_dword v[54:55], v49
.LBB38_10:
	s_or_b64 exec, exec, s[14:15]
	v_mov_b32_e32 v52, v46
.LBB38_11:
	s_or_b64 exec, exec, s[2:3]
	v_mov_b32_e32 v49, v52
                                        ; implicit-def: $vgpr52
.LBB38_12:
	s_or_saveexec_b64 s[0:1], s[0:1]
	v_mov_b32_e32 v47, v49
	s_xor_b64 exec, exec, s[0:1]
	s_cbranch_execz .LBB38_14
; %bb.13:
	v_mov_b32_e32 v49, 0
	v_mov_b32_e32 v47, v52
	s_waitcnt vmcnt(0)
	ds_write2_b64 v48, v[12:13], v[6:7] offset0:1 offset1:2
	ds_write2_b64 v48, v[0:1], v[26:27] offset0:3 offset1:4
	;; [unrolled: 1-line block ×9, first 2 shown]
	ds_write_b64 v48, v[42:43] offset:152
.LBB38_14:
	s_or_b64 exec, exec, s[0:1]
	s_waitcnt lgkmcnt(0)
	v_cmp_eq_f64_e64 s[0:1], 0, v[44:45]
	v_cmp_lt_i32_e32 vcc, 0, v49
	s_barrier
	s_and_saveexec_b64 s[2:3], vcc
	s_cbranch_execz .LBB38_16
; %bb.15:
	v_div_scale_f64 v[54:55], s[14:15], v[44:45], v[44:45], 1.0
	v_rcp_f64_e32 v[56:57], v[54:55]
	v_div_scale_f64 v[58:59], vcc, 1.0, v[44:45], 1.0
	ds_read2_b64 v[62:65], v48 offset0:5 offset1:6
	v_fma_f64 v[60:61], -v[54:55], v[56:57], 1.0
	v_fmac_f64_e32 v[56:57], v[56:57], v[60:61]
	v_fma_f64 v[60:61], -v[54:55], v[56:57], 1.0
	v_fmac_f64_e32 v[56:57], v[56:57], v[60:61]
	v_mul_f64 v[60:61], v[58:59], v[56:57]
	v_fma_f64 v[54:55], -v[54:55], v[60:61], v[58:59]
	v_div_fmas_f64 v[54:55], v[54:55], v[56:57], v[60:61]
	v_div_fixup_f64 v[58:59], v[54:55], v[44:45], 1.0
	ds_read2_b64 v[54:57], v48 offset0:1 offset1:2
	v_cndmask_b32_e64 v45, v59, v45, s[0:1]
	v_cndmask_b32_e64 v44, v58, v44, s[0:1]
	ds_read2_b64 v[58:61], v48 offset0:3 offset1:4
	v_mul_f64 v[18:19], v[44:45], v[18:19]
	s_waitcnt vmcnt(0) lgkmcnt(0)
	v_fma_f64 v[12:13], -v[18:19], v[54:55], v[12:13]
	v_fma_f64 v[6:7], -v[18:19], v[56:57], v[6:7]
	ds_read2_b64 v[54:57], v48 offset0:7 offset1:8
	v_fma_f64 v[0:1], -v[18:19], v[58:59], v[0:1]
	v_fma_f64 v[26:27], -v[18:19], v[60:61], v[26:27]
	;; [unrolled: 1-line block ×3, first 2 shown]
	ds_read2_b64 v[58:61], v48 offset0:9 offset1:10
	v_fma_f64 v[10:11], -v[18:19], v[64:65], v[10:11]
	ds_read2_b64 v[62:65], v48 offset0:11 offset1:12
	s_waitcnt lgkmcnt(2)
	v_fma_f64 v[4:5], -v[18:19], v[54:55], v[4:5]
	v_fma_f64 v[32:33], -v[18:19], v[56:57], v[32:33]
	s_waitcnt lgkmcnt(1)
	v_fma_f64 v[24:25], -v[18:19], v[58:59], v[24:25]
	ds_read2_b64 v[54:57], v48 offset0:13 offset1:14
	v_fma_f64 v[16:17], -v[18:19], v[60:61], v[16:17]
	ds_read2_b64 v[58:61], v48 offset0:15 offset1:16
	s_waitcnt lgkmcnt(2)
	v_fma_f64 v[8:9], -v[18:19], v[62:63], v[8:9]
	v_fma_f64 v[36:37], -v[18:19], v[64:65], v[36:37]
	ds_read2_b64 v[62:65], v48 offset0:17 offset1:18
	ds_read_b64 v[44:45], v48 offset:152
	s_waitcnt lgkmcnt(3)
	v_fma_f64 v[30:31], -v[18:19], v[54:55], v[30:31]
	v_fma_f64 v[22:23], -v[18:19], v[56:57], v[22:23]
	s_waitcnt lgkmcnt(2)
	v_fma_f64 v[14:15], -v[18:19], v[58:59], v[14:15]
	v_fma_f64 v[38:39], -v[18:19], v[60:61], v[38:39]
	;; [unrolled: 3-line block ×3, first 2 shown]
	s_waitcnt lgkmcnt(0)
	v_fma_f64 v[42:43], -v[18:19], v[44:45], v[42:43]
.LBB38_16:
	s_or_b64 exec, exec, s[2:3]
	v_lshl_add_u32 v44, v49, 3, v48
	s_barrier
	s_waitcnt vmcnt(0)
	ds_write_b64 v44, v[12:13]
	s_waitcnt lgkmcnt(0)
	s_barrier
	ds_read_b64 v[44:45], v48 offset:8
	s_cmp_lt_i32 s12, 3
	v_mov_b32_e32 v46, 1
	s_cbranch_scc1 .LBB38_19
; %bb.17:
	v_add3_u32 v52, v53, 0, 16
	s_mov_b32 s2, 2
	v_mov_b32_e32 v46, 1
.LBB38_18:                              ; =>This Inner Loop Header: Depth=1
	ds_read_b64 v[54:55], v52
	v_mov_b32_e32 v56, s2
	s_add_i32 s2, s2, 1
	v_add_u32_e32 v52, 8, v52
	s_cmp_lg_u32 s12, s2
	s_waitcnt lgkmcnt(0)
	v_cmp_lt_f64_e64 vcc, |v[44:45]|, |v[54:55]|
	v_cndmask_b32_e32 v45, v45, v55, vcc
	v_cndmask_b32_e32 v44, v44, v54, vcc
	;; [unrolled: 1-line block ×3, first 2 shown]
	s_cbranch_scc1 .LBB38_18
.LBB38_19:
	v_cmp_ne_u32_e32 vcc, v49, v46
	s_and_saveexec_b64 s[2:3], vcc
	s_xor_b64 s[2:3], exec, s[2:3]
	s_cbranch_execz .LBB38_25
; %bb.20:
	v_cmp_eq_u32_e32 vcc, 1, v49
	s_and_saveexec_b64 s[14:15], vcc
	s_cbranch_execz .LBB38_24
; %bb.21:
	v_cmp_ne_u32_e32 vcc, 1, v46
	s_xor_b64 s[16:17], s[6:7], -1
	s_and_b64 s[18:19], s[16:17], vcc
	s_and_saveexec_b64 s[16:17], s[18:19]
	s_cbranch_execz .LBB38_23
; %bb.22:
	v_ashrrev_i32_e32 v47, 31, v46
	v_lshlrev_b64 v[54:55], 2, v[46:47]
	v_add_co_u32_e32 v54, vcc, v40, v54
	v_addc_co_u32_e32 v55, vcc, v41, v55, vcc
	flat_load_dword v47, v[54:55]
	flat_load_dword v49, v[40:41] offset:4
	s_waitcnt vmcnt(0) lgkmcnt(0)
	flat_store_dword v[40:41], v47 offset:4
	flat_store_dword v[54:55], v49
.LBB38_23:
	s_or_b64 exec, exec, s[16:17]
	v_mov_b32_e32 v47, v46
	v_mov_b32_e32 v49, v46
.LBB38_24:
	s_or_b64 exec, exec, s[14:15]
.LBB38_25:
	s_andn2_saveexec_b64 s[2:3], s[2:3]
	s_cbranch_execz .LBB38_27
; %bb.26:
	v_mov_b32_e32 v54, v6
	v_mov_b32_e32 v55, v7
	v_mov_b32_e32 v56, v0
	v_mov_b32_e32 v57, v1
	ds_write2_b64 v48, v[54:55], v[56:57] offset0:2 offset1:3
	v_mov_b32_e32 v54, v26
	v_mov_b32_e32 v55, v27
	v_mov_b32_e32 v56, v20
	v_mov_b32_e32 v57, v21
	ds_write2_b64 v48, v[54:55], v[56:57] offset0:4 offset1:5
	;; [unrolled: 5-line block ×8, first 2 shown]
	v_mov_b32_e32 v54, v28
	v_mov_b32_e32 v55, v29
	;; [unrolled: 1-line block ×3, first 2 shown]
	ds_write2_b64 v48, v[54:55], v[42:43] offset0:18 offset1:19
.LBB38_27:
	s_or_b64 exec, exec, s[2:3]
	s_waitcnt lgkmcnt(0)
	v_cmp_neq_f64_e64 s[2:3], 0, v[44:45]
	v_cmp_lt_i32_e32 vcc, 1, v49
	s_barrier
	s_and_saveexec_b64 s[14:15], vcc
	s_cbranch_execz .LBB38_29
; %bb.28:
	v_div_scale_f64 v[54:55], s[16:17], v[44:45], v[44:45], 1.0
	v_rcp_f64_e32 v[56:57], v[54:55]
	v_div_scale_f64 v[58:59], vcc, 1.0, v[44:45], 1.0
	ds_read2_b64 v[62:65], v48 offset0:6 offset1:7
	v_fma_f64 v[60:61], -v[54:55], v[56:57], 1.0
	v_fmac_f64_e32 v[56:57], v[56:57], v[60:61]
	v_fma_f64 v[60:61], -v[54:55], v[56:57], 1.0
	v_fmac_f64_e32 v[56:57], v[56:57], v[60:61]
	v_mul_f64 v[60:61], v[58:59], v[56:57]
	v_fma_f64 v[54:55], -v[54:55], v[60:61], v[58:59]
	v_div_fmas_f64 v[54:55], v[54:55], v[56:57], v[60:61]
	v_div_fixup_f64 v[58:59], v[54:55], v[44:45], 1.0
	ds_read2_b64 v[54:57], v48 offset0:2 offset1:3
	v_cndmask_b32_e64 v45, v45, v59, s[2:3]
	v_cndmask_b32_e64 v44, v44, v58, s[2:3]
	ds_read2_b64 v[58:61], v48 offset0:4 offset1:5
	v_mul_f64 v[12:13], v[44:45], v[12:13]
	s_waitcnt lgkmcnt(0)
	v_fma_f64 v[6:7], -v[12:13], v[54:55], v[6:7]
	v_fma_f64 v[0:1], -v[12:13], v[56:57], v[0:1]
	ds_read2_b64 v[54:57], v48 offset0:8 offset1:9
	v_fma_f64 v[26:27], -v[12:13], v[58:59], v[26:27]
	v_fma_f64 v[20:21], -v[12:13], v[60:61], v[20:21]
	;; [unrolled: 1-line block ×3, first 2 shown]
	ds_read2_b64 v[58:61], v48 offset0:10 offset1:11
	v_fma_f64 v[4:5], -v[12:13], v[64:65], v[4:5]
	ds_read2_b64 v[62:65], v48 offset0:12 offset1:13
	s_waitcnt lgkmcnt(0)
	v_fma_f64 v[32:33], -v[12:13], v[54:55], v[32:33]
	v_fma_f64 v[24:25], -v[12:13], v[56:57], v[24:25]
	;; [unrolled: 1-line block ×4, first 2 shown]
	ds_read2_b64 v[54:57], v48 offset0:14 offset1:15
	ds_read2_b64 v[58:61], v48 offset0:16 offset1:17
	v_fma_f64 v[36:37], -v[12:13], v[62:63], v[36:37]
	v_fma_f64 v[30:31], -v[12:13], v[64:65], v[30:31]
	ds_read2_b64 v[62:65], v48 offset0:18 offset1:19
	s_waitcnt lgkmcnt(0)
	v_fma_f64 v[22:23], -v[12:13], v[54:55], v[22:23]
	v_fma_f64 v[14:15], -v[12:13], v[56:57], v[14:15]
	;; [unrolled: 1-line block ×6, first 2 shown]
.LBB38_29:
	s_or_b64 exec, exec, s[14:15]
	v_lshl_add_u32 v44, v49, 3, v48
	s_barrier
	ds_write_b64 v44, v[6:7]
	s_waitcnt lgkmcnt(0)
	s_barrier
	ds_read_b64 v[44:45], v48 offset:16
	s_mov_b32 s14, 3
	s_cmp_lt_i32 s12, 4
	v_mov_b32_e32 v46, 2
	s_cbranch_scc1 .LBB38_32
; %bb.30:
	v_add3_u32 v52, v53, 0, 24
	v_mov_b32_e32 v46, 2
.LBB38_31:                              ; =>This Inner Loop Header: Depth=1
	ds_read_b64 v[54:55], v52
	v_mov_b32_e32 v56, s14
	s_add_i32 s14, s14, 1
	v_add_u32_e32 v52, 8, v52
	s_cmp_lg_u32 s12, s14
	s_waitcnt lgkmcnt(0)
	v_cmp_lt_f64_e64 vcc, |v[44:45]|, |v[54:55]|
	v_cndmask_b32_e32 v45, v45, v55, vcc
	v_cndmask_b32_e32 v44, v44, v54, vcc
	v_cndmask_b32_e32 v46, v46, v56, vcc
	s_cbranch_scc1 .LBB38_31
.LBB38_32:
	v_cndmask_b32_e64 v52, 2, 1, s[0:1]
	v_cndmask_b32_e64 v54, 0, 1, s[0:1]
	;; [unrolled: 1-line block ×3, first 2 shown]
	s_waitcnt lgkmcnt(0)
	v_cmp_eq_f64_e32 vcc, 0, v[44:45]
	s_and_saveexec_b64 s[0:1], vcc
	s_xor_b64 s[0:1], exec, s[0:1]
; %bb.33:
	v_cmp_ne_u32_e32 vcc, 0, v52
	v_cndmask_b32_e32 v52, 3, v52, vcc
; %bb.34:
	s_andn2_saveexec_b64 s[0:1], s[0:1]
; %bb.35:
	v_div_scale_f64 v[54:55], s[2:3], v[44:45], v[44:45], 1.0
	v_rcp_f64_e32 v[56:57], v[54:55]
	v_div_scale_f64 v[58:59], vcc, 1.0, v[44:45], 1.0
	v_fma_f64 v[60:61], -v[54:55], v[56:57], 1.0
	v_fmac_f64_e32 v[56:57], v[56:57], v[60:61]
	v_fma_f64 v[60:61], -v[54:55], v[56:57], 1.0
	v_fmac_f64_e32 v[56:57], v[56:57], v[60:61]
	v_mul_f64 v[60:61], v[58:59], v[56:57]
	v_fma_f64 v[54:55], -v[54:55], v[60:61], v[58:59]
	v_div_fmas_f64 v[54:55], v[54:55], v[56:57], v[60:61]
	v_div_fixup_f64 v[44:45], v[54:55], v[44:45], 1.0
; %bb.36:
	s_or_b64 exec, exec, s[0:1]
	v_cmp_ne_u32_e32 vcc, v49, v46
	s_and_saveexec_b64 s[0:1], vcc
	s_xor_b64 s[0:1], exec, s[0:1]
	s_cbranch_execz .LBB38_42
; %bb.37:
	v_cmp_eq_u32_e32 vcc, 2, v49
	s_and_saveexec_b64 s[2:3], vcc
	s_cbranch_execz .LBB38_41
; %bb.38:
	v_cmp_ne_u32_e32 vcc, 2, v46
	s_xor_b64 s[14:15], s[6:7], -1
	s_and_b64 s[16:17], s[14:15], vcc
	s_and_saveexec_b64 s[14:15], s[16:17]
	s_cbranch_execz .LBB38_40
; %bb.39:
	v_ashrrev_i32_e32 v47, 31, v46
	v_lshlrev_b64 v[54:55], 2, v[46:47]
	v_add_co_u32_e32 v54, vcc, v40, v54
	v_addc_co_u32_e32 v55, vcc, v41, v55, vcc
	flat_load_dword v47, v[54:55]
	flat_load_dword v49, v[40:41] offset:8
	s_waitcnt vmcnt(0) lgkmcnt(0)
	flat_store_dword v[40:41], v47 offset:8
	flat_store_dword v[54:55], v49
.LBB38_40:
	s_or_b64 exec, exec, s[14:15]
	v_mov_b32_e32 v47, v46
	v_mov_b32_e32 v49, v46
.LBB38_41:
	s_or_b64 exec, exec, s[2:3]
.LBB38_42:
	s_andn2_saveexec_b64 s[0:1], s[0:1]
	s_cbranch_execz .LBB38_44
; %bb.43:
	v_mov_b32_e32 v49, 2
	ds_write2_b64 v48, v[0:1], v[26:27] offset0:3 offset1:4
	ds_write2_b64 v48, v[20:21], v[10:11] offset0:5 offset1:6
	;; [unrolled: 1-line block ×8, first 2 shown]
	ds_write_b64 v48, v[42:43] offset:152
.LBB38_44:
	s_or_b64 exec, exec, s[0:1]
	v_cmp_lt_i32_e32 vcc, 2, v49
	s_waitcnt lgkmcnt(0)
	s_barrier
	s_and_saveexec_b64 s[0:1], vcc
	s_cbranch_execz .LBB38_46
; %bb.45:
	ds_read2_b64 v[54:57], v48 offset0:3 offset1:4
	ds_read2_b64 v[58:61], v48 offset0:5 offset1:6
	v_mul_f64 v[6:7], v[44:45], v[6:7]
	ds_read2_b64 v[62:65], v48 offset0:7 offset1:8
	ds_read_b64 v[44:45], v48 offset:152
	s_waitcnt lgkmcnt(0)
	v_fma_f64 v[0:1], -v[6:7], v[54:55], v[0:1]
	v_fma_f64 v[26:27], -v[6:7], v[56:57], v[26:27]
	ds_read2_b64 v[54:57], v48 offset0:9 offset1:10
	v_fma_f64 v[20:21], -v[6:7], v[58:59], v[20:21]
	v_fma_f64 v[10:11], -v[6:7], v[60:61], v[10:11]
	ds_read2_b64 v[58:61], v48 offset0:11 offset1:12
	;; [unrolled: 3-line block ×3, first 2 shown]
	s_waitcnt lgkmcnt(0)
	v_fma_f64 v[24:25], -v[6:7], v[54:55], v[24:25]
	v_fma_f64 v[16:17], -v[6:7], v[56:57], v[16:17]
	;; [unrolled: 1-line block ×4, first 2 shown]
	ds_read2_b64 v[54:57], v48 offset0:15 offset1:16
	ds_read2_b64 v[58:61], v48 offset0:17 offset1:18
	v_fma_f64 v[30:31], -v[6:7], v[62:63], v[30:31]
	v_fma_f64 v[22:23], -v[6:7], v[64:65], v[22:23]
	;; [unrolled: 1-line block ×3, first 2 shown]
	s_waitcnt lgkmcnt(0)
	v_fma_f64 v[14:15], -v[6:7], v[54:55], v[14:15]
	v_fma_f64 v[38:39], -v[6:7], v[56:57], v[38:39]
	;; [unrolled: 1-line block ×4, first 2 shown]
.LBB38_46:
	s_or_b64 exec, exec, s[0:1]
	v_lshl_add_u32 v44, v49, 3, v48
	s_barrier
	ds_write_b64 v44, v[0:1]
	s_waitcnt lgkmcnt(0)
	s_barrier
	ds_read_b64 v[44:45], v48 offset:24
	s_cmp_lt_i32 s12, 5
	v_mov_b32_e32 v46, 3
	s_cbranch_scc1 .LBB38_49
; %bb.47:
	v_add3_u32 v54, v53, 0, 32
	s_mov_b32 s0, 4
	v_mov_b32_e32 v46, 3
.LBB38_48:                              ; =>This Inner Loop Header: Depth=1
	ds_read_b64 v[56:57], v54
	v_mov_b32_e32 v55, s0
	s_add_i32 s0, s0, 1
	v_add_u32_e32 v54, 8, v54
	s_cmp_lg_u32 s12, s0
	s_waitcnt lgkmcnt(0)
	v_cmp_lt_f64_e64 vcc, |v[44:45]|, |v[56:57]|
	v_cndmask_b32_e32 v45, v45, v57, vcc
	v_cndmask_b32_e32 v44, v44, v56, vcc
	;; [unrolled: 1-line block ×3, first 2 shown]
	s_cbranch_scc1 .LBB38_48
.LBB38_49:
	s_waitcnt lgkmcnt(0)
	v_cmp_eq_f64_e32 vcc, 0, v[44:45]
	s_and_saveexec_b64 s[0:1], vcc
	s_xor_b64 s[0:1], exec, s[0:1]
; %bb.50:
	v_cmp_ne_u32_e32 vcc, 0, v52
	v_cndmask_b32_e32 v52, 4, v52, vcc
; %bb.51:
	s_andn2_saveexec_b64 s[0:1], s[0:1]
; %bb.52:
	v_div_scale_f64 v[54:55], s[2:3], v[44:45], v[44:45], 1.0
	v_rcp_f64_e32 v[56:57], v[54:55]
	v_div_scale_f64 v[58:59], vcc, 1.0, v[44:45], 1.0
	v_fma_f64 v[60:61], -v[54:55], v[56:57], 1.0
	v_fmac_f64_e32 v[56:57], v[56:57], v[60:61]
	v_fma_f64 v[60:61], -v[54:55], v[56:57], 1.0
	v_fmac_f64_e32 v[56:57], v[56:57], v[60:61]
	v_mul_f64 v[60:61], v[58:59], v[56:57]
	v_fma_f64 v[54:55], -v[54:55], v[60:61], v[58:59]
	v_div_fmas_f64 v[54:55], v[54:55], v[56:57], v[60:61]
	v_div_fixup_f64 v[44:45], v[54:55], v[44:45], 1.0
; %bb.53:
	s_or_b64 exec, exec, s[0:1]
	v_cmp_ne_u32_e32 vcc, v49, v46
	s_and_saveexec_b64 s[0:1], vcc
	s_xor_b64 s[0:1], exec, s[0:1]
	s_cbranch_execz .LBB38_59
; %bb.54:
	v_cmp_eq_u32_e32 vcc, 3, v49
	s_and_saveexec_b64 s[2:3], vcc
	s_cbranch_execz .LBB38_58
; %bb.55:
	v_cmp_ne_u32_e32 vcc, 3, v46
	s_xor_b64 s[14:15], s[6:7], -1
	s_and_b64 s[16:17], s[14:15], vcc
	s_and_saveexec_b64 s[14:15], s[16:17]
	s_cbranch_execz .LBB38_57
; %bb.56:
	v_ashrrev_i32_e32 v47, 31, v46
	v_lshlrev_b64 v[54:55], 2, v[46:47]
	v_add_co_u32_e32 v54, vcc, v40, v54
	v_addc_co_u32_e32 v55, vcc, v41, v55, vcc
	flat_load_dword v47, v[54:55]
	flat_load_dword v49, v[40:41] offset:12
	s_waitcnt vmcnt(0) lgkmcnt(0)
	flat_store_dword v[40:41], v47 offset:12
	flat_store_dword v[54:55], v49
.LBB38_57:
	s_or_b64 exec, exec, s[14:15]
	v_mov_b32_e32 v47, v46
	v_mov_b32_e32 v49, v46
.LBB38_58:
	s_or_b64 exec, exec, s[2:3]
.LBB38_59:
	s_andn2_saveexec_b64 s[0:1], s[0:1]
	s_cbranch_execz .LBB38_61
; %bb.60:
	v_mov_b32_e32 v54, v26
	v_mov_b32_e32 v55, v27
	v_mov_b32_e32 v56, v20
	v_mov_b32_e32 v57, v21
	ds_write2_b64 v48, v[54:55], v[56:57] offset0:4 offset1:5
	v_mov_b32_e32 v54, v10
	v_mov_b32_e32 v55, v11
	v_mov_b32_e32 v56, v4
	v_mov_b32_e32 v57, v5
	ds_write2_b64 v48, v[54:55], v[56:57] offset0:6 offset1:7
	v_mov_b32_e32 v54, v32
	v_mov_b32_e32 v55, v33
	v_mov_b32_e32 v56, v24
	v_mov_b32_e32 v57, v25
	ds_write2_b64 v48, v[54:55], v[56:57] offset0:8 offset1:9
	v_mov_b32_e32 v54, v16
	v_mov_b32_e32 v55, v17
	v_mov_b32_e32 v56, v8
	v_mov_b32_e32 v57, v9
	ds_write2_b64 v48, v[54:55], v[56:57] offset0:10 offset1:11
	v_mov_b32_e32 v54, v36
	v_mov_b32_e32 v55, v37
	v_mov_b32_e32 v56, v30
	v_mov_b32_e32 v57, v31
	ds_write2_b64 v48, v[54:55], v[56:57] offset0:12 offset1:13
	v_mov_b32_e32 v54, v22
	v_mov_b32_e32 v55, v23
	v_mov_b32_e32 v56, v14
	v_mov_b32_e32 v57, v15
	ds_write2_b64 v48, v[54:55], v[56:57] offset0:14 offset1:15
	v_mov_b32_e32 v54, v38
	v_mov_b32_e32 v55, v39
	v_mov_b32_e32 v56, v34
	v_mov_b32_e32 v57, v35
	ds_write2_b64 v48, v[54:55], v[56:57] offset0:16 offset1:17
	v_mov_b32_e32 v54, v28
	v_mov_b32_e32 v55, v29
	v_mov_b32_e32 v49, 3
	ds_write2_b64 v48, v[54:55], v[42:43] offset0:18 offset1:19
.LBB38_61:
	s_or_b64 exec, exec, s[0:1]
	v_cmp_lt_i32_e32 vcc, 3, v49
	s_waitcnt lgkmcnt(0)
	s_barrier
	s_and_saveexec_b64 s[0:1], vcc
	s_cbranch_execz .LBB38_63
; %bb.62:
	ds_read2_b64 v[54:57], v48 offset0:4 offset1:5
	ds_read2_b64 v[58:61], v48 offset0:6 offset1:7
	v_mul_f64 v[0:1], v[44:45], v[0:1]
	ds_read2_b64 v[62:65], v48 offset0:8 offset1:9
	s_waitcnt lgkmcnt(0)
	v_fma_f64 v[26:27], -v[0:1], v[54:55], v[26:27]
	v_fma_f64 v[20:21], -v[0:1], v[56:57], v[20:21]
	ds_read2_b64 v[54:57], v48 offset0:10 offset1:11
	v_fma_f64 v[10:11], -v[0:1], v[58:59], v[10:11]
	v_fma_f64 v[4:5], -v[0:1], v[60:61], v[4:5]
	ds_read2_b64 v[58:61], v48 offset0:12 offset1:13
	v_fma_f64 v[32:33], -v[0:1], v[62:63], v[32:33]
	v_fma_f64 v[24:25], -v[0:1], v[64:65], v[24:25]
	s_waitcnt lgkmcnt(0)
	v_fma_f64 v[16:17], -v[0:1], v[54:55], v[16:17]
	v_fma_f64 v[8:9], -v[0:1], v[56:57], v[8:9]
	ds_read2_b64 v[54:57], v48 offset0:14 offset1:15
	v_fma_f64 v[36:37], -v[0:1], v[58:59], v[36:37]
	ds_read2_b64 v[62:65], v48 offset0:16 offset1:17
	;; [unrolled: 2-line block ×3, first 2 shown]
	s_waitcnt lgkmcnt(0)
	v_fma_f64 v[22:23], -v[0:1], v[54:55], v[22:23]
	v_fma_f64 v[14:15], -v[0:1], v[56:57], v[14:15]
	v_fma_f64 v[38:39], -v[0:1], v[62:63], v[38:39]
	v_fma_f64 v[34:35], -v[0:1], v[64:65], v[34:35]
	v_fma_f64 v[28:29], -v[0:1], v[58:59], v[28:29]
	v_fma_f64 v[42:43], -v[0:1], v[60:61], v[42:43]
.LBB38_63:
	s_or_b64 exec, exec, s[0:1]
	v_lshl_add_u32 v44, v49, 3, v48
	s_barrier
	ds_write_b64 v44, v[26:27]
	s_waitcnt lgkmcnt(0)
	s_barrier
	ds_read_b64 v[44:45], v48 offset:32
	s_cmp_lt_i32 s12, 6
	v_mov_b32_e32 v46, 4
	s_cbranch_scc1 .LBB38_66
; %bb.64:
	v_add3_u32 v54, v53, 0, 40
	s_mov_b32 s0, 5
	v_mov_b32_e32 v46, 4
.LBB38_65:                              ; =>This Inner Loop Header: Depth=1
	ds_read_b64 v[56:57], v54
	v_mov_b32_e32 v55, s0
	s_add_i32 s0, s0, 1
	v_add_u32_e32 v54, 8, v54
	s_cmp_lg_u32 s12, s0
	s_waitcnt lgkmcnt(0)
	v_cmp_lt_f64_e64 vcc, |v[44:45]|, |v[56:57]|
	v_cndmask_b32_e32 v45, v45, v57, vcc
	v_cndmask_b32_e32 v44, v44, v56, vcc
	;; [unrolled: 1-line block ×3, first 2 shown]
	s_cbranch_scc1 .LBB38_65
.LBB38_66:
	s_waitcnt lgkmcnt(0)
	v_cmp_eq_f64_e32 vcc, 0, v[44:45]
	s_and_saveexec_b64 s[0:1], vcc
	s_xor_b64 s[0:1], exec, s[0:1]
; %bb.67:
	v_cmp_ne_u32_e32 vcc, 0, v52
	v_cndmask_b32_e32 v52, 5, v52, vcc
; %bb.68:
	s_andn2_saveexec_b64 s[0:1], s[0:1]
; %bb.69:
	v_div_scale_f64 v[54:55], s[2:3], v[44:45], v[44:45], 1.0
	v_rcp_f64_e32 v[56:57], v[54:55]
	v_div_scale_f64 v[58:59], vcc, 1.0, v[44:45], 1.0
	v_fma_f64 v[60:61], -v[54:55], v[56:57], 1.0
	v_fmac_f64_e32 v[56:57], v[56:57], v[60:61]
	v_fma_f64 v[60:61], -v[54:55], v[56:57], 1.0
	v_fmac_f64_e32 v[56:57], v[56:57], v[60:61]
	v_mul_f64 v[60:61], v[58:59], v[56:57]
	v_fma_f64 v[54:55], -v[54:55], v[60:61], v[58:59]
	v_div_fmas_f64 v[54:55], v[54:55], v[56:57], v[60:61]
	v_div_fixup_f64 v[44:45], v[54:55], v[44:45], 1.0
; %bb.70:
	s_or_b64 exec, exec, s[0:1]
	v_cmp_ne_u32_e32 vcc, v49, v46
	s_and_saveexec_b64 s[0:1], vcc
	s_xor_b64 s[0:1], exec, s[0:1]
	s_cbranch_execz .LBB38_76
; %bb.71:
	v_cmp_eq_u32_e32 vcc, 4, v49
	s_and_saveexec_b64 s[2:3], vcc
	s_cbranch_execz .LBB38_75
; %bb.72:
	v_cmp_ne_u32_e32 vcc, 4, v46
	s_xor_b64 s[14:15], s[6:7], -1
	s_and_b64 s[16:17], s[14:15], vcc
	s_and_saveexec_b64 s[14:15], s[16:17]
	s_cbranch_execz .LBB38_74
; %bb.73:
	v_ashrrev_i32_e32 v47, 31, v46
	v_lshlrev_b64 v[54:55], 2, v[46:47]
	v_add_co_u32_e32 v54, vcc, v40, v54
	v_addc_co_u32_e32 v55, vcc, v41, v55, vcc
	flat_load_dword v47, v[54:55]
	flat_load_dword v49, v[40:41] offset:16
	s_waitcnt vmcnt(0) lgkmcnt(0)
	flat_store_dword v[40:41], v47 offset:16
	flat_store_dword v[54:55], v49
.LBB38_74:
	s_or_b64 exec, exec, s[14:15]
	v_mov_b32_e32 v47, v46
	v_mov_b32_e32 v49, v46
.LBB38_75:
	s_or_b64 exec, exec, s[2:3]
.LBB38_76:
	s_andn2_saveexec_b64 s[0:1], s[0:1]
	s_cbranch_execz .LBB38_78
; %bb.77:
	v_mov_b32_e32 v49, 4
	ds_write2_b64 v48, v[20:21], v[10:11] offset0:5 offset1:6
	ds_write2_b64 v48, v[4:5], v[32:33] offset0:7 offset1:8
	;; [unrolled: 1-line block ×7, first 2 shown]
	ds_write_b64 v48, v[42:43] offset:152
.LBB38_78:
	s_or_b64 exec, exec, s[0:1]
	v_cmp_lt_i32_e32 vcc, 4, v49
	s_waitcnt lgkmcnt(0)
	s_barrier
	s_and_saveexec_b64 s[0:1], vcc
	s_cbranch_execz .LBB38_80
; %bb.79:
	ds_read2_b64 v[54:57], v48 offset0:5 offset1:6
	ds_read2_b64 v[58:61], v48 offset0:7 offset1:8
	v_mul_f64 v[26:27], v[44:45], v[26:27]
	ds_read2_b64 v[62:65], v48 offset0:9 offset1:10
	ds_read_b64 v[44:45], v48 offset:152
	s_waitcnt lgkmcnt(0)
	v_fma_f64 v[20:21], -v[26:27], v[54:55], v[20:21]
	v_fma_f64 v[10:11], -v[26:27], v[56:57], v[10:11]
	ds_read2_b64 v[54:57], v48 offset0:11 offset1:12
	v_fma_f64 v[4:5], -v[26:27], v[58:59], v[4:5]
	v_fma_f64 v[32:33], -v[26:27], v[60:61], v[32:33]
	v_fma_f64 v[24:25], -v[26:27], v[62:63], v[24:25]
	ds_read2_b64 v[58:61], v48 offset0:13 offset1:14
	v_fma_f64 v[16:17], -v[26:27], v[64:65], v[16:17]
	s_waitcnt lgkmcnt(0)
	v_fma_f64 v[8:9], -v[26:27], v[54:55], v[8:9]
	v_fma_f64 v[36:37], -v[26:27], v[56:57], v[36:37]
	ds_read2_b64 v[54:57], v48 offset0:15 offset1:16
	ds_read2_b64 v[62:65], v48 offset0:17 offset1:18
	v_fma_f64 v[30:31], -v[26:27], v[58:59], v[30:31]
	v_fma_f64 v[22:23], -v[26:27], v[60:61], v[22:23]
	;; [unrolled: 1-line block ×3, first 2 shown]
	s_waitcnt lgkmcnt(0)
	v_fma_f64 v[14:15], -v[26:27], v[54:55], v[14:15]
	v_fma_f64 v[38:39], -v[26:27], v[56:57], v[38:39]
	;; [unrolled: 1-line block ×4, first 2 shown]
.LBB38_80:
	s_or_b64 exec, exec, s[0:1]
	v_lshl_add_u32 v44, v49, 3, v48
	s_barrier
	ds_write_b64 v44, v[20:21]
	s_waitcnt lgkmcnt(0)
	s_barrier
	ds_read_b64 v[44:45], v48 offset:40
	s_cmp_lt_i32 s12, 7
	v_mov_b32_e32 v46, 5
	s_cbranch_scc1 .LBB38_83
; %bb.81:
	v_add3_u32 v54, v53, 0, 48
	s_mov_b32 s0, 6
	v_mov_b32_e32 v46, 5
.LBB38_82:                              ; =>This Inner Loop Header: Depth=1
	ds_read_b64 v[56:57], v54
	v_mov_b32_e32 v55, s0
	s_add_i32 s0, s0, 1
	v_add_u32_e32 v54, 8, v54
	s_cmp_lg_u32 s12, s0
	s_waitcnt lgkmcnt(0)
	v_cmp_lt_f64_e64 vcc, |v[44:45]|, |v[56:57]|
	v_cndmask_b32_e32 v45, v45, v57, vcc
	v_cndmask_b32_e32 v44, v44, v56, vcc
	;; [unrolled: 1-line block ×3, first 2 shown]
	s_cbranch_scc1 .LBB38_82
.LBB38_83:
	s_waitcnt lgkmcnt(0)
	v_cmp_eq_f64_e32 vcc, 0, v[44:45]
	s_and_saveexec_b64 s[0:1], vcc
	s_xor_b64 s[0:1], exec, s[0:1]
; %bb.84:
	v_cmp_ne_u32_e32 vcc, 0, v52
	v_cndmask_b32_e32 v52, 6, v52, vcc
; %bb.85:
	s_andn2_saveexec_b64 s[0:1], s[0:1]
; %bb.86:
	v_div_scale_f64 v[54:55], s[2:3], v[44:45], v[44:45], 1.0
	v_rcp_f64_e32 v[56:57], v[54:55]
	v_div_scale_f64 v[58:59], vcc, 1.0, v[44:45], 1.0
	v_fma_f64 v[60:61], -v[54:55], v[56:57], 1.0
	v_fmac_f64_e32 v[56:57], v[56:57], v[60:61]
	v_fma_f64 v[60:61], -v[54:55], v[56:57], 1.0
	v_fmac_f64_e32 v[56:57], v[56:57], v[60:61]
	v_mul_f64 v[60:61], v[58:59], v[56:57]
	v_fma_f64 v[54:55], -v[54:55], v[60:61], v[58:59]
	v_div_fmas_f64 v[54:55], v[54:55], v[56:57], v[60:61]
	v_div_fixup_f64 v[44:45], v[54:55], v[44:45], 1.0
; %bb.87:
	s_or_b64 exec, exec, s[0:1]
	v_cmp_ne_u32_e32 vcc, v49, v46
	s_and_saveexec_b64 s[0:1], vcc
	s_xor_b64 s[0:1], exec, s[0:1]
	s_cbranch_execz .LBB38_93
; %bb.88:
	v_cmp_eq_u32_e32 vcc, 5, v49
	s_and_saveexec_b64 s[2:3], vcc
	s_cbranch_execz .LBB38_92
; %bb.89:
	v_cmp_ne_u32_e32 vcc, 5, v46
	s_xor_b64 s[14:15], s[6:7], -1
	s_and_b64 s[16:17], s[14:15], vcc
	s_and_saveexec_b64 s[14:15], s[16:17]
	s_cbranch_execz .LBB38_91
; %bb.90:
	v_ashrrev_i32_e32 v47, 31, v46
	v_lshlrev_b64 v[54:55], 2, v[46:47]
	v_add_co_u32_e32 v54, vcc, v40, v54
	v_addc_co_u32_e32 v55, vcc, v41, v55, vcc
	flat_load_dword v47, v[54:55]
	flat_load_dword v49, v[40:41] offset:20
	s_waitcnt vmcnt(0) lgkmcnt(0)
	flat_store_dword v[40:41], v47 offset:20
	flat_store_dword v[54:55], v49
.LBB38_91:
	s_or_b64 exec, exec, s[14:15]
	v_mov_b32_e32 v47, v46
	v_mov_b32_e32 v49, v46
.LBB38_92:
	s_or_b64 exec, exec, s[2:3]
.LBB38_93:
	s_andn2_saveexec_b64 s[0:1], s[0:1]
	s_cbranch_execz .LBB38_95
; %bb.94:
	v_mov_b32_e32 v54, v10
	v_mov_b32_e32 v55, v11
	v_mov_b32_e32 v56, v4
	v_mov_b32_e32 v57, v5
	ds_write2_b64 v48, v[54:55], v[56:57] offset0:6 offset1:7
	v_mov_b32_e32 v54, v32
	v_mov_b32_e32 v55, v33
	v_mov_b32_e32 v56, v24
	v_mov_b32_e32 v57, v25
	ds_write2_b64 v48, v[54:55], v[56:57] offset0:8 offset1:9
	;; [unrolled: 5-line block ×6, first 2 shown]
	v_mov_b32_e32 v54, v28
	v_mov_b32_e32 v55, v29
	;; [unrolled: 1-line block ×3, first 2 shown]
	ds_write2_b64 v48, v[54:55], v[42:43] offset0:18 offset1:19
.LBB38_95:
	s_or_b64 exec, exec, s[0:1]
	v_cmp_lt_i32_e32 vcc, 5, v49
	s_waitcnt lgkmcnt(0)
	s_barrier
	s_and_saveexec_b64 s[0:1], vcc
	s_cbranch_execz .LBB38_97
; %bb.96:
	ds_read2_b64 v[54:57], v48 offset0:6 offset1:7
	ds_read2_b64 v[58:61], v48 offset0:8 offset1:9
	v_mul_f64 v[20:21], v[44:45], v[20:21]
	ds_read2_b64 v[62:65], v48 offset0:10 offset1:11
	s_waitcnt lgkmcnt(0)
	v_fma_f64 v[10:11], -v[20:21], v[54:55], v[10:11]
	v_fma_f64 v[4:5], -v[20:21], v[56:57], v[4:5]
	ds_read2_b64 v[54:57], v48 offset0:12 offset1:13
	v_fma_f64 v[32:33], -v[20:21], v[58:59], v[32:33]
	v_fma_f64 v[24:25], -v[20:21], v[60:61], v[24:25]
	;; [unrolled: 1-line block ×4, first 2 shown]
	ds_read2_b64 v[58:61], v48 offset0:14 offset1:15
	ds_read2_b64 v[62:65], v48 offset0:16 offset1:17
	s_waitcnt lgkmcnt(0)
	v_fma_f64 v[36:37], -v[20:21], v[54:55], v[36:37]
	v_fma_f64 v[30:31], -v[20:21], v[56:57], v[30:31]
	ds_read2_b64 v[54:57], v48 offset0:18 offset1:19
	v_fma_f64 v[22:23], -v[20:21], v[58:59], v[22:23]
	v_fma_f64 v[14:15], -v[20:21], v[60:61], v[14:15]
	;; [unrolled: 1-line block ×4, first 2 shown]
	s_waitcnt lgkmcnt(0)
	v_fma_f64 v[28:29], -v[20:21], v[54:55], v[28:29]
	v_fma_f64 v[42:43], -v[20:21], v[56:57], v[42:43]
.LBB38_97:
	s_or_b64 exec, exec, s[0:1]
	v_lshl_add_u32 v44, v49, 3, v48
	s_barrier
	ds_write_b64 v44, v[10:11]
	s_waitcnt lgkmcnt(0)
	s_barrier
	ds_read_b64 v[44:45], v48 offset:48
	s_cmp_lt_i32 s12, 8
	v_mov_b32_e32 v46, 6
	s_cbranch_scc1 .LBB38_100
; %bb.98:
	v_add3_u32 v54, v53, 0, 56
	s_mov_b32 s0, 7
	v_mov_b32_e32 v46, 6
.LBB38_99:                              ; =>This Inner Loop Header: Depth=1
	ds_read_b64 v[56:57], v54
	v_mov_b32_e32 v55, s0
	s_add_i32 s0, s0, 1
	v_add_u32_e32 v54, 8, v54
	s_cmp_lg_u32 s12, s0
	s_waitcnt lgkmcnt(0)
	v_cmp_lt_f64_e64 vcc, |v[44:45]|, |v[56:57]|
	v_cndmask_b32_e32 v45, v45, v57, vcc
	v_cndmask_b32_e32 v44, v44, v56, vcc
	;; [unrolled: 1-line block ×3, first 2 shown]
	s_cbranch_scc1 .LBB38_99
.LBB38_100:
	s_waitcnt lgkmcnt(0)
	v_cmp_eq_f64_e32 vcc, 0, v[44:45]
	s_and_saveexec_b64 s[0:1], vcc
	s_xor_b64 s[0:1], exec, s[0:1]
; %bb.101:
	v_cmp_ne_u32_e32 vcc, 0, v52
	v_cndmask_b32_e32 v52, 7, v52, vcc
; %bb.102:
	s_andn2_saveexec_b64 s[0:1], s[0:1]
; %bb.103:
	v_div_scale_f64 v[54:55], s[2:3], v[44:45], v[44:45], 1.0
	v_rcp_f64_e32 v[56:57], v[54:55]
	v_div_scale_f64 v[58:59], vcc, 1.0, v[44:45], 1.0
	v_fma_f64 v[60:61], -v[54:55], v[56:57], 1.0
	v_fmac_f64_e32 v[56:57], v[56:57], v[60:61]
	v_fma_f64 v[60:61], -v[54:55], v[56:57], 1.0
	v_fmac_f64_e32 v[56:57], v[56:57], v[60:61]
	v_mul_f64 v[60:61], v[58:59], v[56:57]
	v_fma_f64 v[54:55], -v[54:55], v[60:61], v[58:59]
	v_div_fmas_f64 v[54:55], v[54:55], v[56:57], v[60:61]
	v_div_fixup_f64 v[44:45], v[54:55], v[44:45], 1.0
; %bb.104:
	s_or_b64 exec, exec, s[0:1]
	v_cmp_ne_u32_e32 vcc, v49, v46
	s_and_saveexec_b64 s[0:1], vcc
	s_xor_b64 s[0:1], exec, s[0:1]
	s_cbranch_execz .LBB38_110
; %bb.105:
	v_cmp_eq_u32_e32 vcc, 6, v49
	s_and_saveexec_b64 s[2:3], vcc
	s_cbranch_execz .LBB38_109
; %bb.106:
	v_cmp_ne_u32_e32 vcc, 6, v46
	s_xor_b64 s[14:15], s[6:7], -1
	s_and_b64 s[16:17], s[14:15], vcc
	s_and_saveexec_b64 s[14:15], s[16:17]
	s_cbranch_execz .LBB38_108
; %bb.107:
	v_ashrrev_i32_e32 v47, 31, v46
	v_lshlrev_b64 v[54:55], 2, v[46:47]
	v_add_co_u32_e32 v54, vcc, v40, v54
	v_addc_co_u32_e32 v55, vcc, v41, v55, vcc
	flat_load_dword v47, v[54:55]
	flat_load_dword v49, v[40:41] offset:24
	s_waitcnt vmcnt(0) lgkmcnt(0)
	flat_store_dword v[40:41], v47 offset:24
	flat_store_dword v[54:55], v49
.LBB38_108:
	s_or_b64 exec, exec, s[14:15]
	v_mov_b32_e32 v47, v46
	v_mov_b32_e32 v49, v46
.LBB38_109:
	s_or_b64 exec, exec, s[2:3]
.LBB38_110:
	s_andn2_saveexec_b64 s[0:1], s[0:1]
	s_cbranch_execz .LBB38_112
; %bb.111:
	v_mov_b32_e32 v49, 6
	ds_write2_b64 v48, v[4:5], v[32:33] offset0:7 offset1:8
	ds_write2_b64 v48, v[24:25], v[16:17] offset0:9 offset1:10
	ds_write2_b64 v48, v[8:9], v[36:37] offset0:11 offset1:12
	ds_write2_b64 v48, v[30:31], v[22:23] offset0:13 offset1:14
	ds_write2_b64 v48, v[14:15], v[38:39] offset0:15 offset1:16
	ds_write2_b64 v48, v[34:35], v[28:29] offset0:17 offset1:18
	ds_write_b64 v48, v[42:43] offset:152
.LBB38_112:
	s_or_b64 exec, exec, s[0:1]
	v_cmp_lt_i32_e32 vcc, 6, v49
	s_waitcnt lgkmcnt(0)
	s_barrier
	s_and_saveexec_b64 s[0:1], vcc
	s_cbranch_execz .LBB38_114
; %bb.113:
	ds_read2_b64 v[54:57], v48 offset0:7 offset1:8
	ds_read2_b64 v[58:61], v48 offset0:9 offset1:10
	;; [unrolled: 1-line block ×3, first 2 shown]
	v_mul_f64 v[10:11], v[44:45], v[10:11]
	ds_read_b64 v[44:45], v48 offset:152
	s_waitcnt lgkmcnt(0)
	v_fma_f64 v[4:5], -v[10:11], v[54:55], v[4:5]
	v_fma_f64 v[32:33], -v[10:11], v[56:57], v[32:33]
	ds_read2_b64 v[54:57], v48 offset0:13 offset1:14
	v_fma_f64 v[24:25], -v[10:11], v[58:59], v[24:25]
	v_fma_f64 v[16:17], -v[10:11], v[60:61], v[16:17]
	;; [unrolled: 1-line block ×4, first 2 shown]
	ds_read2_b64 v[58:61], v48 offset0:15 offset1:16
	ds_read2_b64 v[62:65], v48 offset0:17 offset1:18
	s_waitcnt lgkmcnt(0)
	v_fma_f64 v[30:31], -v[10:11], v[54:55], v[30:31]
	v_fma_f64 v[22:23], -v[10:11], v[56:57], v[22:23]
	;; [unrolled: 1-line block ×7, first 2 shown]
.LBB38_114:
	s_or_b64 exec, exec, s[0:1]
	v_lshl_add_u32 v44, v49, 3, v48
	s_barrier
	ds_write_b64 v44, v[4:5]
	s_waitcnt lgkmcnt(0)
	s_barrier
	ds_read_b64 v[44:45], v48 offset:56
	s_cmp_lt_i32 s12, 9
	v_mov_b32_e32 v46, 7
	s_cbranch_scc1 .LBB38_117
; %bb.115:
	v_add3_u32 v53, v53, 0, 64
	s_mov_b32 s0, 8
	v_mov_b32_e32 v46, 7
.LBB38_116:                             ; =>This Inner Loop Header: Depth=1
	ds_read_b64 v[54:55], v53
	v_mov_b32_e32 v56, s0
	s_add_i32 s0, s0, 1
	v_add_u32_e32 v53, 8, v53
	s_cmp_lg_u32 s12, s0
	s_waitcnt lgkmcnt(0)
	v_cmp_lt_f64_e64 vcc, |v[44:45]|, |v[54:55]|
	v_cndmask_b32_e32 v45, v45, v55, vcc
	v_cndmask_b32_e32 v44, v44, v54, vcc
	;; [unrolled: 1-line block ×3, first 2 shown]
	s_cbranch_scc1 .LBB38_116
.LBB38_117:
	s_waitcnt lgkmcnt(0)
	v_cmp_eq_f64_e32 vcc, 0, v[44:45]
	s_and_saveexec_b64 s[0:1], vcc
	s_xor_b64 s[0:1], exec, s[0:1]
; %bb.118:
	v_cmp_ne_u32_e32 vcc, 0, v52
	v_cndmask_b32_e32 v52, 8, v52, vcc
; %bb.119:
	s_andn2_saveexec_b64 s[0:1], s[0:1]
; %bb.120:
	v_div_scale_f64 v[54:55], s[2:3], v[44:45], v[44:45], 1.0
	v_rcp_f64_e32 v[56:57], v[54:55]
	v_div_scale_f64 v[58:59], vcc, 1.0, v[44:45], 1.0
	v_fma_f64 v[60:61], -v[54:55], v[56:57], 1.0
	v_fmac_f64_e32 v[56:57], v[56:57], v[60:61]
	v_fma_f64 v[60:61], -v[54:55], v[56:57], 1.0
	v_fmac_f64_e32 v[56:57], v[56:57], v[60:61]
	v_mul_f64 v[60:61], v[58:59], v[56:57]
	v_fma_f64 v[54:55], -v[54:55], v[60:61], v[58:59]
	v_div_fmas_f64 v[54:55], v[54:55], v[56:57], v[60:61]
	v_div_fixup_f64 v[44:45], v[54:55], v[44:45], 1.0
; %bb.121:
	s_or_b64 exec, exec, s[0:1]
	v_cmp_ne_u32_e32 vcc, v49, v46
	s_and_saveexec_b64 s[0:1], vcc
	s_xor_b64 s[0:1], exec, s[0:1]
	s_cbranch_execz .LBB38_127
; %bb.122:
	v_cmp_eq_u32_e32 vcc, 7, v49
	s_and_saveexec_b64 s[2:3], vcc
	s_cbranch_execz .LBB38_126
; %bb.123:
	v_cmp_ne_u32_e32 vcc, 7, v46
	s_xor_b64 s[14:15], s[6:7], -1
	s_and_b64 s[16:17], s[14:15], vcc
	s_and_saveexec_b64 s[14:15], s[16:17]
	s_cbranch_execz .LBB38_125
; %bb.124:
	v_ashrrev_i32_e32 v47, 31, v46
	v_lshlrev_b64 v[54:55], 2, v[46:47]
	v_add_co_u32_e32 v54, vcc, v40, v54
	v_addc_co_u32_e32 v55, vcc, v41, v55, vcc
	flat_load_dword v47, v[54:55]
	flat_load_dword v49, v[40:41] offset:28
	s_waitcnt vmcnt(0) lgkmcnt(0)
	flat_store_dword v[40:41], v47 offset:28
	flat_store_dword v[54:55], v49
.LBB38_125:
	s_or_b64 exec, exec, s[14:15]
	v_mov_b32_e32 v47, v46
	v_mov_b32_e32 v49, v46
.LBB38_126:
	s_or_b64 exec, exec, s[2:3]
.LBB38_127:
	s_andn2_saveexec_b64 s[0:1], s[0:1]
	s_cbranch_execz .LBB38_129
; %bb.128:
	v_mov_b32_e32 v54, v32
	v_mov_b32_e32 v55, v33
	v_mov_b32_e32 v56, v24
	v_mov_b32_e32 v57, v25
	ds_write2_b64 v48, v[54:55], v[56:57] offset0:8 offset1:9
	v_mov_b32_e32 v54, v16
	v_mov_b32_e32 v55, v17
	v_mov_b32_e32 v56, v8
	v_mov_b32_e32 v57, v9
	ds_write2_b64 v48, v[54:55], v[56:57] offset0:10 offset1:11
	;; [unrolled: 5-line block ×5, first 2 shown]
	v_mov_b32_e32 v54, v28
	v_mov_b32_e32 v55, v29
	v_mov_b32_e32 v49, 7
	ds_write2_b64 v48, v[54:55], v[42:43] offset0:18 offset1:19
.LBB38_129:
	s_or_b64 exec, exec, s[0:1]
	v_cmp_lt_i32_e32 vcc, 7, v49
	s_waitcnt lgkmcnt(0)
	s_barrier
	s_and_saveexec_b64 s[0:1], vcc
	s_cbranch_execz .LBB38_131
; %bb.130:
	ds_read2_b64 v[54:57], v48 offset0:8 offset1:9
	ds_read2_b64 v[58:61], v48 offset0:10 offset1:11
	;; [unrolled: 1-line block ×3, first 2 shown]
	v_mul_f64 v[4:5], v[44:45], v[4:5]
	s_waitcnt lgkmcnt(0)
	v_fma_f64 v[32:33], -v[4:5], v[54:55], v[32:33]
	v_fma_f64 v[24:25], -v[4:5], v[56:57], v[24:25]
	ds_read2_b64 v[54:57], v48 offset0:14 offset1:15
	v_fma_f64 v[16:17], -v[4:5], v[58:59], v[16:17]
	v_fma_f64 v[8:9], -v[4:5], v[60:61], v[8:9]
	;; [unrolled: 1-line block ×3, first 2 shown]
	ds_read2_b64 v[58:61], v48 offset0:16 offset1:17
	v_fma_f64 v[30:31], -v[4:5], v[64:65], v[30:31]
	ds_read2_b64 v[62:65], v48 offset0:18 offset1:19
	s_waitcnt lgkmcnt(0)
	v_fma_f64 v[22:23], -v[4:5], v[54:55], v[22:23]
	v_fma_f64 v[14:15], -v[4:5], v[56:57], v[14:15]
	;; [unrolled: 1-line block ×6, first 2 shown]
.LBB38_131:
	s_or_b64 exec, exec, s[0:1]
	v_lshl_add_u32 v44, v49, 3, v48
	s_barrier
	ds_write_b64 v44, v[32:33]
	s_waitcnt lgkmcnt(0)
	s_barrier
	ds_read_b64 v[44:45], v48 offset:64
	s_cmp_lt_i32 s12, 10
	v_mov_b32_e32 v46, 8
	s_cbranch_scc1 .LBB38_134
; %bb.132:
	v_add_u32_e32 v53, 0x48, v48
	s_mov_b32 s0, 9
	v_mov_b32_e32 v46, 8
.LBB38_133:                             ; =>This Inner Loop Header: Depth=1
	ds_read_b64 v[54:55], v53
	v_mov_b32_e32 v56, s0
	s_add_i32 s0, s0, 1
	v_add_u32_e32 v53, 8, v53
	s_cmp_lg_u32 s12, s0
	s_waitcnt lgkmcnt(0)
	v_cmp_lt_f64_e64 vcc, |v[44:45]|, |v[54:55]|
	v_cndmask_b32_e32 v45, v45, v55, vcc
	v_cndmask_b32_e32 v44, v44, v54, vcc
	;; [unrolled: 1-line block ×3, first 2 shown]
	s_cbranch_scc1 .LBB38_133
.LBB38_134:
	s_waitcnt lgkmcnt(0)
	v_cmp_eq_f64_e32 vcc, 0, v[44:45]
	s_and_saveexec_b64 s[0:1], vcc
	s_xor_b64 s[0:1], exec, s[0:1]
; %bb.135:
	v_cmp_ne_u32_e32 vcc, 0, v52
	v_cndmask_b32_e32 v52, 9, v52, vcc
; %bb.136:
	s_andn2_saveexec_b64 s[0:1], s[0:1]
; %bb.137:
	v_div_scale_f64 v[54:55], s[2:3], v[44:45], v[44:45], 1.0
	v_rcp_f64_e32 v[56:57], v[54:55]
	v_div_scale_f64 v[58:59], vcc, 1.0, v[44:45], 1.0
	v_fma_f64 v[60:61], -v[54:55], v[56:57], 1.0
	v_fmac_f64_e32 v[56:57], v[56:57], v[60:61]
	v_fma_f64 v[60:61], -v[54:55], v[56:57], 1.0
	v_fmac_f64_e32 v[56:57], v[56:57], v[60:61]
	v_mul_f64 v[60:61], v[58:59], v[56:57]
	v_fma_f64 v[54:55], -v[54:55], v[60:61], v[58:59]
	v_div_fmas_f64 v[54:55], v[54:55], v[56:57], v[60:61]
	v_div_fixup_f64 v[44:45], v[54:55], v[44:45], 1.0
; %bb.138:
	s_or_b64 exec, exec, s[0:1]
	v_cmp_ne_u32_e32 vcc, v49, v46
	s_and_saveexec_b64 s[0:1], vcc
	s_xor_b64 s[0:1], exec, s[0:1]
	s_cbranch_execz .LBB38_144
; %bb.139:
	v_cmp_eq_u32_e32 vcc, 8, v49
	s_and_saveexec_b64 s[2:3], vcc
	s_cbranch_execz .LBB38_143
; %bb.140:
	v_cmp_ne_u32_e32 vcc, 8, v46
	s_xor_b64 s[14:15], s[6:7], -1
	s_and_b64 s[16:17], s[14:15], vcc
	s_and_saveexec_b64 s[14:15], s[16:17]
	s_cbranch_execz .LBB38_142
; %bb.141:
	v_ashrrev_i32_e32 v47, 31, v46
	v_lshlrev_b64 v[54:55], 2, v[46:47]
	v_add_co_u32_e32 v54, vcc, v40, v54
	v_addc_co_u32_e32 v55, vcc, v41, v55, vcc
	flat_load_dword v47, v[54:55]
	flat_load_dword v49, v[40:41] offset:32
	s_waitcnt vmcnt(0) lgkmcnt(0)
	flat_store_dword v[40:41], v47 offset:32
	flat_store_dword v[54:55], v49
.LBB38_142:
	s_or_b64 exec, exec, s[14:15]
	v_mov_b32_e32 v47, v46
	v_mov_b32_e32 v49, v46
.LBB38_143:
	s_or_b64 exec, exec, s[2:3]
.LBB38_144:
	s_andn2_saveexec_b64 s[0:1], s[0:1]
	s_cbranch_execz .LBB38_146
; %bb.145:
	v_mov_b32_e32 v49, 8
	ds_write2_b64 v48, v[24:25], v[16:17] offset0:9 offset1:10
	ds_write2_b64 v48, v[8:9], v[36:37] offset0:11 offset1:12
	;; [unrolled: 1-line block ×5, first 2 shown]
	ds_write_b64 v48, v[42:43] offset:152
.LBB38_146:
	s_or_b64 exec, exec, s[0:1]
	v_cmp_lt_i32_e32 vcc, 8, v49
	s_waitcnt lgkmcnt(0)
	s_barrier
	s_and_saveexec_b64 s[0:1], vcc
	s_cbranch_execz .LBB38_148
; %bb.147:
	ds_read2_b64 v[54:57], v48 offset0:9 offset1:10
	ds_read2_b64 v[58:61], v48 offset0:11 offset1:12
	v_mul_f64 v[32:33], v[44:45], v[32:33]
	ds_read2_b64 v[62:65], v48 offset0:13 offset1:14
	ds_read_b64 v[44:45], v48 offset:152
	s_waitcnt lgkmcnt(0)
	v_fma_f64 v[24:25], -v[32:33], v[54:55], v[24:25]
	v_fma_f64 v[16:17], -v[32:33], v[56:57], v[16:17]
	ds_read2_b64 v[54:57], v48 offset0:15 offset1:16
	v_fma_f64 v[8:9], -v[32:33], v[58:59], v[8:9]
	v_fma_f64 v[36:37], -v[32:33], v[60:61], v[36:37]
	ds_read2_b64 v[58:61], v48 offset0:17 offset1:18
	v_fma_f64 v[30:31], -v[32:33], v[62:63], v[30:31]
	v_fma_f64 v[22:23], -v[32:33], v[64:65], v[22:23]
	s_waitcnt lgkmcnt(0)
	v_fma_f64 v[14:15], -v[32:33], v[54:55], v[14:15]
	v_fma_f64 v[38:39], -v[32:33], v[56:57], v[38:39]
	;; [unrolled: 1-line block ×5, first 2 shown]
.LBB38_148:
	s_or_b64 exec, exec, s[0:1]
	v_lshl_add_u32 v44, v49, 3, v48
	s_barrier
	ds_write_b64 v44, v[24:25]
	s_waitcnt lgkmcnt(0)
	s_barrier
	ds_read_b64 v[44:45], v48 offset:72
	s_cmp_lt_i32 s12, 11
	v_mov_b32_e32 v46, 9
	s_cbranch_scc1 .LBB38_151
; %bb.149:
	v_add_u32_e32 v53, 0x50, v48
	s_mov_b32 s0, 10
	v_mov_b32_e32 v46, 9
.LBB38_150:                             ; =>This Inner Loop Header: Depth=1
	ds_read_b64 v[54:55], v53
	v_mov_b32_e32 v56, s0
	s_add_i32 s0, s0, 1
	v_add_u32_e32 v53, 8, v53
	s_cmp_lg_u32 s12, s0
	s_waitcnt lgkmcnt(0)
	v_cmp_lt_f64_e64 vcc, |v[44:45]|, |v[54:55]|
	v_cndmask_b32_e32 v45, v45, v55, vcc
	v_cndmask_b32_e32 v44, v44, v54, vcc
	;; [unrolled: 1-line block ×3, first 2 shown]
	s_cbranch_scc1 .LBB38_150
.LBB38_151:
	s_waitcnt lgkmcnt(0)
	v_cmp_eq_f64_e32 vcc, 0, v[44:45]
	s_and_saveexec_b64 s[0:1], vcc
	s_xor_b64 s[0:1], exec, s[0:1]
; %bb.152:
	v_cmp_ne_u32_e32 vcc, 0, v52
	v_cndmask_b32_e32 v52, 10, v52, vcc
; %bb.153:
	s_andn2_saveexec_b64 s[0:1], s[0:1]
; %bb.154:
	v_div_scale_f64 v[54:55], s[2:3], v[44:45], v[44:45], 1.0
	v_rcp_f64_e32 v[56:57], v[54:55]
	v_div_scale_f64 v[58:59], vcc, 1.0, v[44:45], 1.0
	v_fma_f64 v[60:61], -v[54:55], v[56:57], 1.0
	v_fmac_f64_e32 v[56:57], v[56:57], v[60:61]
	v_fma_f64 v[60:61], -v[54:55], v[56:57], 1.0
	v_fmac_f64_e32 v[56:57], v[56:57], v[60:61]
	v_mul_f64 v[60:61], v[58:59], v[56:57]
	v_fma_f64 v[54:55], -v[54:55], v[60:61], v[58:59]
	v_div_fmas_f64 v[54:55], v[54:55], v[56:57], v[60:61]
	v_div_fixup_f64 v[44:45], v[54:55], v[44:45], 1.0
; %bb.155:
	s_or_b64 exec, exec, s[0:1]
	v_cmp_ne_u32_e32 vcc, v49, v46
	s_and_saveexec_b64 s[0:1], vcc
	s_xor_b64 s[0:1], exec, s[0:1]
	s_cbranch_execz .LBB38_161
; %bb.156:
	v_cmp_eq_u32_e32 vcc, 9, v49
	s_and_saveexec_b64 s[2:3], vcc
	s_cbranch_execz .LBB38_160
; %bb.157:
	v_cmp_ne_u32_e32 vcc, 9, v46
	s_xor_b64 s[14:15], s[6:7], -1
	s_and_b64 s[16:17], s[14:15], vcc
	s_and_saveexec_b64 s[14:15], s[16:17]
	s_cbranch_execz .LBB38_159
; %bb.158:
	v_ashrrev_i32_e32 v47, 31, v46
	v_lshlrev_b64 v[54:55], 2, v[46:47]
	v_add_co_u32_e32 v54, vcc, v40, v54
	v_addc_co_u32_e32 v55, vcc, v41, v55, vcc
	flat_load_dword v47, v[54:55]
	flat_load_dword v49, v[40:41] offset:36
	s_waitcnt vmcnt(0) lgkmcnt(0)
	flat_store_dword v[40:41], v47 offset:36
	flat_store_dword v[54:55], v49
.LBB38_159:
	s_or_b64 exec, exec, s[14:15]
	v_mov_b32_e32 v47, v46
	v_mov_b32_e32 v49, v46
.LBB38_160:
	s_or_b64 exec, exec, s[2:3]
.LBB38_161:
	s_andn2_saveexec_b64 s[0:1], s[0:1]
	s_cbranch_execz .LBB38_163
; %bb.162:
	v_mov_b32_e32 v54, v16
	v_mov_b32_e32 v55, v17
	v_mov_b32_e32 v56, v8
	v_mov_b32_e32 v57, v9
	ds_write2_b64 v48, v[54:55], v[56:57] offset0:10 offset1:11
	v_mov_b32_e32 v54, v36
	v_mov_b32_e32 v55, v37
	v_mov_b32_e32 v56, v30
	v_mov_b32_e32 v57, v31
	ds_write2_b64 v48, v[54:55], v[56:57] offset0:12 offset1:13
	;; [unrolled: 5-line block ×4, first 2 shown]
	v_mov_b32_e32 v54, v28
	v_mov_b32_e32 v55, v29
	;; [unrolled: 1-line block ×3, first 2 shown]
	ds_write2_b64 v48, v[54:55], v[42:43] offset0:18 offset1:19
.LBB38_163:
	s_or_b64 exec, exec, s[0:1]
	v_cmp_lt_i32_e32 vcc, 9, v49
	s_waitcnt lgkmcnt(0)
	s_barrier
	s_and_saveexec_b64 s[0:1], vcc
	s_cbranch_execz .LBB38_165
; %bb.164:
	ds_read2_b64 v[54:57], v48 offset0:10 offset1:11
	ds_read2_b64 v[58:61], v48 offset0:12 offset1:13
	v_mul_f64 v[24:25], v[44:45], v[24:25]
	ds_read2_b64 v[62:65], v48 offset0:16 offset1:17
	s_waitcnt lgkmcnt(0)
	v_fma_f64 v[16:17], -v[24:25], v[54:55], v[16:17]
	v_fma_f64 v[8:9], -v[24:25], v[56:57], v[8:9]
	ds_read2_b64 v[54:57], v48 offset0:14 offset1:15
	v_fma_f64 v[36:37], -v[24:25], v[58:59], v[36:37]
	v_fma_f64 v[30:31], -v[24:25], v[60:61], v[30:31]
	ds_read2_b64 v[58:61], v48 offset0:18 offset1:19
	v_fma_f64 v[38:39], -v[24:25], v[62:63], v[38:39]
	s_waitcnt lgkmcnt(0)
	v_fma_f64 v[22:23], -v[24:25], v[54:55], v[22:23]
	v_fma_f64 v[14:15], -v[24:25], v[56:57], v[14:15]
	;; [unrolled: 1-line block ×5, first 2 shown]
.LBB38_165:
	s_or_b64 exec, exec, s[0:1]
	v_lshl_add_u32 v44, v49, 3, v48
	s_barrier
	ds_write_b64 v44, v[16:17]
	s_waitcnt lgkmcnt(0)
	s_barrier
	ds_read_b64 v[44:45], v48 offset:80
	s_cmp_lt_i32 s12, 12
	v_mov_b32_e32 v46, 10
	s_cbranch_scc1 .LBB38_168
; %bb.166:
	v_add_u32_e32 v53, 0x58, v48
	s_mov_b32 s0, 11
	v_mov_b32_e32 v46, 10
.LBB38_167:                             ; =>This Inner Loop Header: Depth=1
	ds_read_b64 v[54:55], v53
	v_mov_b32_e32 v56, s0
	s_add_i32 s0, s0, 1
	v_add_u32_e32 v53, 8, v53
	s_cmp_lg_u32 s12, s0
	s_waitcnt lgkmcnt(0)
	v_cmp_lt_f64_e64 vcc, |v[44:45]|, |v[54:55]|
	v_cndmask_b32_e32 v45, v45, v55, vcc
	v_cndmask_b32_e32 v44, v44, v54, vcc
	;; [unrolled: 1-line block ×3, first 2 shown]
	s_cbranch_scc1 .LBB38_167
.LBB38_168:
	s_waitcnt lgkmcnt(0)
	v_cmp_eq_f64_e32 vcc, 0, v[44:45]
	s_and_saveexec_b64 s[0:1], vcc
	s_xor_b64 s[0:1], exec, s[0:1]
; %bb.169:
	v_cmp_ne_u32_e32 vcc, 0, v52
	v_cndmask_b32_e32 v52, 11, v52, vcc
; %bb.170:
	s_andn2_saveexec_b64 s[0:1], s[0:1]
; %bb.171:
	v_div_scale_f64 v[54:55], s[2:3], v[44:45], v[44:45], 1.0
	v_rcp_f64_e32 v[56:57], v[54:55]
	v_div_scale_f64 v[58:59], vcc, 1.0, v[44:45], 1.0
	v_fma_f64 v[60:61], -v[54:55], v[56:57], 1.0
	v_fmac_f64_e32 v[56:57], v[56:57], v[60:61]
	v_fma_f64 v[60:61], -v[54:55], v[56:57], 1.0
	v_fmac_f64_e32 v[56:57], v[56:57], v[60:61]
	v_mul_f64 v[60:61], v[58:59], v[56:57]
	v_fma_f64 v[54:55], -v[54:55], v[60:61], v[58:59]
	v_div_fmas_f64 v[54:55], v[54:55], v[56:57], v[60:61]
	v_div_fixup_f64 v[44:45], v[54:55], v[44:45], 1.0
; %bb.172:
	s_or_b64 exec, exec, s[0:1]
	v_cmp_ne_u32_e32 vcc, v49, v46
	s_and_saveexec_b64 s[0:1], vcc
	s_xor_b64 s[0:1], exec, s[0:1]
	s_cbranch_execz .LBB38_178
; %bb.173:
	v_cmp_eq_u32_e32 vcc, 10, v49
	s_and_saveexec_b64 s[2:3], vcc
	s_cbranch_execz .LBB38_177
; %bb.174:
	v_cmp_ne_u32_e32 vcc, 10, v46
	s_xor_b64 s[14:15], s[6:7], -1
	s_and_b64 s[16:17], s[14:15], vcc
	s_and_saveexec_b64 s[14:15], s[16:17]
	s_cbranch_execz .LBB38_176
; %bb.175:
	v_ashrrev_i32_e32 v47, 31, v46
	v_lshlrev_b64 v[54:55], 2, v[46:47]
	v_add_co_u32_e32 v54, vcc, v40, v54
	v_addc_co_u32_e32 v55, vcc, v41, v55, vcc
	flat_load_dword v47, v[54:55]
	flat_load_dword v49, v[40:41] offset:40
	s_waitcnt vmcnt(0) lgkmcnt(0)
	flat_store_dword v[40:41], v47 offset:40
	flat_store_dword v[54:55], v49
.LBB38_176:
	s_or_b64 exec, exec, s[14:15]
	v_mov_b32_e32 v47, v46
	v_mov_b32_e32 v49, v46
.LBB38_177:
	s_or_b64 exec, exec, s[2:3]
.LBB38_178:
	s_andn2_saveexec_b64 s[0:1], s[0:1]
	s_cbranch_execz .LBB38_180
; %bb.179:
	v_mov_b32_e32 v49, 10
	ds_write2_b64 v48, v[8:9], v[36:37] offset0:11 offset1:12
	ds_write2_b64 v48, v[30:31], v[22:23] offset0:13 offset1:14
	;; [unrolled: 1-line block ×4, first 2 shown]
	ds_write_b64 v48, v[42:43] offset:152
.LBB38_180:
	s_or_b64 exec, exec, s[0:1]
	v_cmp_lt_i32_e32 vcc, 10, v49
	s_waitcnt lgkmcnt(0)
	s_barrier
	s_and_saveexec_b64 s[0:1], vcc
	s_cbranch_execz .LBB38_182
; %bb.181:
	ds_read2_b64 v[54:57], v48 offset0:11 offset1:12
	ds_read2_b64 v[58:61], v48 offset0:13 offset1:14
	v_mul_f64 v[16:17], v[44:45], v[16:17]
	ds_read_b64 v[44:45], v48 offset:152
	ds_read2_b64 v[62:65], v48 offset0:17 offset1:18
	s_waitcnt lgkmcnt(0)
	v_fma_f64 v[8:9], -v[16:17], v[54:55], v[8:9]
	v_fma_f64 v[36:37], -v[16:17], v[56:57], v[36:37]
	ds_read2_b64 v[54:57], v48 offset0:15 offset1:16
	v_fma_f64 v[30:31], -v[16:17], v[58:59], v[30:31]
	v_fma_f64 v[22:23], -v[16:17], v[60:61], v[22:23]
	;; [unrolled: 1-line block ×4, first 2 shown]
	s_waitcnt lgkmcnt(0)
	v_fma_f64 v[14:15], -v[16:17], v[54:55], v[14:15]
	v_fma_f64 v[38:39], -v[16:17], v[56:57], v[38:39]
	;; [unrolled: 1-line block ×3, first 2 shown]
.LBB38_182:
	s_or_b64 exec, exec, s[0:1]
	v_lshl_add_u32 v44, v49, 3, v48
	s_barrier
	ds_write_b64 v44, v[8:9]
	s_waitcnt lgkmcnt(0)
	s_barrier
	ds_read_b64 v[44:45], v48 offset:88
	s_cmp_lt_i32 s12, 13
	v_mov_b32_e32 v46, 11
	s_cbranch_scc1 .LBB38_185
; %bb.183:
	v_add_u32_e32 v53, 0x60, v48
	s_mov_b32 s0, 12
	v_mov_b32_e32 v46, 11
.LBB38_184:                             ; =>This Inner Loop Header: Depth=1
	ds_read_b64 v[54:55], v53
	v_mov_b32_e32 v56, s0
	s_add_i32 s0, s0, 1
	v_add_u32_e32 v53, 8, v53
	s_cmp_lg_u32 s12, s0
	s_waitcnt lgkmcnt(0)
	v_cmp_lt_f64_e64 vcc, |v[44:45]|, |v[54:55]|
	v_cndmask_b32_e32 v45, v45, v55, vcc
	v_cndmask_b32_e32 v44, v44, v54, vcc
	;; [unrolled: 1-line block ×3, first 2 shown]
	s_cbranch_scc1 .LBB38_184
.LBB38_185:
	s_waitcnt lgkmcnt(0)
	v_cmp_eq_f64_e32 vcc, 0, v[44:45]
	s_and_saveexec_b64 s[0:1], vcc
	s_xor_b64 s[0:1], exec, s[0:1]
; %bb.186:
	v_cmp_ne_u32_e32 vcc, 0, v52
	v_cndmask_b32_e32 v52, 12, v52, vcc
; %bb.187:
	s_andn2_saveexec_b64 s[0:1], s[0:1]
; %bb.188:
	v_div_scale_f64 v[54:55], s[2:3], v[44:45], v[44:45], 1.0
	v_rcp_f64_e32 v[56:57], v[54:55]
	v_div_scale_f64 v[58:59], vcc, 1.0, v[44:45], 1.0
	v_fma_f64 v[60:61], -v[54:55], v[56:57], 1.0
	v_fmac_f64_e32 v[56:57], v[56:57], v[60:61]
	v_fma_f64 v[60:61], -v[54:55], v[56:57], 1.0
	v_fmac_f64_e32 v[56:57], v[56:57], v[60:61]
	v_mul_f64 v[60:61], v[58:59], v[56:57]
	v_fma_f64 v[54:55], -v[54:55], v[60:61], v[58:59]
	v_div_fmas_f64 v[54:55], v[54:55], v[56:57], v[60:61]
	v_div_fixup_f64 v[44:45], v[54:55], v[44:45], 1.0
; %bb.189:
	s_or_b64 exec, exec, s[0:1]
	v_cmp_ne_u32_e32 vcc, v49, v46
	s_and_saveexec_b64 s[0:1], vcc
	s_xor_b64 s[0:1], exec, s[0:1]
	s_cbranch_execz .LBB38_195
; %bb.190:
	v_cmp_eq_u32_e32 vcc, 11, v49
	s_and_saveexec_b64 s[2:3], vcc
	s_cbranch_execz .LBB38_194
; %bb.191:
	v_cmp_ne_u32_e32 vcc, 11, v46
	s_xor_b64 s[14:15], s[6:7], -1
	s_and_b64 s[16:17], s[14:15], vcc
	s_and_saveexec_b64 s[14:15], s[16:17]
	s_cbranch_execz .LBB38_193
; %bb.192:
	v_ashrrev_i32_e32 v47, 31, v46
	v_lshlrev_b64 v[54:55], 2, v[46:47]
	v_add_co_u32_e32 v54, vcc, v40, v54
	v_addc_co_u32_e32 v55, vcc, v41, v55, vcc
	flat_load_dword v47, v[54:55]
	flat_load_dword v49, v[40:41] offset:44
	s_waitcnt vmcnt(0) lgkmcnt(0)
	flat_store_dword v[40:41], v47 offset:44
	flat_store_dword v[54:55], v49
.LBB38_193:
	s_or_b64 exec, exec, s[14:15]
	v_mov_b32_e32 v47, v46
	v_mov_b32_e32 v49, v46
.LBB38_194:
	s_or_b64 exec, exec, s[2:3]
.LBB38_195:
	s_andn2_saveexec_b64 s[0:1], s[0:1]
	s_cbranch_execz .LBB38_197
; %bb.196:
	v_mov_b32_e32 v54, v36
	v_mov_b32_e32 v55, v37
	v_mov_b32_e32 v56, v30
	v_mov_b32_e32 v57, v31
	ds_write2_b64 v48, v[54:55], v[56:57] offset0:12 offset1:13
	v_mov_b32_e32 v54, v22
	v_mov_b32_e32 v55, v23
	v_mov_b32_e32 v56, v14
	v_mov_b32_e32 v57, v15
	ds_write2_b64 v48, v[54:55], v[56:57] offset0:14 offset1:15
	;; [unrolled: 5-line block ×3, first 2 shown]
	v_mov_b32_e32 v54, v28
	v_mov_b32_e32 v55, v29
	;; [unrolled: 1-line block ×3, first 2 shown]
	ds_write2_b64 v48, v[54:55], v[42:43] offset0:18 offset1:19
.LBB38_197:
	s_or_b64 exec, exec, s[0:1]
	v_cmp_lt_i32_e32 vcc, 11, v49
	s_waitcnt lgkmcnt(0)
	s_barrier
	s_and_saveexec_b64 s[0:1], vcc
	s_cbranch_execz .LBB38_199
; %bb.198:
	ds_read2_b64 v[54:57], v48 offset0:12 offset1:13
	ds_read2_b64 v[58:61], v48 offset0:14 offset1:15
	v_mul_f64 v[8:9], v[44:45], v[8:9]
	ds_read2_b64 v[62:65], v48 offset0:16 offset1:17
	s_waitcnt lgkmcnt(0)
	v_fma_f64 v[36:37], -v[8:9], v[54:55], v[36:37]
	v_fma_f64 v[30:31], -v[8:9], v[56:57], v[30:31]
	ds_read2_b64 v[54:57], v48 offset0:18 offset1:19
	v_fma_f64 v[22:23], -v[8:9], v[58:59], v[22:23]
	v_fma_f64 v[14:15], -v[8:9], v[60:61], v[14:15]
	;; [unrolled: 1-line block ×4, first 2 shown]
	s_waitcnt lgkmcnt(0)
	v_fma_f64 v[28:29], -v[8:9], v[54:55], v[28:29]
	v_fma_f64 v[42:43], -v[8:9], v[56:57], v[42:43]
.LBB38_199:
	s_or_b64 exec, exec, s[0:1]
	v_lshl_add_u32 v44, v49, 3, v48
	s_barrier
	ds_write_b64 v44, v[36:37]
	s_waitcnt lgkmcnt(0)
	s_barrier
	ds_read_b64 v[44:45], v48 offset:96
	s_cmp_lt_i32 s12, 14
	v_mov_b32_e32 v46, 12
	s_cbranch_scc1 .LBB38_202
; %bb.200:
	v_add_u32_e32 v53, 0x68, v48
	s_mov_b32 s0, 13
	v_mov_b32_e32 v46, 12
.LBB38_201:                             ; =>This Inner Loop Header: Depth=1
	ds_read_b64 v[54:55], v53
	v_mov_b32_e32 v56, s0
	s_add_i32 s0, s0, 1
	v_add_u32_e32 v53, 8, v53
	s_cmp_lg_u32 s12, s0
	s_waitcnt lgkmcnt(0)
	v_cmp_lt_f64_e64 vcc, |v[44:45]|, |v[54:55]|
	v_cndmask_b32_e32 v45, v45, v55, vcc
	v_cndmask_b32_e32 v44, v44, v54, vcc
	;; [unrolled: 1-line block ×3, first 2 shown]
	s_cbranch_scc1 .LBB38_201
.LBB38_202:
	s_waitcnt lgkmcnt(0)
	v_cmp_eq_f64_e32 vcc, 0, v[44:45]
	s_and_saveexec_b64 s[0:1], vcc
	s_xor_b64 s[0:1], exec, s[0:1]
; %bb.203:
	v_cmp_ne_u32_e32 vcc, 0, v52
	v_cndmask_b32_e32 v52, 13, v52, vcc
; %bb.204:
	s_andn2_saveexec_b64 s[0:1], s[0:1]
; %bb.205:
	v_div_scale_f64 v[54:55], s[2:3], v[44:45], v[44:45], 1.0
	v_rcp_f64_e32 v[56:57], v[54:55]
	v_div_scale_f64 v[58:59], vcc, 1.0, v[44:45], 1.0
	v_fma_f64 v[60:61], -v[54:55], v[56:57], 1.0
	v_fmac_f64_e32 v[56:57], v[56:57], v[60:61]
	v_fma_f64 v[60:61], -v[54:55], v[56:57], 1.0
	v_fmac_f64_e32 v[56:57], v[56:57], v[60:61]
	v_mul_f64 v[60:61], v[58:59], v[56:57]
	v_fma_f64 v[54:55], -v[54:55], v[60:61], v[58:59]
	v_div_fmas_f64 v[54:55], v[54:55], v[56:57], v[60:61]
	v_div_fixup_f64 v[44:45], v[54:55], v[44:45], 1.0
; %bb.206:
	s_or_b64 exec, exec, s[0:1]
	v_cmp_ne_u32_e32 vcc, v49, v46
	s_and_saveexec_b64 s[0:1], vcc
	s_xor_b64 s[0:1], exec, s[0:1]
	s_cbranch_execz .LBB38_212
; %bb.207:
	v_cmp_eq_u32_e32 vcc, 12, v49
	s_and_saveexec_b64 s[2:3], vcc
	s_cbranch_execz .LBB38_211
; %bb.208:
	v_cmp_ne_u32_e32 vcc, 12, v46
	s_xor_b64 s[14:15], s[6:7], -1
	s_and_b64 s[16:17], s[14:15], vcc
	s_and_saveexec_b64 s[14:15], s[16:17]
	s_cbranch_execz .LBB38_210
; %bb.209:
	v_ashrrev_i32_e32 v47, 31, v46
	v_lshlrev_b64 v[54:55], 2, v[46:47]
	v_add_co_u32_e32 v54, vcc, v40, v54
	v_addc_co_u32_e32 v55, vcc, v41, v55, vcc
	flat_load_dword v47, v[54:55]
	flat_load_dword v49, v[40:41] offset:48
	s_waitcnt vmcnt(0) lgkmcnt(0)
	flat_store_dword v[40:41], v47 offset:48
	flat_store_dword v[54:55], v49
.LBB38_210:
	s_or_b64 exec, exec, s[14:15]
	v_mov_b32_e32 v47, v46
	v_mov_b32_e32 v49, v46
.LBB38_211:
	s_or_b64 exec, exec, s[2:3]
.LBB38_212:
	s_andn2_saveexec_b64 s[0:1], s[0:1]
	s_cbranch_execz .LBB38_214
; %bb.213:
	v_mov_b32_e32 v49, 12
	ds_write2_b64 v48, v[30:31], v[22:23] offset0:13 offset1:14
	ds_write2_b64 v48, v[14:15], v[38:39] offset0:15 offset1:16
	;; [unrolled: 1-line block ×3, first 2 shown]
	ds_write_b64 v48, v[42:43] offset:152
.LBB38_214:
	s_or_b64 exec, exec, s[0:1]
	v_cmp_lt_i32_e32 vcc, 12, v49
	s_waitcnt lgkmcnt(0)
	s_barrier
	s_and_saveexec_b64 s[0:1], vcc
	s_cbranch_execz .LBB38_216
; %bb.215:
	ds_read2_b64 v[54:57], v48 offset0:13 offset1:14
	ds_read2_b64 v[58:61], v48 offset0:15 offset1:16
	v_mul_f64 v[36:37], v[44:45], v[36:37]
	ds_read2_b64 v[62:65], v48 offset0:17 offset1:18
	ds_read_b64 v[44:45], v48 offset:152
	s_waitcnt lgkmcnt(0)
	v_fma_f64 v[30:31], -v[36:37], v[54:55], v[30:31]
	v_fma_f64 v[22:23], -v[36:37], v[56:57], v[22:23]
	;; [unrolled: 1-line block ×7, first 2 shown]
.LBB38_216:
	s_or_b64 exec, exec, s[0:1]
	v_lshl_add_u32 v44, v49, 3, v48
	s_barrier
	ds_write_b64 v44, v[30:31]
	s_waitcnt lgkmcnt(0)
	s_barrier
	ds_read_b64 v[44:45], v48 offset:104
	s_cmp_lt_i32 s12, 15
	v_mov_b32_e32 v46, 13
	s_cbranch_scc1 .LBB38_219
; %bb.217:
	v_add_u32_e32 v53, 0x70, v48
	s_mov_b32 s0, 14
	v_mov_b32_e32 v46, 13
.LBB38_218:                             ; =>This Inner Loop Header: Depth=1
	ds_read_b64 v[54:55], v53
	v_mov_b32_e32 v56, s0
	s_add_i32 s0, s0, 1
	v_add_u32_e32 v53, 8, v53
	s_cmp_lg_u32 s12, s0
	s_waitcnt lgkmcnt(0)
	v_cmp_lt_f64_e64 vcc, |v[44:45]|, |v[54:55]|
	v_cndmask_b32_e32 v45, v45, v55, vcc
	v_cndmask_b32_e32 v44, v44, v54, vcc
	;; [unrolled: 1-line block ×3, first 2 shown]
	s_cbranch_scc1 .LBB38_218
.LBB38_219:
	s_waitcnt lgkmcnt(0)
	v_cmp_eq_f64_e32 vcc, 0, v[44:45]
	s_and_saveexec_b64 s[0:1], vcc
	s_xor_b64 s[0:1], exec, s[0:1]
; %bb.220:
	v_cmp_ne_u32_e32 vcc, 0, v52
	v_cndmask_b32_e32 v52, 14, v52, vcc
; %bb.221:
	s_andn2_saveexec_b64 s[0:1], s[0:1]
; %bb.222:
	v_div_scale_f64 v[54:55], s[2:3], v[44:45], v[44:45], 1.0
	v_rcp_f64_e32 v[56:57], v[54:55]
	v_div_scale_f64 v[58:59], vcc, 1.0, v[44:45], 1.0
	v_fma_f64 v[60:61], -v[54:55], v[56:57], 1.0
	v_fmac_f64_e32 v[56:57], v[56:57], v[60:61]
	v_fma_f64 v[60:61], -v[54:55], v[56:57], 1.0
	v_fmac_f64_e32 v[56:57], v[56:57], v[60:61]
	v_mul_f64 v[60:61], v[58:59], v[56:57]
	v_fma_f64 v[54:55], -v[54:55], v[60:61], v[58:59]
	v_div_fmas_f64 v[54:55], v[54:55], v[56:57], v[60:61]
	v_div_fixup_f64 v[44:45], v[54:55], v[44:45], 1.0
; %bb.223:
	s_or_b64 exec, exec, s[0:1]
	v_cmp_ne_u32_e32 vcc, v49, v46
	s_and_saveexec_b64 s[0:1], vcc
	s_xor_b64 s[0:1], exec, s[0:1]
	s_cbranch_execz .LBB38_229
; %bb.224:
	v_cmp_eq_u32_e32 vcc, 13, v49
	s_and_saveexec_b64 s[2:3], vcc
	s_cbranch_execz .LBB38_228
; %bb.225:
	v_cmp_ne_u32_e32 vcc, 13, v46
	s_xor_b64 s[14:15], s[6:7], -1
	s_and_b64 s[16:17], s[14:15], vcc
	s_and_saveexec_b64 s[14:15], s[16:17]
	s_cbranch_execz .LBB38_227
; %bb.226:
	v_ashrrev_i32_e32 v47, 31, v46
	v_lshlrev_b64 v[54:55], 2, v[46:47]
	v_add_co_u32_e32 v54, vcc, v40, v54
	v_addc_co_u32_e32 v55, vcc, v41, v55, vcc
	flat_load_dword v47, v[54:55]
	flat_load_dword v49, v[40:41] offset:52
	s_waitcnt vmcnt(0) lgkmcnt(0)
	flat_store_dword v[40:41], v47 offset:52
	flat_store_dword v[54:55], v49
.LBB38_227:
	s_or_b64 exec, exec, s[14:15]
	v_mov_b32_e32 v47, v46
	v_mov_b32_e32 v49, v46
.LBB38_228:
	s_or_b64 exec, exec, s[2:3]
.LBB38_229:
	s_andn2_saveexec_b64 s[0:1], s[0:1]
	s_cbranch_execz .LBB38_231
; %bb.230:
	v_mov_b32_e32 v54, v22
	v_mov_b32_e32 v55, v23
	;; [unrolled: 1-line block ×4, first 2 shown]
	ds_write2_b64 v48, v[54:55], v[56:57] offset0:14 offset1:15
	v_mov_b32_e32 v54, v38
	v_mov_b32_e32 v55, v39
	v_mov_b32_e32 v56, v34
	v_mov_b32_e32 v57, v35
	ds_write2_b64 v48, v[54:55], v[56:57] offset0:16 offset1:17
	v_mov_b32_e32 v54, v28
	v_mov_b32_e32 v55, v29
	;; [unrolled: 1-line block ×3, first 2 shown]
	ds_write2_b64 v48, v[54:55], v[42:43] offset0:18 offset1:19
.LBB38_231:
	s_or_b64 exec, exec, s[0:1]
	v_cmp_lt_i32_e32 vcc, 13, v49
	s_waitcnt lgkmcnt(0)
	s_barrier
	s_and_saveexec_b64 s[0:1], vcc
	s_cbranch_execz .LBB38_233
; %bb.232:
	ds_read2_b64 v[54:57], v48 offset0:14 offset1:15
	ds_read2_b64 v[58:61], v48 offset0:16 offset1:17
	;; [unrolled: 1-line block ×3, first 2 shown]
	v_mul_f64 v[30:31], v[44:45], v[30:31]
	s_waitcnt lgkmcnt(0)
	v_fma_f64 v[22:23], -v[30:31], v[54:55], v[22:23]
	v_fma_f64 v[14:15], -v[30:31], v[56:57], v[14:15]
	;; [unrolled: 1-line block ×6, first 2 shown]
.LBB38_233:
	s_or_b64 exec, exec, s[0:1]
	v_lshl_add_u32 v44, v49, 3, v48
	s_barrier
	ds_write_b64 v44, v[22:23]
	s_waitcnt lgkmcnt(0)
	s_barrier
	ds_read_b64 v[44:45], v48 offset:112
	s_cmp_lt_i32 s12, 16
	v_mov_b32_e32 v46, 14
	s_cbranch_scc1 .LBB38_236
; %bb.234:
	v_add_u32_e32 v53, 0x78, v48
	s_mov_b32 s0, 15
	v_mov_b32_e32 v46, 14
.LBB38_235:                             ; =>This Inner Loop Header: Depth=1
	ds_read_b64 v[54:55], v53
	v_mov_b32_e32 v56, s0
	s_add_i32 s0, s0, 1
	v_add_u32_e32 v53, 8, v53
	s_cmp_lg_u32 s12, s0
	s_waitcnt lgkmcnt(0)
	v_cmp_lt_f64_e64 vcc, |v[44:45]|, |v[54:55]|
	v_cndmask_b32_e32 v45, v45, v55, vcc
	v_cndmask_b32_e32 v44, v44, v54, vcc
	;; [unrolled: 1-line block ×3, first 2 shown]
	s_cbranch_scc1 .LBB38_235
.LBB38_236:
	s_waitcnt lgkmcnt(0)
	v_cmp_eq_f64_e32 vcc, 0, v[44:45]
	s_and_saveexec_b64 s[0:1], vcc
	s_xor_b64 s[0:1], exec, s[0:1]
; %bb.237:
	v_cmp_ne_u32_e32 vcc, 0, v52
	v_cndmask_b32_e32 v52, 15, v52, vcc
; %bb.238:
	s_andn2_saveexec_b64 s[0:1], s[0:1]
; %bb.239:
	v_div_scale_f64 v[54:55], s[2:3], v[44:45], v[44:45], 1.0
	v_rcp_f64_e32 v[56:57], v[54:55]
	v_div_scale_f64 v[58:59], vcc, 1.0, v[44:45], 1.0
	v_fma_f64 v[60:61], -v[54:55], v[56:57], 1.0
	v_fmac_f64_e32 v[56:57], v[56:57], v[60:61]
	v_fma_f64 v[60:61], -v[54:55], v[56:57], 1.0
	v_fmac_f64_e32 v[56:57], v[56:57], v[60:61]
	v_mul_f64 v[60:61], v[58:59], v[56:57]
	v_fma_f64 v[54:55], -v[54:55], v[60:61], v[58:59]
	v_div_fmas_f64 v[54:55], v[54:55], v[56:57], v[60:61]
	v_div_fixup_f64 v[44:45], v[54:55], v[44:45], 1.0
; %bb.240:
	s_or_b64 exec, exec, s[0:1]
	v_cmp_ne_u32_e32 vcc, v49, v46
	s_and_saveexec_b64 s[0:1], vcc
	s_xor_b64 s[0:1], exec, s[0:1]
	s_cbranch_execz .LBB38_246
; %bb.241:
	v_cmp_eq_u32_e32 vcc, 14, v49
	s_and_saveexec_b64 s[2:3], vcc
	s_cbranch_execz .LBB38_245
; %bb.242:
	v_cmp_ne_u32_e32 vcc, 14, v46
	s_xor_b64 s[14:15], s[6:7], -1
	s_and_b64 s[16:17], s[14:15], vcc
	s_and_saveexec_b64 s[14:15], s[16:17]
	s_cbranch_execz .LBB38_244
; %bb.243:
	v_ashrrev_i32_e32 v47, 31, v46
	v_lshlrev_b64 v[54:55], 2, v[46:47]
	v_add_co_u32_e32 v54, vcc, v40, v54
	v_addc_co_u32_e32 v55, vcc, v41, v55, vcc
	flat_load_dword v47, v[54:55]
	flat_load_dword v49, v[40:41] offset:56
	s_waitcnt vmcnt(0) lgkmcnt(0)
	flat_store_dword v[40:41], v47 offset:56
	flat_store_dword v[54:55], v49
.LBB38_244:
	s_or_b64 exec, exec, s[14:15]
	v_mov_b32_e32 v47, v46
	v_mov_b32_e32 v49, v46
.LBB38_245:
	s_or_b64 exec, exec, s[2:3]
.LBB38_246:
	s_andn2_saveexec_b64 s[0:1], s[0:1]
	s_cbranch_execz .LBB38_248
; %bb.247:
	v_mov_b32_e32 v49, 14
	ds_write2_b64 v48, v[14:15], v[38:39] offset0:15 offset1:16
	ds_write2_b64 v48, v[34:35], v[28:29] offset0:17 offset1:18
	ds_write_b64 v48, v[42:43] offset:152
.LBB38_248:
	s_or_b64 exec, exec, s[0:1]
	v_cmp_lt_i32_e32 vcc, 14, v49
	s_waitcnt lgkmcnt(0)
	s_barrier
	s_and_saveexec_b64 s[0:1], vcc
	s_cbranch_execz .LBB38_250
; %bb.249:
	ds_read2_b64 v[54:57], v48 offset0:15 offset1:16
	ds_read2_b64 v[58:61], v48 offset0:17 offset1:18
	v_mul_f64 v[22:23], v[44:45], v[22:23]
	ds_read_b64 v[44:45], v48 offset:152
	s_waitcnt lgkmcnt(0)
	v_fma_f64 v[14:15], -v[22:23], v[54:55], v[14:15]
	v_fma_f64 v[38:39], -v[22:23], v[56:57], v[38:39]
	;; [unrolled: 1-line block ×5, first 2 shown]
.LBB38_250:
	s_or_b64 exec, exec, s[0:1]
	v_lshl_add_u32 v44, v49, 3, v48
	s_barrier
	ds_write_b64 v44, v[14:15]
	s_waitcnt lgkmcnt(0)
	s_barrier
	ds_read_b64 v[44:45], v48 offset:120
	s_cmp_lt_i32 s12, 17
	v_mov_b32_e32 v46, 15
	s_cbranch_scc1 .LBB38_253
; %bb.251:
	v_add_u32_e32 v53, 0x80, v48
	s_mov_b32 s0, 16
	v_mov_b32_e32 v46, 15
.LBB38_252:                             ; =>This Inner Loop Header: Depth=1
	ds_read_b64 v[54:55], v53
	v_mov_b32_e32 v56, s0
	s_add_i32 s0, s0, 1
	v_add_u32_e32 v53, 8, v53
	s_cmp_lg_u32 s12, s0
	s_waitcnt lgkmcnt(0)
	v_cmp_lt_f64_e64 vcc, |v[44:45]|, |v[54:55]|
	v_cndmask_b32_e32 v45, v45, v55, vcc
	v_cndmask_b32_e32 v44, v44, v54, vcc
	;; [unrolled: 1-line block ×3, first 2 shown]
	s_cbranch_scc1 .LBB38_252
.LBB38_253:
	s_waitcnt lgkmcnt(0)
	v_cmp_eq_f64_e32 vcc, 0, v[44:45]
	s_and_saveexec_b64 s[0:1], vcc
	s_xor_b64 s[0:1], exec, s[0:1]
; %bb.254:
	v_cmp_ne_u32_e32 vcc, 0, v52
	v_cndmask_b32_e32 v52, 16, v52, vcc
; %bb.255:
	s_andn2_saveexec_b64 s[0:1], s[0:1]
; %bb.256:
	v_div_scale_f64 v[54:55], s[2:3], v[44:45], v[44:45], 1.0
	v_rcp_f64_e32 v[56:57], v[54:55]
	v_div_scale_f64 v[58:59], vcc, 1.0, v[44:45], 1.0
	v_fma_f64 v[60:61], -v[54:55], v[56:57], 1.0
	v_fmac_f64_e32 v[56:57], v[56:57], v[60:61]
	v_fma_f64 v[60:61], -v[54:55], v[56:57], 1.0
	v_fmac_f64_e32 v[56:57], v[56:57], v[60:61]
	v_mul_f64 v[60:61], v[58:59], v[56:57]
	v_fma_f64 v[54:55], -v[54:55], v[60:61], v[58:59]
	v_div_fmas_f64 v[54:55], v[54:55], v[56:57], v[60:61]
	v_div_fixup_f64 v[44:45], v[54:55], v[44:45], 1.0
; %bb.257:
	s_or_b64 exec, exec, s[0:1]
	v_cmp_ne_u32_e32 vcc, v49, v46
	s_and_saveexec_b64 s[0:1], vcc
	s_xor_b64 s[0:1], exec, s[0:1]
	s_cbranch_execz .LBB38_263
; %bb.258:
	v_cmp_eq_u32_e32 vcc, 15, v49
	s_and_saveexec_b64 s[2:3], vcc
	s_cbranch_execz .LBB38_262
; %bb.259:
	v_cmp_ne_u32_e32 vcc, 15, v46
	s_xor_b64 s[14:15], s[6:7], -1
	s_and_b64 s[16:17], s[14:15], vcc
	s_and_saveexec_b64 s[14:15], s[16:17]
	s_cbranch_execz .LBB38_261
; %bb.260:
	v_ashrrev_i32_e32 v47, 31, v46
	v_lshlrev_b64 v[54:55], 2, v[46:47]
	v_add_co_u32_e32 v54, vcc, v40, v54
	v_addc_co_u32_e32 v55, vcc, v41, v55, vcc
	flat_load_dword v47, v[54:55]
	flat_load_dword v49, v[40:41] offset:60
	s_waitcnt vmcnt(0) lgkmcnt(0)
	flat_store_dword v[40:41], v47 offset:60
	flat_store_dword v[54:55], v49
.LBB38_261:
	s_or_b64 exec, exec, s[14:15]
	v_mov_b32_e32 v47, v46
	v_mov_b32_e32 v49, v46
.LBB38_262:
	s_or_b64 exec, exec, s[2:3]
.LBB38_263:
	s_andn2_saveexec_b64 s[0:1], s[0:1]
	s_cbranch_execz .LBB38_265
; %bb.264:
	v_mov_b32_e32 v54, v38
	v_mov_b32_e32 v55, v39
	;; [unrolled: 1-line block ×4, first 2 shown]
	ds_write2_b64 v48, v[54:55], v[56:57] offset0:16 offset1:17
	v_mov_b32_e32 v54, v28
	v_mov_b32_e32 v55, v29
	;; [unrolled: 1-line block ×3, first 2 shown]
	ds_write2_b64 v48, v[54:55], v[42:43] offset0:18 offset1:19
.LBB38_265:
	s_or_b64 exec, exec, s[0:1]
	v_cmp_lt_i32_e32 vcc, 15, v49
	s_waitcnt lgkmcnt(0)
	s_barrier
	s_and_saveexec_b64 s[0:1], vcc
	s_cbranch_execz .LBB38_267
; %bb.266:
	ds_read2_b64 v[54:57], v48 offset0:16 offset1:17
	ds_read2_b64 v[58:61], v48 offset0:18 offset1:19
	v_mul_f64 v[14:15], v[44:45], v[14:15]
	s_waitcnt lgkmcnt(0)
	v_fma_f64 v[38:39], -v[14:15], v[54:55], v[38:39]
	v_fma_f64 v[34:35], -v[14:15], v[56:57], v[34:35]
	;; [unrolled: 1-line block ×4, first 2 shown]
.LBB38_267:
	s_or_b64 exec, exec, s[0:1]
	v_lshl_add_u32 v44, v49, 3, v48
	s_barrier
	ds_write_b64 v44, v[38:39]
	s_waitcnt lgkmcnt(0)
	s_barrier
	ds_read_b64 v[44:45], v48 offset:128
	s_cmp_lt_i32 s12, 18
	v_mov_b32_e32 v46, 16
	s_cbranch_scc1 .LBB38_270
; %bb.268:
	v_add_u32_e32 v53, 0x88, v48
	s_mov_b32 s0, 17
	v_mov_b32_e32 v46, 16
.LBB38_269:                             ; =>This Inner Loop Header: Depth=1
	ds_read_b64 v[54:55], v53
	v_mov_b32_e32 v56, s0
	s_add_i32 s0, s0, 1
	v_add_u32_e32 v53, 8, v53
	s_cmp_lg_u32 s12, s0
	s_waitcnt lgkmcnt(0)
	v_cmp_lt_f64_e64 vcc, |v[44:45]|, |v[54:55]|
	v_cndmask_b32_e32 v45, v45, v55, vcc
	v_cndmask_b32_e32 v44, v44, v54, vcc
	;; [unrolled: 1-line block ×3, first 2 shown]
	s_cbranch_scc1 .LBB38_269
.LBB38_270:
	s_waitcnt lgkmcnt(0)
	v_cmp_eq_f64_e32 vcc, 0, v[44:45]
	s_and_saveexec_b64 s[0:1], vcc
	s_xor_b64 s[0:1], exec, s[0:1]
; %bb.271:
	v_cmp_ne_u32_e32 vcc, 0, v52
	v_cndmask_b32_e32 v52, 17, v52, vcc
; %bb.272:
	s_andn2_saveexec_b64 s[0:1], s[0:1]
; %bb.273:
	v_div_scale_f64 v[54:55], s[2:3], v[44:45], v[44:45], 1.0
	v_rcp_f64_e32 v[56:57], v[54:55]
	v_div_scale_f64 v[58:59], vcc, 1.0, v[44:45], 1.0
	v_fma_f64 v[60:61], -v[54:55], v[56:57], 1.0
	v_fmac_f64_e32 v[56:57], v[56:57], v[60:61]
	v_fma_f64 v[60:61], -v[54:55], v[56:57], 1.0
	v_fmac_f64_e32 v[56:57], v[56:57], v[60:61]
	v_mul_f64 v[60:61], v[58:59], v[56:57]
	v_fma_f64 v[54:55], -v[54:55], v[60:61], v[58:59]
	v_div_fmas_f64 v[54:55], v[54:55], v[56:57], v[60:61]
	v_div_fixup_f64 v[44:45], v[54:55], v[44:45], 1.0
; %bb.274:
	s_or_b64 exec, exec, s[0:1]
	v_cmp_ne_u32_e32 vcc, v49, v46
	s_and_saveexec_b64 s[0:1], vcc
	s_xor_b64 s[0:1], exec, s[0:1]
	s_cbranch_execz .LBB38_280
; %bb.275:
	v_cmp_eq_u32_e32 vcc, 16, v49
	s_and_saveexec_b64 s[2:3], vcc
	s_cbranch_execz .LBB38_279
; %bb.276:
	v_cmp_ne_u32_e32 vcc, 16, v46
	s_xor_b64 s[14:15], s[6:7], -1
	s_and_b64 s[16:17], s[14:15], vcc
	s_and_saveexec_b64 s[14:15], s[16:17]
	s_cbranch_execz .LBB38_278
; %bb.277:
	v_ashrrev_i32_e32 v47, 31, v46
	v_lshlrev_b64 v[54:55], 2, v[46:47]
	v_add_co_u32_e32 v54, vcc, v40, v54
	v_addc_co_u32_e32 v55, vcc, v41, v55, vcc
	flat_load_dword v47, v[54:55]
	flat_load_dword v49, v[40:41] offset:64
	s_waitcnt vmcnt(0) lgkmcnt(0)
	flat_store_dword v[40:41], v47 offset:64
	flat_store_dword v[54:55], v49
.LBB38_278:
	s_or_b64 exec, exec, s[14:15]
	v_mov_b32_e32 v47, v46
	v_mov_b32_e32 v49, v46
.LBB38_279:
	s_or_b64 exec, exec, s[2:3]
.LBB38_280:
	s_andn2_saveexec_b64 s[0:1], s[0:1]
	s_cbranch_execz .LBB38_282
; %bb.281:
	v_mov_b32_e32 v49, 16
	ds_write2_b64 v48, v[34:35], v[28:29] offset0:17 offset1:18
	ds_write_b64 v48, v[42:43] offset:152
.LBB38_282:
	s_or_b64 exec, exec, s[0:1]
	v_cmp_lt_i32_e32 vcc, 16, v49
	s_waitcnt lgkmcnt(0)
	s_barrier
	s_and_saveexec_b64 s[0:1], vcc
	s_cbranch_execz .LBB38_284
; %bb.283:
	ds_read2_b64 v[54:57], v48 offset0:17 offset1:18
	ds_read_b64 v[58:59], v48 offset:152
	v_mul_f64 v[38:39], v[44:45], v[38:39]
	s_waitcnt lgkmcnt(0)
	v_fma_f64 v[34:35], -v[38:39], v[54:55], v[34:35]
	v_fma_f64 v[28:29], -v[38:39], v[56:57], v[28:29]
	;; [unrolled: 1-line block ×3, first 2 shown]
.LBB38_284:
	s_or_b64 exec, exec, s[0:1]
	v_lshl_add_u32 v44, v49, 3, v48
	s_barrier
	ds_write_b64 v44, v[34:35]
	s_waitcnt lgkmcnt(0)
	s_barrier
	ds_read_b64 v[44:45], v48 offset:136
	s_cmp_lt_i32 s12, 19
	v_mov_b32_e32 v46, 17
	s_cbranch_scc1 .LBB38_287
; %bb.285:
	v_add_u32_e32 v53, 0x90, v48
	s_mov_b32 s0, 18
	v_mov_b32_e32 v46, 17
.LBB38_286:                             ; =>This Inner Loop Header: Depth=1
	ds_read_b64 v[54:55], v53
	v_mov_b32_e32 v56, s0
	s_add_i32 s0, s0, 1
	v_add_u32_e32 v53, 8, v53
	s_cmp_lg_u32 s12, s0
	s_waitcnt lgkmcnt(0)
	v_cmp_lt_f64_e64 vcc, |v[44:45]|, |v[54:55]|
	v_cndmask_b32_e32 v45, v45, v55, vcc
	v_cndmask_b32_e32 v44, v44, v54, vcc
	;; [unrolled: 1-line block ×3, first 2 shown]
	s_cbranch_scc1 .LBB38_286
.LBB38_287:
	s_waitcnt lgkmcnt(0)
	v_cmp_eq_f64_e32 vcc, 0, v[44:45]
	s_and_saveexec_b64 s[0:1], vcc
	s_xor_b64 s[0:1], exec, s[0:1]
; %bb.288:
	v_cmp_ne_u32_e32 vcc, 0, v52
	v_cndmask_b32_e32 v52, 18, v52, vcc
; %bb.289:
	s_andn2_saveexec_b64 s[0:1], s[0:1]
; %bb.290:
	v_div_scale_f64 v[54:55], s[2:3], v[44:45], v[44:45], 1.0
	v_rcp_f64_e32 v[56:57], v[54:55]
	v_div_scale_f64 v[58:59], vcc, 1.0, v[44:45], 1.0
	v_fma_f64 v[60:61], -v[54:55], v[56:57], 1.0
	v_fmac_f64_e32 v[56:57], v[56:57], v[60:61]
	v_fma_f64 v[60:61], -v[54:55], v[56:57], 1.0
	v_fmac_f64_e32 v[56:57], v[56:57], v[60:61]
	v_mul_f64 v[60:61], v[58:59], v[56:57]
	v_fma_f64 v[54:55], -v[54:55], v[60:61], v[58:59]
	v_div_fmas_f64 v[54:55], v[54:55], v[56:57], v[60:61]
	v_div_fixup_f64 v[44:45], v[54:55], v[44:45], 1.0
; %bb.291:
	s_or_b64 exec, exec, s[0:1]
	v_cmp_ne_u32_e32 vcc, v49, v46
	s_and_saveexec_b64 s[0:1], vcc
	s_xor_b64 s[0:1], exec, s[0:1]
	s_cbranch_execz .LBB38_297
; %bb.292:
	v_cmp_eq_u32_e32 vcc, 17, v49
	s_and_saveexec_b64 s[2:3], vcc
	s_cbranch_execz .LBB38_296
; %bb.293:
	v_cmp_ne_u32_e32 vcc, 17, v46
	s_xor_b64 s[14:15], s[6:7], -1
	s_and_b64 s[16:17], s[14:15], vcc
	s_and_saveexec_b64 s[14:15], s[16:17]
	s_cbranch_execz .LBB38_295
; %bb.294:
	v_ashrrev_i32_e32 v47, 31, v46
	v_lshlrev_b64 v[54:55], 2, v[46:47]
	v_add_co_u32_e32 v54, vcc, v40, v54
	v_addc_co_u32_e32 v55, vcc, v41, v55, vcc
	flat_load_dword v47, v[54:55]
	flat_load_dword v49, v[40:41] offset:68
	s_waitcnt vmcnt(0) lgkmcnt(0)
	flat_store_dword v[40:41], v47 offset:68
	flat_store_dword v[54:55], v49
.LBB38_295:
	s_or_b64 exec, exec, s[14:15]
	v_mov_b32_e32 v47, v46
	v_mov_b32_e32 v49, v46
.LBB38_296:
	s_or_b64 exec, exec, s[2:3]
.LBB38_297:
	s_andn2_saveexec_b64 s[0:1], s[0:1]
	s_cbranch_execz .LBB38_299
; %bb.298:
	v_mov_b32_e32 v54, v28
	v_mov_b32_e32 v55, v29
	;; [unrolled: 1-line block ×3, first 2 shown]
	ds_write2_b64 v48, v[54:55], v[42:43] offset0:18 offset1:19
.LBB38_299:
	s_or_b64 exec, exec, s[0:1]
	v_cmp_lt_i32_e32 vcc, 17, v49
	s_waitcnt lgkmcnt(0)
	s_barrier
	s_and_saveexec_b64 s[0:1], vcc
	s_cbranch_execz .LBB38_301
; %bb.300:
	ds_read2_b64 v[54:57], v48 offset0:18 offset1:19
	v_mul_f64 v[34:35], v[44:45], v[34:35]
	s_waitcnt lgkmcnt(0)
	v_fma_f64 v[28:29], -v[34:35], v[54:55], v[28:29]
	v_fma_f64 v[42:43], -v[34:35], v[56:57], v[42:43]
.LBB38_301:
	s_or_b64 exec, exec, s[0:1]
	v_lshl_add_u32 v44, v49, 3, v48
	s_barrier
	ds_write_b64 v44, v[28:29]
	s_waitcnt lgkmcnt(0)
	s_barrier
	ds_read_b64 v[44:45], v48 offset:144
	s_cmp_lt_i32 s12, 20
	v_mov_b32_e32 v46, 18
	s_cbranch_scc1 .LBB38_304
; %bb.302:
	v_add_u32_e32 v53, 0x98, v48
	s_mov_b32 s0, 19
	v_mov_b32_e32 v46, 18
.LBB38_303:                             ; =>This Inner Loop Header: Depth=1
	ds_read_b64 v[54:55], v53
	v_mov_b32_e32 v56, s0
	s_add_i32 s0, s0, 1
	v_add_u32_e32 v53, 8, v53
	s_cmp_lg_u32 s12, s0
	s_waitcnt lgkmcnt(0)
	v_cmp_lt_f64_e64 vcc, |v[44:45]|, |v[54:55]|
	v_cndmask_b32_e32 v45, v45, v55, vcc
	v_cndmask_b32_e32 v44, v44, v54, vcc
	;; [unrolled: 1-line block ×3, first 2 shown]
	s_cbranch_scc1 .LBB38_303
.LBB38_304:
	s_waitcnt lgkmcnt(0)
	v_cmp_eq_f64_e32 vcc, 0, v[44:45]
	s_and_saveexec_b64 s[0:1], vcc
	s_xor_b64 s[0:1], exec, s[0:1]
; %bb.305:
	v_cmp_ne_u32_e32 vcc, 0, v52
	v_cndmask_b32_e32 v52, 19, v52, vcc
; %bb.306:
	s_andn2_saveexec_b64 s[0:1], s[0:1]
; %bb.307:
	v_div_scale_f64 v[54:55], s[2:3], v[44:45], v[44:45], 1.0
	v_rcp_f64_e32 v[56:57], v[54:55]
	v_div_scale_f64 v[58:59], vcc, 1.0, v[44:45], 1.0
	v_fma_f64 v[60:61], -v[54:55], v[56:57], 1.0
	v_fmac_f64_e32 v[56:57], v[56:57], v[60:61]
	v_fma_f64 v[60:61], -v[54:55], v[56:57], 1.0
	v_fmac_f64_e32 v[56:57], v[56:57], v[60:61]
	v_mul_f64 v[60:61], v[58:59], v[56:57]
	v_fma_f64 v[54:55], -v[54:55], v[60:61], v[58:59]
	v_div_fmas_f64 v[54:55], v[54:55], v[56:57], v[60:61]
	v_div_fixup_f64 v[44:45], v[54:55], v[44:45], 1.0
; %bb.308:
	s_or_b64 exec, exec, s[0:1]
	v_cmp_ne_u32_e32 vcc, v49, v46
	s_and_saveexec_b64 s[0:1], vcc
	s_xor_b64 s[0:1], exec, s[0:1]
	s_cbranch_execz .LBB38_314
; %bb.309:
	v_cmp_eq_u32_e32 vcc, 18, v49
	s_and_saveexec_b64 s[2:3], vcc
	s_cbranch_execz .LBB38_313
; %bb.310:
	v_cmp_ne_u32_e32 vcc, 18, v46
	s_xor_b64 s[14:15], s[6:7], -1
	s_and_b64 s[16:17], s[14:15], vcc
	s_and_saveexec_b64 s[14:15], s[16:17]
	s_cbranch_execz .LBB38_312
; %bb.311:
	v_ashrrev_i32_e32 v47, 31, v46
	v_lshlrev_b64 v[54:55], 2, v[46:47]
	v_add_co_u32_e32 v54, vcc, v40, v54
	v_addc_co_u32_e32 v55, vcc, v41, v55, vcc
	flat_load_dword v47, v[54:55]
	flat_load_dword v49, v[40:41] offset:72
	s_waitcnt vmcnt(0) lgkmcnt(0)
	flat_store_dword v[40:41], v47 offset:72
	flat_store_dword v[54:55], v49
.LBB38_312:
	s_or_b64 exec, exec, s[14:15]
	v_mov_b32_e32 v47, v46
	v_mov_b32_e32 v49, v46
.LBB38_313:
	s_or_b64 exec, exec, s[2:3]
.LBB38_314:
	s_andn2_saveexec_b64 s[0:1], s[0:1]
	s_cbranch_execz .LBB38_316
; %bb.315:
	v_mov_b32_e32 v49, 18
	ds_write_b64 v48, v[42:43] offset:152
.LBB38_316:
	s_or_b64 exec, exec, s[0:1]
	v_cmp_lt_i32_e32 vcc, 18, v49
	s_waitcnt lgkmcnt(0)
	s_barrier
	s_and_saveexec_b64 s[0:1], vcc
	s_cbranch_execz .LBB38_318
; %bb.317:
	ds_read_b64 v[54:55], v48 offset:152
	v_mul_f64 v[28:29], v[44:45], v[28:29]
	s_waitcnt lgkmcnt(0)
	v_fma_f64 v[42:43], -v[28:29], v[54:55], v[42:43]
.LBB38_318:
	s_or_b64 exec, exec, s[0:1]
	v_lshl_add_u32 v44, v49, 3, v48
	s_barrier
	ds_write_b64 v44, v[42:43]
	s_waitcnt lgkmcnt(0)
	s_barrier
	ds_read_b64 v[44:45], v48 offset:152
	s_cmp_lt_i32 s12, 21
	v_mov_b32_e32 v46, 19
	s_cbranch_scc1 .LBB38_321
; %bb.319:
	v_add_u32_e32 v48, 0xa0, v48
	s_mov_b32 s0, 20
	v_mov_b32_e32 v46, 19
.LBB38_320:                             ; =>This Inner Loop Header: Depth=1
	ds_read_b64 v[54:55], v48
	v_mov_b32_e32 v53, s0
	s_add_i32 s0, s0, 1
	v_add_u32_e32 v48, 8, v48
	s_cmp_lg_u32 s12, s0
	s_waitcnt lgkmcnt(0)
	v_cmp_lt_f64_e64 vcc, |v[44:45]|, |v[54:55]|
	v_cndmask_b32_e32 v45, v45, v55, vcc
	v_cndmask_b32_e32 v44, v44, v54, vcc
	;; [unrolled: 1-line block ×3, first 2 shown]
	s_cbranch_scc1 .LBB38_320
.LBB38_321:
	s_waitcnt lgkmcnt(0)
	v_cmp_eq_f64_e32 vcc, 0, v[44:45]
	s_and_saveexec_b64 s[0:1], vcc
	s_xor_b64 s[0:1], exec, s[0:1]
; %bb.322:
	v_cmp_ne_u32_e32 vcc, 0, v52
	v_cndmask_b32_e32 v52, 20, v52, vcc
; %bb.323:
	s_andn2_saveexec_b64 s[0:1], s[0:1]
; %bb.324:
	v_div_scale_f64 v[54:55], s[2:3], v[44:45], v[44:45], 1.0
	v_rcp_f64_e32 v[56:57], v[54:55]
	v_div_scale_f64 v[58:59], vcc, 1.0, v[44:45], 1.0
	v_fma_f64 v[60:61], -v[54:55], v[56:57], 1.0
	v_fmac_f64_e32 v[56:57], v[56:57], v[60:61]
	v_fma_f64 v[60:61], -v[54:55], v[56:57], 1.0
	v_fmac_f64_e32 v[56:57], v[56:57], v[60:61]
	v_mul_f64 v[60:61], v[58:59], v[56:57]
	v_fma_f64 v[54:55], -v[54:55], v[60:61], v[58:59]
	v_div_fmas_f64 v[54:55], v[54:55], v[56:57], v[60:61]
	v_div_fixup_f64 v[44:45], v[54:55], v[44:45], 1.0
; %bb.325:
	s_or_b64 exec, exec, s[0:1]
	v_cmp_ne_u32_e32 vcc, v49, v46
	v_mov_b32_e32 v48, 19
	s_and_saveexec_b64 s[0:1], vcc
	s_cbranch_execz .LBB38_331
; %bb.326:
	v_cmp_eq_u32_e32 vcc, 19, v49
	s_and_saveexec_b64 s[2:3], vcc
	s_cbranch_execz .LBB38_330
; %bb.327:
	v_cmp_ne_u32_e32 vcc, 19, v46
	s_xor_b64 s[6:7], s[6:7], -1
	s_and_b64 s[14:15], s[6:7], vcc
	s_and_saveexec_b64 s[6:7], s[14:15]
	s_cbranch_execz .LBB38_329
; %bb.328:
	v_ashrrev_i32_e32 v47, 31, v46
	v_lshlrev_b64 v[48:49], 2, v[46:47]
	v_add_co_u32_e32 v48, vcc, v40, v48
	v_addc_co_u32_e32 v49, vcc, v41, v49, vcc
	flat_load_dword v47, v[48:49]
	flat_load_dword v53, v[40:41] offset:76
	s_waitcnt vmcnt(0) lgkmcnt(0)
	flat_store_dword v[40:41], v47 offset:76
	flat_store_dword v[48:49], v53
.LBB38_329:
	s_or_b64 exec, exec, s[6:7]
	v_mov_b32_e32 v47, v46
	v_mov_b32_e32 v49, v46
.LBB38_330:
	s_or_b64 exec, exec, s[2:3]
	v_mov_b32_e32 v48, v49
.LBB38_331:
	s_or_b64 exec, exec, s[0:1]
	s_load_dwordx8 s[0:7], s[4:5], 0x28
	v_cmp_gt_i32_e32 vcc, 20, v48
	v_ashrrev_i32_e32 v49, 31, v48
	s_waitcnt lgkmcnt(0)
	s_barrier
	s_barrier
	s_and_saveexec_b64 s[14:15], vcc
	s_cbranch_execz .LBB38_333
; %bb.332:
	v_mul_lo_u32 v46, v3, s4
	v_mul_lo_u32 v53, v2, s5
	v_mad_u64_u32 v[40:41], s[4:5], v2, s4, 0
	s_lshl_b64 s[2:3], s[2:3], 2
	v_add3_u32 v41, v41, v53, v46
	s_add_u32 s0, s2, s0
	v_lshlrev_b64 v[40:41], 2, v[40:41]
	s_addc_u32 s1, s3, s1
	v_mov_b32_e32 v46, s1
	v_add_co_u32_e32 v53, vcc, s0, v40
	v_addc_co_u32_e32 v46, vcc, v46, v41, vcc
	v_lshlrev_b64 v[40:41], 2, v[48:49]
	v_add_co_u32_e32 v40, vcc, v53, v40
	v_addc_co_u32_e32 v41, vcc, v46, v41, vcc
	v_add3_u32 v46, v47, s13, 1
	global_store_dword v[40:41], v46, off
.LBB38_333:
	s_or_b64 exec, exec, s[14:15]
	v_cmp_eq_u32_e32 vcc, 0, v48
	s_and_saveexec_b64 s[2:3], vcc
	s_cbranch_execz .LBB38_336
; %bb.334:
	v_lshlrev_b64 v[2:3], 2, v[2:3]
	v_mov_b32_e32 v40, s7
	v_add_co_u32_e32 v2, vcc, s6, v2
	v_addc_co_u32_e32 v3, vcc, v40, v3, vcc
	global_load_dword v40, v[2:3], off
	v_cmp_lt_i32_e64 s[0:1], 0, v52
	s_waitcnt vmcnt(0)
	v_cmp_eq_u32_e32 vcc, 0, v40
	s_and_b64 s[0:1], vcc, s[0:1]
	s_and_b64 exec, exec, s[0:1]
	s_cbranch_execz .LBB38_336
; %bb.335:
	v_add_u32_e32 v40, s13, v52
	global_store_dword v[2:3], v40, off
.LBB38_336:
	s_or_b64 exec, exec, s[2:3]
	v_mul_f64 v[2:3], v[44:45], v[42:43]
	v_cmp_lt_i32_e32 vcc, 19, v48
	v_lshlrev_b64 v[40:41], 3, v[48:49]
	v_cndmask_b32_e32 v3, v43, v3, vcc
	v_cndmask_b32_e32 v2, v42, v2, vcc
	v_add_co_u32_e32 v40, vcc, v50, v40
	v_addc_co_u32_e32 v41, vcc, v51, v41, vcc
	global_store_dwordx2 v[40:41], v[18:19], off
	v_mov_b32_e32 v19, s11
	v_add_co_u32_e32 v18, vcc, s10, v40
	v_addc_co_u32_e32 v19, vcc, v41, v19, vcc
	global_store_dwordx2 v[18:19], v[12:13], off
	v_add_u32_e32 v12, s9, v48
	v_ashrrev_i32_e32 v13, 31, v12
	v_lshlrev_b64 v[18:19], 3, v[12:13]
	v_add_co_u32_e32 v18, vcc, v50, v18
	v_addc_co_u32_e32 v19, vcc, v51, v19, vcc
	global_store_dwordx2 v[18:19], v[6:7], off
	v_add_u32_e32 v6, s8, v12
	v_ashrrev_i32_e32 v7, 31, v6
	v_lshlrev_b64 v[12:13], 3, v[6:7]
	;; [unrolled: 6-line block ×3, first 2 shown]
	v_add_co_u32_e32 v6, vcc, v50, v6
	v_add_u32_e32 v0, s8, v0
	v_addc_co_u32_e32 v7, vcc, v51, v7, vcc
	v_ashrrev_i32_e32 v1, 31, v0
	global_store_dwordx2 v[6:7], v[26:27], off
	v_lshlrev_b64 v[6:7], 3, v[0:1]
	v_add_co_u32_e32 v6, vcc, v50, v6
	v_add_u32_e32 v0, s8, v0
	v_addc_co_u32_e32 v7, vcc, v51, v7, vcc
	v_ashrrev_i32_e32 v1, 31, v0
	global_store_dwordx2 v[6:7], v[20:21], off
	v_lshlrev_b64 v[6:7], 3, v[0:1]
	;; [unrolled: 6-line block ×14, first 2 shown]
	v_add_u32_e32 v0, s8, v0
	v_add_co_u32_e32 v4, vcc, v50, v4
	v_ashrrev_i32_e32 v1, 31, v0
	v_addc_co_u32_e32 v5, vcc, v51, v5, vcc
	v_lshlrev_b64 v[0:1], 3, v[0:1]
	v_add_co_u32_e32 v0, vcc, v50, v0
	v_addc_co_u32_e32 v1, vcc, v51, v1, vcc
	global_store_dwordx2 v[4:5], v[28:29], off
	global_store_dwordx2 v[0:1], v[2:3], off
.LBB38_337:
	s_endpgm
	.section	.rodata,"a",@progbits
	.p2align	6, 0x0
	.amdhsa_kernel _ZN9rocsolver6v33100L18getf2_small_kernelILi20EdiiPKPdEEvT1_T3_lS5_lPS5_llPT2_S5_S5_S7_l
		.amdhsa_group_segment_fixed_size 0
		.amdhsa_private_segment_fixed_size 0
		.amdhsa_kernarg_size 352
		.amdhsa_user_sgpr_count 6
		.amdhsa_user_sgpr_private_segment_buffer 1
		.amdhsa_user_sgpr_dispatch_ptr 0
		.amdhsa_user_sgpr_queue_ptr 0
		.amdhsa_user_sgpr_kernarg_segment_ptr 1
		.amdhsa_user_sgpr_dispatch_id 0
		.amdhsa_user_sgpr_flat_scratch_init 0
		.amdhsa_user_sgpr_kernarg_preload_length 0
		.amdhsa_user_sgpr_kernarg_preload_offset 0
		.amdhsa_user_sgpr_private_segment_size 0
		.amdhsa_uses_dynamic_stack 0
		.amdhsa_system_sgpr_private_segment_wavefront_offset 0
		.amdhsa_system_sgpr_workgroup_id_x 1
		.amdhsa_system_sgpr_workgroup_id_y 1
		.amdhsa_system_sgpr_workgroup_id_z 0
		.amdhsa_system_sgpr_workgroup_info 0
		.amdhsa_system_vgpr_workitem_id 1
		.amdhsa_next_free_vgpr 66
		.amdhsa_next_free_sgpr 20
		.amdhsa_accum_offset 68
		.amdhsa_reserve_vcc 1
		.amdhsa_reserve_flat_scratch 0
		.amdhsa_float_round_mode_32 0
		.amdhsa_float_round_mode_16_64 0
		.amdhsa_float_denorm_mode_32 3
		.amdhsa_float_denorm_mode_16_64 3
		.amdhsa_dx10_clamp 1
		.amdhsa_ieee_mode 1
		.amdhsa_fp16_overflow 0
		.amdhsa_tg_split 0
		.amdhsa_exception_fp_ieee_invalid_op 0
		.amdhsa_exception_fp_denorm_src 0
		.amdhsa_exception_fp_ieee_div_zero 0
		.amdhsa_exception_fp_ieee_overflow 0
		.amdhsa_exception_fp_ieee_underflow 0
		.amdhsa_exception_fp_ieee_inexact 0
		.amdhsa_exception_int_div_zero 0
	.end_amdhsa_kernel
	.section	.text._ZN9rocsolver6v33100L18getf2_small_kernelILi20EdiiPKPdEEvT1_T3_lS5_lPS5_llPT2_S5_S5_S7_l,"axG",@progbits,_ZN9rocsolver6v33100L18getf2_small_kernelILi20EdiiPKPdEEvT1_T3_lS5_lPS5_llPT2_S5_S5_S7_l,comdat
.Lfunc_end38:
	.size	_ZN9rocsolver6v33100L18getf2_small_kernelILi20EdiiPKPdEEvT1_T3_lS5_lPS5_llPT2_S5_S5_S7_l, .Lfunc_end38-_ZN9rocsolver6v33100L18getf2_small_kernelILi20EdiiPKPdEEvT1_T3_lS5_lPS5_llPT2_S5_S5_S7_l
                                        ; -- End function
	.section	.AMDGPU.csdata,"",@progbits
; Kernel info:
; codeLenInByte = 13504
; NumSgprs: 24
; NumVgprs: 66
; NumAgprs: 0
; TotalNumVgprs: 66
; ScratchSize: 0
; MemoryBound: 0
; FloatMode: 240
; IeeeMode: 1
; LDSByteSize: 0 bytes/workgroup (compile time only)
; SGPRBlocks: 2
; VGPRBlocks: 8
; NumSGPRsForWavesPerEU: 24
; NumVGPRsForWavesPerEU: 66
; AccumOffset: 68
; Occupancy: 7
; WaveLimiterHint : 1
; COMPUTE_PGM_RSRC2:SCRATCH_EN: 0
; COMPUTE_PGM_RSRC2:USER_SGPR: 6
; COMPUTE_PGM_RSRC2:TRAP_HANDLER: 0
; COMPUTE_PGM_RSRC2:TGID_X_EN: 1
; COMPUTE_PGM_RSRC2:TGID_Y_EN: 1
; COMPUTE_PGM_RSRC2:TGID_Z_EN: 0
; COMPUTE_PGM_RSRC2:TIDIG_COMP_CNT: 1
; COMPUTE_PGM_RSRC3_GFX90A:ACCUM_OFFSET: 16
; COMPUTE_PGM_RSRC3_GFX90A:TG_SPLIT: 0
	.section	.text._ZN9rocsolver6v33100L23getf2_npvt_small_kernelILi20EdiiPKPdEEvT1_T3_lS5_lPT2_S5_S5_,"axG",@progbits,_ZN9rocsolver6v33100L23getf2_npvt_small_kernelILi20EdiiPKPdEEvT1_T3_lS5_lPT2_S5_S5_,comdat
	.globl	_ZN9rocsolver6v33100L23getf2_npvt_small_kernelILi20EdiiPKPdEEvT1_T3_lS5_lPT2_S5_S5_ ; -- Begin function _ZN9rocsolver6v33100L23getf2_npvt_small_kernelILi20EdiiPKPdEEvT1_T3_lS5_lPT2_S5_S5_
	.p2align	8
	.type	_ZN9rocsolver6v33100L23getf2_npvt_small_kernelILi20EdiiPKPdEEvT1_T3_lS5_lPT2_S5_S5_,@function
_ZN9rocsolver6v33100L23getf2_npvt_small_kernelILi20EdiiPKPdEEvT1_T3_lS5_lPT2_S5_S5_: ; @_ZN9rocsolver6v33100L23getf2_npvt_small_kernelILi20EdiiPKPdEEvT1_T3_lS5_lPT2_S5_S5_
; %bb.0:
	s_load_dword s0, s[4:5], 0x44
	s_load_dwordx2 s[40:41], s[4:5], 0x30
	v_bfe_u32 v82, v0, 10, 10
	s_waitcnt lgkmcnt(0)
	s_lshr_b32 s8, s0, 16
	s_mul_i32 s7, s7, s8
	v_add_u32_e32 v2, s7, v82
	v_cmp_gt_i32_e32 vcc, s40, v2
	s_and_saveexec_b64 s[0:1], vcc
	s_cbranch_execz .LBB39_103
; %bb.1:
	s_load_dwordx4 s[12:15], s[4:5], 0x8
	s_load_dword s0, s[4:5], 0x18
	v_ashrrev_i32_e32 v3, 31, v2
	v_lshlrev_b64 v[4:5], 3, v[2:3]
	v_and_b32_e32 v122, 0x3ff, v0
	s_waitcnt lgkmcnt(0)
	v_mov_b32_e32 v1, s13
	v_add_co_u32_e32 v4, vcc, s12, v4
	v_addc_co_u32_e32 v5, vcc, v1, v5, vcc
	global_load_dwordx2 v[4:5], v[4:5], off
	s_add_i32 s9, s0, s0
	v_add_u32_e32 v0, s9, v122
	v_ashrrev_i32_e32 v1, 31, v0
	v_add_u32_e32 v6, s0, v0
	v_lshlrev_b64 v[8:9], 3, v[0:1]
	v_add_u32_e32 v0, s0, v6
	v_ashrrev_i32_e32 v1, 31, v0
	v_add_u32_e32 v10, s0, v0
	v_lshlrev_b64 v[12:13], 3, v[0:1]
	v_add_u32_e32 v0, s0, v10
	s_lshl_b64 s[6:7], s[14:15], 3
	v_ashrrev_i32_e32 v1, 31, v0
	v_add_u32_e32 v14, s0, v0
	v_mov_b32_e32 v23, s7
	v_lshlrev_b64 v[16:17], 3, v[0:1]
	v_add_u32_e32 v0, s0, v14
	v_lshlrev_b32_e32 v22, 3, v122
	v_ashrrev_i32_e32 v1, 31, v0
	v_add_u32_e32 v18, s0, v0
	v_lshlrev_b64 v[20:21], 3, v[0:1]
	v_ashrrev_i32_e32 v7, 31, v6
	v_lshlrev_b64 v[6:7], 3, v[6:7]
	v_ashrrev_i32_e32 v11, 31, v10
	;; [unrolled: 2-line block ×4, first 2 shown]
	v_add_u32_e32 v32, s0, v18
	v_lshlrev_b64 v[18:19], 3, v[18:19]
	s_ashr_i32 s1, s0, 31
	s_lshl_b64 s[2:3], s[0:1], 3
	v_mov_b32_e32 v24, s3
	v_ashrrev_i32_e32 v33, 31, v32
	v_add_u32_e32 v34, s0, v32
	v_ashrrev_i32_e32 v35, 31, v34
	v_add_u32_e32 v36, s0, v34
	;; [unrolled: 2-line block ×8, first 2 shown]
	v_ashrrev_i32_e32 v49, 31, v48
	s_mulk_i32 s8, 0xa0
	s_add_i32 s1, s8, 0
	v_lshl_add_u32 v123, v82, 3, s1
	s_waitcnt vmcnt(0)
	v_add_co_u32_e32 v50, vcc, s6, v4
	v_addc_co_u32_e32 v51, vcc, v5, v23, vcc
	v_add_co_u32_e32 v0, vcc, v50, v22
	v_addc_co_u32_e32 v1, vcc, 0, v51, vcc
	;; [unrolled: 2-line block ×11, first 2 shown]
	v_lshlrev_b64 v[22:23], 3, v[32:33]
	v_add_co_u32_e32 v22, vcc, v50, v22
	v_addc_co_u32_e32 v23, vcc, v51, v23, vcc
	v_lshlrev_b64 v[32:33], 3, v[34:35]
	v_add_co_u32_e32 v32, vcc, v50, v32
	v_addc_co_u32_e32 v33, vcc, v51, v33, vcc
	;; [unrolled: 3-line block ×8, first 2 shown]
	v_lshlrev_b64 v[46:47], 3, v[48:49]
	v_add_u32_e32 v48, s0, v48
	v_add_co_u32_e32 v46, vcc, v50, v46
	v_ashrrev_i32_e32 v49, 31, v48
	v_addc_co_u32_e32 v47, vcc, v51, v47, vcc
	v_lshlrev_b64 v[48:49], 3, v[48:49]
	v_add_co_u32_e32 v48, vcc, v50, v48
	global_load_dwordx2 v[24:25], v[0:1], off
	global_load_dwordx2 v[28:29], v[20:21], off
	;; [unrolled: 1-line block ×4, first 2 shown]
	v_addc_co_u32_e32 v49, vcc, v51, v49, vcc
	global_load_dwordx2 v[78:79], v[8:9], off
	global_load_dwordx2 v[62:63], v[10:11], off
	;; [unrolled: 1-line block ×16, first 2 shown]
	s_movk_i32 s0, 0xa0
	v_mad_u32_u24 v124, v82, s0, 0
	v_cmp_ne_u32_e64 s[2:3], 0, v122
	v_cmp_eq_u32_e64 s[0:1], 0, v122
	s_and_saveexec_b64 s[6:7], s[0:1]
	s_cbranch_execz .LBB39_4
; %bb.2:
	s_waitcnt vmcnt(19)
	ds_write_b64 v123, v[24:25]
	s_waitcnt vmcnt(17)
	ds_write2_b64 v124, v[28:29], v[30:31] offset0:1 offset1:2
	s_waitcnt vmcnt(15)
	ds_write2_b64 v124, v[26:27], v[78:79] offset0:3 offset1:4
	;; [unrolled: 2-line block ×9, first 2 shown]
	s_waitcnt vmcnt(0)
	ds_write_b64 v124, v[80:81] offset:152
	ds_read_b64 v[82:83], v123
	s_waitcnt lgkmcnt(0)
	v_cmp_neq_f64_e32 vcc, 0, v[82:83]
	s_and_b64 exec, exec, vcc
	s_cbranch_execz .LBB39_4
; %bb.3:
	v_div_scale_f64 v[84:85], s[8:9], v[82:83], v[82:83], 1.0
	v_rcp_f64_e32 v[86:87], v[84:85]
	v_div_scale_f64 v[88:89], vcc, 1.0, v[82:83], 1.0
	v_fma_f64 v[90:91], -v[84:85], v[86:87], 1.0
	v_fmac_f64_e32 v[86:87], v[86:87], v[90:91]
	v_fma_f64 v[90:91], -v[84:85], v[86:87], 1.0
	v_fmac_f64_e32 v[86:87], v[86:87], v[90:91]
	v_mul_f64 v[90:91], v[88:89], v[86:87]
	v_fma_f64 v[84:85], -v[84:85], v[90:91], v[88:89]
	v_div_fmas_f64 v[84:85], v[84:85], v[86:87], v[90:91]
	v_div_fixup_f64 v[82:83], v[84:85], v[82:83], 1.0
	ds_write_b64 v123, v[82:83]
.LBB39_4:
	s_or_b64 exec, exec, s[6:7]
	s_waitcnt lgkmcnt(0)
	s_barrier
	ds_read_b64 v[82:83], v123
	s_and_saveexec_b64 s[6:7], s[2:3]
	s_cbranch_execz .LBB39_6
; %bb.5:
	ds_read2_b64 v[84:87], v124 offset0:1 offset1:2
	ds_read2_b64 v[88:91], v124 offset0:3 offset1:4
	s_waitcnt vmcnt(19) lgkmcnt(2)
	v_mul_f64 v[24:25], v[82:83], v[24:25]
	ds_read2_b64 v[92:95], v124 offset0:5 offset1:6
	s_waitcnt vmcnt(18) lgkmcnt(2)
	v_fma_f64 v[28:29], -v[24:25], v[84:85], v[28:29]
	s_waitcnt vmcnt(17)
	v_fma_f64 v[30:31], -v[24:25], v[86:87], v[30:31]
	ds_read2_b64 v[84:87], v124 offset0:7 offset1:8
	s_waitcnt vmcnt(16) lgkmcnt(2)
	v_fma_f64 v[26:27], -v[24:25], v[88:89], v[26:27]
	s_waitcnt vmcnt(15)
	v_fma_f64 v[78:79], -v[24:25], v[90:91], v[78:79]
	s_waitcnt vmcnt(14) lgkmcnt(1)
	v_fma_f64 v[62:63], -v[24:25], v[92:93], v[62:63]
	ds_read2_b64 v[88:91], v124 offset0:9 offset1:10
	s_waitcnt vmcnt(13)
	v_fma_f64 v[76:77], -v[24:25], v[94:95], v[76:77]
	ds_read2_b64 v[92:95], v124 offset0:11 offset1:12
	s_waitcnt vmcnt(12) lgkmcnt(2)
	v_fma_f64 v[60:61], -v[24:25], v[84:85], v[60:61]
	s_waitcnt vmcnt(11)
	v_fma_f64 v[74:75], -v[24:25], v[86:87], v[74:75]
	ds_read2_b64 v[84:87], v124 offset0:13 offset1:14
	s_waitcnt vmcnt(10) lgkmcnt(2)
	v_fma_f64 v[58:59], -v[24:25], v[88:89], v[58:59]
	;; [unrolled: 5-line block ×3, first 2 shown]
	s_waitcnt vmcnt(7)
	v_fma_f64 v[70:71], -v[24:25], v[94:95], v[70:71]
	s_waitcnt vmcnt(6) lgkmcnt(1)
	v_fma_f64 v[54:55], -v[24:25], v[84:85], v[54:55]
	ds_read2_b64 v[92:95], v124 offset0:17 offset1:18
	ds_read_b64 v[84:85], v124 offset:152
	s_waitcnt vmcnt(5)
	v_fma_f64 v[68:69], -v[24:25], v[86:87], v[68:69]
	s_waitcnt vmcnt(4) lgkmcnt(2)
	v_fma_f64 v[52:53], -v[24:25], v[88:89], v[52:53]
	s_waitcnt vmcnt(3)
	v_fma_f64 v[66:67], -v[24:25], v[90:91], v[66:67]
	s_waitcnt vmcnt(2) lgkmcnt(1)
	v_fma_f64 v[50:51], -v[24:25], v[92:93], v[50:51]
	;; [unrolled: 4-line block ×3, first 2 shown]
.LBB39_6:
	s_or_b64 exec, exec, s[6:7]
	v_cmp_eq_u32_e32 vcc, 1, v122
	s_waitcnt lgkmcnt(0)
	s_barrier
	s_and_saveexec_b64 s[2:3], vcc
	s_cbranch_execz .LBB39_9
; %bb.7:
	s_waitcnt vmcnt(17)
	v_mov_b32_e32 v84, v30
	v_mov_b32_e32 v85, v31
	s_waitcnt vmcnt(16)
	v_mov_b32_e32 v86, v26
	v_mov_b32_e32 v87, v27
	ds_write_b64 v123, v[28:29]
	ds_write2_b64 v124, v[84:85], v[86:87] offset0:2 offset1:3
	s_waitcnt vmcnt(15)
	v_mov_b32_e32 v84, v78
	v_mov_b32_e32 v85, v79
	s_waitcnt vmcnt(14)
	v_mov_b32_e32 v86, v62
	v_mov_b32_e32 v87, v63
	ds_write2_b64 v124, v[84:85], v[86:87] offset0:4 offset1:5
	s_waitcnt vmcnt(13)
	v_mov_b32_e32 v84, v76
	v_mov_b32_e32 v85, v77
	s_waitcnt vmcnt(12)
	v_mov_b32_e32 v86, v60
	v_mov_b32_e32 v87, v61
	;; [unrolled: 7-line block ×7, first 2 shown]
	ds_write2_b64 v124, v[84:85], v[86:87] offset0:16 offset1:17
	s_waitcnt vmcnt(1)
	v_mov_b32_e32 v84, v64
	v_mov_b32_e32 v85, v65
	s_waitcnt vmcnt(0)
	ds_write2_b64 v124, v[84:85], v[80:81] offset0:18 offset1:19
	ds_read_b64 v[84:85], v123
	s_waitcnt lgkmcnt(0)
	v_cmp_neq_f64_e32 vcc, 0, v[84:85]
	s_and_b64 exec, exec, vcc
	s_cbranch_execz .LBB39_9
; %bb.8:
	v_div_scale_f64 v[86:87], s[6:7], v[84:85], v[84:85], 1.0
	v_rcp_f64_e32 v[88:89], v[86:87]
	v_div_scale_f64 v[90:91], vcc, 1.0, v[84:85], 1.0
	v_fma_f64 v[92:93], -v[86:87], v[88:89], 1.0
	v_fmac_f64_e32 v[88:89], v[88:89], v[92:93]
	v_fma_f64 v[92:93], -v[86:87], v[88:89], 1.0
	v_fmac_f64_e32 v[88:89], v[88:89], v[92:93]
	v_mul_f64 v[92:93], v[90:91], v[88:89]
	v_fma_f64 v[86:87], -v[86:87], v[92:93], v[90:91]
	v_div_fmas_f64 v[86:87], v[86:87], v[88:89], v[92:93]
	v_div_fixup_f64 v[84:85], v[86:87], v[84:85], 1.0
	ds_write_b64 v123, v[84:85]
.LBB39_9:
	s_or_b64 exec, exec, s[2:3]
	s_waitcnt lgkmcnt(0)
	s_barrier
	ds_read_b64 v[84:85], v123
	v_cmp_lt_u32_e32 vcc, 1, v122
	s_and_saveexec_b64 s[2:3], vcc
	s_cbranch_execz .LBB39_11
; %bb.10:
	ds_read2_b64 v[86:89], v124 offset0:2 offset1:3
	ds_read2_b64 v[90:93], v124 offset0:4 offset1:5
	;; [unrolled: 1-line block ×3, first 2 shown]
	s_waitcnt vmcnt(18) lgkmcnt(3)
	v_mul_f64 v[28:29], v[84:85], v[28:29]
	s_waitcnt vmcnt(17) lgkmcnt(2)
	v_fma_f64 v[30:31], -v[28:29], v[86:87], v[30:31]
	s_waitcnt vmcnt(16)
	v_fma_f64 v[26:27], -v[28:29], v[88:89], v[26:27]
	ds_read2_b64 v[86:89], v124 offset0:8 offset1:9
	s_waitcnt vmcnt(15) lgkmcnt(2)
	v_fma_f64 v[78:79], -v[28:29], v[90:91], v[78:79]
	s_waitcnt vmcnt(14)
	v_fma_f64 v[62:63], -v[28:29], v[92:93], v[62:63]
	s_waitcnt vmcnt(13) lgkmcnt(1)
	v_fma_f64 v[76:77], -v[28:29], v[94:95], v[76:77]
	ds_read2_b64 v[90:93], v124 offset0:10 offset1:11
	s_waitcnt vmcnt(12)
	v_fma_f64 v[60:61], -v[28:29], v[96:97], v[60:61]
	ds_read2_b64 v[94:97], v124 offset0:12 offset1:13
	s_waitcnt vmcnt(11) lgkmcnt(2)
	v_fma_f64 v[74:75], -v[28:29], v[86:87], v[74:75]
	s_waitcnt vmcnt(10)
	v_fma_f64 v[58:59], -v[28:29], v[88:89], v[58:59]
	s_waitcnt vmcnt(9) lgkmcnt(1)
	v_fma_f64 v[72:73], -v[28:29], v[90:91], v[72:73]
	s_waitcnt vmcnt(8)
	v_fma_f64 v[56:57], -v[28:29], v[92:93], v[56:57]
	ds_read2_b64 v[86:89], v124 offset0:14 offset1:15
	ds_read2_b64 v[90:93], v124 offset0:16 offset1:17
	s_waitcnt vmcnt(7) lgkmcnt(2)
	v_fma_f64 v[70:71], -v[28:29], v[94:95], v[70:71]
	s_waitcnt vmcnt(6)
	v_fma_f64 v[54:55], -v[28:29], v[96:97], v[54:55]
	ds_read2_b64 v[94:97], v124 offset0:18 offset1:19
	s_waitcnt vmcnt(5) lgkmcnt(2)
	v_fma_f64 v[68:69], -v[28:29], v[86:87], v[68:69]
	s_waitcnt vmcnt(4)
	v_fma_f64 v[52:53], -v[28:29], v[88:89], v[52:53]
	s_waitcnt vmcnt(3) lgkmcnt(1)
	v_fma_f64 v[66:67], -v[28:29], v[90:91], v[66:67]
	s_waitcnt vmcnt(2)
	v_fma_f64 v[50:51], -v[28:29], v[92:93], v[50:51]
	;; [unrolled: 4-line block ×3, first 2 shown]
.LBB39_11:
	s_or_b64 exec, exec, s[2:3]
	v_cmp_eq_u32_e32 vcc, 2, v122
	s_waitcnt lgkmcnt(0)
	s_barrier
	s_and_saveexec_b64 s[2:3], vcc
	s_cbranch_execz .LBB39_14
; %bb.12:
	s_waitcnt vmcnt(17)
	ds_write_b64 v123, v[30:31]
	s_waitcnt vmcnt(15)
	ds_write2_b64 v124, v[26:27], v[78:79] offset0:3 offset1:4
	s_waitcnt vmcnt(13)
	ds_write2_b64 v124, v[62:63], v[76:77] offset0:5 offset1:6
	;; [unrolled: 2-line block ×8, first 2 shown]
	s_waitcnt vmcnt(0)
	ds_write_b64 v124, v[80:81] offset:152
	ds_read_b64 v[86:87], v123
	s_waitcnt lgkmcnt(0)
	v_cmp_neq_f64_e32 vcc, 0, v[86:87]
	s_and_b64 exec, exec, vcc
	s_cbranch_execz .LBB39_14
; %bb.13:
	v_div_scale_f64 v[88:89], s[6:7], v[86:87], v[86:87], 1.0
	v_rcp_f64_e32 v[90:91], v[88:89]
	v_div_scale_f64 v[92:93], vcc, 1.0, v[86:87], 1.0
	v_fma_f64 v[94:95], -v[88:89], v[90:91], 1.0
	v_fmac_f64_e32 v[90:91], v[90:91], v[94:95]
	v_fma_f64 v[94:95], -v[88:89], v[90:91], 1.0
	v_fmac_f64_e32 v[90:91], v[90:91], v[94:95]
	v_mul_f64 v[94:95], v[92:93], v[90:91]
	v_fma_f64 v[88:89], -v[88:89], v[94:95], v[92:93]
	v_div_fmas_f64 v[88:89], v[88:89], v[90:91], v[94:95]
	v_div_fixup_f64 v[86:87], v[88:89], v[86:87], 1.0
	ds_write_b64 v123, v[86:87]
.LBB39_14:
	s_or_b64 exec, exec, s[2:3]
	s_waitcnt lgkmcnt(0)
	s_barrier
	ds_read_b64 v[86:87], v123
	v_cmp_lt_u32_e32 vcc, 2, v122
	s_and_saveexec_b64 s[2:3], vcc
	s_cbranch_execz .LBB39_16
; %bb.15:
	ds_read2_b64 v[88:91], v124 offset0:3 offset1:4
	ds_read2_b64 v[92:95], v124 offset0:5 offset1:6
	;; [unrolled: 1-line block ×3, first 2 shown]
	s_waitcnt vmcnt(17) lgkmcnt(3)
	v_mul_f64 v[30:31], v[86:87], v[30:31]
	s_waitcnt vmcnt(16) lgkmcnt(2)
	v_fma_f64 v[26:27], -v[30:31], v[88:89], v[26:27]
	s_waitcnt vmcnt(15)
	v_fma_f64 v[78:79], -v[30:31], v[90:91], v[78:79]
	ds_read2_b64 v[88:91], v124 offset0:9 offset1:10
	s_waitcnt vmcnt(14) lgkmcnt(2)
	v_fma_f64 v[62:63], -v[30:31], v[92:93], v[62:63]
	s_waitcnt vmcnt(13)
	v_fma_f64 v[76:77], -v[30:31], v[94:95], v[76:77]
	s_waitcnt vmcnt(12) lgkmcnt(1)
	v_fma_f64 v[60:61], -v[30:31], v[96:97], v[60:61]
	ds_read2_b64 v[92:95], v124 offset0:11 offset1:12
	s_waitcnt vmcnt(11)
	v_fma_f64 v[74:75], -v[30:31], v[98:99], v[74:75]
	ds_read2_b64 v[96:99], v124 offset0:13 offset1:14
	s_waitcnt vmcnt(10) lgkmcnt(2)
	v_fma_f64 v[58:59], -v[30:31], v[88:89], v[58:59]
	s_waitcnt vmcnt(9)
	v_fma_f64 v[72:73], -v[30:31], v[90:91], v[72:73]
	s_waitcnt vmcnt(8) lgkmcnt(1)
	v_fma_f64 v[56:57], -v[30:31], v[92:93], v[56:57]
	s_waitcnt vmcnt(7)
	v_fma_f64 v[70:71], -v[30:31], v[94:95], v[70:71]
	ds_read2_b64 v[88:91], v124 offset0:15 offset1:16
	ds_read2_b64 v[92:95], v124 offset0:17 offset1:18
	s_waitcnt vmcnt(6) lgkmcnt(2)
	v_fma_f64 v[54:55], -v[30:31], v[96:97], v[54:55]
	ds_read_b64 v[96:97], v124 offset:152
	s_waitcnt vmcnt(5)
	v_fma_f64 v[68:69], -v[30:31], v[98:99], v[68:69]
	s_waitcnt vmcnt(4) lgkmcnt(2)
	v_fma_f64 v[52:53], -v[30:31], v[88:89], v[52:53]
	s_waitcnt vmcnt(3)
	v_fma_f64 v[66:67], -v[30:31], v[90:91], v[66:67]
	s_waitcnt vmcnt(2) lgkmcnt(1)
	v_fma_f64 v[50:51], -v[30:31], v[92:93], v[50:51]
	s_waitcnt vmcnt(1)
	v_fma_f64 v[64:65], -v[30:31], v[94:95], v[64:65]
	s_waitcnt vmcnt(0) lgkmcnt(0)
	v_fma_f64 v[80:81], -v[30:31], v[96:97], v[80:81]
.LBB39_16:
	s_or_b64 exec, exec, s[2:3]
	v_cmp_eq_u32_e32 vcc, 3, v122
	s_waitcnt lgkmcnt(0)
	s_barrier
	s_and_saveexec_b64 s[2:3], vcc
	s_cbranch_execz .LBB39_19
; %bb.17:
	s_waitcnt vmcnt(15)
	v_mov_b32_e32 v88, v78
	v_mov_b32_e32 v89, v79
	s_waitcnt vmcnt(14)
	v_mov_b32_e32 v90, v62
	v_mov_b32_e32 v91, v63
	ds_write_b64 v123, v[26:27]
	ds_write2_b64 v124, v[88:89], v[90:91] offset0:4 offset1:5
	s_waitcnt vmcnt(13)
	v_mov_b32_e32 v88, v76
	v_mov_b32_e32 v89, v77
	s_waitcnt vmcnt(12)
	v_mov_b32_e32 v90, v60
	v_mov_b32_e32 v91, v61
	ds_write2_b64 v124, v[88:89], v[90:91] offset0:6 offset1:7
	s_waitcnt vmcnt(11)
	v_mov_b32_e32 v88, v74
	v_mov_b32_e32 v89, v75
	s_waitcnt vmcnt(10)
	v_mov_b32_e32 v90, v58
	v_mov_b32_e32 v91, v59
	;; [unrolled: 7-line block ×6, first 2 shown]
	ds_write2_b64 v124, v[88:89], v[90:91] offset0:16 offset1:17
	s_waitcnt vmcnt(1)
	v_mov_b32_e32 v88, v64
	v_mov_b32_e32 v89, v65
	s_waitcnt vmcnt(0)
	ds_write2_b64 v124, v[88:89], v[80:81] offset0:18 offset1:19
	ds_read_b64 v[88:89], v123
	s_waitcnt lgkmcnt(0)
	v_cmp_neq_f64_e32 vcc, 0, v[88:89]
	s_and_b64 exec, exec, vcc
	s_cbranch_execz .LBB39_19
; %bb.18:
	v_div_scale_f64 v[90:91], s[6:7], v[88:89], v[88:89], 1.0
	v_rcp_f64_e32 v[92:93], v[90:91]
	v_div_scale_f64 v[94:95], vcc, 1.0, v[88:89], 1.0
	v_fma_f64 v[96:97], -v[90:91], v[92:93], 1.0
	v_fmac_f64_e32 v[92:93], v[92:93], v[96:97]
	v_fma_f64 v[96:97], -v[90:91], v[92:93], 1.0
	v_fmac_f64_e32 v[92:93], v[92:93], v[96:97]
	v_mul_f64 v[96:97], v[94:95], v[92:93]
	v_fma_f64 v[90:91], -v[90:91], v[96:97], v[94:95]
	v_div_fmas_f64 v[90:91], v[90:91], v[92:93], v[96:97]
	v_div_fixup_f64 v[88:89], v[90:91], v[88:89], 1.0
	ds_write_b64 v123, v[88:89]
.LBB39_19:
	s_or_b64 exec, exec, s[2:3]
	s_waitcnt lgkmcnt(0)
	s_barrier
	ds_read_b64 v[88:89], v123
	v_cmp_lt_u32_e32 vcc, 3, v122
	s_and_saveexec_b64 s[2:3], vcc
	s_cbranch_execz .LBB39_21
; %bb.20:
	ds_read2_b64 v[90:93], v124 offset0:4 offset1:5
	ds_read2_b64 v[94:97], v124 offset0:6 offset1:7
	s_waitcnt vmcnt(16) lgkmcnt(2)
	v_mul_f64 v[26:27], v[88:89], v[26:27]
	ds_read2_b64 v[98:101], v124 offset0:8 offset1:9
	s_waitcnt vmcnt(15) lgkmcnt(2)
	v_fma_f64 v[78:79], -v[26:27], v[90:91], v[78:79]
	s_waitcnt vmcnt(14)
	v_fma_f64 v[62:63], -v[26:27], v[92:93], v[62:63]
	ds_read2_b64 v[90:93], v124 offset0:10 offset1:11
	s_waitcnt vmcnt(13) lgkmcnt(2)
	v_fma_f64 v[76:77], -v[26:27], v[94:95], v[76:77]
	s_waitcnt vmcnt(12)
	v_fma_f64 v[60:61], -v[26:27], v[96:97], v[60:61]
	;; [unrolled: 5-line block ×3, first 2 shown]
	s_waitcnt vmcnt(9) lgkmcnt(1)
	v_fma_f64 v[72:73], -v[26:27], v[90:91], v[72:73]
	s_waitcnt vmcnt(8)
	v_fma_f64 v[56:57], -v[26:27], v[92:93], v[56:57]
	ds_read2_b64 v[90:93], v124 offset0:14 offset1:15
	s_waitcnt vmcnt(7) lgkmcnt(1)
	v_fma_f64 v[70:71], -v[26:27], v[94:95], v[70:71]
	ds_read2_b64 v[98:101], v124 offset0:16 offset1:17
	s_waitcnt vmcnt(6)
	v_fma_f64 v[54:55], -v[26:27], v[96:97], v[54:55]
	ds_read2_b64 v[94:97], v124 offset0:18 offset1:19
	s_waitcnt vmcnt(5) lgkmcnt(2)
	v_fma_f64 v[68:69], -v[26:27], v[90:91], v[68:69]
	s_waitcnt vmcnt(4)
	v_fma_f64 v[52:53], -v[26:27], v[92:93], v[52:53]
	s_waitcnt vmcnt(3) lgkmcnt(1)
	v_fma_f64 v[66:67], -v[26:27], v[98:99], v[66:67]
	s_waitcnt vmcnt(2)
	v_fma_f64 v[50:51], -v[26:27], v[100:101], v[50:51]
	;; [unrolled: 4-line block ×3, first 2 shown]
.LBB39_21:
	s_or_b64 exec, exec, s[2:3]
	v_cmp_eq_u32_e32 vcc, 4, v122
	s_waitcnt lgkmcnt(0)
	s_barrier
	s_and_saveexec_b64 s[2:3], vcc
	s_cbranch_execz .LBB39_24
; %bb.22:
	s_waitcnt vmcnt(15)
	ds_write_b64 v123, v[78:79]
	s_waitcnt vmcnt(13)
	ds_write2_b64 v124, v[62:63], v[76:77] offset0:5 offset1:6
	s_waitcnt vmcnt(11)
	ds_write2_b64 v124, v[60:61], v[74:75] offset0:7 offset1:8
	s_waitcnt vmcnt(9)
	ds_write2_b64 v124, v[58:59], v[72:73] offset0:9 offset1:10
	s_waitcnt vmcnt(7)
	ds_write2_b64 v124, v[56:57], v[70:71] offset0:11 offset1:12
	s_waitcnt vmcnt(5)
	ds_write2_b64 v124, v[54:55], v[68:69] offset0:13 offset1:14
	s_waitcnt vmcnt(3)
	ds_write2_b64 v124, v[52:53], v[66:67] offset0:15 offset1:16
	s_waitcnt vmcnt(1)
	ds_write2_b64 v124, v[50:51], v[64:65] offset0:17 offset1:18
	s_waitcnt vmcnt(0)
	ds_write_b64 v124, v[80:81] offset:152
	ds_read_b64 v[90:91], v123
	s_waitcnt lgkmcnt(0)
	v_cmp_neq_f64_e32 vcc, 0, v[90:91]
	s_and_b64 exec, exec, vcc
	s_cbranch_execz .LBB39_24
; %bb.23:
	v_div_scale_f64 v[92:93], s[6:7], v[90:91], v[90:91], 1.0
	v_rcp_f64_e32 v[94:95], v[92:93]
	v_div_scale_f64 v[96:97], vcc, 1.0, v[90:91], 1.0
	v_fma_f64 v[98:99], -v[92:93], v[94:95], 1.0
	v_fmac_f64_e32 v[94:95], v[94:95], v[98:99]
	v_fma_f64 v[98:99], -v[92:93], v[94:95], 1.0
	v_fmac_f64_e32 v[94:95], v[94:95], v[98:99]
	v_mul_f64 v[98:99], v[96:97], v[94:95]
	v_fma_f64 v[92:93], -v[92:93], v[98:99], v[96:97]
	v_div_fmas_f64 v[92:93], v[92:93], v[94:95], v[98:99]
	v_div_fixup_f64 v[90:91], v[92:93], v[90:91], 1.0
	ds_write_b64 v123, v[90:91]
.LBB39_24:
	s_or_b64 exec, exec, s[2:3]
	s_waitcnt lgkmcnt(0)
	s_barrier
	ds_read_b64 v[90:91], v123
	v_cmp_lt_u32_e32 vcc, 4, v122
	s_and_saveexec_b64 s[2:3], vcc
	s_cbranch_execz .LBB39_26
; %bb.25:
	ds_read2_b64 v[92:95], v124 offset0:5 offset1:6
	ds_read2_b64 v[96:99], v124 offset0:7 offset1:8
	s_waitcnt vmcnt(15) lgkmcnt(2)
	v_mul_f64 v[78:79], v[90:91], v[78:79]
	ds_read2_b64 v[100:103], v124 offset0:9 offset1:10
	s_waitcnt vmcnt(14) lgkmcnt(2)
	v_fma_f64 v[62:63], -v[78:79], v[92:93], v[62:63]
	s_waitcnt vmcnt(13)
	v_fma_f64 v[76:77], -v[78:79], v[94:95], v[76:77]
	ds_read2_b64 v[92:95], v124 offset0:11 offset1:12
	s_waitcnt vmcnt(12) lgkmcnt(2)
	v_fma_f64 v[60:61], -v[78:79], v[96:97], v[60:61]
	s_waitcnt vmcnt(11)
	v_fma_f64 v[74:75], -v[78:79], v[98:99], v[74:75]
	;; [unrolled: 5-line block ×3, first 2 shown]
	s_waitcnt vmcnt(8) lgkmcnt(1)
	v_fma_f64 v[56:57], -v[78:79], v[92:93], v[56:57]
	s_waitcnt vmcnt(7)
	v_fma_f64 v[70:71], -v[78:79], v[94:95], v[70:71]
	ds_read2_b64 v[92:95], v124 offset0:15 offset1:16
	s_waitcnt vmcnt(6) lgkmcnt(1)
	v_fma_f64 v[54:55], -v[78:79], v[96:97], v[54:55]
	ds_read2_b64 v[100:103], v124 offset0:17 offset1:18
	ds_read_b64 v[96:97], v124 offset:152
	s_waitcnt vmcnt(5)
	v_fma_f64 v[68:69], -v[78:79], v[98:99], v[68:69]
	s_waitcnt vmcnt(4) lgkmcnt(2)
	v_fma_f64 v[52:53], -v[78:79], v[92:93], v[52:53]
	s_waitcnt vmcnt(3)
	v_fma_f64 v[66:67], -v[78:79], v[94:95], v[66:67]
	s_waitcnt vmcnt(2) lgkmcnt(1)
	v_fma_f64 v[50:51], -v[78:79], v[100:101], v[50:51]
	s_waitcnt vmcnt(1)
	v_fma_f64 v[64:65], -v[78:79], v[102:103], v[64:65]
	s_waitcnt vmcnt(0) lgkmcnt(0)
	v_fma_f64 v[80:81], -v[78:79], v[96:97], v[80:81]
.LBB39_26:
	s_or_b64 exec, exec, s[2:3]
	v_cmp_eq_u32_e32 vcc, 5, v122
	s_waitcnt lgkmcnt(0)
	s_barrier
	s_and_saveexec_b64 s[2:3], vcc
	s_cbranch_execz .LBB39_29
; %bb.27:
	s_waitcnt vmcnt(13)
	v_mov_b32_e32 v92, v76
	v_mov_b32_e32 v93, v77
	s_waitcnt vmcnt(12)
	v_mov_b32_e32 v94, v60
	v_mov_b32_e32 v95, v61
	ds_write_b64 v123, v[62:63]
	ds_write2_b64 v124, v[92:93], v[94:95] offset0:6 offset1:7
	s_waitcnt vmcnt(11)
	v_mov_b32_e32 v92, v74
	v_mov_b32_e32 v93, v75
	s_waitcnt vmcnt(10)
	v_mov_b32_e32 v94, v58
	v_mov_b32_e32 v95, v59
	ds_write2_b64 v124, v[92:93], v[94:95] offset0:8 offset1:9
	s_waitcnt vmcnt(9)
	v_mov_b32_e32 v92, v72
	v_mov_b32_e32 v93, v73
	s_waitcnt vmcnt(8)
	v_mov_b32_e32 v94, v56
	v_mov_b32_e32 v95, v57
	ds_write2_b64 v124, v[92:93], v[94:95] offset0:10 offset1:11
	s_waitcnt vmcnt(7)
	v_mov_b32_e32 v92, v70
	v_mov_b32_e32 v93, v71
	s_waitcnt vmcnt(6)
	v_mov_b32_e32 v94, v54
	v_mov_b32_e32 v95, v55
	ds_write2_b64 v124, v[92:93], v[94:95] offset0:12 offset1:13
	s_waitcnt vmcnt(5)
	v_mov_b32_e32 v92, v68
	v_mov_b32_e32 v93, v69
	s_waitcnt vmcnt(4)
	v_mov_b32_e32 v94, v52
	v_mov_b32_e32 v95, v53
	ds_write2_b64 v124, v[92:93], v[94:95] offset0:14 offset1:15
	s_waitcnt vmcnt(3)
	v_mov_b32_e32 v92, v66
	v_mov_b32_e32 v93, v67
	s_waitcnt vmcnt(2)
	v_mov_b32_e32 v94, v50
	v_mov_b32_e32 v95, v51
	ds_write2_b64 v124, v[92:93], v[94:95] offset0:16 offset1:17
	s_waitcnt vmcnt(1)
	v_mov_b32_e32 v92, v64
	v_mov_b32_e32 v93, v65
	s_waitcnt vmcnt(0)
	ds_write2_b64 v124, v[92:93], v[80:81] offset0:18 offset1:19
	ds_read_b64 v[92:93], v123
	s_waitcnt lgkmcnt(0)
	v_cmp_neq_f64_e32 vcc, 0, v[92:93]
	s_and_b64 exec, exec, vcc
	s_cbranch_execz .LBB39_29
; %bb.28:
	v_div_scale_f64 v[94:95], s[6:7], v[92:93], v[92:93], 1.0
	v_rcp_f64_e32 v[96:97], v[94:95]
	v_div_scale_f64 v[98:99], vcc, 1.0, v[92:93], 1.0
	v_fma_f64 v[100:101], -v[94:95], v[96:97], 1.0
	v_fmac_f64_e32 v[96:97], v[96:97], v[100:101]
	v_fma_f64 v[100:101], -v[94:95], v[96:97], 1.0
	v_fmac_f64_e32 v[96:97], v[96:97], v[100:101]
	v_mul_f64 v[100:101], v[98:99], v[96:97]
	v_fma_f64 v[94:95], -v[94:95], v[100:101], v[98:99]
	v_div_fmas_f64 v[94:95], v[94:95], v[96:97], v[100:101]
	v_div_fixup_f64 v[92:93], v[94:95], v[92:93], 1.0
	ds_write_b64 v123, v[92:93]
.LBB39_29:
	s_or_b64 exec, exec, s[2:3]
	s_waitcnt lgkmcnt(0)
	s_barrier
	ds_read_b64 v[92:93], v123
	v_cmp_lt_u32_e32 vcc, 5, v122
	s_and_saveexec_b64 s[2:3], vcc
	s_cbranch_execz .LBB39_31
; %bb.30:
	ds_read2_b64 v[94:97], v124 offset0:6 offset1:7
	ds_read2_b64 v[98:101], v124 offset0:8 offset1:9
	s_waitcnt vmcnt(14) lgkmcnt(2)
	v_mul_f64 v[62:63], v[92:93], v[62:63]
	ds_read2_b64 v[102:105], v124 offset0:10 offset1:11
	s_waitcnt vmcnt(13) lgkmcnt(2)
	v_fma_f64 v[76:77], -v[62:63], v[94:95], v[76:77]
	s_waitcnt vmcnt(12)
	v_fma_f64 v[60:61], -v[62:63], v[96:97], v[60:61]
	ds_read2_b64 v[94:97], v124 offset0:12 offset1:13
	s_waitcnt vmcnt(11) lgkmcnt(2)
	v_fma_f64 v[74:75], -v[62:63], v[98:99], v[74:75]
	s_waitcnt vmcnt(10)
	v_fma_f64 v[58:59], -v[62:63], v[100:101], v[58:59]
	s_waitcnt vmcnt(9) lgkmcnt(1)
	v_fma_f64 v[72:73], -v[62:63], v[102:103], v[72:73]
	s_waitcnt vmcnt(8)
	v_fma_f64 v[56:57], -v[62:63], v[104:105], v[56:57]
	ds_read2_b64 v[98:101], v124 offset0:14 offset1:15
	ds_read2_b64 v[102:105], v124 offset0:16 offset1:17
	s_waitcnt vmcnt(7) lgkmcnt(2)
	v_fma_f64 v[70:71], -v[62:63], v[94:95], v[70:71]
	s_waitcnt vmcnt(6)
	v_fma_f64 v[54:55], -v[62:63], v[96:97], v[54:55]
	ds_read2_b64 v[94:97], v124 offset0:18 offset1:19
	s_waitcnt vmcnt(5) lgkmcnt(2)
	v_fma_f64 v[68:69], -v[62:63], v[98:99], v[68:69]
	s_waitcnt vmcnt(4)
	v_fma_f64 v[52:53], -v[62:63], v[100:101], v[52:53]
	s_waitcnt vmcnt(3) lgkmcnt(1)
	v_fma_f64 v[66:67], -v[62:63], v[102:103], v[66:67]
	s_waitcnt vmcnt(2)
	v_fma_f64 v[50:51], -v[62:63], v[104:105], v[50:51]
	;; [unrolled: 4-line block ×3, first 2 shown]
.LBB39_31:
	s_or_b64 exec, exec, s[2:3]
	v_cmp_eq_u32_e32 vcc, 6, v122
	s_waitcnt lgkmcnt(0)
	s_barrier
	s_and_saveexec_b64 s[2:3], vcc
	s_cbranch_execz .LBB39_34
; %bb.32:
	s_waitcnt vmcnt(13)
	ds_write_b64 v123, v[76:77]
	s_waitcnt vmcnt(11)
	ds_write2_b64 v124, v[60:61], v[74:75] offset0:7 offset1:8
	s_waitcnt vmcnt(9)
	ds_write2_b64 v124, v[58:59], v[72:73] offset0:9 offset1:10
	;; [unrolled: 2-line block ×6, first 2 shown]
	s_waitcnt vmcnt(0)
	ds_write_b64 v124, v[80:81] offset:152
	ds_read_b64 v[94:95], v123
	s_waitcnt lgkmcnt(0)
	v_cmp_neq_f64_e32 vcc, 0, v[94:95]
	s_and_b64 exec, exec, vcc
	s_cbranch_execz .LBB39_34
; %bb.33:
	v_div_scale_f64 v[96:97], s[6:7], v[94:95], v[94:95], 1.0
	v_rcp_f64_e32 v[98:99], v[96:97]
	v_div_scale_f64 v[100:101], vcc, 1.0, v[94:95], 1.0
	v_fma_f64 v[102:103], -v[96:97], v[98:99], 1.0
	v_fmac_f64_e32 v[98:99], v[98:99], v[102:103]
	v_fma_f64 v[102:103], -v[96:97], v[98:99], 1.0
	v_fmac_f64_e32 v[98:99], v[98:99], v[102:103]
	v_mul_f64 v[102:103], v[100:101], v[98:99]
	v_fma_f64 v[96:97], -v[96:97], v[102:103], v[100:101]
	v_div_fmas_f64 v[96:97], v[96:97], v[98:99], v[102:103]
	v_div_fixup_f64 v[94:95], v[96:97], v[94:95], 1.0
	ds_write_b64 v123, v[94:95]
.LBB39_34:
	s_or_b64 exec, exec, s[2:3]
	s_waitcnt lgkmcnt(0)
	s_barrier
	ds_read_b64 v[94:95], v123
	v_cmp_lt_u32_e32 vcc, 6, v122
	s_and_saveexec_b64 s[2:3], vcc
	s_cbranch_execz .LBB39_36
; %bb.35:
	ds_read2_b64 v[96:99], v124 offset0:7 offset1:8
	ds_read2_b64 v[100:103], v124 offset0:9 offset1:10
	s_waitcnt vmcnt(13) lgkmcnt(2)
	v_mul_f64 v[76:77], v[94:95], v[76:77]
	ds_read2_b64 v[104:107], v124 offset0:11 offset1:12
	s_waitcnt vmcnt(12) lgkmcnt(2)
	v_fma_f64 v[60:61], -v[76:77], v[96:97], v[60:61]
	s_waitcnt vmcnt(11)
	v_fma_f64 v[74:75], -v[76:77], v[98:99], v[74:75]
	ds_read2_b64 v[96:99], v124 offset0:13 offset1:14
	s_waitcnt vmcnt(10) lgkmcnt(2)
	v_fma_f64 v[58:59], -v[76:77], v[100:101], v[58:59]
	s_waitcnt vmcnt(9)
	v_fma_f64 v[72:73], -v[76:77], v[102:103], v[72:73]
	s_waitcnt vmcnt(8) lgkmcnt(1)
	v_fma_f64 v[56:57], -v[76:77], v[104:105], v[56:57]
	s_waitcnt vmcnt(7)
	v_fma_f64 v[70:71], -v[76:77], v[106:107], v[70:71]
	ds_read2_b64 v[100:103], v124 offset0:15 offset1:16
	ds_read2_b64 v[104:107], v124 offset0:17 offset1:18
	s_waitcnt vmcnt(6) lgkmcnt(2)
	v_fma_f64 v[54:55], -v[76:77], v[96:97], v[54:55]
	ds_read_b64 v[96:97], v124 offset:152
	s_waitcnt vmcnt(5)
	v_fma_f64 v[68:69], -v[76:77], v[98:99], v[68:69]
	s_waitcnt vmcnt(4) lgkmcnt(2)
	v_fma_f64 v[52:53], -v[76:77], v[100:101], v[52:53]
	s_waitcnt vmcnt(3)
	v_fma_f64 v[66:67], -v[76:77], v[102:103], v[66:67]
	s_waitcnt vmcnt(2) lgkmcnt(1)
	v_fma_f64 v[50:51], -v[76:77], v[104:105], v[50:51]
	;; [unrolled: 4-line block ×3, first 2 shown]
.LBB39_36:
	s_or_b64 exec, exec, s[2:3]
	v_cmp_eq_u32_e32 vcc, 7, v122
	s_waitcnt lgkmcnt(0)
	s_barrier
	s_and_saveexec_b64 s[2:3], vcc
	s_cbranch_execz .LBB39_39
; %bb.37:
	s_waitcnt vmcnt(11)
	v_mov_b32_e32 v96, v74
	v_mov_b32_e32 v97, v75
	s_waitcnt vmcnt(10)
	v_mov_b32_e32 v98, v58
	v_mov_b32_e32 v99, v59
	ds_write_b64 v123, v[60:61]
	ds_write2_b64 v124, v[96:97], v[98:99] offset0:8 offset1:9
	s_waitcnt vmcnt(9)
	v_mov_b32_e32 v96, v72
	v_mov_b32_e32 v97, v73
	s_waitcnt vmcnt(8)
	v_mov_b32_e32 v98, v56
	v_mov_b32_e32 v99, v57
	ds_write2_b64 v124, v[96:97], v[98:99] offset0:10 offset1:11
	s_waitcnt vmcnt(7)
	v_mov_b32_e32 v96, v70
	v_mov_b32_e32 v97, v71
	s_waitcnt vmcnt(6)
	v_mov_b32_e32 v98, v54
	v_mov_b32_e32 v99, v55
	;; [unrolled: 7-line block ×4, first 2 shown]
	ds_write2_b64 v124, v[96:97], v[98:99] offset0:16 offset1:17
	s_waitcnt vmcnt(1)
	v_mov_b32_e32 v96, v64
	v_mov_b32_e32 v97, v65
	s_waitcnt vmcnt(0)
	ds_write2_b64 v124, v[96:97], v[80:81] offset0:18 offset1:19
	ds_read_b64 v[96:97], v123
	s_waitcnt lgkmcnt(0)
	v_cmp_neq_f64_e32 vcc, 0, v[96:97]
	s_and_b64 exec, exec, vcc
	s_cbranch_execz .LBB39_39
; %bb.38:
	v_div_scale_f64 v[98:99], s[6:7], v[96:97], v[96:97], 1.0
	v_rcp_f64_e32 v[100:101], v[98:99]
	v_div_scale_f64 v[102:103], vcc, 1.0, v[96:97], 1.0
	v_fma_f64 v[104:105], -v[98:99], v[100:101], 1.0
	v_fmac_f64_e32 v[100:101], v[100:101], v[104:105]
	v_fma_f64 v[104:105], -v[98:99], v[100:101], 1.0
	v_fmac_f64_e32 v[100:101], v[100:101], v[104:105]
	v_mul_f64 v[104:105], v[102:103], v[100:101]
	v_fma_f64 v[98:99], -v[98:99], v[104:105], v[102:103]
	v_div_fmas_f64 v[98:99], v[98:99], v[100:101], v[104:105]
	v_div_fixup_f64 v[96:97], v[98:99], v[96:97], 1.0
	ds_write_b64 v123, v[96:97]
.LBB39_39:
	s_or_b64 exec, exec, s[2:3]
	s_waitcnt lgkmcnt(0)
	s_barrier
	ds_read_b64 v[96:97], v123
	v_cmp_lt_u32_e32 vcc, 7, v122
	s_and_saveexec_b64 s[2:3], vcc
	s_cbranch_execz .LBB39_41
; %bb.40:
	ds_read2_b64 v[98:101], v124 offset0:8 offset1:9
	ds_read2_b64 v[102:105], v124 offset0:10 offset1:11
	;; [unrolled: 1-line block ×3, first 2 shown]
	s_waitcnt vmcnt(12) lgkmcnt(3)
	v_mul_f64 v[60:61], v[96:97], v[60:61]
	s_waitcnt vmcnt(11) lgkmcnt(2)
	v_fma_f64 v[74:75], -v[60:61], v[98:99], v[74:75]
	s_waitcnt vmcnt(10)
	v_fma_f64 v[58:59], -v[60:61], v[100:101], v[58:59]
	ds_read2_b64 v[98:101], v124 offset0:14 offset1:15
	s_waitcnt vmcnt(9) lgkmcnt(2)
	v_fma_f64 v[72:73], -v[60:61], v[102:103], v[72:73]
	s_waitcnt vmcnt(8)
	v_fma_f64 v[56:57], -v[60:61], v[104:105], v[56:57]
	s_waitcnt vmcnt(7) lgkmcnt(1)
	v_fma_f64 v[70:71], -v[60:61], v[106:107], v[70:71]
	ds_read2_b64 v[102:105], v124 offset0:16 offset1:17
	s_waitcnt vmcnt(6)
	v_fma_f64 v[54:55], -v[60:61], v[108:109], v[54:55]
	ds_read2_b64 v[106:109], v124 offset0:18 offset1:19
	s_waitcnt vmcnt(5) lgkmcnt(2)
	v_fma_f64 v[68:69], -v[60:61], v[98:99], v[68:69]
	s_waitcnt vmcnt(4)
	v_fma_f64 v[52:53], -v[60:61], v[100:101], v[52:53]
	s_waitcnt vmcnt(3) lgkmcnt(1)
	v_fma_f64 v[66:67], -v[60:61], v[102:103], v[66:67]
	s_waitcnt vmcnt(2)
	v_fma_f64 v[50:51], -v[60:61], v[104:105], v[50:51]
	;; [unrolled: 4-line block ×3, first 2 shown]
.LBB39_41:
	s_or_b64 exec, exec, s[2:3]
	v_cmp_eq_u32_e32 vcc, 8, v122
	s_waitcnt lgkmcnt(0)
	s_barrier
	s_and_saveexec_b64 s[2:3], vcc
	s_cbranch_execz .LBB39_44
; %bb.42:
	s_waitcnt vmcnt(11)
	ds_write_b64 v123, v[74:75]
	s_waitcnt vmcnt(9)
	ds_write2_b64 v124, v[58:59], v[72:73] offset0:9 offset1:10
	s_waitcnt vmcnt(7)
	ds_write2_b64 v124, v[56:57], v[70:71] offset0:11 offset1:12
	;; [unrolled: 2-line block ×5, first 2 shown]
	s_waitcnt vmcnt(0)
	ds_write_b64 v124, v[80:81] offset:152
	ds_read_b64 v[98:99], v123
	s_waitcnt lgkmcnt(0)
	v_cmp_neq_f64_e32 vcc, 0, v[98:99]
	s_and_b64 exec, exec, vcc
	s_cbranch_execz .LBB39_44
; %bb.43:
	v_div_scale_f64 v[100:101], s[6:7], v[98:99], v[98:99], 1.0
	v_rcp_f64_e32 v[102:103], v[100:101]
	v_div_scale_f64 v[104:105], vcc, 1.0, v[98:99], 1.0
	v_fma_f64 v[106:107], -v[100:101], v[102:103], 1.0
	v_fmac_f64_e32 v[102:103], v[102:103], v[106:107]
	v_fma_f64 v[106:107], -v[100:101], v[102:103], 1.0
	v_fmac_f64_e32 v[102:103], v[102:103], v[106:107]
	v_mul_f64 v[106:107], v[104:105], v[102:103]
	v_fma_f64 v[100:101], -v[100:101], v[106:107], v[104:105]
	v_div_fmas_f64 v[100:101], v[100:101], v[102:103], v[106:107]
	v_div_fixup_f64 v[98:99], v[100:101], v[98:99], 1.0
	ds_write_b64 v123, v[98:99]
.LBB39_44:
	s_or_b64 exec, exec, s[2:3]
	s_waitcnt lgkmcnt(0)
	s_barrier
	ds_read_b64 v[98:99], v123
	v_cmp_lt_u32_e32 vcc, 8, v122
	s_and_saveexec_b64 s[2:3], vcc
	s_cbranch_execz .LBB39_46
; %bb.45:
	ds_read2_b64 v[100:103], v124 offset0:9 offset1:10
	ds_read2_b64 v[104:107], v124 offset0:11 offset1:12
	;; [unrolled: 1-line block ×3, first 2 shown]
	s_waitcnt vmcnt(11) lgkmcnt(3)
	v_mul_f64 v[74:75], v[98:99], v[74:75]
	s_waitcnt vmcnt(10) lgkmcnt(2)
	v_fma_f64 v[58:59], -v[74:75], v[100:101], v[58:59]
	s_waitcnt vmcnt(9)
	v_fma_f64 v[72:73], -v[74:75], v[102:103], v[72:73]
	ds_read2_b64 v[100:103], v124 offset0:15 offset1:16
	s_waitcnt vmcnt(8) lgkmcnt(2)
	v_fma_f64 v[56:57], -v[74:75], v[104:105], v[56:57]
	s_waitcnt vmcnt(7)
	v_fma_f64 v[70:71], -v[74:75], v[106:107], v[70:71]
	s_waitcnt vmcnt(6) lgkmcnt(1)
	v_fma_f64 v[54:55], -v[74:75], v[108:109], v[54:55]
	ds_read2_b64 v[104:107], v124 offset0:17 offset1:18
	ds_read_b64 v[108:109], v124 offset:152
	s_waitcnt vmcnt(5)
	v_fma_f64 v[68:69], -v[74:75], v[110:111], v[68:69]
	s_waitcnt vmcnt(4) lgkmcnt(2)
	v_fma_f64 v[52:53], -v[74:75], v[100:101], v[52:53]
	s_waitcnt vmcnt(3)
	v_fma_f64 v[66:67], -v[74:75], v[102:103], v[66:67]
	s_waitcnt vmcnt(2) lgkmcnt(1)
	v_fma_f64 v[50:51], -v[74:75], v[104:105], v[50:51]
	;; [unrolled: 4-line block ×3, first 2 shown]
.LBB39_46:
	s_or_b64 exec, exec, s[2:3]
	v_cmp_eq_u32_e32 vcc, 9, v122
	s_waitcnt lgkmcnt(0)
	s_barrier
	s_and_saveexec_b64 s[2:3], vcc
	s_cbranch_execz .LBB39_49
; %bb.47:
	s_waitcnt vmcnt(9)
	v_mov_b32_e32 v100, v72
	v_mov_b32_e32 v101, v73
	s_waitcnt vmcnt(8)
	v_mov_b32_e32 v102, v56
	v_mov_b32_e32 v103, v57
	ds_write_b64 v123, v[58:59]
	ds_write2_b64 v124, v[100:101], v[102:103] offset0:10 offset1:11
	s_waitcnt vmcnt(7)
	v_mov_b32_e32 v100, v70
	v_mov_b32_e32 v101, v71
	s_waitcnt vmcnt(6)
	v_mov_b32_e32 v102, v54
	v_mov_b32_e32 v103, v55
	ds_write2_b64 v124, v[100:101], v[102:103] offset0:12 offset1:13
	s_waitcnt vmcnt(5)
	v_mov_b32_e32 v100, v68
	v_mov_b32_e32 v101, v69
	s_waitcnt vmcnt(4)
	v_mov_b32_e32 v102, v52
	v_mov_b32_e32 v103, v53
	;; [unrolled: 7-line block ×3, first 2 shown]
	ds_write2_b64 v124, v[100:101], v[102:103] offset0:16 offset1:17
	s_waitcnt vmcnt(1)
	v_mov_b32_e32 v100, v64
	v_mov_b32_e32 v101, v65
	s_waitcnt vmcnt(0)
	ds_write2_b64 v124, v[100:101], v[80:81] offset0:18 offset1:19
	ds_read_b64 v[100:101], v123
	s_waitcnt lgkmcnt(0)
	v_cmp_neq_f64_e32 vcc, 0, v[100:101]
	s_and_b64 exec, exec, vcc
	s_cbranch_execz .LBB39_49
; %bb.48:
	v_div_scale_f64 v[102:103], s[6:7], v[100:101], v[100:101], 1.0
	v_rcp_f64_e32 v[104:105], v[102:103]
	v_div_scale_f64 v[106:107], vcc, 1.0, v[100:101], 1.0
	v_fma_f64 v[108:109], -v[102:103], v[104:105], 1.0
	v_fmac_f64_e32 v[104:105], v[104:105], v[108:109]
	v_fma_f64 v[108:109], -v[102:103], v[104:105], 1.0
	v_fmac_f64_e32 v[104:105], v[104:105], v[108:109]
	v_mul_f64 v[108:109], v[106:107], v[104:105]
	v_fma_f64 v[102:103], -v[102:103], v[108:109], v[106:107]
	v_div_fmas_f64 v[102:103], v[102:103], v[104:105], v[108:109]
	v_div_fixup_f64 v[100:101], v[102:103], v[100:101], 1.0
	ds_write_b64 v123, v[100:101]
.LBB39_49:
	s_or_b64 exec, exec, s[2:3]
	s_waitcnt lgkmcnt(0)
	s_barrier
	ds_read_b64 v[100:101], v123
	v_cmp_lt_u32_e32 vcc, 9, v122
	s_and_saveexec_b64 s[2:3], vcc
	s_cbranch_execz .LBB39_51
; %bb.50:
	ds_read2_b64 v[102:105], v124 offset0:10 offset1:11
	ds_read2_b64 v[106:109], v124 offset0:12 offset1:13
	s_waitcnt vmcnt(10) lgkmcnt(2)
	v_mul_f64 v[58:59], v[100:101], v[58:59]
	ds_read2_b64 v[110:113], v124 offset0:16 offset1:17
	s_waitcnt vmcnt(9) lgkmcnt(2)
	v_fma_f64 v[72:73], -v[58:59], v[102:103], v[72:73]
	s_waitcnt vmcnt(8)
	v_fma_f64 v[56:57], -v[58:59], v[104:105], v[56:57]
	ds_read2_b64 v[102:105], v124 offset0:14 offset1:15
	s_waitcnt vmcnt(7) lgkmcnt(2)
	v_fma_f64 v[70:71], -v[58:59], v[106:107], v[70:71]
	s_waitcnt vmcnt(6)
	v_fma_f64 v[54:55], -v[58:59], v[108:109], v[54:55]
	ds_read2_b64 v[106:109], v124 offset0:18 offset1:19
	s_waitcnt vmcnt(3) lgkmcnt(2)
	v_fma_f64 v[66:67], -v[58:59], v[110:111], v[66:67]
	s_waitcnt lgkmcnt(1)
	v_fma_f64 v[68:69], -v[58:59], v[102:103], v[68:69]
	v_fma_f64 v[52:53], -v[58:59], v[104:105], v[52:53]
	s_waitcnt vmcnt(2)
	v_fma_f64 v[50:51], -v[58:59], v[112:113], v[50:51]
	s_waitcnt vmcnt(1) lgkmcnt(0)
	v_fma_f64 v[64:65], -v[58:59], v[106:107], v[64:65]
	s_waitcnt vmcnt(0)
	v_fma_f64 v[80:81], -v[58:59], v[108:109], v[80:81]
.LBB39_51:
	s_or_b64 exec, exec, s[2:3]
	v_cmp_eq_u32_e32 vcc, 10, v122
	s_waitcnt lgkmcnt(0)
	s_barrier
	s_and_saveexec_b64 s[2:3], vcc
	s_cbranch_execz .LBB39_54
; %bb.52:
	s_waitcnt vmcnt(9)
	ds_write_b64 v123, v[72:73]
	s_waitcnt vmcnt(7)
	ds_write2_b64 v124, v[56:57], v[70:71] offset0:11 offset1:12
	s_waitcnt vmcnt(5)
	ds_write2_b64 v124, v[54:55], v[68:69] offset0:13 offset1:14
	;; [unrolled: 2-line block ×4, first 2 shown]
	s_waitcnt vmcnt(0)
	ds_write_b64 v124, v[80:81] offset:152
	ds_read_b64 v[102:103], v123
	s_waitcnt lgkmcnt(0)
	v_cmp_neq_f64_e32 vcc, 0, v[102:103]
	s_and_b64 exec, exec, vcc
	s_cbranch_execz .LBB39_54
; %bb.53:
	v_div_scale_f64 v[104:105], s[6:7], v[102:103], v[102:103], 1.0
	v_rcp_f64_e32 v[106:107], v[104:105]
	v_div_scale_f64 v[108:109], vcc, 1.0, v[102:103], 1.0
	v_fma_f64 v[110:111], -v[104:105], v[106:107], 1.0
	v_fmac_f64_e32 v[106:107], v[106:107], v[110:111]
	v_fma_f64 v[110:111], -v[104:105], v[106:107], 1.0
	v_fmac_f64_e32 v[106:107], v[106:107], v[110:111]
	v_mul_f64 v[110:111], v[108:109], v[106:107]
	v_fma_f64 v[104:105], -v[104:105], v[110:111], v[108:109]
	v_div_fmas_f64 v[104:105], v[104:105], v[106:107], v[110:111]
	v_div_fixup_f64 v[102:103], v[104:105], v[102:103], 1.0
	ds_write_b64 v123, v[102:103]
.LBB39_54:
	s_or_b64 exec, exec, s[2:3]
	s_waitcnt lgkmcnt(0)
	s_barrier
	ds_read_b64 v[102:103], v123
	v_cmp_lt_u32_e32 vcc, 10, v122
	s_and_saveexec_b64 s[2:3], vcc
	s_cbranch_execz .LBB39_56
; %bb.55:
	ds_read2_b64 v[104:107], v124 offset0:11 offset1:12
	ds_read2_b64 v[108:111], v124 offset0:13 offset1:14
	s_waitcnt vmcnt(9) lgkmcnt(2)
	v_mul_f64 v[72:73], v[102:103], v[72:73]
	ds_read2_b64 v[112:115], v124 offset0:17 offset1:18
	s_waitcnt vmcnt(8) lgkmcnt(2)
	v_fma_f64 v[56:57], -v[72:73], v[104:105], v[56:57]
	s_waitcnt vmcnt(7)
	v_fma_f64 v[70:71], -v[72:73], v[106:107], v[70:71]
	ds_read2_b64 v[104:107], v124 offset0:15 offset1:16
	s_waitcnt vmcnt(6) lgkmcnt(2)
	v_fma_f64 v[54:55], -v[72:73], v[108:109], v[54:55]
	ds_read_b64 v[108:109], v124 offset:152
	s_waitcnt vmcnt(5)
	v_fma_f64 v[68:69], -v[72:73], v[110:111], v[68:69]
	s_waitcnt vmcnt(2) lgkmcnt(2)
	v_fma_f64 v[50:51], -v[72:73], v[112:113], v[50:51]
	s_waitcnt lgkmcnt(1)
	v_fma_f64 v[52:53], -v[72:73], v[104:105], v[52:53]
	v_fma_f64 v[66:67], -v[72:73], v[106:107], v[66:67]
	s_waitcnt vmcnt(1)
	v_fma_f64 v[64:65], -v[72:73], v[114:115], v[64:65]
	s_waitcnt vmcnt(0) lgkmcnt(0)
	v_fma_f64 v[80:81], -v[72:73], v[108:109], v[80:81]
.LBB39_56:
	s_or_b64 exec, exec, s[2:3]
	v_cmp_eq_u32_e32 vcc, 11, v122
	s_waitcnt lgkmcnt(0)
	s_barrier
	s_and_saveexec_b64 s[2:3], vcc
	s_cbranch_execz .LBB39_59
; %bb.57:
	s_waitcnt vmcnt(7)
	v_mov_b32_e32 v104, v70
	v_mov_b32_e32 v105, v71
	s_waitcnt vmcnt(6)
	v_mov_b32_e32 v106, v54
	v_mov_b32_e32 v107, v55
	ds_write_b64 v123, v[56:57]
	ds_write2_b64 v124, v[104:105], v[106:107] offset0:12 offset1:13
	s_waitcnt vmcnt(5)
	v_mov_b32_e32 v104, v68
	v_mov_b32_e32 v105, v69
	s_waitcnt vmcnt(4)
	v_mov_b32_e32 v106, v52
	v_mov_b32_e32 v107, v53
	ds_write2_b64 v124, v[104:105], v[106:107] offset0:14 offset1:15
	s_waitcnt vmcnt(3)
	v_mov_b32_e32 v104, v66
	v_mov_b32_e32 v105, v67
	s_waitcnt vmcnt(2)
	v_mov_b32_e32 v106, v50
	v_mov_b32_e32 v107, v51
	ds_write2_b64 v124, v[104:105], v[106:107] offset0:16 offset1:17
	s_waitcnt vmcnt(1)
	v_mov_b32_e32 v104, v64
	v_mov_b32_e32 v105, v65
	s_waitcnt vmcnt(0)
	ds_write2_b64 v124, v[104:105], v[80:81] offset0:18 offset1:19
	ds_read_b64 v[104:105], v123
	s_waitcnt lgkmcnt(0)
	v_cmp_neq_f64_e32 vcc, 0, v[104:105]
	s_and_b64 exec, exec, vcc
	s_cbranch_execz .LBB39_59
; %bb.58:
	v_div_scale_f64 v[106:107], s[6:7], v[104:105], v[104:105], 1.0
	v_rcp_f64_e32 v[108:109], v[106:107]
	v_div_scale_f64 v[110:111], vcc, 1.0, v[104:105], 1.0
	v_fma_f64 v[112:113], -v[106:107], v[108:109], 1.0
	v_fmac_f64_e32 v[108:109], v[108:109], v[112:113]
	v_fma_f64 v[112:113], -v[106:107], v[108:109], 1.0
	v_fmac_f64_e32 v[108:109], v[108:109], v[112:113]
	v_mul_f64 v[112:113], v[110:111], v[108:109]
	v_fma_f64 v[106:107], -v[106:107], v[112:113], v[110:111]
	v_div_fmas_f64 v[106:107], v[106:107], v[108:109], v[112:113]
	v_div_fixup_f64 v[104:105], v[106:107], v[104:105], 1.0
	ds_write_b64 v123, v[104:105]
.LBB39_59:
	s_or_b64 exec, exec, s[2:3]
	s_waitcnt lgkmcnt(0)
	s_barrier
	ds_read_b64 v[104:105], v123
	v_cmp_lt_u32_e32 vcc, 11, v122
	s_and_saveexec_b64 s[2:3], vcc
	s_cbranch_execz .LBB39_61
; %bb.60:
	ds_read2_b64 v[106:109], v124 offset0:12 offset1:13
	ds_read2_b64 v[110:113], v124 offset0:14 offset1:15
	s_waitcnt vmcnt(8) lgkmcnt(2)
	v_mul_f64 v[56:57], v[104:105], v[56:57]
	ds_read2_b64 v[114:117], v124 offset0:16 offset1:17
	s_waitcnt vmcnt(7) lgkmcnt(2)
	v_fma_f64 v[70:71], -v[56:57], v[106:107], v[70:71]
	s_waitcnt vmcnt(6)
	v_fma_f64 v[54:55], -v[56:57], v[108:109], v[54:55]
	ds_read2_b64 v[106:109], v124 offset0:18 offset1:19
	s_waitcnt vmcnt(5) lgkmcnt(2)
	v_fma_f64 v[68:69], -v[56:57], v[110:111], v[68:69]
	s_waitcnt vmcnt(4)
	v_fma_f64 v[52:53], -v[56:57], v[112:113], v[52:53]
	s_waitcnt vmcnt(3) lgkmcnt(1)
	v_fma_f64 v[66:67], -v[56:57], v[114:115], v[66:67]
	s_waitcnt vmcnt(2)
	v_fma_f64 v[50:51], -v[56:57], v[116:117], v[50:51]
	;; [unrolled: 4-line block ×3, first 2 shown]
.LBB39_61:
	s_or_b64 exec, exec, s[2:3]
	v_cmp_eq_u32_e32 vcc, 12, v122
	s_waitcnt lgkmcnt(0)
	s_barrier
	s_and_saveexec_b64 s[2:3], vcc
	s_cbranch_execz .LBB39_64
; %bb.62:
	s_waitcnt vmcnt(7)
	ds_write_b64 v123, v[70:71]
	s_waitcnt vmcnt(5)
	ds_write2_b64 v124, v[54:55], v[68:69] offset0:13 offset1:14
	s_waitcnt vmcnt(3)
	ds_write2_b64 v124, v[52:53], v[66:67] offset0:15 offset1:16
	;; [unrolled: 2-line block ×3, first 2 shown]
	s_waitcnt vmcnt(0)
	ds_write_b64 v124, v[80:81] offset:152
	ds_read_b64 v[106:107], v123
	s_waitcnt lgkmcnt(0)
	v_cmp_neq_f64_e32 vcc, 0, v[106:107]
	s_and_b64 exec, exec, vcc
	s_cbranch_execz .LBB39_64
; %bb.63:
	v_div_scale_f64 v[108:109], s[6:7], v[106:107], v[106:107], 1.0
	v_rcp_f64_e32 v[110:111], v[108:109]
	v_div_scale_f64 v[112:113], vcc, 1.0, v[106:107], 1.0
	v_fma_f64 v[114:115], -v[108:109], v[110:111], 1.0
	v_fmac_f64_e32 v[110:111], v[110:111], v[114:115]
	v_fma_f64 v[114:115], -v[108:109], v[110:111], 1.0
	v_fmac_f64_e32 v[110:111], v[110:111], v[114:115]
	v_mul_f64 v[114:115], v[112:113], v[110:111]
	v_fma_f64 v[108:109], -v[108:109], v[114:115], v[112:113]
	v_div_fmas_f64 v[108:109], v[108:109], v[110:111], v[114:115]
	v_div_fixup_f64 v[106:107], v[108:109], v[106:107], 1.0
	ds_write_b64 v123, v[106:107]
.LBB39_64:
	s_or_b64 exec, exec, s[2:3]
	s_waitcnt lgkmcnt(0)
	s_barrier
	ds_read_b64 v[106:107], v123
	v_cmp_lt_u32_e32 vcc, 12, v122
	s_and_saveexec_b64 s[2:3], vcc
	s_cbranch_execz .LBB39_66
; %bb.65:
	ds_read2_b64 v[108:111], v124 offset0:13 offset1:14
	ds_read2_b64 v[112:115], v124 offset0:15 offset1:16
	s_waitcnt vmcnt(7) lgkmcnt(2)
	v_mul_f64 v[70:71], v[106:107], v[70:71]
	ds_read2_b64 v[116:119], v124 offset0:17 offset1:18
	s_waitcnt vmcnt(6) lgkmcnt(2)
	v_fma_f64 v[54:55], -v[70:71], v[108:109], v[54:55]
	ds_read_b64 v[108:109], v124 offset:152
	s_waitcnt vmcnt(5)
	v_fma_f64 v[68:69], -v[70:71], v[110:111], v[68:69]
	s_waitcnt vmcnt(4) lgkmcnt(2)
	v_fma_f64 v[52:53], -v[70:71], v[112:113], v[52:53]
	s_waitcnt vmcnt(3)
	v_fma_f64 v[66:67], -v[70:71], v[114:115], v[66:67]
	s_waitcnt vmcnt(2) lgkmcnt(1)
	v_fma_f64 v[50:51], -v[70:71], v[116:117], v[50:51]
	;; [unrolled: 4-line block ×3, first 2 shown]
.LBB39_66:
	s_or_b64 exec, exec, s[2:3]
	v_cmp_eq_u32_e32 vcc, 13, v122
	s_waitcnt lgkmcnt(0)
	s_barrier
	s_and_saveexec_b64 s[2:3], vcc
	s_cbranch_execz .LBB39_69
; %bb.67:
	s_waitcnt vmcnt(5)
	v_mov_b32_e32 v108, v68
	v_mov_b32_e32 v109, v69
	s_waitcnt vmcnt(4)
	v_mov_b32_e32 v110, v52
	v_mov_b32_e32 v111, v53
	ds_write_b64 v123, v[54:55]
	ds_write2_b64 v124, v[108:109], v[110:111] offset0:14 offset1:15
	s_waitcnt vmcnt(3)
	v_mov_b32_e32 v108, v66
	v_mov_b32_e32 v109, v67
	s_waitcnt vmcnt(2)
	v_mov_b32_e32 v110, v50
	v_mov_b32_e32 v111, v51
	ds_write2_b64 v124, v[108:109], v[110:111] offset0:16 offset1:17
	s_waitcnt vmcnt(1)
	v_mov_b32_e32 v108, v64
	v_mov_b32_e32 v109, v65
	s_waitcnt vmcnt(0)
	ds_write2_b64 v124, v[108:109], v[80:81] offset0:18 offset1:19
	ds_read_b64 v[108:109], v123
	s_waitcnt lgkmcnt(0)
	v_cmp_neq_f64_e32 vcc, 0, v[108:109]
	s_and_b64 exec, exec, vcc
	s_cbranch_execz .LBB39_69
; %bb.68:
	v_div_scale_f64 v[110:111], s[6:7], v[108:109], v[108:109], 1.0
	v_rcp_f64_e32 v[112:113], v[110:111]
	v_div_scale_f64 v[114:115], vcc, 1.0, v[108:109], 1.0
	v_fma_f64 v[116:117], -v[110:111], v[112:113], 1.0
	v_fmac_f64_e32 v[112:113], v[112:113], v[116:117]
	v_fma_f64 v[116:117], -v[110:111], v[112:113], 1.0
	v_fmac_f64_e32 v[112:113], v[112:113], v[116:117]
	v_mul_f64 v[116:117], v[114:115], v[112:113]
	v_fma_f64 v[110:111], -v[110:111], v[116:117], v[114:115]
	v_div_fmas_f64 v[110:111], v[110:111], v[112:113], v[116:117]
	v_div_fixup_f64 v[108:109], v[110:111], v[108:109], 1.0
	ds_write_b64 v123, v[108:109]
.LBB39_69:
	s_or_b64 exec, exec, s[2:3]
	s_waitcnt lgkmcnt(0)
	s_barrier
	ds_read_b64 v[108:109], v123
	v_cmp_lt_u32_e32 vcc, 13, v122
	s_and_saveexec_b64 s[2:3], vcc
	s_cbranch_execz .LBB39_71
; %bb.70:
	ds_read2_b64 v[110:113], v124 offset0:14 offset1:15
	ds_read2_b64 v[114:117], v124 offset0:16 offset1:17
	;; [unrolled: 1-line block ×3, first 2 shown]
	s_waitcnt vmcnt(6) lgkmcnt(3)
	v_mul_f64 v[54:55], v[108:109], v[54:55]
	s_waitcnt vmcnt(5) lgkmcnt(2)
	v_fma_f64 v[68:69], -v[54:55], v[110:111], v[68:69]
	s_waitcnt vmcnt(4)
	v_fma_f64 v[52:53], -v[54:55], v[112:113], v[52:53]
	s_waitcnt vmcnt(3) lgkmcnt(1)
	v_fma_f64 v[66:67], -v[54:55], v[114:115], v[66:67]
	s_waitcnt vmcnt(2)
	v_fma_f64 v[50:51], -v[54:55], v[116:117], v[50:51]
	;; [unrolled: 4-line block ×3, first 2 shown]
.LBB39_71:
	s_or_b64 exec, exec, s[2:3]
	v_cmp_eq_u32_e32 vcc, 14, v122
	s_waitcnt lgkmcnt(0)
	s_barrier
	s_and_saveexec_b64 s[2:3], vcc
	s_cbranch_execz .LBB39_74
; %bb.72:
	s_waitcnt vmcnt(5)
	ds_write_b64 v123, v[68:69]
	s_waitcnt vmcnt(3)
	ds_write2_b64 v124, v[52:53], v[66:67] offset0:15 offset1:16
	s_waitcnt vmcnt(1)
	ds_write2_b64 v124, v[50:51], v[64:65] offset0:17 offset1:18
	s_waitcnt vmcnt(0)
	ds_write_b64 v124, v[80:81] offset:152
	ds_read_b64 v[110:111], v123
	s_waitcnt lgkmcnt(0)
	v_cmp_neq_f64_e32 vcc, 0, v[110:111]
	s_and_b64 exec, exec, vcc
	s_cbranch_execz .LBB39_74
; %bb.73:
	v_div_scale_f64 v[112:113], s[6:7], v[110:111], v[110:111], 1.0
	v_rcp_f64_e32 v[114:115], v[112:113]
	v_div_scale_f64 v[116:117], vcc, 1.0, v[110:111], 1.0
	v_fma_f64 v[118:119], -v[112:113], v[114:115], 1.0
	v_fmac_f64_e32 v[114:115], v[114:115], v[118:119]
	v_fma_f64 v[118:119], -v[112:113], v[114:115], 1.0
	v_fmac_f64_e32 v[114:115], v[114:115], v[118:119]
	v_mul_f64 v[118:119], v[116:117], v[114:115]
	v_fma_f64 v[112:113], -v[112:113], v[118:119], v[116:117]
	v_div_fmas_f64 v[112:113], v[112:113], v[114:115], v[118:119]
	v_div_fixup_f64 v[110:111], v[112:113], v[110:111], 1.0
	ds_write_b64 v123, v[110:111]
.LBB39_74:
	s_or_b64 exec, exec, s[2:3]
	s_waitcnt lgkmcnt(0)
	s_barrier
	ds_read_b64 v[110:111], v123
	v_cmp_lt_u32_e32 vcc, 14, v122
	s_and_saveexec_b64 s[2:3], vcc
	s_cbranch_execz .LBB39_76
; %bb.75:
	ds_read2_b64 v[112:115], v124 offset0:15 offset1:16
	ds_read2_b64 v[116:119], v124 offset0:17 offset1:18
	ds_read_b64 v[120:121], v124 offset:152
	s_waitcnt vmcnt(5) lgkmcnt(3)
	v_mul_f64 v[68:69], v[110:111], v[68:69]
	s_waitcnt vmcnt(4) lgkmcnt(2)
	v_fma_f64 v[52:53], -v[68:69], v[112:113], v[52:53]
	s_waitcnt vmcnt(3)
	v_fma_f64 v[66:67], -v[68:69], v[114:115], v[66:67]
	s_waitcnt vmcnt(2) lgkmcnt(1)
	v_fma_f64 v[50:51], -v[68:69], v[116:117], v[50:51]
	s_waitcnt vmcnt(1)
	v_fma_f64 v[64:65], -v[68:69], v[118:119], v[64:65]
	s_waitcnt vmcnt(0) lgkmcnt(0)
	v_fma_f64 v[80:81], -v[68:69], v[120:121], v[80:81]
.LBB39_76:
	s_or_b64 exec, exec, s[2:3]
	v_cmp_eq_u32_e32 vcc, 15, v122
	s_waitcnt lgkmcnt(0)
	s_barrier
	s_and_saveexec_b64 s[2:3], vcc
	s_cbranch_execz .LBB39_79
; %bb.77:
	s_waitcnt vmcnt(3)
	v_mov_b32_e32 v112, v66
	v_mov_b32_e32 v113, v67
	s_waitcnt vmcnt(2)
	v_mov_b32_e32 v114, v50
	v_mov_b32_e32 v115, v51
	ds_write_b64 v123, v[52:53]
	ds_write2_b64 v124, v[112:113], v[114:115] offset0:16 offset1:17
	s_waitcnt vmcnt(1)
	v_mov_b32_e32 v112, v64
	v_mov_b32_e32 v113, v65
	s_waitcnt vmcnt(0)
	ds_write2_b64 v124, v[112:113], v[80:81] offset0:18 offset1:19
	ds_read_b64 v[112:113], v123
	s_waitcnt lgkmcnt(0)
	v_cmp_neq_f64_e32 vcc, 0, v[112:113]
	s_and_b64 exec, exec, vcc
	s_cbranch_execz .LBB39_79
; %bb.78:
	v_div_scale_f64 v[114:115], s[6:7], v[112:113], v[112:113], 1.0
	v_rcp_f64_e32 v[116:117], v[114:115]
	v_div_scale_f64 v[118:119], vcc, 1.0, v[112:113], 1.0
	v_fma_f64 v[120:121], -v[114:115], v[116:117], 1.0
	v_fmac_f64_e32 v[116:117], v[116:117], v[120:121]
	v_fma_f64 v[120:121], -v[114:115], v[116:117], 1.0
	v_fmac_f64_e32 v[116:117], v[116:117], v[120:121]
	v_mul_f64 v[120:121], v[118:119], v[116:117]
	v_fma_f64 v[114:115], -v[114:115], v[120:121], v[118:119]
	v_div_fmas_f64 v[114:115], v[114:115], v[116:117], v[120:121]
	v_div_fixup_f64 v[112:113], v[114:115], v[112:113], 1.0
	ds_write_b64 v123, v[112:113]
.LBB39_79:
	s_or_b64 exec, exec, s[2:3]
	s_waitcnt lgkmcnt(0)
	s_barrier
	ds_read_b64 v[112:113], v123
	v_cmp_lt_u32_e32 vcc, 15, v122
	s_and_saveexec_b64 s[2:3], vcc
	s_cbranch_execz .LBB39_81
; %bb.80:
	ds_read2_b64 v[114:117], v124 offset0:16 offset1:17
	ds_read2_b64 v[118:121], v124 offset0:18 offset1:19
	s_waitcnt vmcnt(4) lgkmcnt(2)
	v_mul_f64 v[52:53], v[112:113], v[52:53]
	s_waitcnt vmcnt(3) lgkmcnt(1)
	v_fma_f64 v[66:67], -v[52:53], v[114:115], v[66:67]
	s_waitcnt vmcnt(2)
	v_fma_f64 v[50:51], -v[52:53], v[116:117], v[50:51]
	s_waitcnt vmcnt(1) lgkmcnt(0)
	v_fma_f64 v[64:65], -v[52:53], v[118:119], v[64:65]
	s_waitcnt vmcnt(0)
	v_fma_f64 v[80:81], -v[52:53], v[120:121], v[80:81]
.LBB39_81:
	s_or_b64 exec, exec, s[2:3]
	v_cmp_eq_u32_e32 vcc, 16, v122
	s_waitcnt lgkmcnt(0)
	s_barrier
	s_and_saveexec_b64 s[2:3], vcc
	s_cbranch_execz .LBB39_84
; %bb.82:
	s_waitcnt vmcnt(3)
	ds_write_b64 v123, v[66:67]
	s_waitcnt vmcnt(1)
	ds_write2_b64 v124, v[50:51], v[64:65] offset0:17 offset1:18
	s_waitcnt vmcnt(0)
	ds_write_b64 v124, v[80:81] offset:152
	ds_read_b64 v[114:115], v123
	s_waitcnt lgkmcnt(0)
	v_cmp_neq_f64_e32 vcc, 0, v[114:115]
	s_and_b64 exec, exec, vcc
	s_cbranch_execz .LBB39_84
; %bb.83:
	v_div_scale_f64 v[116:117], s[6:7], v[114:115], v[114:115], 1.0
	v_rcp_f64_e32 v[118:119], v[116:117]
	v_div_scale_f64 v[120:121], vcc, 1.0, v[114:115], 1.0
	v_fma_f64 v[126:127], -v[116:117], v[118:119], 1.0
	v_fmac_f64_e32 v[118:119], v[118:119], v[126:127]
	v_fma_f64 v[126:127], -v[116:117], v[118:119], 1.0
	v_fmac_f64_e32 v[118:119], v[118:119], v[126:127]
	v_mul_f64 v[126:127], v[120:121], v[118:119]
	v_fma_f64 v[116:117], -v[116:117], v[126:127], v[120:121]
	v_div_fmas_f64 v[116:117], v[116:117], v[118:119], v[126:127]
	v_div_fixup_f64 v[114:115], v[116:117], v[114:115], 1.0
	ds_write_b64 v123, v[114:115]
.LBB39_84:
	s_or_b64 exec, exec, s[2:3]
	s_waitcnt lgkmcnt(0)
	s_barrier
	ds_read_b64 v[114:115], v123
	v_cmp_lt_u32_e32 vcc, 16, v122
	s_and_saveexec_b64 s[2:3], vcc
	s_cbranch_execz .LBB39_86
; %bb.85:
	ds_read2_b64 v[116:119], v124 offset0:17 offset1:18
	ds_read_b64 v[120:121], v124 offset:152
	s_waitcnt vmcnt(3) lgkmcnt(2)
	v_mul_f64 v[66:67], v[114:115], v[66:67]
	s_waitcnt vmcnt(2) lgkmcnt(1)
	v_fma_f64 v[50:51], -v[66:67], v[116:117], v[50:51]
	s_waitcnt vmcnt(1)
	v_fma_f64 v[64:65], -v[66:67], v[118:119], v[64:65]
	s_waitcnt vmcnt(0) lgkmcnt(0)
	v_fma_f64 v[80:81], -v[66:67], v[120:121], v[80:81]
.LBB39_86:
	s_or_b64 exec, exec, s[2:3]
	v_cmp_eq_u32_e32 vcc, 17, v122
	s_waitcnt lgkmcnt(0)
	s_barrier
	s_and_saveexec_b64 s[2:3], vcc
	s_cbranch_execz .LBB39_89
; %bb.87:
	s_waitcnt vmcnt(1)
	v_mov_b32_e32 v116, v64
	v_mov_b32_e32 v117, v65
	ds_write_b64 v123, v[50:51]
	s_waitcnt vmcnt(0)
	ds_write2_b64 v124, v[116:117], v[80:81] offset0:18 offset1:19
	ds_read_b64 v[116:117], v123
	s_waitcnt lgkmcnt(0)
	v_cmp_neq_f64_e32 vcc, 0, v[116:117]
	s_and_b64 exec, exec, vcc
	s_cbranch_execz .LBB39_89
; %bb.88:
	v_div_scale_f64 v[118:119], s[6:7], v[116:117], v[116:117], 1.0
	v_rcp_f64_e32 v[120:121], v[118:119]
	v_div_scale_f64 v[126:127], vcc, 1.0, v[116:117], 1.0
	v_fma_f64 v[128:129], -v[118:119], v[120:121], 1.0
	v_fmac_f64_e32 v[120:121], v[120:121], v[128:129]
	v_fma_f64 v[128:129], -v[118:119], v[120:121], 1.0
	v_fmac_f64_e32 v[120:121], v[120:121], v[128:129]
	v_mul_f64 v[128:129], v[126:127], v[120:121]
	v_fma_f64 v[118:119], -v[118:119], v[128:129], v[126:127]
	v_div_fmas_f64 v[118:119], v[118:119], v[120:121], v[128:129]
	v_div_fixup_f64 v[116:117], v[118:119], v[116:117], 1.0
	ds_write_b64 v123, v[116:117]
.LBB39_89:
	s_or_b64 exec, exec, s[2:3]
	s_waitcnt lgkmcnt(0)
	s_barrier
	ds_read_b64 v[116:117], v123
	v_cmp_lt_u32_e32 vcc, 17, v122
	s_and_saveexec_b64 s[2:3], vcc
	s_cbranch_execz .LBB39_91
; %bb.90:
	ds_read2_b64 v[118:121], v124 offset0:18 offset1:19
	s_waitcnt vmcnt(2) lgkmcnt(1)
	v_mul_f64 v[50:51], v[116:117], v[50:51]
	s_waitcnt vmcnt(1) lgkmcnt(0)
	v_fma_f64 v[64:65], -v[50:51], v[118:119], v[64:65]
	s_waitcnt vmcnt(0)
	v_fma_f64 v[80:81], -v[50:51], v[120:121], v[80:81]
.LBB39_91:
	s_or_b64 exec, exec, s[2:3]
	v_cmp_eq_u32_e32 vcc, 18, v122
	s_waitcnt lgkmcnt(0)
	s_barrier
	s_and_saveexec_b64 s[2:3], vcc
	s_cbranch_execz .LBB39_94
; %bb.92:
	s_waitcnt vmcnt(1)
	ds_write_b64 v123, v[64:65]
	s_waitcnt vmcnt(0)
	ds_write_b64 v124, v[80:81] offset:152
	ds_read_b64 v[118:119], v123
	s_waitcnt lgkmcnt(0)
	v_cmp_neq_f64_e32 vcc, 0, v[118:119]
	s_and_b64 exec, exec, vcc
	s_cbranch_execz .LBB39_94
; %bb.93:
	v_div_scale_f64 v[120:121], s[6:7], v[118:119], v[118:119], 1.0
	v_rcp_f64_e32 v[126:127], v[120:121]
	v_div_scale_f64 v[128:129], vcc, 1.0, v[118:119], 1.0
	v_fma_f64 v[130:131], -v[120:121], v[126:127], 1.0
	v_fmac_f64_e32 v[126:127], v[126:127], v[130:131]
	v_fma_f64 v[130:131], -v[120:121], v[126:127], 1.0
	v_fmac_f64_e32 v[126:127], v[126:127], v[130:131]
	v_mul_f64 v[130:131], v[128:129], v[126:127]
	v_fma_f64 v[120:121], -v[120:121], v[130:131], v[128:129]
	v_div_fmas_f64 v[120:121], v[120:121], v[126:127], v[130:131]
	v_div_fixup_f64 v[118:119], v[120:121], v[118:119], 1.0
	ds_write_b64 v123, v[118:119]
.LBB39_94:
	s_or_b64 exec, exec, s[2:3]
	s_waitcnt lgkmcnt(0)
	s_barrier
	ds_read_b64 v[120:121], v123
	v_cmp_lt_u32_e32 vcc, 18, v122
	s_and_saveexec_b64 s[2:3], vcc
	s_cbranch_execz .LBB39_96
; %bb.95:
	ds_read_b64 v[118:119], v124 offset:152
	s_waitcnt vmcnt(1) lgkmcnt(1)
	v_mul_f64 v[64:65], v[120:121], v[64:65]
	s_waitcnt vmcnt(0) lgkmcnt(0)
	v_fma_f64 v[80:81], -v[64:65], v[118:119], v[80:81]
.LBB39_96:
	s_or_b64 exec, exec, s[2:3]
	v_cmp_eq_u32_e32 vcc, 19, v122
	s_waitcnt lgkmcnt(0)
	s_barrier
	s_and_saveexec_b64 s[2:3], vcc
	s_cbranch_execz .LBB39_99
; %bb.97:
	s_waitcnt vmcnt(0)
	v_cmp_neq_f64_e32 vcc, 0, v[80:81]
	ds_write_b64 v123, v[80:81]
	s_and_b64 exec, exec, vcc
	s_cbranch_execz .LBB39_99
; %bb.98:
	v_div_scale_f64 v[118:119], s[6:7], v[80:81], v[80:81], 1.0
	v_rcp_f64_e32 v[124:125], v[118:119]
	v_div_scale_f64 v[126:127], vcc, 1.0, v[80:81], 1.0
	v_fma_f64 v[128:129], -v[118:119], v[124:125], 1.0
	v_fmac_f64_e32 v[124:125], v[124:125], v[128:129]
	v_fma_f64 v[128:129], -v[118:119], v[124:125], 1.0
	v_fmac_f64_e32 v[124:125], v[124:125], v[128:129]
	v_mul_f64 v[128:129], v[126:127], v[124:125]
	v_fma_f64 v[118:119], -v[118:119], v[128:129], v[126:127]
	v_div_fmas_f64 v[118:119], v[118:119], v[124:125], v[128:129]
	v_div_fixup_f64 v[118:119], v[118:119], v[80:81], 1.0
	ds_write_b64 v123, v[118:119]
.LBB39_99:
	s_or_b64 exec, exec, s[2:3]
	s_waitcnt lgkmcnt(0)
	s_barrier
	ds_read_b64 v[118:119], v123
	s_waitcnt lgkmcnt(0)
	s_barrier
	s_and_saveexec_b64 s[42:43], s[0:1]
	s_cbranch_execz .LBB39_102
; %bb.100:
	s_load_dwordx2 s[0:1], s[4:5], 0x28
	v_lshlrev_b64 v[2:3], 2, v[2:3]
	v_cmp_eq_f64_e64 s[2:3], 0, v[86:87]
	v_cmp_eq_f64_e64 s[4:5], 0, v[88:89]
	;; [unrolled: 1-line block ×3, first 2 shown]
	s_waitcnt lgkmcnt(0)
	v_mov_b32_e32 v123, s1
	v_add_co_u32_e32 v2, vcc, s0, v2
	v_addc_co_u32_e32 v3, vcc, v123, v3, vcc
	global_load_dword v123, v[2:3], off
	v_cmp_eq_f64_e32 vcc, 0, v[82:83]
	v_cmp_neq_f64_e64 s[0:1], 0, v[84:85]
	v_cndmask_b32_e64 v82, 0, 1, vcc
	s_or_b64 vcc, s[0:1], vcc
	v_cndmask_b32_e32 v82, 2, v82, vcc
	v_cmp_eq_u32_e32 vcc, 0, v82
	s_and_b64 s[0:1], s[2:3], vcc
	v_cndmask_b32_e64 v82, v82, 3, s[0:1]
	v_cmp_eq_u32_e32 vcc, 0, v82
	s_and_b64 s[0:1], s[4:5], vcc
	v_cndmask_b32_e64 v82, v82, 4, s[0:1]
	;; [unrolled: 3-line block ×3, first 2 shown]
	v_cmp_eq_f64_e64 s[8:9], 0, v[92:93]
	v_cmp_eq_u32_e32 vcc, 0, v82
	s_and_b64 s[0:1], s[8:9], vcc
	v_cndmask_b32_e64 v82, v82, 6, s[0:1]
	v_cmp_eq_f64_e64 s[10:11], 0, v[94:95]
	v_cmp_eq_u32_e32 vcc, 0, v82
	s_and_b64 s[0:1], s[10:11], vcc
	v_cndmask_b32_e64 v82, v82, 7, s[0:1]
	;; [unrolled: 4-line block ×15, first 2 shown]
	v_cmp_ne_u32_e64 s[0:1], 0, v82
	s_waitcnt vmcnt(0)
	v_cmp_eq_u32_e32 vcc, 0, v123
	s_and_b64 s[0:1], vcc, s[0:1]
	s_and_b64 exec, exec, s[0:1]
	s_cbranch_execz .LBB39_102
; %bb.101:
	v_add_u32_e32 v82, s41, v82
	global_store_dword v[2:3], v82, off
.LBB39_102:
	s_or_b64 exec, exec, s[42:43]
	s_waitcnt vmcnt(0)
	v_mul_f64 v[2:3], v[118:119], v[80:81]
	v_cmp_lt_u32_e32 vcc, 19, v122
	v_cndmask_b32_e32 v3, v81, v3, vcc
	v_cndmask_b32_e32 v2, v80, v2, vcc
	global_store_dwordx2 v[0:1], v[24:25], off
	global_store_dwordx2 v[20:21], v[28:29], off
	global_store_dwordx2 v[4:5], v[30:31], off
	global_store_dwordx2 v[6:7], v[26:27], off
	global_store_dwordx2 v[8:9], v[78:79], off
	global_store_dwordx2 v[10:11], v[62:63], off
	global_store_dwordx2 v[12:13], v[76:77], off
	global_store_dwordx2 v[14:15], v[60:61], off
	global_store_dwordx2 v[16:17], v[74:75], off
	global_store_dwordx2 v[18:19], v[58:59], off
	global_store_dwordx2 v[22:23], v[72:73], off
	global_store_dwordx2 v[32:33], v[56:57], off
	global_store_dwordx2 v[34:35], v[70:71], off
	global_store_dwordx2 v[36:37], v[54:55], off
	global_store_dwordx2 v[38:39], v[68:69], off
	global_store_dwordx2 v[40:41], v[52:53], off
	global_store_dwordx2 v[42:43], v[66:67], off
	global_store_dwordx2 v[44:45], v[50:51], off
	global_store_dwordx2 v[46:47], v[64:65], off
	global_store_dwordx2 v[48:49], v[2:3], off
.LBB39_103:
	s_endpgm
	.section	.rodata,"a",@progbits
	.p2align	6, 0x0
	.amdhsa_kernel _ZN9rocsolver6v33100L23getf2_npvt_small_kernelILi20EdiiPKPdEEvT1_T3_lS5_lPT2_S5_S5_
		.amdhsa_group_segment_fixed_size 0
		.amdhsa_private_segment_fixed_size 0
		.amdhsa_kernarg_size 312
		.amdhsa_user_sgpr_count 6
		.amdhsa_user_sgpr_private_segment_buffer 1
		.amdhsa_user_sgpr_dispatch_ptr 0
		.amdhsa_user_sgpr_queue_ptr 0
		.amdhsa_user_sgpr_kernarg_segment_ptr 1
		.amdhsa_user_sgpr_dispatch_id 0
		.amdhsa_user_sgpr_flat_scratch_init 0
		.amdhsa_user_sgpr_kernarg_preload_length 0
		.amdhsa_user_sgpr_kernarg_preload_offset 0
		.amdhsa_user_sgpr_private_segment_size 0
		.amdhsa_uses_dynamic_stack 0
		.amdhsa_system_sgpr_private_segment_wavefront_offset 0
		.amdhsa_system_sgpr_workgroup_id_x 1
		.amdhsa_system_sgpr_workgroup_id_y 1
		.amdhsa_system_sgpr_workgroup_id_z 0
		.amdhsa_system_sgpr_workgroup_info 0
		.amdhsa_system_vgpr_workitem_id 1
		.amdhsa_next_free_vgpr 132
		.amdhsa_next_free_sgpr 44
		.amdhsa_accum_offset 132
		.amdhsa_reserve_vcc 1
		.amdhsa_reserve_flat_scratch 0
		.amdhsa_float_round_mode_32 0
		.amdhsa_float_round_mode_16_64 0
		.amdhsa_float_denorm_mode_32 3
		.amdhsa_float_denorm_mode_16_64 3
		.amdhsa_dx10_clamp 1
		.amdhsa_ieee_mode 1
		.amdhsa_fp16_overflow 0
		.amdhsa_tg_split 0
		.amdhsa_exception_fp_ieee_invalid_op 0
		.amdhsa_exception_fp_denorm_src 0
		.amdhsa_exception_fp_ieee_div_zero 0
		.amdhsa_exception_fp_ieee_overflow 0
		.amdhsa_exception_fp_ieee_underflow 0
		.amdhsa_exception_fp_ieee_inexact 0
		.amdhsa_exception_int_div_zero 0
	.end_amdhsa_kernel
	.section	.text._ZN9rocsolver6v33100L23getf2_npvt_small_kernelILi20EdiiPKPdEEvT1_T3_lS5_lPT2_S5_S5_,"axG",@progbits,_ZN9rocsolver6v33100L23getf2_npvt_small_kernelILi20EdiiPKPdEEvT1_T3_lS5_lPT2_S5_S5_,comdat
.Lfunc_end39:
	.size	_ZN9rocsolver6v33100L23getf2_npvt_small_kernelILi20EdiiPKPdEEvT1_T3_lS5_lPT2_S5_S5_, .Lfunc_end39-_ZN9rocsolver6v33100L23getf2_npvt_small_kernelILi20EdiiPKPdEEvT1_T3_lS5_lPT2_S5_S5_
                                        ; -- End function
	.section	.AMDGPU.csdata,"",@progbits
; Kernel info:
; codeLenInByte = 10320
; NumSgprs: 48
; NumVgprs: 132
; NumAgprs: 0
; TotalNumVgprs: 132
; ScratchSize: 0
; MemoryBound: 0
; FloatMode: 240
; IeeeMode: 1
; LDSByteSize: 0 bytes/workgroup (compile time only)
; SGPRBlocks: 5
; VGPRBlocks: 16
; NumSGPRsForWavesPerEU: 48
; NumVGPRsForWavesPerEU: 132
; AccumOffset: 132
; Occupancy: 3
; WaveLimiterHint : 1
; COMPUTE_PGM_RSRC2:SCRATCH_EN: 0
; COMPUTE_PGM_RSRC2:USER_SGPR: 6
; COMPUTE_PGM_RSRC2:TRAP_HANDLER: 0
; COMPUTE_PGM_RSRC2:TGID_X_EN: 1
; COMPUTE_PGM_RSRC2:TGID_Y_EN: 1
; COMPUTE_PGM_RSRC2:TGID_Z_EN: 0
; COMPUTE_PGM_RSRC2:TIDIG_COMP_CNT: 1
; COMPUTE_PGM_RSRC3_GFX90A:ACCUM_OFFSET: 32
; COMPUTE_PGM_RSRC3_GFX90A:TG_SPLIT: 0
	.section	.text._ZN9rocsolver6v33100L18getf2_small_kernelILi21EdiiPKPdEEvT1_T3_lS5_lPS5_llPT2_S5_S5_S7_l,"axG",@progbits,_ZN9rocsolver6v33100L18getf2_small_kernelILi21EdiiPKPdEEvT1_T3_lS5_lPS5_llPT2_S5_S5_S7_l,comdat
	.globl	_ZN9rocsolver6v33100L18getf2_small_kernelILi21EdiiPKPdEEvT1_T3_lS5_lPS5_llPT2_S5_S5_S7_l ; -- Begin function _ZN9rocsolver6v33100L18getf2_small_kernelILi21EdiiPKPdEEvT1_T3_lS5_lPS5_llPT2_S5_S5_S7_l
	.p2align	8
	.type	_ZN9rocsolver6v33100L18getf2_small_kernelILi21EdiiPKPdEEvT1_T3_lS5_lPS5_llPT2_S5_S5_S7_l,@function
_ZN9rocsolver6v33100L18getf2_small_kernelILi21EdiiPKPdEEvT1_T3_lS5_lPS5_llPT2_S5_S5_S7_l: ; @_ZN9rocsolver6v33100L18getf2_small_kernelILi21EdiiPKPdEEvT1_T3_lS5_lPS5_llPT2_S5_S5_S7_l
; %bb.0:
	s_load_dword s0, s[4:5], 0x6c
	s_load_dwordx2 s[12:13], s[4:5], 0x48
	v_bfe_u32 v46, v0, 10, 10
	s_waitcnt lgkmcnt(0)
	s_lshr_b32 s0, s0, 16
	s_mul_i32 s7, s7, s0
	v_add_u32_e32 v2, s7, v46
	v_cmp_gt_i32_e32 vcc, s12, v2
	s_and_saveexec_b64 s[0:1], vcc
	s_cbranch_execz .LBB40_354
; %bb.1:
	s_load_dwordx4 s[0:3], s[4:5], 0x8
	s_load_dwordx4 s[8:11], s[4:5], 0x50
	v_ashrrev_i32_e32 v3, 31, v2
	v_lshlrev_b64 v[4:5], 3, v[2:3]
	v_pk_mov_b32 v[42:43], 0, 0
	s_waitcnt lgkmcnt(0)
	v_mov_b32_e32 v1, s1
	v_add_co_u32_e32 v4, vcc, s0, v4
	v_addc_co_u32_e32 v5, vcc, v1, v5, vcc
	global_load_dwordx2 v[4:5], v[4:5], off
	s_cmp_eq_u64 s[8:9], 0
	s_cselect_b64 s[6:7], -1, 0
	s_and_b64 vcc, exec, s[6:7]
	s_cbranch_vccnz .LBB40_3
; %bb.2:
	v_mul_lo_u32 v1, v3, s10
	v_mul_lo_u32 v8, v2, s11
	v_mad_u64_u32 v[6:7], s[0:1], v2, s10, 0
	v_add3_u32 v7, v7, v8, v1
	v_lshlrev_b64 v[6:7], 2, v[6:7]
	v_mov_b32_e32 v1, s9
	v_add_co_u32_e32 v42, vcc, s8, v6
	v_addc_co_u32_e32 v43, vcc, v1, v7, vcc
.LBB40_3:
	s_load_dword s8, s[4:5], 0x18
	s_load_dword s12, s[4:5], 0x0
	s_lshl_b64 s[0:1], s[2:3], 3
	v_mov_b32_e32 v1, s1
	s_waitcnt vmcnt(0)
	v_add_co_u32_e32 v52, vcc, s0, v4
	v_and_b32_e32 v54, 0x3ff, v0
	v_addc_co_u32_e32 v53, vcc, v5, v1, vcc
	v_lshlrev_b32_e32 v47, 3, v54
	v_add_co_u32_e32 v4, vcc, v52, v47
	s_waitcnt lgkmcnt(0)
	s_ashr_i32 s9, s8, 31
	v_addc_co_u32_e32 v5, vcc, 0, v53, vcc
	s_lshl_b64 s[10:11], s[8:9], 3
	v_mov_b32_e32 v0, s11
	v_add_co_u32_e32 v8, vcc, s10, v4
	s_add_i32 s9, s8, s8
	v_addc_co_u32_e32 v9, vcc, v5, v0, vcc
	v_add_u32_e32 v0, s9, v54
	v_ashrrev_i32_e32 v1, 31, v0
	v_lshlrev_b64 v[6:7], 3, v[0:1]
	v_add_u32_e32 v14, s8, v0
	v_add_co_u32_e32 v10, vcc, v52, v6
	v_ashrrev_i32_e32 v15, 31, v14
	v_addc_co_u32_e32 v11, vcc, v53, v7, vcc
	v_lshlrev_b64 v[0:1], 3, v[14:15]
	v_add_co_u32_e32 v16, vcc, v52, v0
	v_addc_co_u32_e32 v17, vcc, v53, v1, vcc
	global_load_dwordx2 v[18:19], v[4:5], off
	global_load_dwordx2 v[12:13], v[8:9], off
	global_load_dwordx2 v[6:7], v[10:11], off
	global_load_dwordx2 v[0:1], v[16:17], off
	v_add_u32_e32 v4, s8, v14
	v_ashrrev_i32_e32 v5, 31, v4
	v_lshlrev_b64 v[8:9], 3, v[4:5]
	v_add_u32_e32 v4, s8, v4
	v_add_co_u32_e32 v8, vcc, v52, v8
	v_ashrrev_i32_e32 v5, 31, v4
	v_addc_co_u32_e32 v9, vcc, v53, v9, vcc
	v_lshlrev_b64 v[10:11], 3, v[4:5]
	v_add_u32_e32 v4, s8, v4
	v_add_co_u32_e32 v14, vcc, v52, v10
	v_ashrrev_i32_e32 v5, 31, v4
	v_addc_co_u32_e32 v15, vcc, v53, v11, vcc
	v_lshlrev_b64 v[10:11], 3, v[4:5]
	v_add_u32_e32 v22, s8, v4
	v_add_co_u32_e32 v16, vcc, v52, v10
	v_ashrrev_i32_e32 v23, 31, v22
	v_addc_co_u32_e32 v17, vcc, v53, v11, vcc
	v_lshlrev_b64 v[4:5], 3, v[22:23]
	v_add_co_u32_e32 v24, vcc, v52, v4
	v_addc_co_u32_e32 v25, vcc, v53, v5, vcc
	global_load_dwordx2 v[28:29], v[8:9], off
	global_load_dwordx2 v[20:21], v[14:15], off
	global_load_dwordx2 v[10:11], v[16:17], off
	global_load_dwordx2 v[4:5], v[24:25], off
	v_add_u32_e32 v8, s8, v22
	v_ashrrev_i32_e32 v9, 31, v8
	v_lshlrev_b64 v[14:15], 3, v[8:9]
	v_add_u32_e32 v8, s8, v8
	v_add_co_u32_e32 v14, vcc, v52, v14
	v_ashrrev_i32_e32 v9, 31, v8
	v_addc_co_u32_e32 v15, vcc, v53, v15, vcc
	v_lshlrev_b64 v[16:17], 3, v[8:9]
	v_add_u32_e32 v8, s8, v8
	v_add_co_u32_e32 v22, vcc, v52, v16
	v_ashrrev_i32_e32 v9, 31, v8
	v_addc_co_u32_e32 v23, vcc, v53, v17, vcc
	;; [unrolled: 24-line block ×4, first 2 shown]
	v_lshlrev_b64 v[30:31], 3, v[22:23]
	v_add_u32_e32 v56, s8, v22
	v_add_co_u32_e32 v50, vcc, v52, v30
	v_ashrrev_i32_e32 v57, 31, v56
	v_addc_co_u32_e32 v51, vcc, v53, v31, vcc
	v_lshlrev_b64 v[22:23], 3, v[56:57]
	v_add_co_u32_e32 v58, vcc, v52, v22
	v_addc_co_u32_e32 v59, vcc, v53, v23, vcc
	global_load_dwordx2 v[40:41], v[44:45], off
	global_load_dwordx2 v[36:37], v[48:49], off
	;; [unrolled: 1-line block ×4, first 2 shown]
	v_add_u32_e32 v44, s8, v56
	v_ashrrev_i32_e32 v45, 31, v44
	v_lshlrev_b64 v[44:45], 3, v[44:45]
	v_add_co_u32_e32 v44, vcc, v52, v44
	v_addc_co_u32_e32 v45, vcc, v53, v45, vcc
	global_load_dwordx2 v[44:45], v[44:45], off
	s_max_i32 s0, s12, 21
	v_mul_lo_u32 v49, s0, v46
	v_lshl_add_u32 v50, v49, 3, 0
	v_add_u32_e32 v46, v50, v47
	s_waitcnt vmcnt(20)
	ds_write_b64 v46, v[18:19]
	s_waitcnt lgkmcnt(0)
	s_barrier
	ds_read_b64 v[46:47], v50
	v_mov_b32_e32 v48, 0
	s_cmp_lt_i32 s12, 2
	v_lshlrev_b32_e32 v55, 3, v49
	s_cbranch_scc1 .LBB40_6
; %bb.4:
	v_add3_u32 v49, v55, 0, 8
	s_mov_b32 s0, 1
	v_mov_b32_e32 v48, 0
.LBB40_5:                               ; =>This Inner Loop Header: Depth=1
	ds_read_b64 v[56:57], v49
	v_mov_b32_e32 v51, s0
	s_add_i32 s0, s0, 1
	v_add_u32_e32 v49, 8, v49
	s_cmp_eq_u32 s12, s0
	s_waitcnt lgkmcnt(0)
	v_cmp_lt_f64_e64 vcc, |v[46:47]|, |v[56:57]|
	v_cndmask_b32_e32 v47, v47, v57, vcc
	v_cndmask_b32_e32 v46, v46, v56, vcc
	;; [unrolled: 1-line block ×3, first 2 shown]
	s_cbranch_scc0 .LBB40_5
.LBB40_6:
	v_cmp_ne_u32_e32 vcc, v54, v48
                                        ; implicit-def: $vgpr51
	s_and_saveexec_b64 s[0:1], vcc
	s_xor_b64 s[0:1], exec, s[0:1]
	s_cbranch_execz .LBB40_12
; %bb.7:
	v_cmp_eq_u32_e32 vcc, 0, v54
	s_and_saveexec_b64 s[2:3], vcc
	s_cbranch_execz .LBB40_11
; %bb.8:
	v_cmp_ne_u32_e32 vcc, 0, v48
	s_xor_b64 s[14:15], s[6:7], -1
	s_and_b64 s[16:17], s[14:15], vcc
	s_and_saveexec_b64 s[14:15], s[16:17]
	s_cbranch_execz .LBB40_10
; %bb.9:
	v_ashrrev_i32_e32 v49, 31, v48
	v_lshlrev_b64 v[56:57], 2, v[48:49]
	v_add_co_u32_e32 v56, vcc, v42, v56
	v_addc_co_u32_e32 v57, vcc, v43, v57, vcc
	flat_load_dword v49, v[56:57]
	flat_load_dword v51, v[42:43]
	s_waitcnt vmcnt(0) lgkmcnt(0)
	flat_store_dword v[42:43], v49
	flat_store_dword v[56:57], v51
.LBB40_10:
	s_or_b64 exec, exec, s[14:15]
	v_mov_b32_e32 v54, v48
.LBB40_11:
	s_or_b64 exec, exec, s[2:3]
	v_mov_b32_e32 v51, v54
                                        ; implicit-def: $vgpr54
.LBB40_12:
	s_or_saveexec_b64 s[0:1], s[0:1]
	v_mov_b32_e32 v49, v51
	s_xor_b64 exec, exec, s[0:1]
	s_cbranch_execz .LBB40_14
; %bb.13:
	v_mov_b32_e32 v51, 0
	v_mov_b32_e32 v49, v54
	s_waitcnt vmcnt(0)
	ds_write2_b64 v50, v[12:13], v[6:7] offset0:1 offset1:2
	ds_write2_b64 v50, v[0:1], v[28:29] offset0:3 offset1:4
	;; [unrolled: 1-line block ×10, first 2 shown]
.LBB40_14:
	s_or_b64 exec, exec, s[0:1]
	s_waitcnt lgkmcnt(0)
	v_cmp_eq_f64_e64 s[0:1], 0, v[46:47]
	v_cmp_lt_i32_e32 vcc, 0, v51
	s_barrier
	s_and_saveexec_b64 s[2:3], vcc
	s_cbranch_execz .LBB40_16
; %bb.15:
	v_div_scale_f64 v[56:57], s[14:15], v[46:47], v[46:47], 1.0
	v_rcp_f64_e32 v[58:59], v[56:57]
	v_div_scale_f64 v[60:61], vcc, 1.0, v[46:47], 1.0
	ds_read2_b64 v[64:67], v50 offset0:5 offset1:6
	v_fma_f64 v[62:63], -v[56:57], v[58:59], 1.0
	v_fmac_f64_e32 v[58:59], v[58:59], v[62:63]
	v_fma_f64 v[62:63], -v[56:57], v[58:59], 1.0
	v_fmac_f64_e32 v[58:59], v[58:59], v[62:63]
	v_mul_f64 v[62:63], v[60:61], v[58:59]
	v_fma_f64 v[56:57], -v[56:57], v[62:63], v[60:61]
	v_div_fmas_f64 v[56:57], v[56:57], v[58:59], v[62:63]
	v_div_fixup_f64 v[60:61], v[56:57], v[46:47], 1.0
	ds_read2_b64 v[56:59], v50 offset0:1 offset1:2
	v_cndmask_b32_e64 v47, v61, v47, s[0:1]
	v_cndmask_b32_e64 v46, v60, v46, s[0:1]
	ds_read2_b64 v[60:63], v50 offset0:3 offset1:4
	v_mul_f64 v[18:19], v[46:47], v[18:19]
	s_waitcnt vmcnt(0) lgkmcnt(0)
	v_fma_f64 v[12:13], -v[18:19], v[56:57], v[12:13]
	v_fma_f64 v[6:7], -v[18:19], v[58:59], v[6:7]
	ds_read2_b64 v[56:59], v50 offset0:7 offset1:8
	v_fma_f64 v[0:1], -v[18:19], v[60:61], v[0:1]
	v_fma_f64 v[28:29], -v[18:19], v[62:63], v[28:29]
	;; [unrolled: 1-line block ×3, first 2 shown]
	ds_read2_b64 v[60:63], v50 offset0:9 offset1:10
	v_fma_f64 v[10:11], -v[18:19], v[66:67], v[10:11]
	ds_read2_b64 v[64:67], v50 offset0:11 offset1:12
	s_waitcnt lgkmcnt(2)
	v_fma_f64 v[4:5], -v[18:19], v[56:57], v[4:5]
	v_fma_f64 v[34:35], -v[18:19], v[58:59], v[34:35]
	ds_read2_b64 v[56:59], v50 offset0:13 offset1:14
	s_waitcnt lgkmcnt(2)
	v_fma_f64 v[26:27], -v[18:19], v[60:61], v[26:27]
	;; [unrolled: 4-line block ×3, first 2 shown]
	v_fma_f64 v[38:39], -v[18:19], v[66:67], v[38:39]
	s_waitcnt lgkmcnt(1)
	v_fma_f64 v[32:33], -v[18:19], v[56:57], v[32:33]
	ds_read2_b64 v[64:67], v50 offset0:17 offset1:18
	v_fma_f64 v[24:25], -v[18:19], v[58:59], v[24:25]
	ds_read2_b64 v[56:59], v50 offset0:19 offset1:20
	s_waitcnt lgkmcnt(2)
	v_fma_f64 v[14:15], -v[18:19], v[60:61], v[14:15]
	v_fma_f64 v[40:41], -v[18:19], v[62:63], v[40:41]
	s_waitcnt lgkmcnt(1)
	v_fma_f64 v[36:37], -v[18:19], v[64:65], v[36:37]
	v_fma_f64 v[30:31], -v[18:19], v[66:67], v[30:31]
	;; [unrolled: 3-line block ×3, first 2 shown]
.LBB40_16:
	s_or_b64 exec, exec, s[2:3]
	v_lshl_add_u32 v46, v51, 3, v50
	s_barrier
	s_waitcnt vmcnt(0)
	ds_write_b64 v46, v[12:13]
	s_waitcnt lgkmcnt(0)
	s_barrier
	ds_read_b64 v[46:47], v50 offset:8
	s_cmp_lt_i32 s12, 3
	v_mov_b32_e32 v48, 1
	s_cbranch_scc1 .LBB40_19
; %bb.17:
	v_add3_u32 v54, v55, 0, 16
	s_mov_b32 s2, 2
	v_mov_b32_e32 v48, 1
.LBB40_18:                              ; =>This Inner Loop Header: Depth=1
	ds_read_b64 v[56:57], v54
	v_mov_b32_e32 v58, s2
	s_add_i32 s2, s2, 1
	v_add_u32_e32 v54, 8, v54
	s_cmp_lg_u32 s12, s2
	s_waitcnt lgkmcnt(0)
	v_cmp_lt_f64_e64 vcc, |v[46:47]|, |v[56:57]|
	v_cndmask_b32_e32 v47, v47, v57, vcc
	v_cndmask_b32_e32 v46, v46, v56, vcc
	;; [unrolled: 1-line block ×3, first 2 shown]
	s_cbranch_scc1 .LBB40_18
.LBB40_19:
	v_cmp_ne_u32_e32 vcc, v51, v48
	s_and_saveexec_b64 s[2:3], vcc
	s_xor_b64 s[2:3], exec, s[2:3]
	s_cbranch_execz .LBB40_25
; %bb.20:
	v_cmp_eq_u32_e32 vcc, 1, v51
	s_and_saveexec_b64 s[14:15], vcc
	s_cbranch_execz .LBB40_24
; %bb.21:
	v_cmp_ne_u32_e32 vcc, 1, v48
	s_xor_b64 s[16:17], s[6:7], -1
	s_and_b64 s[18:19], s[16:17], vcc
	s_and_saveexec_b64 s[16:17], s[18:19]
	s_cbranch_execz .LBB40_23
; %bb.22:
	v_ashrrev_i32_e32 v49, 31, v48
	v_lshlrev_b64 v[56:57], 2, v[48:49]
	v_add_co_u32_e32 v56, vcc, v42, v56
	v_addc_co_u32_e32 v57, vcc, v43, v57, vcc
	flat_load_dword v49, v[56:57]
	flat_load_dword v51, v[42:43] offset:4
	s_waitcnt vmcnt(0) lgkmcnt(0)
	flat_store_dword v[42:43], v49 offset:4
	flat_store_dword v[56:57], v51
.LBB40_23:
	s_or_b64 exec, exec, s[16:17]
	v_mov_b32_e32 v49, v48
	v_mov_b32_e32 v51, v48
.LBB40_24:
	s_or_b64 exec, exec, s[14:15]
.LBB40_25:
	s_andn2_saveexec_b64 s[2:3], s[2:3]
	s_cbranch_execz .LBB40_27
; %bb.26:
	v_mov_b32_e32 v56, v6
	v_mov_b32_e32 v57, v7
	v_mov_b32_e32 v58, v0
	v_mov_b32_e32 v59, v1
	ds_write2_b64 v50, v[56:57], v[58:59] offset0:2 offset1:3
	v_mov_b32_e32 v56, v28
	v_mov_b32_e32 v57, v29
	v_mov_b32_e32 v58, v20
	v_mov_b32_e32 v59, v21
	ds_write2_b64 v50, v[56:57], v[58:59] offset0:4 offset1:5
	;; [unrolled: 5-line block ×8, first 2 shown]
	v_mov_b32_e32 v56, v30
	v_mov_b32_e32 v57, v31
	;; [unrolled: 1-line block ×5, first 2 shown]
	ds_write2_b64 v50, v[56:57], v[58:59] offset0:18 offset1:19
	ds_write_b64 v50, v[44:45] offset:160
.LBB40_27:
	s_or_b64 exec, exec, s[2:3]
	s_waitcnt lgkmcnt(0)
	v_cmp_neq_f64_e64 s[2:3], 0, v[46:47]
	v_cmp_lt_i32_e32 vcc, 1, v51
	s_barrier
	s_and_saveexec_b64 s[14:15], vcc
	s_cbranch_execz .LBB40_29
; %bb.28:
	v_div_scale_f64 v[56:57], s[16:17], v[46:47], v[46:47], 1.0
	v_rcp_f64_e32 v[58:59], v[56:57]
	v_div_scale_f64 v[60:61], vcc, 1.0, v[46:47], 1.0
	ds_read2_b64 v[64:67], v50 offset0:6 offset1:7
	v_fma_f64 v[62:63], -v[56:57], v[58:59], 1.0
	v_fmac_f64_e32 v[58:59], v[58:59], v[62:63]
	v_fma_f64 v[62:63], -v[56:57], v[58:59], 1.0
	v_fmac_f64_e32 v[58:59], v[58:59], v[62:63]
	v_mul_f64 v[62:63], v[60:61], v[58:59]
	v_fma_f64 v[56:57], -v[56:57], v[62:63], v[60:61]
	v_div_fmas_f64 v[56:57], v[56:57], v[58:59], v[62:63]
	v_div_fixup_f64 v[60:61], v[56:57], v[46:47], 1.0
	ds_read2_b64 v[56:59], v50 offset0:2 offset1:3
	v_cndmask_b32_e64 v47, v47, v61, s[2:3]
	v_cndmask_b32_e64 v46, v46, v60, s[2:3]
	ds_read2_b64 v[60:63], v50 offset0:4 offset1:5
	v_mul_f64 v[12:13], v[46:47], v[12:13]
	s_waitcnt lgkmcnt(0)
	v_fma_f64 v[6:7], -v[12:13], v[56:57], v[6:7]
	v_fma_f64 v[0:1], -v[12:13], v[58:59], v[0:1]
	ds_read2_b64 v[56:59], v50 offset0:8 offset1:9
	v_fma_f64 v[28:29], -v[12:13], v[60:61], v[28:29]
	v_fma_f64 v[20:21], -v[12:13], v[62:63], v[20:21]
	;; [unrolled: 1-line block ×3, first 2 shown]
	ds_read2_b64 v[60:63], v50 offset0:10 offset1:11
	v_fma_f64 v[4:5], -v[12:13], v[66:67], v[4:5]
	ds_read2_b64 v[64:67], v50 offset0:12 offset1:13
	s_waitcnt lgkmcnt(0)
	v_fma_f64 v[34:35], -v[12:13], v[56:57], v[34:35]
	v_fma_f64 v[26:27], -v[12:13], v[58:59], v[26:27]
	;; [unrolled: 1-line block ×3, first 2 shown]
	ds_read2_b64 v[56:59], v50 offset0:14 offset1:15
	v_fma_f64 v[8:9], -v[12:13], v[62:63], v[8:9]
	ds_read2_b64 v[60:63], v50 offset0:16 offset1:17
	v_fma_f64 v[38:39], -v[12:13], v[64:65], v[38:39]
	v_fma_f64 v[32:33], -v[12:13], v[66:67], v[32:33]
	ds_read2_b64 v[64:67], v50 offset0:18 offset1:19
	ds_read_b64 v[46:47], v50 offset:160
	s_waitcnt lgkmcnt(0)
	v_fma_f64 v[24:25], -v[12:13], v[56:57], v[24:25]
	v_fma_f64 v[14:15], -v[12:13], v[58:59], v[14:15]
	;; [unrolled: 1-line block ×7, first 2 shown]
.LBB40_29:
	s_or_b64 exec, exec, s[14:15]
	v_lshl_add_u32 v46, v51, 3, v50
	s_barrier
	ds_write_b64 v46, v[6:7]
	s_waitcnt lgkmcnt(0)
	s_barrier
	ds_read_b64 v[46:47], v50 offset:16
	s_mov_b32 s14, 3
	s_cmp_lt_i32 s12, 4
	v_mov_b32_e32 v48, 2
	s_cbranch_scc1 .LBB40_32
; %bb.30:
	v_add3_u32 v54, v55, 0, 24
	v_mov_b32_e32 v48, 2
.LBB40_31:                              ; =>This Inner Loop Header: Depth=1
	ds_read_b64 v[56:57], v54
	v_mov_b32_e32 v58, s14
	s_add_i32 s14, s14, 1
	v_add_u32_e32 v54, 8, v54
	s_cmp_lg_u32 s12, s14
	s_waitcnt lgkmcnt(0)
	v_cmp_lt_f64_e64 vcc, |v[46:47]|, |v[56:57]|
	v_cndmask_b32_e32 v47, v47, v57, vcc
	v_cndmask_b32_e32 v46, v46, v56, vcc
	;; [unrolled: 1-line block ×3, first 2 shown]
	s_cbranch_scc1 .LBB40_31
.LBB40_32:
	v_cndmask_b32_e64 v54, 2, 1, s[0:1]
	v_cndmask_b32_e64 v56, 0, 1, s[0:1]
	;; [unrolled: 1-line block ×3, first 2 shown]
	s_waitcnt lgkmcnt(0)
	v_cmp_eq_f64_e32 vcc, 0, v[46:47]
	s_and_saveexec_b64 s[0:1], vcc
	s_xor_b64 s[0:1], exec, s[0:1]
; %bb.33:
	v_cmp_ne_u32_e32 vcc, 0, v54
	v_cndmask_b32_e32 v54, 3, v54, vcc
; %bb.34:
	s_andn2_saveexec_b64 s[0:1], s[0:1]
; %bb.35:
	v_div_scale_f64 v[56:57], s[2:3], v[46:47], v[46:47], 1.0
	v_rcp_f64_e32 v[58:59], v[56:57]
	v_div_scale_f64 v[60:61], vcc, 1.0, v[46:47], 1.0
	v_fma_f64 v[62:63], -v[56:57], v[58:59], 1.0
	v_fmac_f64_e32 v[58:59], v[58:59], v[62:63]
	v_fma_f64 v[62:63], -v[56:57], v[58:59], 1.0
	v_fmac_f64_e32 v[58:59], v[58:59], v[62:63]
	v_mul_f64 v[62:63], v[60:61], v[58:59]
	v_fma_f64 v[56:57], -v[56:57], v[62:63], v[60:61]
	v_div_fmas_f64 v[56:57], v[56:57], v[58:59], v[62:63]
	v_div_fixup_f64 v[46:47], v[56:57], v[46:47], 1.0
; %bb.36:
	s_or_b64 exec, exec, s[0:1]
	v_cmp_ne_u32_e32 vcc, v51, v48
	s_and_saveexec_b64 s[0:1], vcc
	s_xor_b64 s[0:1], exec, s[0:1]
	s_cbranch_execz .LBB40_42
; %bb.37:
	v_cmp_eq_u32_e32 vcc, 2, v51
	s_and_saveexec_b64 s[2:3], vcc
	s_cbranch_execz .LBB40_41
; %bb.38:
	v_cmp_ne_u32_e32 vcc, 2, v48
	s_xor_b64 s[14:15], s[6:7], -1
	s_and_b64 s[16:17], s[14:15], vcc
	s_and_saveexec_b64 s[14:15], s[16:17]
	s_cbranch_execz .LBB40_40
; %bb.39:
	v_ashrrev_i32_e32 v49, 31, v48
	v_lshlrev_b64 v[56:57], 2, v[48:49]
	v_add_co_u32_e32 v56, vcc, v42, v56
	v_addc_co_u32_e32 v57, vcc, v43, v57, vcc
	flat_load_dword v49, v[56:57]
	flat_load_dword v51, v[42:43] offset:8
	s_waitcnt vmcnt(0) lgkmcnt(0)
	flat_store_dword v[42:43], v49 offset:8
	flat_store_dword v[56:57], v51
.LBB40_40:
	s_or_b64 exec, exec, s[14:15]
	v_mov_b32_e32 v49, v48
	v_mov_b32_e32 v51, v48
.LBB40_41:
	s_or_b64 exec, exec, s[2:3]
.LBB40_42:
	s_andn2_saveexec_b64 s[0:1], s[0:1]
	s_cbranch_execz .LBB40_44
; %bb.43:
	v_mov_b32_e32 v51, 2
	ds_write2_b64 v50, v[0:1], v[28:29] offset0:3 offset1:4
	ds_write2_b64 v50, v[20:21], v[10:11] offset0:5 offset1:6
	ds_write2_b64 v50, v[4:5], v[34:35] offset0:7 offset1:8
	ds_write2_b64 v50, v[26:27], v[16:17] offset0:9 offset1:10
	ds_write2_b64 v50, v[8:9], v[38:39] offset0:11 offset1:12
	ds_write2_b64 v50, v[32:33], v[24:25] offset0:13 offset1:14
	ds_write2_b64 v50, v[14:15], v[40:41] offset0:15 offset1:16
	ds_write2_b64 v50, v[36:37], v[30:31] offset0:17 offset1:18
	ds_write2_b64 v50, v[22:23], v[44:45] offset0:19 offset1:20
.LBB40_44:
	s_or_b64 exec, exec, s[0:1]
	v_cmp_lt_i32_e32 vcc, 2, v51
	s_waitcnt lgkmcnt(0)
	s_barrier
	s_and_saveexec_b64 s[0:1], vcc
	s_cbranch_execz .LBB40_46
; %bb.45:
	ds_read2_b64 v[56:59], v50 offset0:3 offset1:4
	ds_read2_b64 v[60:63], v50 offset0:5 offset1:6
	;; [unrolled: 1-line block ×3, first 2 shown]
	v_mul_f64 v[6:7], v[46:47], v[6:7]
	s_waitcnt lgkmcnt(0)
	v_fma_f64 v[0:1], -v[6:7], v[56:57], v[0:1]
	v_fma_f64 v[28:29], -v[6:7], v[58:59], v[28:29]
	ds_read2_b64 v[56:59], v50 offset0:9 offset1:10
	v_fma_f64 v[20:21], -v[6:7], v[60:61], v[20:21]
	v_fma_f64 v[10:11], -v[6:7], v[62:63], v[10:11]
	v_fma_f64 v[4:5], -v[6:7], v[64:65], v[4:5]
	ds_read2_b64 v[60:63], v50 offset0:11 offset1:12
	v_fma_f64 v[34:35], -v[6:7], v[66:67], v[34:35]
	ds_read2_b64 v[64:67], v50 offset0:13 offset1:14
	s_waitcnt lgkmcnt(0)
	v_fma_f64 v[26:27], -v[6:7], v[56:57], v[26:27]
	v_fma_f64 v[16:17], -v[6:7], v[58:59], v[16:17]
	;; [unrolled: 1-line block ×4, first 2 shown]
	ds_read2_b64 v[56:59], v50 offset0:15 offset1:16
	ds_read2_b64 v[60:63], v50 offset0:17 offset1:18
	v_fma_f64 v[32:33], -v[6:7], v[64:65], v[32:33]
	v_fma_f64 v[24:25], -v[6:7], v[66:67], v[24:25]
	ds_read2_b64 v[64:67], v50 offset0:19 offset1:20
	s_waitcnt lgkmcnt(0)
	v_fma_f64 v[14:15], -v[6:7], v[56:57], v[14:15]
	v_fma_f64 v[40:41], -v[6:7], v[58:59], v[40:41]
	;; [unrolled: 1-line block ×6, first 2 shown]
.LBB40_46:
	s_or_b64 exec, exec, s[0:1]
	v_lshl_add_u32 v46, v51, 3, v50
	s_barrier
	ds_write_b64 v46, v[0:1]
	s_waitcnt lgkmcnt(0)
	s_barrier
	ds_read_b64 v[46:47], v50 offset:24
	s_cmp_lt_i32 s12, 5
	v_mov_b32_e32 v48, 3
	s_cbranch_scc1 .LBB40_49
; %bb.47:
	v_add3_u32 v56, v55, 0, 32
	s_mov_b32 s0, 4
	v_mov_b32_e32 v48, 3
.LBB40_48:                              ; =>This Inner Loop Header: Depth=1
	ds_read_b64 v[58:59], v56
	v_mov_b32_e32 v57, s0
	s_add_i32 s0, s0, 1
	v_add_u32_e32 v56, 8, v56
	s_cmp_lg_u32 s12, s0
	s_waitcnt lgkmcnt(0)
	v_cmp_lt_f64_e64 vcc, |v[46:47]|, |v[58:59]|
	v_cndmask_b32_e32 v47, v47, v59, vcc
	v_cndmask_b32_e32 v46, v46, v58, vcc
	;; [unrolled: 1-line block ×3, first 2 shown]
	s_cbranch_scc1 .LBB40_48
.LBB40_49:
	s_waitcnt lgkmcnt(0)
	v_cmp_eq_f64_e32 vcc, 0, v[46:47]
	s_and_saveexec_b64 s[0:1], vcc
	s_xor_b64 s[0:1], exec, s[0:1]
; %bb.50:
	v_cmp_ne_u32_e32 vcc, 0, v54
	v_cndmask_b32_e32 v54, 4, v54, vcc
; %bb.51:
	s_andn2_saveexec_b64 s[0:1], s[0:1]
; %bb.52:
	v_div_scale_f64 v[56:57], s[2:3], v[46:47], v[46:47], 1.0
	v_rcp_f64_e32 v[58:59], v[56:57]
	v_div_scale_f64 v[60:61], vcc, 1.0, v[46:47], 1.0
	v_fma_f64 v[62:63], -v[56:57], v[58:59], 1.0
	v_fmac_f64_e32 v[58:59], v[58:59], v[62:63]
	v_fma_f64 v[62:63], -v[56:57], v[58:59], 1.0
	v_fmac_f64_e32 v[58:59], v[58:59], v[62:63]
	v_mul_f64 v[62:63], v[60:61], v[58:59]
	v_fma_f64 v[56:57], -v[56:57], v[62:63], v[60:61]
	v_div_fmas_f64 v[56:57], v[56:57], v[58:59], v[62:63]
	v_div_fixup_f64 v[46:47], v[56:57], v[46:47], 1.0
; %bb.53:
	s_or_b64 exec, exec, s[0:1]
	v_cmp_ne_u32_e32 vcc, v51, v48
	s_and_saveexec_b64 s[0:1], vcc
	s_xor_b64 s[0:1], exec, s[0:1]
	s_cbranch_execz .LBB40_59
; %bb.54:
	v_cmp_eq_u32_e32 vcc, 3, v51
	s_and_saveexec_b64 s[2:3], vcc
	s_cbranch_execz .LBB40_58
; %bb.55:
	v_cmp_ne_u32_e32 vcc, 3, v48
	s_xor_b64 s[14:15], s[6:7], -1
	s_and_b64 s[16:17], s[14:15], vcc
	s_and_saveexec_b64 s[14:15], s[16:17]
	s_cbranch_execz .LBB40_57
; %bb.56:
	v_ashrrev_i32_e32 v49, 31, v48
	v_lshlrev_b64 v[56:57], 2, v[48:49]
	v_add_co_u32_e32 v56, vcc, v42, v56
	v_addc_co_u32_e32 v57, vcc, v43, v57, vcc
	flat_load_dword v49, v[56:57]
	flat_load_dword v51, v[42:43] offset:12
	s_waitcnt vmcnt(0) lgkmcnt(0)
	flat_store_dword v[42:43], v49 offset:12
	flat_store_dword v[56:57], v51
.LBB40_57:
	s_or_b64 exec, exec, s[14:15]
	v_mov_b32_e32 v49, v48
	v_mov_b32_e32 v51, v48
.LBB40_58:
	s_or_b64 exec, exec, s[2:3]
.LBB40_59:
	s_andn2_saveexec_b64 s[0:1], s[0:1]
	s_cbranch_execz .LBB40_61
; %bb.60:
	v_mov_b32_e32 v56, v28
	v_mov_b32_e32 v57, v29
	v_mov_b32_e32 v58, v20
	v_mov_b32_e32 v59, v21
	ds_write2_b64 v50, v[56:57], v[58:59] offset0:4 offset1:5
	v_mov_b32_e32 v56, v10
	v_mov_b32_e32 v57, v11
	v_mov_b32_e32 v58, v4
	v_mov_b32_e32 v59, v5
	ds_write2_b64 v50, v[56:57], v[58:59] offset0:6 offset1:7
	;; [unrolled: 5-line block ×7, first 2 shown]
	v_mov_b32_e32 v56, v30
	v_mov_b32_e32 v57, v31
	;; [unrolled: 1-line block ×5, first 2 shown]
	ds_write2_b64 v50, v[56:57], v[58:59] offset0:18 offset1:19
	ds_write_b64 v50, v[44:45] offset:160
.LBB40_61:
	s_or_b64 exec, exec, s[0:1]
	v_cmp_lt_i32_e32 vcc, 3, v51
	s_waitcnt lgkmcnt(0)
	s_barrier
	s_and_saveexec_b64 s[0:1], vcc
	s_cbranch_execz .LBB40_63
; %bb.62:
	ds_read2_b64 v[56:59], v50 offset0:4 offset1:5
	ds_read2_b64 v[60:63], v50 offset0:6 offset1:7
	v_mul_f64 v[0:1], v[46:47], v[0:1]
	ds_read2_b64 v[64:67], v50 offset0:8 offset1:9
	ds_read_b64 v[46:47], v50 offset:160
	s_waitcnt lgkmcnt(0)
	v_fma_f64 v[28:29], -v[0:1], v[56:57], v[28:29]
	v_fma_f64 v[20:21], -v[0:1], v[58:59], v[20:21]
	ds_read2_b64 v[56:59], v50 offset0:10 offset1:11
	v_fma_f64 v[10:11], -v[0:1], v[60:61], v[10:11]
	v_fma_f64 v[4:5], -v[0:1], v[62:63], v[4:5]
	ds_read2_b64 v[60:63], v50 offset0:12 offset1:13
	v_fma_f64 v[34:35], -v[0:1], v[64:65], v[34:35]
	v_fma_f64 v[26:27], -v[0:1], v[66:67], v[26:27]
	ds_read2_b64 v[64:67], v50 offset0:14 offset1:15
	s_waitcnt lgkmcnt(0)
	v_fma_f64 v[16:17], -v[0:1], v[56:57], v[16:17]
	v_fma_f64 v[8:9], -v[0:1], v[58:59], v[8:9]
	;; [unrolled: 1-line block ×4, first 2 shown]
	ds_read2_b64 v[56:59], v50 offset0:16 offset1:17
	ds_read2_b64 v[60:63], v50 offset0:18 offset1:19
	v_fma_f64 v[24:25], -v[0:1], v[64:65], v[24:25]
	v_fma_f64 v[14:15], -v[0:1], v[66:67], v[14:15]
	;; [unrolled: 1-line block ×3, first 2 shown]
	s_waitcnt lgkmcnt(0)
	v_fma_f64 v[40:41], -v[0:1], v[56:57], v[40:41]
	v_fma_f64 v[36:37], -v[0:1], v[58:59], v[36:37]
	;; [unrolled: 1-line block ×4, first 2 shown]
.LBB40_63:
	s_or_b64 exec, exec, s[0:1]
	v_lshl_add_u32 v46, v51, 3, v50
	s_barrier
	ds_write_b64 v46, v[28:29]
	s_waitcnt lgkmcnt(0)
	s_barrier
	ds_read_b64 v[46:47], v50 offset:32
	s_cmp_lt_i32 s12, 6
	v_mov_b32_e32 v48, 4
	s_cbranch_scc1 .LBB40_66
; %bb.64:
	v_add3_u32 v56, v55, 0, 40
	s_mov_b32 s0, 5
	v_mov_b32_e32 v48, 4
.LBB40_65:                              ; =>This Inner Loop Header: Depth=1
	ds_read_b64 v[58:59], v56
	v_mov_b32_e32 v57, s0
	s_add_i32 s0, s0, 1
	v_add_u32_e32 v56, 8, v56
	s_cmp_lg_u32 s12, s0
	s_waitcnt lgkmcnt(0)
	v_cmp_lt_f64_e64 vcc, |v[46:47]|, |v[58:59]|
	v_cndmask_b32_e32 v47, v47, v59, vcc
	v_cndmask_b32_e32 v46, v46, v58, vcc
	;; [unrolled: 1-line block ×3, first 2 shown]
	s_cbranch_scc1 .LBB40_65
.LBB40_66:
	s_waitcnt lgkmcnt(0)
	v_cmp_eq_f64_e32 vcc, 0, v[46:47]
	s_and_saveexec_b64 s[0:1], vcc
	s_xor_b64 s[0:1], exec, s[0:1]
; %bb.67:
	v_cmp_ne_u32_e32 vcc, 0, v54
	v_cndmask_b32_e32 v54, 5, v54, vcc
; %bb.68:
	s_andn2_saveexec_b64 s[0:1], s[0:1]
; %bb.69:
	v_div_scale_f64 v[56:57], s[2:3], v[46:47], v[46:47], 1.0
	v_rcp_f64_e32 v[58:59], v[56:57]
	v_div_scale_f64 v[60:61], vcc, 1.0, v[46:47], 1.0
	v_fma_f64 v[62:63], -v[56:57], v[58:59], 1.0
	v_fmac_f64_e32 v[58:59], v[58:59], v[62:63]
	v_fma_f64 v[62:63], -v[56:57], v[58:59], 1.0
	v_fmac_f64_e32 v[58:59], v[58:59], v[62:63]
	v_mul_f64 v[62:63], v[60:61], v[58:59]
	v_fma_f64 v[56:57], -v[56:57], v[62:63], v[60:61]
	v_div_fmas_f64 v[56:57], v[56:57], v[58:59], v[62:63]
	v_div_fixup_f64 v[46:47], v[56:57], v[46:47], 1.0
; %bb.70:
	s_or_b64 exec, exec, s[0:1]
	v_cmp_ne_u32_e32 vcc, v51, v48
	s_and_saveexec_b64 s[0:1], vcc
	s_xor_b64 s[0:1], exec, s[0:1]
	s_cbranch_execz .LBB40_76
; %bb.71:
	v_cmp_eq_u32_e32 vcc, 4, v51
	s_and_saveexec_b64 s[2:3], vcc
	s_cbranch_execz .LBB40_75
; %bb.72:
	v_cmp_ne_u32_e32 vcc, 4, v48
	s_xor_b64 s[14:15], s[6:7], -1
	s_and_b64 s[16:17], s[14:15], vcc
	s_and_saveexec_b64 s[14:15], s[16:17]
	s_cbranch_execz .LBB40_74
; %bb.73:
	v_ashrrev_i32_e32 v49, 31, v48
	v_lshlrev_b64 v[56:57], 2, v[48:49]
	v_add_co_u32_e32 v56, vcc, v42, v56
	v_addc_co_u32_e32 v57, vcc, v43, v57, vcc
	flat_load_dword v49, v[56:57]
	flat_load_dword v51, v[42:43] offset:16
	s_waitcnt vmcnt(0) lgkmcnt(0)
	flat_store_dword v[42:43], v49 offset:16
	flat_store_dword v[56:57], v51
.LBB40_74:
	s_or_b64 exec, exec, s[14:15]
	v_mov_b32_e32 v49, v48
	v_mov_b32_e32 v51, v48
.LBB40_75:
	s_or_b64 exec, exec, s[2:3]
.LBB40_76:
	s_andn2_saveexec_b64 s[0:1], s[0:1]
	s_cbranch_execz .LBB40_78
; %bb.77:
	v_mov_b32_e32 v51, 4
	ds_write2_b64 v50, v[20:21], v[10:11] offset0:5 offset1:6
	ds_write2_b64 v50, v[4:5], v[34:35] offset0:7 offset1:8
	;; [unrolled: 1-line block ×8, first 2 shown]
.LBB40_78:
	s_or_b64 exec, exec, s[0:1]
	v_cmp_lt_i32_e32 vcc, 4, v51
	s_waitcnt lgkmcnt(0)
	s_barrier
	s_and_saveexec_b64 s[0:1], vcc
	s_cbranch_execz .LBB40_80
; %bb.79:
	ds_read2_b64 v[56:59], v50 offset0:5 offset1:6
	ds_read2_b64 v[60:63], v50 offset0:7 offset1:8
	v_mul_f64 v[28:29], v[46:47], v[28:29]
	ds_read2_b64 v[64:67], v50 offset0:9 offset1:10
	s_waitcnt lgkmcnt(0)
	v_fma_f64 v[20:21], -v[28:29], v[56:57], v[20:21]
	v_fma_f64 v[10:11], -v[28:29], v[58:59], v[10:11]
	ds_read2_b64 v[56:59], v50 offset0:11 offset1:12
	v_fma_f64 v[4:5], -v[28:29], v[60:61], v[4:5]
	v_fma_f64 v[34:35], -v[28:29], v[62:63], v[34:35]
	ds_read2_b64 v[60:63], v50 offset0:13 offset1:14
	v_fma_f64 v[26:27], -v[28:29], v[64:65], v[26:27]
	v_fma_f64 v[16:17], -v[28:29], v[66:67], v[16:17]
	s_waitcnt lgkmcnt(0)
	v_fma_f64 v[8:9], -v[28:29], v[56:57], v[8:9]
	v_fma_f64 v[38:39], -v[28:29], v[58:59], v[38:39]
	ds_read2_b64 v[56:59], v50 offset0:15 offset1:16
	v_fma_f64 v[32:33], -v[28:29], v[60:61], v[32:33]
	ds_read2_b64 v[64:67], v50 offset0:17 offset1:18
	;; [unrolled: 2-line block ×3, first 2 shown]
	s_waitcnt lgkmcnt(0)
	v_fma_f64 v[14:15], -v[28:29], v[56:57], v[14:15]
	v_fma_f64 v[40:41], -v[28:29], v[58:59], v[40:41]
	;; [unrolled: 1-line block ×6, first 2 shown]
.LBB40_80:
	s_or_b64 exec, exec, s[0:1]
	v_lshl_add_u32 v46, v51, 3, v50
	s_barrier
	ds_write_b64 v46, v[20:21]
	s_waitcnt lgkmcnt(0)
	s_barrier
	ds_read_b64 v[46:47], v50 offset:40
	s_cmp_lt_i32 s12, 7
	v_mov_b32_e32 v48, 5
	s_cbranch_scc1 .LBB40_83
; %bb.81:
	v_add3_u32 v56, v55, 0, 48
	s_mov_b32 s0, 6
	v_mov_b32_e32 v48, 5
.LBB40_82:                              ; =>This Inner Loop Header: Depth=1
	ds_read_b64 v[58:59], v56
	v_mov_b32_e32 v57, s0
	s_add_i32 s0, s0, 1
	v_add_u32_e32 v56, 8, v56
	s_cmp_lg_u32 s12, s0
	s_waitcnt lgkmcnt(0)
	v_cmp_lt_f64_e64 vcc, |v[46:47]|, |v[58:59]|
	v_cndmask_b32_e32 v47, v47, v59, vcc
	v_cndmask_b32_e32 v46, v46, v58, vcc
	;; [unrolled: 1-line block ×3, first 2 shown]
	s_cbranch_scc1 .LBB40_82
.LBB40_83:
	s_waitcnt lgkmcnt(0)
	v_cmp_eq_f64_e32 vcc, 0, v[46:47]
	s_and_saveexec_b64 s[0:1], vcc
	s_xor_b64 s[0:1], exec, s[0:1]
; %bb.84:
	v_cmp_ne_u32_e32 vcc, 0, v54
	v_cndmask_b32_e32 v54, 6, v54, vcc
; %bb.85:
	s_andn2_saveexec_b64 s[0:1], s[0:1]
; %bb.86:
	v_div_scale_f64 v[56:57], s[2:3], v[46:47], v[46:47], 1.0
	v_rcp_f64_e32 v[58:59], v[56:57]
	v_div_scale_f64 v[60:61], vcc, 1.0, v[46:47], 1.0
	v_fma_f64 v[62:63], -v[56:57], v[58:59], 1.0
	v_fmac_f64_e32 v[58:59], v[58:59], v[62:63]
	v_fma_f64 v[62:63], -v[56:57], v[58:59], 1.0
	v_fmac_f64_e32 v[58:59], v[58:59], v[62:63]
	v_mul_f64 v[62:63], v[60:61], v[58:59]
	v_fma_f64 v[56:57], -v[56:57], v[62:63], v[60:61]
	v_div_fmas_f64 v[56:57], v[56:57], v[58:59], v[62:63]
	v_div_fixup_f64 v[46:47], v[56:57], v[46:47], 1.0
; %bb.87:
	s_or_b64 exec, exec, s[0:1]
	v_cmp_ne_u32_e32 vcc, v51, v48
	s_and_saveexec_b64 s[0:1], vcc
	s_xor_b64 s[0:1], exec, s[0:1]
	s_cbranch_execz .LBB40_93
; %bb.88:
	v_cmp_eq_u32_e32 vcc, 5, v51
	s_and_saveexec_b64 s[2:3], vcc
	s_cbranch_execz .LBB40_92
; %bb.89:
	v_cmp_ne_u32_e32 vcc, 5, v48
	s_xor_b64 s[14:15], s[6:7], -1
	s_and_b64 s[16:17], s[14:15], vcc
	s_and_saveexec_b64 s[14:15], s[16:17]
	s_cbranch_execz .LBB40_91
; %bb.90:
	v_ashrrev_i32_e32 v49, 31, v48
	v_lshlrev_b64 v[56:57], 2, v[48:49]
	v_add_co_u32_e32 v56, vcc, v42, v56
	v_addc_co_u32_e32 v57, vcc, v43, v57, vcc
	flat_load_dword v49, v[56:57]
	flat_load_dword v51, v[42:43] offset:20
	s_waitcnt vmcnt(0) lgkmcnt(0)
	flat_store_dword v[42:43], v49 offset:20
	flat_store_dword v[56:57], v51
.LBB40_91:
	s_or_b64 exec, exec, s[14:15]
	v_mov_b32_e32 v49, v48
	v_mov_b32_e32 v51, v48
.LBB40_92:
	s_or_b64 exec, exec, s[2:3]
.LBB40_93:
	s_andn2_saveexec_b64 s[0:1], s[0:1]
	s_cbranch_execz .LBB40_95
; %bb.94:
	v_mov_b32_e32 v56, v10
	v_mov_b32_e32 v57, v11
	v_mov_b32_e32 v58, v4
	v_mov_b32_e32 v59, v5
	ds_write2_b64 v50, v[56:57], v[58:59] offset0:6 offset1:7
	v_mov_b32_e32 v56, v34
	v_mov_b32_e32 v57, v35
	v_mov_b32_e32 v58, v26
	v_mov_b32_e32 v59, v27
	ds_write2_b64 v50, v[56:57], v[58:59] offset0:8 offset1:9
	;; [unrolled: 5-line block ×6, first 2 shown]
	v_mov_b32_e32 v56, v30
	v_mov_b32_e32 v57, v31
	;; [unrolled: 1-line block ×5, first 2 shown]
	ds_write2_b64 v50, v[56:57], v[58:59] offset0:18 offset1:19
	ds_write_b64 v50, v[44:45] offset:160
.LBB40_95:
	s_or_b64 exec, exec, s[0:1]
	v_cmp_lt_i32_e32 vcc, 5, v51
	s_waitcnt lgkmcnt(0)
	s_barrier
	s_and_saveexec_b64 s[0:1], vcc
	s_cbranch_execz .LBB40_97
; %bb.96:
	ds_read2_b64 v[56:59], v50 offset0:6 offset1:7
	ds_read2_b64 v[60:63], v50 offset0:8 offset1:9
	v_mul_f64 v[20:21], v[46:47], v[20:21]
	ds_read2_b64 v[64:67], v50 offset0:10 offset1:11
	ds_read_b64 v[46:47], v50 offset:160
	s_waitcnt lgkmcnt(0)
	v_fma_f64 v[10:11], -v[20:21], v[56:57], v[10:11]
	v_fma_f64 v[4:5], -v[20:21], v[58:59], v[4:5]
	ds_read2_b64 v[56:59], v50 offset0:12 offset1:13
	v_fma_f64 v[34:35], -v[20:21], v[60:61], v[34:35]
	v_fma_f64 v[26:27], -v[20:21], v[62:63], v[26:27]
	;; [unrolled: 1-line block ×3, first 2 shown]
	ds_read2_b64 v[60:63], v50 offset0:14 offset1:15
	v_fma_f64 v[8:9], -v[20:21], v[66:67], v[8:9]
	s_waitcnt lgkmcnt(0)
	v_fma_f64 v[38:39], -v[20:21], v[56:57], v[38:39]
	v_fma_f64 v[32:33], -v[20:21], v[58:59], v[32:33]
	ds_read2_b64 v[56:59], v50 offset0:16 offset1:17
	ds_read2_b64 v[64:67], v50 offset0:18 offset1:19
	v_fma_f64 v[24:25], -v[20:21], v[60:61], v[24:25]
	v_fma_f64 v[14:15], -v[20:21], v[62:63], v[14:15]
	;; [unrolled: 1-line block ×3, first 2 shown]
	s_waitcnt lgkmcnt(0)
	v_fma_f64 v[40:41], -v[20:21], v[56:57], v[40:41]
	v_fma_f64 v[36:37], -v[20:21], v[58:59], v[36:37]
	v_fma_f64 v[30:31], -v[20:21], v[64:65], v[30:31]
	v_fma_f64 v[22:23], -v[20:21], v[66:67], v[22:23]
.LBB40_97:
	s_or_b64 exec, exec, s[0:1]
	v_lshl_add_u32 v46, v51, 3, v50
	s_barrier
	ds_write_b64 v46, v[10:11]
	s_waitcnt lgkmcnt(0)
	s_barrier
	ds_read_b64 v[46:47], v50 offset:48
	s_cmp_lt_i32 s12, 8
	v_mov_b32_e32 v48, 6
	s_cbranch_scc1 .LBB40_100
; %bb.98:
	v_add3_u32 v56, v55, 0, 56
	s_mov_b32 s0, 7
	v_mov_b32_e32 v48, 6
.LBB40_99:                              ; =>This Inner Loop Header: Depth=1
	ds_read_b64 v[58:59], v56
	v_mov_b32_e32 v57, s0
	s_add_i32 s0, s0, 1
	v_add_u32_e32 v56, 8, v56
	s_cmp_lg_u32 s12, s0
	s_waitcnt lgkmcnt(0)
	v_cmp_lt_f64_e64 vcc, |v[46:47]|, |v[58:59]|
	v_cndmask_b32_e32 v47, v47, v59, vcc
	v_cndmask_b32_e32 v46, v46, v58, vcc
	;; [unrolled: 1-line block ×3, first 2 shown]
	s_cbranch_scc1 .LBB40_99
.LBB40_100:
	s_waitcnt lgkmcnt(0)
	v_cmp_eq_f64_e32 vcc, 0, v[46:47]
	s_and_saveexec_b64 s[0:1], vcc
	s_xor_b64 s[0:1], exec, s[0:1]
; %bb.101:
	v_cmp_ne_u32_e32 vcc, 0, v54
	v_cndmask_b32_e32 v54, 7, v54, vcc
; %bb.102:
	s_andn2_saveexec_b64 s[0:1], s[0:1]
; %bb.103:
	v_div_scale_f64 v[56:57], s[2:3], v[46:47], v[46:47], 1.0
	v_rcp_f64_e32 v[58:59], v[56:57]
	v_div_scale_f64 v[60:61], vcc, 1.0, v[46:47], 1.0
	v_fma_f64 v[62:63], -v[56:57], v[58:59], 1.0
	v_fmac_f64_e32 v[58:59], v[58:59], v[62:63]
	v_fma_f64 v[62:63], -v[56:57], v[58:59], 1.0
	v_fmac_f64_e32 v[58:59], v[58:59], v[62:63]
	v_mul_f64 v[62:63], v[60:61], v[58:59]
	v_fma_f64 v[56:57], -v[56:57], v[62:63], v[60:61]
	v_div_fmas_f64 v[56:57], v[56:57], v[58:59], v[62:63]
	v_div_fixup_f64 v[46:47], v[56:57], v[46:47], 1.0
; %bb.104:
	s_or_b64 exec, exec, s[0:1]
	v_cmp_ne_u32_e32 vcc, v51, v48
	s_and_saveexec_b64 s[0:1], vcc
	s_xor_b64 s[0:1], exec, s[0:1]
	s_cbranch_execz .LBB40_110
; %bb.105:
	v_cmp_eq_u32_e32 vcc, 6, v51
	s_and_saveexec_b64 s[2:3], vcc
	s_cbranch_execz .LBB40_109
; %bb.106:
	v_cmp_ne_u32_e32 vcc, 6, v48
	s_xor_b64 s[14:15], s[6:7], -1
	s_and_b64 s[16:17], s[14:15], vcc
	s_and_saveexec_b64 s[14:15], s[16:17]
	s_cbranch_execz .LBB40_108
; %bb.107:
	v_ashrrev_i32_e32 v49, 31, v48
	v_lshlrev_b64 v[56:57], 2, v[48:49]
	v_add_co_u32_e32 v56, vcc, v42, v56
	v_addc_co_u32_e32 v57, vcc, v43, v57, vcc
	flat_load_dword v49, v[56:57]
	flat_load_dword v51, v[42:43] offset:24
	s_waitcnt vmcnt(0) lgkmcnt(0)
	flat_store_dword v[42:43], v49 offset:24
	flat_store_dword v[56:57], v51
.LBB40_108:
	s_or_b64 exec, exec, s[14:15]
	v_mov_b32_e32 v49, v48
	v_mov_b32_e32 v51, v48
.LBB40_109:
	s_or_b64 exec, exec, s[2:3]
.LBB40_110:
	s_andn2_saveexec_b64 s[0:1], s[0:1]
	s_cbranch_execz .LBB40_112
; %bb.111:
	v_mov_b32_e32 v51, 6
	ds_write2_b64 v50, v[4:5], v[34:35] offset0:7 offset1:8
	ds_write2_b64 v50, v[26:27], v[16:17] offset0:9 offset1:10
	;; [unrolled: 1-line block ×7, first 2 shown]
.LBB40_112:
	s_or_b64 exec, exec, s[0:1]
	v_cmp_lt_i32_e32 vcc, 6, v51
	s_waitcnt lgkmcnt(0)
	s_barrier
	s_and_saveexec_b64 s[0:1], vcc
	s_cbranch_execz .LBB40_114
; %bb.113:
	ds_read2_b64 v[56:59], v50 offset0:7 offset1:8
	ds_read2_b64 v[60:63], v50 offset0:9 offset1:10
	v_mul_f64 v[10:11], v[46:47], v[10:11]
	ds_read2_b64 v[64:67], v50 offset0:11 offset1:12
	s_waitcnt lgkmcnt(0)
	v_fma_f64 v[4:5], -v[10:11], v[56:57], v[4:5]
	v_fma_f64 v[34:35], -v[10:11], v[58:59], v[34:35]
	ds_read2_b64 v[56:59], v50 offset0:13 offset1:14
	v_fma_f64 v[26:27], -v[10:11], v[60:61], v[26:27]
	v_fma_f64 v[16:17], -v[10:11], v[62:63], v[16:17]
	;; [unrolled: 1-line block ×4, first 2 shown]
	ds_read2_b64 v[60:63], v50 offset0:15 offset1:16
	ds_read2_b64 v[64:67], v50 offset0:17 offset1:18
	s_waitcnt lgkmcnt(0)
	v_fma_f64 v[32:33], -v[10:11], v[56:57], v[32:33]
	v_fma_f64 v[24:25], -v[10:11], v[58:59], v[24:25]
	ds_read2_b64 v[56:59], v50 offset0:19 offset1:20
	v_fma_f64 v[14:15], -v[10:11], v[60:61], v[14:15]
	v_fma_f64 v[40:41], -v[10:11], v[62:63], v[40:41]
	;; [unrolled: 1-line block ×4, first 2 shown]
	s_waitcnt lgkmcnt(0)
	v_fma_f64 v[22:23], -v[10:11], v[56:57], v[22:23]
	v_fma_f64 v[44:45], -v[10:11], v[58:59], v[44:45]
.LBB40_114:
	s_or_b64 exec, exec, s[0:1]
	v_lshl_add_u32 v46, v51, 3, v50
	s_barrier
	ds_write_b64 v46, v[4:5]
	s_waitcnt lgkmcnt(0)
	s_barrier
	ds_read_b64 v[46:47], v50 offset:56
	s_cmp_lt_i32 s12, 9
	v_mov_b32_e32 v48, 7
	s_cbranch_scc1 .LBB40_117
; %bb.115:
	v_add3_u32 v55, v55, 0, 64
	s_mov_b32 s0, 8
	v_mov_b32_e32 v48, 7
.LBB40_116:                             ; =>This Inner Loop Header: Depth=1
	ds_read_b64 v[56:57], v55
	v_mov_b32_e32 v58, s0
	s_add_i32 s0, s0, 1
	v_add_u32_e32 v55, 8, v55
	s_cmp_lg_u32 s12, s0
	s_waitcnt lgkmcnt(0)
	v_cmp_lt_f64_e64 vcc, |v[46:47]|, |v[56:57]|
	v_cndmask_b32_e32 v47, v47, v57, vcc
	v_cndmask_b32_e32 v46, v46, v56, vcc
	;; [unrolled: 1-line block ×3, first 2 shown]
	s_cbranch_scc1 .LBB40_116
.LBB40_117:
	s_waitcnt lgkmcnt(0)
	v_cmp_eq_f64_e32 vcc, 0, v[46:47]
	s_and_saveexec_b64 s[0:1], vcc
	s_xor_b64 s[0:1], exec, s[0:1]
; %bb.118:
	v_cmp_ne_u32_e32 vcc, 0, v54
	v_cndmask_b32_e32 v54, 8, v54, vcc
; %bb.119:
	s_andn2_saveexec_b64 s[0:1], s[0:1]
; %bb.120:
	v_div_scale_f64 v[56:57], s[2:3], v[46:47], v[46:47], 1.0
	v_rcp_f64_e32 v[58:59], v[56:57]
	v_div_scale_f64 v[60:61], vcc, 1.0, v[46:47], 1.0
	v_fma_f64 v[62:63], -v[56:57], v[58:59], 1.0
	v_fmac_f64_e32 v[58:59], v[58:59], v[62:63]
	v_fma_f64 v[62:63], -v[56:57], v[58:59], 1.0
	v_fmac_f64_e32 v[58:59], v[58:59], v[62:63]
	v_mul_f64 v[62:63], v[60:61], v[58:59]
	v_fma_f64 v[56:57], -v[56:57], v[62:63], v[60:61]
	v_div_fmas_f64 v[56:57], v[56:57], v[58:59], v[62:63]
	v_div_fixup_f64 v[46:47], v[56:57], v[46:47], 1.0
; %bb.121:
	s_or_b64 exec, exec, s[0:1]
	v_cmp_ne_u32_e32 vcc, v51, v48
	s_and_saveexec_b64 s[0:1], vcc
	s_xor_b64 s[0:1], exec, s[0:1]
	s_cbranch_execz .LBB40_127
; %bb.122:
	v_cmp_eq_u32_e32 vcc, 7, v51
	s_and_saveexec_b64 s[2:3], vcc
	s_cbranch_execz .LBB40_126
; %bb.123:
	v_cmp_ne_u32_e32 vcc, 7, v48
	s_xor_b64 s[14:15], s[6:7], -1
	s_and_b64 s[16:17], s[14:15], vcc
	s_and_saveexec_b64 s[14:15], s[16:17]
	s_cbranch_execz .LBB40_125
; %bb.124:
	v_ashrrev_i32_e32 v49, 31, v48
	v_lshlrev_b64 v[56:57], 2, v[48:49]
	v_add_co_u32_e32 v56, vcc, v42, v56
	v_addc_co_u32_e32 v57, vcc, v43, v57, vcc
	flat_load_dword v49, v[56:57]
	flat_load_dword v51, v[42:43] offset:28
	s_waitcnt vmcnt(0) lgkmcnt(0)
	flat_store_dword v[42:43], v49 offset:28
	flat_store_dword v[56:57], v51
.LBB40_125:
	s_or_b64 exec, exec, s[14:15]
	v_mov_b32_e32 v49, v48
	v_mov_b32_e32 v51, v48
.LBB40_126:
	s_or_b64 exec, exec, s[2:3]
.LBB40_127:
	s_andn2_saveexec_b64 s[0:1], s[0:1]
	s_cbranch_execz .LBB40_129
; %bb.128:
	v_mov_b32_e32 v56, v34
	v_mov_b32_e32 v57, v35
	v_mov_b32_e32 v58, v26
	v_mov_b32_e32 v59, v27
	ds_write2_b64 v50, v[56:57], v[58:59] offset0:8 offset1:9
	v_mov_b32_e32 v56, v16
	v_mov_b32_e32 v57, v17
	v_mov_b32_e32 v58, v8
	v_mov_b32_e32 v59, v9
	ds_write2_b64 v50, v[56:57], v[58:59] offset0:10 offset1:11
	;; [unrolled: 5-line block ×5, first 2 shown]
	v_mov_b32_e32 v56, v30
	v_mov_b32_e32 v57, v31
	;; [unrolled: 1-line block ×5, first 2 shown]
	ds_write2_b64 v50, v[56:57], v[58:59] offset0:18 offset1:19
	ds_write_b64 v50, v[44:45] offset:160
.LBB40_129:
	s_or_b64 exec, exec, s[0:1]
	v_cmp_lt_i32_e32 vcc, 7, v51
	s_waitcnt lgkmcnt(0)
	s_barrier
	s_and_saveexec_b64 s[0:1], vcc
	s_cbranch_execz .LBB40_131
; %bb.130:
	ds_read2_b64 v[56:59], v50 offset0:8 offset1:9
	ds_read2_b64 v[60:63], v50 offset0:10 offset1:11
	;; [unrolled: 1-line block ×3, first 2 shown]
	v_mul_f64 v[4:5], v[46:47], v[4:5]
	ds_read_b64 v[46:47], v50 offset:160
	s_waitcnt lgkmcnt(0)
	v_fma_f64 v[34:35], -v[4:5], v[56:57], v[34:35]
	v_fma_f64 v[26:27], -v[4:5], v[58:59], v[26:27]
	ds_read2_b64 v[56:59], v50 offset0:14 offset1:15
	v_fma_f64 v[16:17], -v[4:5], v[60:61], v[16:17]
	v_fma_f64 v[8:9], -v[4:5], v[62:63], v[8:9]
	;; [unrolled: 1-line block ×4, first 2 shown]
	ds_read2_b64 v[60:63], v50 offset0:16 offset1:17
	ds_read2_b64 v[64:67], v50 offset0:18 offset1:19
	s_waitcnt lgkmcnt(0)
	v_fma_f64 v[24:25], -v[4:5], v[56:57], v[24:25]
	v_fma_f64 v[14:15], -v[4:5], v[58:59], v[14:15]
	;; [unrolled: 1-line block ×7, first 2 shown]
.LBB40_131:
	s_or_b64 exec, exec, s[0:1]
	v_lshl_add_u32 v46, v51, 3, v50
	s_barrier
	ds_write_b64 v46, v[34:35]
	s_waitcnt lgkmcnt(0)
	s_barrier
	ds_read_b64 v[46:47], v50 offset:64
	s_cmp_lt_i32 s12, 10
	v_mov_b32_e32 v48, 8
	s_cbranch_scc1 .LBB40_134
; %bb.132:
	v_add_u32_e32 v55, 0x48, v50
	s_mov_b32 s0, 9
	v_mov_b32_e32 v48, 8
.LBB40_133:                             ; =>This Inner Loop Header: Depth=1
	ds_read_b64 v[56:57], v55
	v_mov_b32_e32 v58, s0
	s_add_i32 s0, s0, 1
	v_add_u32_e32 v55, 8, v55
	s_cmp_lg_u32 s12, s0
	s_waitcnt lgkmcnt(0)
	v_cmp_lt_f64_e64 vcc, |v[46:47]|, |v[56:57]|
	v_cndmask_b32_e32 v47, v47, v57, vcc
	v_cndmask_b32_e32 v46, v46, v56, vcc
	;; [unrolled: 1-line block ×3, first 2 shown]
	s_cbranch_scc1 .LBB40_133
.LBB40_134:
	s_waitcnt lgkmcnt(0)
	v_cmp_eq_f64_e32 vcc, 0, v[46:47]
	s_and_saveexec_b64 s[0:1], vcc
	s_xor_b64 s[0:1], exec, s[0:1]
; %bb.135:
	v_cmp_ne_u32_e32 vcc, 0, v54
	v_cndmask_b32_e32 v54, 9, v54, vcc
; %bb.136:
	s_andn2_saveexec_b64 s[0:1], s[0:1]
; %bb.137:
	v_div_scale_f64 v[56:57], s[2:3], v[46:47], v[46:47], 1.0
	v_rcp_f64_e32 v[58:59], v[56:57]
	v_div_scale_f64 v[60:61], vcc, 1.0, v[46:47], 1.0
	v_fma_f64 v[62:63], -v[56:57], v[58:59], 1.0
	v_fmac_f64_e32 v[58:59], v[58:59], v[62:63]
	v_fma_f64 v[62:63], -v[56:57], v[58:59], 1.0
	v_fmac_f64_e32 v[58:59], v[58:59], v[62:63]
	v_mul_f64 v[62:63], v[60:61], v[58:59]
	v_fma_f64 v[56:57], -v[56:57], v[62:63], v[60:61]
	v_div_fmas_f64 v[56:57], v[56:57], v[58:59], v[62:63]
	v_div_fixup_f64 v[46:47], v[56:57], v[46:47], 1.0
; %bb.138:
	s_or_b64 exec, exec, s[0:1]
	v_cmp_ne_u32_e32 vcc, v51, v48
	s_and_saveexec_b64 s[0:1], vcc
	s_xor_b64 s[0:1], exec, s[0:1]
	s_cbranch_execz .LBB40_144
; %bb.139:
	v_cmp_eq_u32_e32 vcc, 8, v51
	s_and_saveexec_b64 s[2:3], vcc
	s_cbranch_execz .LBB40_143
; %bb.140:
	v_cmp_ne_u32_e32 vcc, 8, v48
	s_xor_b64 s[14:15], s[6:7], -1
	s_and_b64 s[16:17], s[14:15], vcc
	s_and_saveexec_b64 s[14:15], s[16:17]
	s_cbranch_execz .LBB40_142
; %bb.141:
	v_ashrrev_i32_e32 v49, 31, v48
	v_lshlrev_b64 v[56:57], 2, v[48:49]
	v_add_co_u32_e32 v56, vcc, v42, v56
	v_addc_co_u32_e32 v57, vcc, v43, v57, vcc
	flat_load_dword v49, v[56:57]
	flat_load_dword v51, v[42:43] offset:32
	s_waitcnt vmcnt(0) lgkmcnt(0)
	flat_store_dword v[42:43], v49 offset:32
	flat_store_dword v[56:57], v51
.LBB40_142:
	s_or_b64 exec, exec, s[14:15]
	v_mov_b32_e32 v49, v48
	v_mov_b32_e32 v51, v48
.LBB40_143:
	s_or_b64 exec, exec, s[2:3]
.LBB40_144:
	s_andn2_saveexec_b64 s[0:1], s[0:1]
	s_cbranch_execz .LBB40_146
; %bb.145:
	v_mov_b32_e32 v51, 8
	ds_write2_b64 v50, v[26:27], v[16:17] offset0:9 offset1:10
	ds_write2_b64 v50, v[8:9], v[38:39] offset0:11 offset1:12
	;; [unrolled: 1-line block ×6, first 2 shown]
.LBB40_146:
	s_or_b64 exec, exec, s[0:1]
	v_cmp_lt_i32_e32 vcc, 8, v51
	s_waitcnt lgkmcnt(0)
	s_barrier
	s_and_saveexec_b64 s[0:1], vcc
	s_cbranch_execz .LBB40_148
; %bb.147:
	ds_read2_b64 v[56:59], v50 offset0:9 offset1:10
	ds_read2_b64 v[60:63], v50 offset0:11 offset1:12
	;; [unrolled: 1-line block ×3, first 2 shown]
	v_mul_f64 v[34:35], v[46:47], v[34:35]
	s_waitcnt lgkmcnt(0)
	v_fma_f64 v[26:27], -v[34:35], v[56:57], v[26:27]
	v_fma_f64 v[16:17], -v[34:35], v[58:59], v[16:17]
	ds_read2_b64 v[56:59], v50 offset0:15 offset1:16
	v_fma_f64 v[8:9], -v[34:35], v[60:61], v[8:9]
	v_fma_f64 v[38:39], -v[34:35], v[62:63], v[38:39]
	;; [unrolled: 1-line block ×3, first 2 shown]
	ds_read2_b64 v[60:63], v50 offset0:17 offset1:18
	v_fma_f64 v[24:25], -v[34:35], v[66:67], v[24:25]
	ds_read2_b64 v[64:67], v50 offset0:19 offset1:20
	s_waitcnt lgkmcnt(0)
	v_fma_f64 v[14:15], -v[34:35], v[56:57], v[14:15]
	v_fma_f64 v[40:41], -v[34:35], v[58:59], v[40:41]
	;; [unrolled: 1-line block ×6, first 2 shown]
.LBB40_148:
	s_or_b64 exec, exec, s[0:1]
	v_lshl_add_u32 v46, v51, 3, v50
	s_barrier
	ds_write_b64 v46, v[26:27]
	s_waitcnt lgkmcnt(0)
	s_barrier
	ds_read_b64 v[46:47], v50 offset:72
	s_cmp_lt_i32 s12, 11
	v_mov_b32_e32 v48, 9
	s_cbranch_scc1 .LBB40_151
; %bb.149:
	v_add_u32_e32 v55, 0x50, v50
	s_mov_b32 s0, 10
	v_mov_b32_e32 v48, 9
.LBB40_150:                             ; =>This Inner Loop Header: Depth=1
	ds_read_b64 v[56:57], v55
	v_mov_b32_e32 v58, s0
	s_add_i32 s0, s0, 1
	v_add_u32_e32 v55, 8, v55
	s_cmp_lg_u32 s12, s0
	s_waitcnt lgkmcnt(0)
	v_cmp_lt_f64_e64 vcc, |v[46:47]|, |v[56:57]|
	v_cndmask_b32_e32 v47, v47, v57, vcc
	v_cndmask_b32_e32 v46, v46, v56, vcc
	;; [unrolled: 1-line block ×3, first 2 shown]
	s_cbranch_scc1 .LBB40_150
.LBB40_151:
	s_waitcnt lgkmcnt(0)
	v_cmp_eq_f64_e32 vcc, 0, v[46:47]
	s_and_saveexec_b64 s[0:1], vcc
	s_xor_b64 s[0:1], exec, s[0:1]
; %bb.152:
	v_cmp_ne_u32_e32 vcc, 0, v54
	v_cndmask_b32_e32 v54, 10, v54, vcc
; %bb.153:
	s_andn2_saveexec_b64 s[0:1], s[0:1]
; %bb.154:
	v_div_scale_f64 v[56:57], s[2:3], v[46:47], v[46:47], 1.0
	v_rcp_f64_e32 v[58:59], v[56:57]
	v_div_scale_f64 v[60:61], vcc, 1.0, v[46:47], 1.0
	v_fma_f64 v[62:63], -v[56:57], v[58:59], 1.0
	v_fmac_f64_e32 v[58:59], v[58:59], v[62:63]
	v_fma_f64 v[62:63], -v[56:57], v[58:59], 1.0
	v_fmac_f64_e32 v[58:59], v[58:59], v[62:63]
	v_mul_f64 v[62:63], v[60:61], v[58:59]
	v_fma_f64 v[56:57], -v[56:57], v[62:63], v[60:61]
	v_div_fmas_f64 v[56:57], v[56:57], v[58:59], v[62:63]
	v_div_fixup_f64 v[46:47], v[56:57], v[46:47], 1.0
; %bb.155:
	s_or_b64 exec, exec, s[0:1]
	v_cmp_ne_u32_e32 vcc, v51, v48
	s_and_saveexec_b64 s[0:1], vcc
	s_xor_b64 s[0:1], exec, s[0:1]
	s_cbranch_execz .LBB40_161
; %bb.156:
	v_cmp_eq_u32_e32 vcc, 9, v51
	s_and_saveexec_b64 s[2:3], vcc
	s_cbranch_execz .LBB40_160
; %bb.157:
	v_cmp_ne_u32_e32 vcc, 9, v48
	s_xor_b64 s[14:15], s[6:7], -1
	s_and_b64 s[16:17], s[14:15], vcc
	s_and_saveexec_b64 s[14:15], s[16:17]
	s_cbranch_execz .LBB40_159
; %bb.158:
	v_ashrrev_i32_e32 v49, 31, v48
	v_lshlrev_b64 v[56:57], 2, v[48:49]
	v_add_co_u32_e32 v56, vcc, v42, v56
	v_addc_co_u32_e32 v57, vcc, v43, v57, vcc
	flat_load_dword v49, v[56:57]
	flat_load_dword v51, v[42:43] offset:36
	s_waitcnt vmcnt(0) lgkmcnt(0)
	flat_store_dword v[42:43], v49 offset:36
	flat_store_dword v[56:57], v51
.LBB40_159:
	s_or_b64 exec, exec, s[14:15]
	v_mov_b32_e32 v49, v48
	v_mov_b32_e32 v51, v48
.LBB40_160:
	s_or_b64 exec, exec, s[2:3]
.LBB40_161:
	s_andn2_saveexec_b64 s[0:1], s[0:1]
	s_cbranch_execz .LBB40_163
; %bb.162:
	v_mov_b32_e32 v56, v16
	v_mov_b32_e32 v57, v17
	v_mov_b32_e32 v58, v8
	v_mov_b32_e32 v59, v9
	ds_write2_b64 v50, v[56:57], v[58:59] offset0:10 offset1:11
	v_mov_b32_e32 v56, v38
	v_mov_b32_e32 v57, v39
	v_mov_b32_e32 v58, v32
	v_mov_b32_e32 v59, v33
	ds_write2_b64 v50, v[56:57], v[58:59] offset0:12 offset1:13
	;; [unrolled: 5-line block ×4, first 2 shown]
	v_mov_b32_e32 v56, v30
	v_mov_b32_e32 v57, v31
	;; [unrolled: 1-line block ×5, first 2 shown]
	ds_write2_b64 v50, v[56:57], v[58:59] offset0:18 offset1:19
	ds_write_b64 v50, v[44:45] offset:160
.LBB40_163:
	s_or_b64 exec, exec, s[0:1]
	v_cmp_lt_i32_e32 vcc, 9, v51
	s_waitcnt lgkmcnt(0)
	s_barrier
	s_and_saveexec_b64 s[0:1], vcc
	s_cbranch_execz .LBB40_165
; %bb.164:
	ds_read2_b64 v[56:59], v50 offset0:10 offset1:11
	ds_read2_b64 v[60:63], v50 offset0:12 offset1:13
	v_mul_f64 v[26:27], v[46:47], v[26:27]
	ds_read2_b64 v[64:67], v50 offset0:14 offset1:15
	ds_read_b64 v[46:47], v50 offset:160
	s_waitcnt lgkmcnt(0)
	v_fma_f64 v[16:17], -v[26:27], v[56:57], v[16:17]
	v_fma_f64 v[8:9], -v[26:27], v[58:59], v[8:9]
	ds_read2_b64 v[56:59], v50 offset0:16 offset1:17
	v_fma_f64 v[38:39], -v[26:27], v[60:61], v[38:39]
	v_fma_f64 v[32:33], -v[26:27], v[62:63], v[32:33]
	ds_read2_b64 v[60:63], v50 offset0:18 offset1:19
	v_fma_f64 v[24:25], -v[26:27], v[64:65], v[24:25]
	v_fma_f64 v[14:15], -v[26:27], v[66:67], v[14:15]
	s_waitcnt lgkmcnt(0)
	v_fma_f64 v[40:41], -v[26:27], v[56:57], v[40:41]
	v_fma_f64 v[36:37], -v[26:27], v[58:59], v[36:37]
	;; [unrolled: 1-line block ×5, first 2 shown]
.LBB40_165:
	s_or_b64 exec, exec, s[0:1]
	v_lshl_add_u32 v46, v51, 3, v50
	s_barrier
	ds_write_b64 v46, v[16:17]
	s_waitcnt lgkmcnt(0)
	s_barrier
	ds_read_b64 v[46:47], v50 offset:80
	s_cmp_lt_i32 s12, 12
	v_mov_b32_e32 v48, 10
	s_cbranch_scc1 .LBB40_168
; %bb.166:
	v_add_u32_e32 v55, 0x58, v50
	s_mov_b32 s0, 11
	v_mov_b32_e32 v48, 10
.LBB40_167:                             ; =>This Inner Loop Header: Depth=1
	ds_read_b64 v[56:57], v55
	v_mov_b32_e32 v58, s0
	s_add_i32 s0, s0, 1
	v_add_u32_e32 v55, 8, v55
	s_cmp_lg_u32 s12, s0
	s_waitcnt lgkmcnt(0)
	v_cmp_lt_f64_e64 vcc, |v[46:47]|, |v[56:57]|
	v_cndmask_b32_e32 v47, v47, v57, vcc
	v_cndmask_b32_e32 v46, v46, v56, vcc
	;; [unrolled: 1-line block ×3, first 2 shown]
	s_cbranch_scc1 .LBB40_167
.LBB40_168:
	s_waitcnt lgkmcnt(0)
	v_cmp_eq_f64_e32 vcc, 0, v[46:47]
	s_and_saveexec_b64 s[0:1], vcc
	s_xor_b64 s[0:1], exec, s[0:1]
; %bb.169:
	v_cmp_ne_u32_e32 vcc, 0, v54
	v_cndmask_b32_e32 v54, 11, v54, vcc
; %bb.170:
	s_andn2_saveexec_b64 s[0:1], s[0:1]
; %bb.171:
	v_div_scale_f64 v[56:57], s[2:3], v[46:47], v[46:47], 1.0
	v_rcp_f64_e32 v[58:59], v[56:57]
	v_div_scale_f64 v[60:61], vcc, 1.0, v[46:47], 1.0
	v_fma_f64 v[62:63], -v[56:57], v[58:59], 1.0
	v_fmac_f64_e32 v[58:59], v[58:59], v[62:63]
	v_fma_f64 v[62:63], -v[56:57], v[58:59], 1.0
	v_fmac_f64_e32 v[58:59], v[58:59], v[62:63]
	v_mul_f64 v[62:63], v[60:61], v[58:59]
	v_fma_f64 v[56:57], -v[56:57], v[62:63], v[60:61]
	v_div_fmas_f64 v[56:57], v[56:57], v[58:59], v[62:63]
	v_div_fixup_f64 v[46:47], v[56:57], v[46:47], 1.0
; %bb.172:
	s_or_b64 exec, exec, s[0:1]
	v_cmp_ne_u32_e32 vcc, v51, v48
	s_and_saveexec_b64 s[0:1], vcc
	s_xor_b64 s[0:1], exec, s[0:1]
	s_cbranch_execz .LBB40_178
; %bb.173:
	v_cmp_eq_u32_e32 vcc, 10, v51
	s_and_saveexec_b64 s[2:3], vcc
	s_cbranch_execz .LBB40_177
; %bb.174:
	v_cmp_ne_u32_e32 vcc, 10, v48
	s_xor_b64 s[14:15], s[6:7], -1
	s_and_b64 s[16:17], s[14:15], vcc
	s_and_saveexec_b64 s[14:15], s[16:17]
	s_cbranch_execz .LBB40_176
; %bb.175:
	v_ashrrev_i32_e32 v49, 31, v48
	v_lshlrev_b64 v[56:57], 2, v[48:49]
	v_add_co_u32_e32 v56, vcc, v42, v56
	v_addc_co_u32_e32 v57, vcc, v43, v57, vcc
	flat_load_dword v49, v[56:57]
	flat_load_dword v51, v[42:43] offset:40
	s_waitcnt vmcnt(0) lgkmcnt(0)
	flat_store_dword v[42:43], v49 offset:40
	flat_store_dword v[56:57], v51
.LBB40_176:
	s_or_b64 exec, exec, s[14:15]
	v_mov_b32_e32 v49, v48
	v_mov_b32_e32 v51, v48
.LBB40_177:
	s_or_b64 exec, exec, s[2:3]
.LBB40_178:
	s_andn2_saveexec_b64 s[0:1], s[0:1]
	s_cbranch_execz .LBB40_180
; %bb.179:
	v_mov_b32_e32 v51, 10
	ds_write2_b64 v50, v[8:9], v[38:39] offset0:11 offset1:12
	ds_write2_b64 v50, v[32:33], v[24:25] offset0:13 offset1:14
	;; [unrolled: 1-line block ×5, first 2 shown]
.LBB40_180:
	s_or_b64 exec, exec, s[0:1]
	v_cmp_lt_i32_e32 vcc, 10, v51
	s_waitcnt lgkmcnt(0)
	s_barrier
	s_and_saveexec_b64 s[0:1], vcc
	s_cbranch_execz .LBB40_182
; %bb.181:
	ds_read2_b64 v[56:59], v50 offset0:11 offset1:12
	ds_read2_b64 v[60:63], v50 offset0:13 offset1:14
	v_mul_f64 v[16:17], v[46:47], v[16:17]
	ds_read2_b64 v[64:67], v50 offset0:17 offset1:18
	s_waitcnt lgkmcnt(0)
	v_fma_f64 v[8:9], -v[16:17], v[56:57], v[8:9]
	v_fma_f64 v[38:39], -v[16:17], v[58:59], v[38:39]
	ds_read2_b64 v[56:59], v50 offset0:15 offset1:16
	v_fma_f64 v[32:33], -v[16:17], v[60:61], v[32:33]
	v_fma_f64 v[24:25], -v[16:17], v[62:63], v[24:25]
	ds_read2_b64 v[60:63], v50 offset0:19 offset1:20
	v_fma_f64 v[36:37], -v[16:17], v[64:65], v[36:37]
	s_waitcnt lgkmcnt(0)
	v_fma_f64 v[14:15], -v[16:17], v[56:57], v[14:15]
	v_fma_f64 v[40:41], -v[16:17], v[58:59], v[40:41]
	v_fma_f64 v[30:31], -v[16:17], v[66:67], v[30:31]
	v_fma_f64 v[22:23], -v[16:17], v[60:61], v[22:23]
	v_fma_f64 v[44:45], -v[16:17], v[62:63], v[44:45]
.LBB40_182:
	s_or_b64 exec, exec, s[0:1]
	v_lshl_add_u32 v46, v51, 3, v50
	s_barrier
	ds_write_b64 v46, v[8:9]
	s_waitcnt lgkmcnt(0)
	s_barrier
	ds_read_b64 v[46:47], v50 offset:88
	s_cmp_lt_i32 s12, 13
	v_mov_b32_e32 v48, 11
	s_cbranch_scc1 .LBB40_185
; %bb.183:
	v_add_u32_e32 v55, 0x60, v50
	s_mov_b32 s0, 12
	v_mov_b32_e32 v48, 11
.LBB40_184:                             ; =>This Inner Loop Header: Depth=1
	ds_read_b64 v[56:57], v55
	v_mov_b32_e32 v58, s0
	s_add_i32 s0, s0, 1
	v_add_u32_e32 v55, 8, v55
	s_cmp_lg_u32 s12, s0
	s_waitcnt lgkmcnt(0)
	v_cmp_lt_f64_e64 vcc, |v[46:47]|, |v[56:57]|
	v_cndmask_b32_e32 v47, v47, v57, vcc
	v_cndmask_b32_e32 v46, v46, v56, vcc
	;; [unrolled: 1-line block ×3, first 2 shown]
	s_cbranch_scc1 .LBB40_184
.LBB40_185:
	s_waitcnt lgkmcnt(0)
	v_cmp_eq_f64_e32 vcc, 0, v[46:47]
	s_and_saveexec_b64 s[0:1], vcc
	s_xor_b64 s[0:1], exec, s[0:1]
; %bb.186:
	v_cmp_ne_u32_e32 vcc, 0, v54
	v_cndmask_b32_e32 v54, 12, v54, vcc
; %bb.187:
	s_andn2_saveexec_b64 s[0:1], s[0:1]
; %bb.188:
	v_div_scale_f64 v[56:57], s[2:3], v[46:47], v[46:47], 1.0
	v_rcp_f64_e32 v[58:59], v[56:57]
	v_div_scale_f64 v[60:61], vcc, 1.0, v[46:47], 1.0
	v_fma_f64 v[62:63], -v[56:57], v[58:59], 1.0
	v_fmac_f64_e32 v[58:59], v[58:59], v[62:63]
	v_fma_f64 v[62:63], -v[56:57], v[58:59], 1.0
	v_fmac_f64_e32 v[58:59], v[58:59], v[62:63]
	v_mul_f64 v[62:63], v[60:61], v[58:59]
	v_fma_f64 v[56:57], -v[56:57], v[62:63], v[60:61]
	v_div_fmas_f64 v[56:57], v[56:57], v[58:59], v[62:63]
	v_div_fixup_f64 v[46:47], v[56:57], v[46:47], 1.0
; %bb.189:
	s_or_b64 exec, exec, s[0:1]
	v_cmp_ne_u32_e32 vcc, v51, v48
	s_and_saveexec_b64 s[0:1], vcc
	s_xor_b64 s[0:1], exec, s[0:1]
	s_cbranch_execz .LBB40_195
; %bb.190:
	v_cmp_eq_u32_e32 vcc, 11, v51
	s_and_saveexec_b64 s[2:3], vcc
	s_cbranch_execz .LBB40_194
; %bb.191:
	v_cmp_ne_u32_e32 vcc, 11, v48
	s_xor_b64 s[14:15], s[6:7], -1
	s_and_b64 s[16:17], s[14:15], vcc
	s_and_saveexec_b64 s[14:15], s[16:17]
	s_cbranch_execz .LBB40_193
; %bb.192:
	v_ashrrev_i32_e32 v49, 31, v48
	v_lshlrev_b64 v[56:57], 2, v[48:49]
	v_add_co_u32_e32 v56, vcc, v42, v56
	v_addc_co_u32_e32 v57, vcc, v43, v57, vcc
	flat_load_dword v49, v[56:57]
	flat_load_dword v51, v[42:43] offset:44
	s_waitcnt vmcnt(0) lgkmcnt(0)
	flat_store_dword v[42:43], v49 offset:44
	flat_store_dword v[56:57], v51
.LBB40_193:
	s_or_b64 exec, exec, s[14:15]
	v_mov_b32_e32 v49, v48
	v_mov_b32_e32 v51, v48
.LBB40_194:
	s_or_b64 exec, exec, s[2:3]
.LBB40_195:
	s_andn2_saveexec_b64 s[0:1], s[0:1]
	s_cbranch_execz .LBB40_197
; %bb.196:
	v_mov_b32_e32 v56, v38
	v_mov_b32_e32 v57, v39
	v_mov_b32_e32 v58, v32
	v_mov_b32_e32 v59, v33
	ds_write2_b64 v50, v[56:57], v[58:59] offset0:12 offset1:13
	v_mov_b32_e32 v56, v24
	v_mov_b32_e32 v57, v25
	v_mov_b32_e32 v58, v14
	v_mov_b32_e32 v59, v15
	ds_write2_b64 v50, v[56:57], v[58:59] offset0:14 offset1:15
	v_mov_b32_e32 v56, v40
	v_mov_b32_e32 v57, v41
	v_mov_b32_e32 v58, v36
	v_mov_b32_e32 v59, v37
	ds_write2_b64 v50, v[56:57], v[58:59] offset0:16 offset1:17
	v_mov_b32_e32 v56, v30
	v_mov_b32_e32 v57, v31
	v_mov_b32_e32 v58, v22
	v_mov_b32_e32 v59, v23
	v_mov_b32_e32 v51, 11
	ds_write2_b64 v50, v[56:57], v[58:59] offset0:18 offset1:19
	ds_write_b64 v50, v[44:45] offset:160
.LBB40_197:
	s_or_b64 exec, exec, s[0:1]
	v_cmp_lt_i32_e32 vcc, 11, v51
	s_waitcnt lgkmcnt(0)
	s_barrier
	s_and_saveexec_b64 s[0:1], vcc
	s_cbranch_execz .LBB40_199
; %bb.198:
	ds_read2_b64 v[56:59], v50 offset0:12 offset1:13
	ds_read2_b64 v[60:63], v50 offset0:14 offset1:15
	v_mul_f64 v[8:9], v[46:47], v[8:9]
	ds_read_b64 v[46:47], v50 offset:160
	ds_read2_b64 v[64:67], v50 offset0:18 offset1:19
	s_waitcnt lgkmcnt(0)
	v_fma_f64 v[38:39], -v[8:9], v[56:57], v[38:39]
	v_fma_f64 v[32:33], -v[8:9], v[58:59], v[32:33]
	ds_read2_b64 v[56:59], v50 offset0:16 offset1:17
	v_fma_f64 v[24:25], -v[8:9], v[60:61], v[24:25]
	v_fma_f64 v[14:15], -v[8:9], v[62:63], v[14:15]
	;; [unrolled: 1-line block ×4, first 2 shown]
	s_waitcnt lgkmcnt(0)
	v_fma_f64 v[40:41], -v[8:9], v[56:57], v[40:41]
	v_fma_f64 v[36:37], -v[8:9], v[58:59], v[36:37]
	;; [unrolled: 1-line block ×3, first 2 shown]
.LBB40_199:
	s_or_b64 exec, exec, s[0:1]
	v_lshl_add_u32 v46, v51, 3, v50
	s_barrier
	ds_write_b64 v46, v[38:39]
	s_waitcnt lgkmcnt(0)
	s_barrier
	ds_read_b64 v[46:47], v50 offset:96
	s_cmp_lt_i32 s12, 14
	v_mov_b32_e32 v48, 12
	s_cbranch_scc1 .LBB40_202
; %bb.200:
	v_add_u32_e32 v55, 0x68, v50
	s_mov_b32 s0, 13
	v_mov_b32_e32 v48, 12
.LBB40_201:                             ; =>This Inner Loop Header: Depth=1
	ds_read_b64 v[56:57], v55
	v_mov_b32_e32 v58, s0
	s_add_i32 s0, s0, 1
	v_add_u32_e32 v55, 8, v55
	s_cmp_lg_u32 s12, s0
	s_waitcnt lgkmcnt(0)
	v_cmp_lt_f64_e64 vcc, |v[46:47]|, |v[56:57]|
	v_cndmask_b32_e32 v47, v47, v57, vcc
	v_cndmask_b32_e32 v46, v46, v56, vcc
	;; [unrolled: 1-line block ×3, first 2 shown]
	s_cbranch_scc1 .LBB40_201
.LBB40_202:
	s_waitcnt lgkmcnt(0)
	v_cmp_eq_f64_e32 vcc, 0, v[46:47]
	s_and_saveexec_b64 s[0:1], vcc
	s_xor_b64 s[0:1], exec, s[0:1]
; %bb.203:
	v_cmp_ne_u32_e32 vcc, 0, v54
	v_cndmask_b32_e32 v54, 13, v54, vcc
; %bb.204:
	s_andn2_saveexec_b64 s[0:1], s[0:1]
; %bb.205:
	v_div_scale_f64 v[56:57], s[2:3], v[46:47], v[46:47], 1.0
	v_rcp_f64_e32 v[58:59], v[56:57]
	v_div_scale_f64 v[60:61], vcc, 1.0, v[46:47], 1.0
	v_fma_f64 v[62:63], -v[56:57], v[58:59], 1.0
	v_fmac_f64_e32 v[58:59], v[58:59], v[62:63]
	v_fma_f64 v[62:63], -v[56:57], v[58:59], 1.0
	v_fmac_f64_e32 v[58:59], v[58:59], v[62:63]
	v_mul_f64 v[62:63], v[60:61], v[58:59]
	v_fma_f64 v[56:57], -v[56:57], v[62:63], v[60:61]
	v_div_fmas_f64 v[56:57], v[56:57], v[58:59], v[62:63]
	v_div_fixup_f64 v[46:47], v[56:57], v[46:47], 1.0
; %bb.206:
	s_or_b64 exec, exec, s[0:1]
	v_cmp_ne_u32_e32 vcc, v51, v48
	s_and_saveexec_b64 s[0:1], vcc
	s_xor_b64 s[0:1], exec, s[0:1]
	s_cbranch_execz .LBB40_212
; %bb.207:
	v_cmp_eq_u32_e32 vcc, 12, v51
	s_and_saveexec_b64 s[2:3], vcc
	s_cbranch_execz .LBB40_211
; %bb.208:
	v_cmp_ne_u32_e32 vcc, 12, v48
	s_xor_b64 s[14:15], s[6:7], -1
	s_and_b64 s[16:17], s[14:15], vcc
	s_and_saveexec_b64 s[14:15], s[16:17]
	s_cbranch_execz .LBB40_210
; %bb.209:
	v_ashrrev_i32_e32 v49, 31, v48
	v_lshlrev_b64 v[56:57], 2, v[48:49]
	v_add_co_u32_e32 v56, vcc, v42, v56
	v_addc_co_u32_e32 v57, vcc, v43, v57, vcc
	flat_load_dword v49, v[56:57]
	flat_load_dword v51, v[42:43] offset:48
	s_waitcnt vmcnt(0) lgkmcnt(0)
	flat_store_dword v[42:43], v49 offset:48
	flat_store_dword v[56:57], v51
.LBB40_210:
	s_or_b64 exec, exec, s[14:15]
	v_mov_b32_e32 v49, v48
	v_mov_b32_e32 v51, v48
.LBB40_211:
	s_or_b64 exec, exec, s[2:3]
.LBB40_212:
	s_andn2_saveexec_b64 s[0:1], s[0:1]
	s_cbranch_execz .LBB40_214
; %bb.213:
	v_mov_b32_e32 v51, 12
	ds_write2_b64 v50, v[32:33], v[24:25] offset0:13 offset1:14
	ds_write2_b64 v50, v[14:15], v[40:41] offset0:15 offset1:16
	;; [unrolled: 1-line block ×4, first 2 shown]
.LBB40_214:
	s_or_b64 exec, exec, s[0:1]
	v_cmp_lt_i32_e32 vcc, 12, v51
	s_waitcnt lgkmcnt(0)
	s_barrier
	s_and_saveexec_b64 s[0:1], vcc
	s_cbranch_execz .LBB40_216
; %bb.215:
	ds_read2_b64 v[56:59], v50 offset0:13 offset1:14
	ds_read2_b64 v[60:63], v50 offset0:15 offset1:16
	v_mul_f64 v[38:39], v[46:47], v[38:39]
	ds_read2_b64 v[64:67], v50 offset0:17 offset1:18
	s_waitcnt lgkmcnt(0)
	v_fma_f64 v[32:33], -v[38:39], v[56:57], v[32:33]
	v_fma_f64 v[24:25], -v[38:39], v[58:59], v[24:25]
	ds_read2_b64 v[56:59], v50 offset0:19 offset1:20
	v_fma_f64 v[14:15], -v[38:39], v[60:61], v[14:15]
	v_fma_f64 v[40:41], -v[38:39], v[62:63], v[40:41]
	;; [unrolled: 1-line block ×4, first 2 shown]
	s_waitcnt lgkmcnt(0)
	v_fma_f64 v[22:23], -v[38:39], v[56:57], v[22:23]
	v_fma_f64 v[44:45], -v[38:39], v[58:59], v[44:45]
.LBB40_216:
	s_or_b64 exec, exec, s[0:1]
	v_lshl_add_u32 v46, v51, 3, v50
	s_barrier
	ds_write_b64 v46, v[32:33]
	s_waitcnt lgkmcnt(0)
	s_barrier
	ds_read_b64 v[46:47], v50 offset:104
	s_cmp_lt_i32 s12, 15
	v_mov_b32_e32 v48, 13
	s_cbranch_scc1 .LBB40_219
; %bb.217:
	v_add_u32_e32 v55, 0x70, v50
	s_mov_b32 s0, 14
	v_mov_b32_e32 v48, 13
.LBB40_218:                             ; =>This Inner Loop Header: Depth=1
	ds_read_b64 v[56:57], v55
	v_mov_b32_e32 v58, s0
	s_add_i32 s0, s0, 1
	v_add_u32_e32 v55, 8, v55
	s_cmp_lg_u32 s12, s0
	s_waitcnt lgkmcnt(0)
	v_cmp_lt_f64_e64 vcc, |v[46:47]|, |v[56:57]|
	v_cndmask_b32_e32 v47, v47, v57, vcc
	v_cndmask_b32_e32 v46, v46, v56, vcc
	;; [unrolled: 1-line block ×3, first 2 shown]
	s_cbranch_scc1 .LBB40_218
.LBB40_219:
	s_waitcnt lgkmcnt(0)
	v_cmp_eq_f64_e32 vcc, 0, v[46:47]
	s_and_saveexec_b64 s[0:1], vcc
	s_xor_b64 s[0:1], exec, s[0:1]
; %bb.220:
	v_cmp_ne_u32_e32 vcc, 0, v54
	v_cndmask_b32_e32 v54, 14, v54, vcc
; %bb.221:
	s_andn2_saveexec_b64 s[0:1], s[0:1]
; %bb.222:
	v_div_scale_f64 v[56:57], s[2:3], v[46:47], v[46:47], 1.0
	v_rcp_f64_e32 v[58:59], v[56:57]
	v_div_scale_f64 v[60:61], vcc, 1.0, v[46:47], 1.0
	v_fma_f64 v[62:63], -v[56:57], v[58:59], 1.0
	v_fmac_f64_e32 v[58:59], v[58:59], v[62:63]
	v_fma_f64 v[62:63], -v[56:57], v[58:59], 1.0
	v_fmac_f64_e32 v[58:59], v[58:59], v[62:63]
	v_mul_f64 v[62:63], v[60:61], v[58:59]
	v_fma_f64 v[56:57], -v[56:57], v[62:63], v[60:61]
	v_div_fmas_f64 v[56:57], v[56:57], v[58:59], v[62:63]
	v_div_fixup_f64 v[46:47], v[56:57], v[46:47], 1.0
; %bb.223:
	s_or_b64 exec, exec, s[0:1]
	v_cmp_ne_u32_e32 vcc, v51, v48
	s_and_saveexec_b64 s[0:1], vcc
	s_xor_b64 s[0:1], exec, s[0:1]
	s_cbranch_execz .LBB40_229
; %bb.224:
	v_cmp_eq_u32_e32 vcc, 13, v51
	s_and_saveexec_b64 s[2:3], vcc
	s_cbranch_execz .LBB40_228
; %bb.225:
	v_cmp_ne_u32_e32 vcc, 13, v48
	s_xor_b64 s[14:15], s[6:7], -1
	s_and_b64 s[16:17], s[14:15], vcc
	s_and_saveexec_b64 s[14:15], s[16:17]
	s_cbranch_execz .LBB40_227
; %bb.226:
	v_ashrrev_i32_e32 v49, 31, v48
	v_lshlrev_b64 v[56:57], 2, v[48:49]
	v_add_co_u32_e32 v56, vcc, v42, v56
	v_addc_co_u32_e32 v57, vcc, v43, v57, vcc
	flat_load_dword v49, v[56:57]
	flat_load_dword v51, v[42:43] offset:52
	s_waitcnt vmcnt(0) lgkmcnt(0)
	flat_store_dword v[42:43], v49 offset:52
	flat_store_dword v[56:57], v51
.LBB40_227:
	s_or_b64 exec, exec, s[14:15]
	v_mov_b32_e32 v49, v48
	v_mov_b32_e32 v51, v48
.LBB40_228:
	s_or_b64 exec, exec, s[2:3]
.LBB40_229:
	s_andn2_saveexec_b64 s[0:1], s[0:1]
	s_cbranch_execz .LBB40_231
; %bb.230:
	v_mov_b32_e32 v56, v24
	v_mov_b32_e32 v57, v25
	;; [unrolled: 1-line block ×4, first 2 shown]
	ds_write2_b64 v50, v[56:57], v[58:59] offset0:14 offset1:15
	v_mov_b32_e32 v56, v40
	v_mov_b32_e32 v57, v41
	;; [unrolled: 1-line block ×4, first 2 shown]
	ds_write2_b64 v50, v[56:57], v[58:59] offset0:16 offset1:17
	v_mov_b32_e32 v56, v30
	v_mov_b32_e32 v57, v31
	;; [unrolled: 1-line block ×5, first 2 shown]
	ds_write2_b64 v50, v[56:57], v[58:59] offset0:18 offset1:19
	ds_write_b64 v50, v[44:45] offset:160
.LBB40_231:
	s_or_b64 exec, exec, s[0:1]
	v_cmp_lt_i32_e32 vcc, 13, v51
	s_waitcnt lgkmcnt(0)
	s_barrier
	s_and_saveexec_b64 s[0:1], vcc
	s_cbranch_execz .LBB40_233
; %bb.232:
	ds_read2_b64 v[56:59], v50 offset0:14 offset1:15
	ds_read2_b64 v[60:63], v50 offset0:16 offset1:17
	v_mul_f64 v[32:33], v[46:47], v[32:33]
	ds_read2_b64 v[64:67], v50 offset0:18 offset1:19
	ds_read_b64 v[46:47], v50 offset:160
	s_waitcnt lgkmcnt(0)
	v_fma_f64 v[24:25], -v[32:33], v[56:57], v[24:25]
	v_fma_f64 v[14:15], -v[32:33], v[58:59], v[14:15]
	;; [unrolled: 1-line block ×7, first 2 shown]
.LBB40_233:
	s_or_b64 exec, exec, s[0:1]
	v_lshl_add_u32 v46, v51, 3, v50
	s_barrier
	ds_write_b64 v46, v[24:25]
	s_waitcnt lgkmcnt(0)
	s_barrier
	ds_read_b64 v[46:47], v50 offset:112
	s_cmp_lt_i32 s12, 16
	v_mov_b32_e32 v48, 14
	s_cbranch_scc1 .LBB40_236
; %bb.234:
	v_add_u32_e32 v55, 0x78, v50
	s_mov_b32 s0, 15
	v_mov_b32_e32 v48, 14
.LBB40_235:                             ; =>This Inner Loop Header: Depth=1
	ds_read_b64 v[56:57], v55
	v_mov_b32_e32 v58, s0
	s_add_i32 s0, s0, 1
	v_add_u32_e32 v55, 8, v55
	s_cmp_lg_u32 s12, s0
	s_waitcnt lgkmcnt(0)
	v_cmp_lt_f64_e64 vcc, |v[46:47]|, |v[56:57]|
	v_cndmask_b32_e32 v47, v47, v57, vcc
	v_cndmask_b32_e32 v46, v46, v56, vcc
	;; [unrolled: 1-line block ×3, first 2 shown]
	s_cbranch_scc1 .LBB40_235
.LBB40_236:
	s_waitcnt lgkmcnt(0)
	v_cmp_eq_f64_e32 vcc, 0, v[46:47]
	s_and_saveexec_b64 s[0:1], vcc
	s_xor_b64 s[0:1], exec, s[0:1]
; %bb.237:
	v_cmp_ne_u32_e32 vcc, 0, v54
	v_cndmask_b32_e32 v54, 15, v54, vcc
; %bb.238:
	s_andn2_saveexec_b64 s[0:1], s[0:1]
; %bb.239:
	v_div_scale_f64 v[56:57], s[2:3], v[46:47], v[46:47], 1.0
	v_rcp_f64_e32 v[58:59], v[56:57]
	v_div_scale_f64 v[60:61], vcc, 1.0, v[46:47], 1.0
	v_fma_f64 v[62:63], -v[56:57], v[58:59], 1.0
	v_fmac_f64_e32 v[58:59], v[58:59], v[62:63]
	v_fma_f64 v[62:63], -v[56:57], v[58:59], 1.0
	v_fmac_f64_e32 v[58:59], v[58:59], v[62:63]
	v_mul_f64 v[62:63], v[60:61], v[58:59]
	v_fma_f64 v[56:57], -v[56:57], v[62:63], v[60:61]
	v_div_fmas_f64 v[56:57], v[56:57], v[58:59], v[62:63]
	v_div_fixup_f64 v[46:47], v[56:57], v[46:47], 1.0
; %bb.240:
	s_or_b64 exec, exec, s[0:1]
	v_cmp_ne_u32_e32 vcc, v51, v48
	s_and_saveexec_b64 s[0:1], vcc
	s_xor_b64 s[0:1], exec, s[0:1]
	s_cbranch_execz .LBB40_246
; %bb.241:
	v_cmp_eq_u32_e32 vcc, 14, v51
	s_and_saveexec_b64 s[2:3], vcc
	s_cbranch_execz .LBB40_245
; %bb.242:
	v_cmp_ne_u32_e32 vcc, 14, v48
	s_xor_b64 s[14:15], s[6:7], -1
	s_and_b64 s[16:17], s[14:15], vcc
	s_and_saveexec_b64 s[14:15], s[16:17]
	s_cbranch_execz .LBB40_244
; %bb.243:
	v_ashrrev_i32_e32 v49, 31, v48
	v_lshlrev_b64 v[56:57], 2, v[48:49]
	v_add_co_u32_e32 v56, vcc, v42, v56
	v_addc_co_u32_e32 v57, vcc, v43, v57, vcc
	flat_load_dword v49, v[56:57]
	flat_load_dword v51, v[42:43] offset:56
	s_waitcnt vmcnt(0) lgkmcnt(0)
	flat_store_dword v[42:43], v49 offset:56
	flat_store_dword v[56:57], v51
.LBB40_244:
	s_or_b64 exec, exec, s[14:15]
	v_mov_b32_e32 v49, v48
	v_mov_b32_e32 v51, v48
.LBB40_245:
	s_or_b64 exec, exec, s[2:3]
.LBB40_246:
	s_andn2_saveexec_b64 s[0:1], s[0:1]
	s_cbranch_execz .LBB40_248
; %bb.247:
	v_mov_b32_e32 v51, 14
	ds_write2_b64 v50, v[14:15], v[40:41] offset0:15 offset1:16
	ds_write2_b64 v50, v[36:37], v[30:31] offset0:17 offset1:18
	;; [unrolled: 1-line block ×3, first 2 shown]
.LBB40_248:
	s_or_b64 exec, exec, s[0:1]
	v_cmp_lt_i32_e32 vcc, 14, v51
	s_waitcnt lgkmcnt(0)
	s_barrier
	s_and_saveexec_b64 s[0:1], vcc
	s_cbranch_execz .LBB40_250
; %bb.249:
	ds_read2_b64 v[56:59], v50 offset0:15 offset1:16
	ds_read2_b64 v[60:63], v50 offset0:17 offset1:18
	;; [unrolled: 1-line block ×3, first 2 shown]
	v_mul_f64 v[24:25], v[46:47], v[24:25]
	s_waitcnt lgkmcnt(0)
	v_fma_f64 v[14:15], -v[24:25], v[56:57], v[14:15]
	v_fma_f64 v[40:41], -v[24:25], v[58:59], v[40:41]
	;; [unrolled: 1-line block ×6, first 2 shown]
.LBB40_250:
	s_or_b64 exec, exec, s[0:1]
	v_lshl_add_u32 v46, v51, 3, v50
	s_barrier
	ds_write_b64 v46, v[14:15]
	s_waitcnt lgkmcnt(0)
	s_barrier
	ds_read_b64 v[46:47], v50 offset:120
	s_cmp_lt_i32 s12, 17
	v_mov_b32_e32 v48, 15
	s_cbranch_scc1 .LBB40_253
; %bb.251:
	v_add_u32_e32 v55, 0x80, v50
	s_mov_b32 s0, 16
	v_mov_b32_e32 v48, 15
.LBB40_252:                             ; =>This Inner Loop Header: Depth=1
	ds_read_b64 v[56:57], v55
	v_mov_b32_e32 v58, s0
	s_add_i32 s0, s0, 1
	v_add_u32_e32 v55, 8, v55
	s_cmp_lg_u32 s12, s0
	s_waitcnt lgkmcnt(0)
	v_cmp_lt_f64_e64 vcc, |v[46:47]|, |v[56:57]|
	v_cndmask_b32_e32 v47, v47, v57, vcc
	v_cndmask_b32_e32 v46, v46, v56, vcc
	;; [unrolled: 1-line block ×3, first 2 shown]
	s_cbranch_scc1 .LBB40_252
.LBB40_253:
	s_waitcnt lgkmcnt(0)
	v_cmp_eq_f64_e32 vcc, 0, v[46:47]
	s_and_saveexec_b64 s[0:1], vcc
	s_xor_b64 s[0:1], exec, s[0:1]
; %bb.254:
	v_cmp_ne_u32_e32 vcc, 0, v54
	v_cndmask_b32_e32 v54, 16, v54, vcc
; %bb.255:
	s_andn2_saveexec_b64 s[0:1], s[0:1]
; %bb.256:
	v_div_scale_f64 v[56:57], s[2:3], v[46:47], v[46:47], 1.0
	v_rcp_f64_e32 v[58:59], v[56:57]
	v_div_scale_f64 v[60:61], vcc, 1.0, v[46:47], 1.0
	v_fma_f64 v[62:63], -v[56:57], v[58:59], 1.0
	v_fmac_f64_e32 v[58:59], v[58:59], v[62:63]
	v_fma_f64 v[62:63], -v[56:57], v[58:59], 1.0
	v_fmac_f64_e32 v[58:59], v[58:59], v[62:63]
	v_mul_f64 v[62:63], v[60:61], v[58:59]
	v_fma_f64 v[56:57], -v[56:57], v[62:63], v[60:61]
	v_div_fmas_f64 v[56:57], v[56:57], v[58:59], v[62:63]
	v_div_fixup_f64 v[46:47], v[56:57], v[46:47], 1.0
; %bb.257:
	s_or_b64 exec, exec, s[0:1]
	v_cmp_ne_u32_e32 vcc, v51, v48
	s_and_saveexec_b64 s[0:1], vcc
	s_xor_b64 s[0:1], exec, s[0:1]
	s_cbranch_execz .LBB40_263
; %bb.258:
	v_cmp_eq_u32_e32 vcc, 15, v51
	s_and_saveexec_b64 s[2:3], vcc
	s_cbranch_execz .LBB40_262
; %bb.259:
	v_cmp_ne_u32_e32 vcc, 15, v48
	s_xor_b64 s[14:15], s[6:7], -1
	s_and_b64 s[16:17], s[14:15], vcc
	s_and_saveexec_b64 s[14:15], s[16:17]
	s_cbranch_execz .LBB40_261
; %bb.260:
	v_ashrrev_i32_e32 v49, 31, v48
	v_lshlrev_b64 v[56:57], 2, v[48:49]
	v_add_co_u32_e32 v56, vcc, v42, v56
	v_addc_co_u32_e32 v57, vcc, v43, v57, vcc
	flat_load_dword v49, v[56:57]
	flat_load_dword v51, v[42:43] offset:60
	s_waitcnt vmcnt(0) lgkmcnt(0)
	flat_store_dword v[42:43], v49 offset:60
	flat_store_dword v[56:57], v51
.LBB40_261:
	s_or_b64 exec, exec, s[14:15]
	v_mov_b32_e32 v49, v48
	v_mov_b32_e32 v51, v48
.LBB40_262:
	s_or_b64 exec, exec, s[2:3]
.LBB40_263:
	s_andn2_saveexec_b64 s[0:1], s[0:1]
	s_cbranch_execz .LBB40_265
; %bb.264:
	v_mov_b32_e32 v56, v40
	v_mov_b32_e32 v57, v41
	;; [unrolled: 1-line block ×4, first 2 shown]
	ds_write2_b64 v50, v[56:57], v[58:59] offset0:16 offset1:17
	v_mov_b32_e32 v56, v30
	v_mov_b32_e32 v57, v31
	;; [unrolled: 1-line block ×5, first 2 shown]
	ds_write2_b64 v50, v[56:57], v[58:59] offset0:18 offset1:19
	ds_write_b64 v50, v[44:45] offset:160
.LBB40_265:
	s_or_b64 exec, exec, s[0:1]
	v_cmp_lt_i32_e32 vcc, 15, v51
	s_waitcnt lgkmcnt(0)
	s_barrier
	s_and_saveexec_b64 s[0:1], vcc
	s_cbranch_execz .LBB40_267
; %bb.266:
	ds_read2_b64 v[56:59], v50 offset0:16 offset1:17
	ds_read2_b64 v[60:63], v50 offset0:18 offset1:19
	v_mul_f64 v[14:15], v[46:47], v[14:15]
	ds_read_b64 v[46:47], v50 offset:160
	s_waitcnt lgkmcnt(0)
	v_fma_f64 v[40:41], -v[14:15], v[56:57], v[40:41]
	v_fma_f64 v[36:37], -v[14:15], v[58:59], v[36:37]
	;; [unrolled: 1-line block ×5, first 2 shown]
.LBB40_267:
	s_or_b64 exec, exec, s[0:1]
	v_lshl_add_u32 v46, v51, 3, v50
	s_barrier
	ds_write_b64 v46, v[40:41]
	s_waitcnt lgkmcnt(0)
	s_barrier
	ds_read_b64 v[46:47], v50 offset:128
	s_cmp_lt_i32 s12, 18
	v_mov_b32_e32 v48, 16
	s_cbranch_scc1 .LBB40_270
; %bb.268:
	v_add_u32_e32 v55, 0x88, v50
	s_mov_b32 s0, 17
	v_mov_b32_e32 v48, 16
.LBB40_269:                             ; =>This Inner Loop Header: Depth=1
	ds_read_b64 v[56:57], v55
	v_mov_b32_e32 v58, s0
	s_add_i32 s0, s0, 1
	v_add_u32_e32 v55, 8, v55
	s_cmp_lg_u32 s12, s0
	s_waitcnt lgkmcnt(0)
	v_cmp_lt_f64_e64 vcc, |v[46:47]|, |v[56:57]|
	v_cndmask_b32_e32 v47, v47, v57, vcc
	v_cndmask_b32_e32 v46, v46, v56, vcc
	;; [unrolled: 1-line block ×3, first 2 shown]
	s_cbranch_scc1 .LBB40_269
.LBB40_270:
	s_waitcnt lgkmcnt(0)
	v_cmp_eq_f64_e32 vcc, 0, v[46:47]
	s_and_saveexec_b64 s[0:1], vcc
	s_xor_b64 s[0:1], exec, s[0:1]
; %bb.271:
	v_cmp_ne_u32_e32 vcc, 0, v54
	v_cndmask_b32_e32 v54, 17, v54, vcc
; %bb.272:
	s_andn2_saveexec_b64 s[0:1], s[0:1]
; %bb.273:
	v_div_scale_f64 v[56:57], s[2:3], v[46:47], v[46:47], 1.0
	v_rcp_f64_e32 v[58:59], v[56:57]
	v_div_scale_f64 v[60:61], vcc, 1.0, v[46:47], 1.0
	v_fma_f64 v[62:63], -v[56:57], v[58:59], 1.0
	v_fmac_f64_e32 v[58:59], v[58:59], v[62:63]
	v_fma_f64 v[62:63], -v[56:57], v[58:59], 1.0
	v_fmac_f64_e32 v[58:59], v[58:59], v[62:63]
	v_mul_f64 v[62:63], v[60:61], v[58:59]
	v_fma_f64 v[56:57], -v[56:57], v[62:63], v[60:61]
	v_div_fmas_f64 v[56:57], v[56:57], v[58:59], v[62:63]
	v_div_fixup_f64 v[46:47], v[56:57], v[46:47], 1.0
; %bb.274:
	s_or_b64 exec, exec, s[0:1]
	v_cmp_ne_u32_e32 vcc, v51, v48
	s_and_saveexec_b64 s[0:1], vcc
	s_xor_b64 s[0:1], exec, s[0:1]
	s_cbranch_execz .LBB40_280
; %bb.275:
	v_cmp_eq_u32_e32 vcc, 16, v51
	s_and_saveexec_b64 s[2:3], vcc
	s_cbranch_execz .LBB40_279
; %bb.276:
	v_cmp_ne_u32_e32 vcc, 16, v48
	s_xor_b64 s[14:15], s[6:7], -1
	s_and_b64 s[16:17], s[14:15], vcc
	s_and_saveexec_b64 s[14:15], s[16:17]
	s_cbranch_execz .LBB40_278
; %bb.277:
	v_ashrrev_i32_e32 v49, 31, v48
	v_lshlrev_b64 v[56:57], 2, v[48:49]
	v_add_co_u32_e32 v56, vcc, v42, v56
	v_addc_co_u32_e32 v57, vcc, v43, v57, vcc
	flat_load_dword v49, v[56:57]
	flat_load_dword v51, v[42:43] offset:64
	s_waitcnt vmcnt(0) lgkmcnt(0)
	flat_store_dword v[42:43], v49 offset:64
	flat_store_dword v[56:57], v51
.LBB40_278:
	s_or_b64 exec, exec, s[14:15]
	v_mov_b32_e32 v49, v48
	v_mov_b32_e32 v51, v48
.LBB40_279:
	s_or_b64 exec, exec, s[2:3]
.LBB40_280:
	s_andn2_saveexec_b64 s[0:1], s[0:1]
	s_cbranch_execz .LBB40_282
; %bb.281:
	v_mov_b32_e32 v51, 16
	ds_write2_b64 v50, v[36:37], v[30:31] offset0:17 offset1:18
	ds_write2_b64 v50, v[22:23], v[44:45] offset0:19 offset1:20
.LBB40_282:
	s_or_b64 exec, exec, s[0:1]
	v_cmp_lt_i32_e32 vcc, 16, v51
	s_waitcnt lgkmcnt(0)
	s_barrier
	s_and_saveexec_b64 s[0:1], vcc
	s_cbranch_execz .LBB40_284
; %bb.283:
	ds_read2_b64 v[56:59], v50 offset0:17 offset1:18
	ds_read2_b64 v[60:63], v50 offset0:19 offset1:20
	v_mul_f64 v[40:41], v[46:47], v[40:41]
	s_waitcnt lgkmcnt(0)
	v_fma_f64 v[36:37], -v[40:41], v[56:57], v[36:37]
	v_fma_f64 v[30:31], -v[40:41], v[58:59], v[30:31]
	;; [unrolled: 1-line block ×4, first 2 shown]
.LBB40_284:
	s_or_b64 exec, exec, s[0:1]
	v_lshl_add_u32 v46, v51, 3, v50
	s_barrier
	ds_write_b64 v46, v[36:37]
	s_waitcnt lgkmcnt(0)
	s_barrier
	ds_read_b64 v[46:47], v50 offset:136
	s_cmp_lt_i32 s12, 19
	v_mov_b32_e32 v48, 17
	s_cbranch_scc1 .LBB40_287
; %bb.285:
	v_add_u32_e32 v55, 0x90, v50
	s_mov_b32 s0, 18
	v_mov_b32_e32 v48, 17
.LBB40_286:                             ; =>This Inner Loop Header: Depth=1
	ds_read_b64 v[56:57], v55
	v_mov_b32_e32 v58, s0
	s_add_i32 s0, s0, 1
	v_add_u32_e32 v55, 8, v55
	s_cmp_lg_u32 s12, s0
	s_waitcnt lgkmcnt(0)
	v_cmp_lt_f64_e64 vcc, |v[46:47]|, |v[56:57]|
	v_cndmask_b32_e32 v47, v47, v57, vcc
	v_cndmask_b32_e32 v46, v46, v56, vcc
	v_cndmask_b32_e32 v48, v48, v58, vcc
	s_cbranch_scc1 .LBB40_286
.LBB40_287:
	s_waitcnt lgkmcnt(0)
	v_cmp_eq_f64_e32 vcc, 0, v[46:47]
	s_and_saveexec_b64 s[0:1], vcc
	s_xor_b64 s[0:1], exec, s[0:1]
; %bb.288:
	v_cmp_ne_u32_e32 vcc, 0, v54
	v_cndmask_b32_e32 v54, 18, v54, vcc
; %bb.289:
	s_andn2_saveexec_b64 s[0:1], s[0:1]
; %bb.290:
	v_div_scale_f64 v[56:57], s[2:3], v[46:47], v[46:47], 1.0
	v_rcp_f64_e32 v[58:59], v[56:57]
	v_div_scale_f64 v[60:61], vcc, 1.0, v[46:47], 1.0
	v_fma_f64 v[62:63], -v[56:57], v[58:59], 1.0
	v_fmac_f64_e32 v[58:59], v[58:59], v[62:63]
	v_fma_f64 v[62:63], -v[56:57], v[58:59], 1.0
	v_fmac_f64_e32 v[58:59], v[58:59], v[62:63]
	v_mul_f64 v[62:63], v[60:61], v[58:59]
	v_fma_f64 v[56:57], -v[56:57], v[62:63], v[60:61]
	v_div_fmas_f64 v[56:57], v[56:57], v[58:59], v[62:63]
	v_div_fixup_f64 v[46:47], v[56:57], v[46:47], 1.0
; %bb.291:
	s_or_b64 exec, exec, s[0:1]
	v_cmp_ne_u32_e32 vcc, v51, v48
	s_and_saveexec_b64 s[0:1], vcc
	s_xor_b64 s[0:1], exec, s[0:1]
	s_cbranch_execz .LBB40_297
; %bb.292:
	v_cmp_eq_u32_e32 vcc, 17, v51
	s_and_saveexec_b64 s[2:3], vcc
	s_cbranch_execz .LBB40_296
; %bb.293:
	v_cmp_ne_u32_e32 vcc, 17, v48
	s_xor_b64 s[14:15], s[6:7], -1
	s_and_b64 s[16:17], s[14:15], vcc
	s_and_saveexec_b64 s[14:15], s[16:17]
	s_cbranch_execz .LBB40_295
; %bb.294:
	v_ashrrev_i32_e32 v49, 31, v48
	v_lshlrev_b64 v[56:57], 2, v[48:49]
	v_add_co_u32_e32 v56, vcc, v42, v56
	v_addc_co_u32_e32 v57, vcc, v43, v57, vcc
	flat_load_dword v49, v[56:57]
	flat_load_dword v51, v[42:43] offset:68
	s_waitcnt vmcnt(0) lgkmcnt(0)
	flat_store_dword v[42:43], v49 offset:68
	flat_store_dword v[56:57], v51
.LBB40_295:
	s_or_b64 exec, exec, s[14:15]
	v_mov_b32_e32 v49, v48
	v_mov_b32_e32 v51, v48
.LBB40_296:
	s_or_b64 exec, exec, s[2:3]
.LBB40_297:
	s_andn2_saveexec_b64 s[0:1], s[0:1]
	s_cbranch_execz .LBB40_299
; %bb.298:
	v_mov_b32_e32 v56, v30
	v_mov_b32_e32 v57, v31
	;; [unrolled: 1-line block ×5, first 2 shown]
	ds_write2_b64 v50, v[56:57], v[58:59] offset0:18 offset1:19
	ds_write_b64 v50, v[44:45] offset:160
.LBB40_299:
	s_or_b64 exec, exec, s[0:1]
	v_cmp_lt_i32_e32 vcc, 17, v51
	s_waitcnt lgkmcnt(0)
	s_barrier
	s_and_saveexec_b64 s[0:1], vcc
	s_cbranch_execz .LBB40_301
; %bb.300:
	ds_read2_b64 v[56:59], v50 offset0:18 offset1:19
	ds_read_b64 v[60:61], v50 offset:160
	v_mul_f64 v[36:37], v[46:47], v[36:37]
	s_waitcnt lgkmcnt(0)
	v_fma_f64 v[30:31], -v[36:37], v[56:57], v[30:31]
	v_fma_f64 v[22:23], -v[36:37], v[58:59], v[22:23]
	;; [unrolled: 1-line block ×3, first 2 shown]
.LBB40_301:
	s_or_b64 exec, exec, s[0:1]
	v_lshl_add_u32 v46, v51, 3, v50
	s_barrier
	ds_write_b64 v46, v[30:31]
	s_waitcnt lgkmcnt(0)
	s_barrier
	ds_read_b64 v[46:47], v50 offset:144
	s_cmp_lt_i32 s12, 20
	v_mov_b32_e32 v48, 18
	s_cbranch_scc1 .LBB40_304
; %bb.302:
	v_add_u32_e32 v55, 0x98, v50
	s_mov_b32 s0, 19
	v_mov_b32_e32 v48, 18
.LBB40_303:                             ; =>This Inner Loop Header: Depth=1
	ds_read_b64 v[56:57], v55
	v_mov_b32_e32 v58, s0
	s_add_i32 s0, s0, 1
	v_add_u32_e32 v55, 8, v55
	s_cmp_lg_u32 s12, s0
	s_waitcnt lgkmcnt(0)
	v_cmp_lt_f64_e64 vcc, |v[46:47]|, |v[56:57]|
	v_cndmask_b32_e32 v47, v47, v57, vcc
	v_cndmask_b32_e32 v46, v46, v56, vcc
	;; [unrolled: 1-line block ×3, first 2 shown]
	s_cbranch_scc1 .LBB40_303
.LBB40_304:
	s_waitcnt lgkmcnt(0)
	v_cmp_eq_f64_e32 vcc, 0, v[46:47]
	s_and_saveexec_b64 s[0:1], vcc
	s_xor_b64 s[0:1], exec, s[0:1]
; %bb.305:
	v_cmp_ne_u32_e32 vcc, 0, v54
	v_cndmask_b32_e32 v54, 19, v54, vcc
; %bb.306:
	s_andn2_saveexec_b64 s[0:1], s[0:1]
; %bb.307:
	v_div_scale_f64 v[56:57], s[2:3], v[46:47], v[46:47], 1.0
	v_rcp_f64_e32 v[58:59], v[56:57]
	v_div_scale_f64 v[60:61], vcc, 1.0, v[46:47], 1.0
	v_fma_f64 v[62:63], -v[56:57], v[58:59], 1.0
	v_fmac_f64_e32 v[58:59], v[58:59], v[62:63]
	v_fma_f64 v[62:63], -v[56:57], v[58:59], 1.0
	v_fmac_f64_e32 v[58:59], v[58:59], v[62:63]
	v_mul_f64 v[62:63], v[60:61], v[58:59]
	v_fma_f64 v[56:57], -v[56:57], v[62:63], v[60:61]
	v_div_fmas_f64 v[56:57], v[56:57], v[58:59], v[62:63]
	v_div_fixup_f64 v[46:47], v[56:57], v[46:47], 1.0
; %bb.308:
	s_or_b64 exec, exec, s[0:1]
	v_cmp_ne_u32_e32 vcc, v51, v48
	s_and_saveexec_b64 s[0:1], vcc
	s_xor_b64 s[0:1], exec, s[0:1]
	s_cbranch_execz .LBB40_314
; %bb.309:
	v_cmp_eq_u32_e32 vcc, 18, v51
	s_and_saveexec_b64 s[2:3], vcc
	s_cbranch_execz .LBB40_313
; %bb.310:
	v_cmp_ne_u32_e32 vcc, 18, v48
	s_xor_b64 s[14:15], s[6:7], -1
	s_and_b64 s[16:17], s[14:15], vcc
	s_and_saveexec_b64 s[14:15], s[16:17]
	s_cbranch_execz .LBB40_312
; %bb.311:
	v_ashrrev_i32_e32 v49, 31, v48
	v_lshlrev_b64 v[56:57], 2, v[48:49]
	v_add_co_u32_e32 v56, vcc, v42, v56
	v_addc_co_u32_e32 v57, vcc, v43, v57, vcc
	flat_load_dword v49, v[56:57]
	flat_load_dword v51, v[42:43] offset:72
	s_waitcnt vmcnt(0) lgkmcnt(0)
	flat_store_dword v[42:43], v49 offset:72
	flat_store_dword v[56:57], v51
.LBB40_312:
	s_or_b64 exec, exec, s[14:15]
	v_mov_b32_e32 v49, v48
	v_mov_b32_e32 v51, v48
.LBB40_313:
	s_or_b64 exec, exec, s[2:3]
.LBB40_314:
	s_andn2_saveexec_b64 s[0:1], s[0:1]
	s_cbranch_execz .LBB40_316
; %bb.315:
	v_mov_b32_e32 v51, 18
	ds_write2_b64 v50, v[22:23], v[44:45] offset0:19 offset1:20
.LBB40_316:
	s_or_b64 exec, exec, s[0:1]
	v_cmp_lt_i32_e32 vcc, 18, v51
	s_waitcnt lgkmcnt(0)
	s_barrier
	s_and_saveexec_b64 s[0:1], vcc
	s_cbranch_execz .LBB40_318
; %bb.317:
	ds_read2_b64 v[56:59], v50 offset0:19 offset1:20
	v_mul_f64 v[30:31], v[46:47], v[30:31]
	s_waitcnt lgkmcnt(0)
	v_fma_f64 v[22:23], -v[30:31], v[56:57], v[22:23]
	v_fma_f64 v[44:45], -v[30:31], v[58:59], v[44:45]
.LBB40_318:
	s_or_b64 exec, exec, s[0:1]
	v_lshl_add_u32 v46, v51, 3, v50
	s_barrier
	ds_write_b64 v46, v[22:23]
	s_waitcnt lgkmcnt(0)
	s_barrier
	ds_read_b64 v[46:47], v50 offset:152
	s_cmp_lt_i32 s12, 21
	v_mov_b32_e32 v48, 19
	s_cbranch_scc1 .LBB40_321
; %bb.319:
	v_add_u32_e32 v55, 0xa0, v50
	s_mov_b32 s0, 20
	v_mov_b32_e32 v48, 19
.LBB40_320:                             ; =>This Inner Loop Header: Depth=1
	ds_read_b64 v[56:57], v55
	v_mov_b32_e32 v58, s0
	s_add_i32 s0, s0, 1
	v_add_u32_e32 v55, 8, v55
	s_cmp_lg_u32 s12, s0
	s_waitcnt lgkmcnt(0)
	v_cmp_lt_f64_e64 vcc, |v[46:47]|, |v[56:57]|
	v_cndmask_b32_e32 v47, v47, v57, vcc
	v_cndmask_b32_e32 v46, v46, v56, vcc
	;; [unrolled: 1-line block ×3, first 2 shown]
	s_cbranch_scc1 .LBB40_320
.LBB40_321:
	s_waitcnt lgkmcnt(0)
	v_cmp_eq_f64_e32 vcc, 0, v[46:47]
	s_and_saveexec_b64 s[0:1], vcc
	s_xor_b64 s[0:1], exec, s[0:1]
; %bb.322:
	v_cmp_ne_u32_e32 vcc, 0, v54
	v_cndmask_b32_e32 v54, 20, v54, vcc
; %bb.323:
	s_andn2_saveexec_b64 s[0:1], s[0:1]
; %bb.324:
	v_div_scale_f64 v[56:57], s[2:3], v[46:47], v[46:47], 1.0
	v_rcp_f64_e32 v[58:59], v[56:57]
	v_div_scale_f64 v[60:61], vcc, 1.0, v[46:47], 1.0
	v_fma_f64 v[62:63], -v[56:57], v[58:59], 1.0
	v_fmac_f64_e32 v[58:59], v[58:59], v[62:63]
	v_fma_f64 v[62:63], -v[56:57], v[58:59], 1.0
	v_fmac_f64_e32 v[58:59], v[58:59], v[62:63]
	v_mul_f64 v[62:63], v[60:61], v[58:59]
	v_fma_f64 v[56:57], -v[56:57], v[62:63], v[60:61]
	v_div_fmas_f64 v[56:57], v[56:57], v[58:59], v[62:63]
	v_div_fixup_f64 v[46:47], v[56:57], v[46:47], 1.0
; %bb.325:
	s_or_b64 exec, exec, s[0:1]
	v_cmp_ne_u32_e32 vcc, v51, v48
	s_and_saveexec_b64 s[0:1], vcc
	s_xor_b64 s[0:1], exec, s[0:1]
	s_cbranch_execz .LBB40_331
; %bb.326:
	v_cmp_eq_u32_e32 vcc, 19, v51
	s_and_saveexec_b64 s[2:3], vcc
	s_cbranch_execz .LBB40_330
; %bb.327:
	v_cmp_ne_u32_e32 vcc, 19, v48
	s_xor_b64 s[14:15], s[6:7], -1
	s_and_b64 s[16:17], s[14:15], vcc
	s_and_saveexec_b64 s[14:15], s[16:17]
	s_cbranch_execz .LBB40_329
; %bb.328:
	v_ashrrev_i32_e32 v49, 31, v48
	v_lshlrev_b64 v[56:57], 2, v[48:49]
	v_add_co_u32_e32 v56, vcc, v42, v56
	v_addc_co_u32_e32 v57, vcc, v43, v57, vcc
	flat_load_dword v49, v[56:57]
	flat_load_dword v51, v[42:43] offset:76
	s_waitcnt vmcnt(0) lgkmcnt(0)
	flat_store_dword v[42:43], v49 offset:76
	flat_store_dword v[56:57], v51
.LBB40_329:
	s_or_b64 exec, exec, s[14:15]
	v_mov_b32_e32 v49, v48
	v_mov_b32_e32 v51, v48
.LBB40_330:
	s_or_b64 exec, exec, s[2:3]
.LBB40_331:
	s_andn2_saveexec_b64 s[0:1], s[0:1]
	s_cbranch_execz .LBB40_333
; %bb.332:
	v_mov_b32_e32 v51, 19
	ds_write_b64 v50, v[44:45] offset:160
.LBB40_333:
	s_or_b64 exec, exec, s[0:1]
	v_cmp_lt_i32_e32 vcc, 19, v51
	s_waitcnt lgkmcnt(0)
	s_barrier
	s_and_saveexec_b64 s[0:1], vcc
	s_cbranch_execz .LBB40_335
; %bb.334:
	ds_read_b64 v[56:57], v50 offset:160
	v_mul_f64 v[22:23], v[46:47], v[22:23]
	s_waitcnt lgkmcnt(0)
	v_fma_f64 v[44:45], -v[22:23], v[56:57], v[44:45]
.LBB40_335:
	s_or_b64 exec, exec, s[0:1]
	v_lshl_add_u32 v46, v51, 3, v50
	s_barrier
	ds_write_b64 v46, v[44:45]
	s_waitcnt lgkmcnt(0)
	s_barrier
	ds_read_b64 v[46:47], v50 offset:160
	s_cmp_lt_i32 s12, 22
	v_mov_b32_e32 v48, 20
	s_cbranch_scc1 .LBB40_338
; %bb.336:
	v_add_u32_e32 v50, 0xa8, v50
	s_mov_b32 s0, 21
	v_mov_b32_e32 v48, 20
.LBB40_337:                             ; =>This Inner Loop Header: Depth=1
	ds_read_b64 v[56:57], v50
	v_mov_b32_e32 v55, s0
	s_add_i32 s0, s0, 1
	v_add_u32_e32 v50, 8, v50
	s_cmp_lg_u32 s12, s0
	s_waitcnt lgkmcnt(0)
	v_cmp_lt_f64_e64 vcc, |v[46:47]|, |v[56:57]|
	v_cndmask_b32_e32 v47, v47, v57, vcc
	v_cndmask_b32_e32 v46, v46, v56, vcc
	;; [unrolled: 1-line block ×3, first 2 shown]
	s_cbranch_scc1 .LBB40_337
.LBB40_338:
	s_waitcnt lgkmcnt(0)
	v_cmp_eq_f64_e32 vcc, 0, v[46:47]
	s_and_saveexec_b64 s[0:1], vcc
	s_xor_b64 s[0:1], exec, s[0:1]
; %bb.339:
	v_cmp_ne_u32_e32 vcc, 0, v54
	v_cndmask_b32_e32 v54, 21, v54, vcc
; %bb.340:
	s_andn2_saveexec_b64 s[0:1], s[0:1]
; %bb.341:
	v_div_scale_f64 v[56:57], s[2:3], v[46:47], v[46:47], 1.0
	v_rcp_f64_e32 v[58:59], v[56:57]
	v_div_scale_f64 v[60:61], vcc, 1.0, v[46:47], 1.0
	v_fma_f64 v[62:63], -v[56:57], v[58:59], 1.0
	v_fmac_f64_e32 v[58:59], v[58:59], v[62:63]
	v_fma_f64 v[62:63], -v[56:57], v[58:59], 1.0
	v_fmac_f64_e32 v[58:59], v[58:59], v[62:63]
	v_mul_f64 v[62:63], v[60:61], v[58:59]
	v_fma_f64 v[56:57], -v[56:57], v[62:63], v[60:61]
	v_div_fmas_f64 v[56:57], v[56:57], v[58:59], v[62:63]
	v_div_fixup_f64 v[46:47], v[56:57], v[46:47], 1.0
; %bb.342:
	s_or_b64 exec, exec, s[0:1]
	v_cmp_ne_u32_e32 vcc, v51, v48
	v_mov_b32_e32 v50, 20
	s_and_saveexec_b64 s[0:1], vcc
	s_cbranch_execz .LBB40_348
; %bb.343:
	v_cmp_eq_u32_e32 vcc, 20, v51
	s_and_saveexec_b64 s[2:3], vcc
	s_cbranch_execz .LBB40_347
; %bb.344:
	v_cmp_ne_u32_e32 vcc, 20, v48
	s_xor_b64 s[6:7], s[6:7], -1
	s_and_b64 s[14:15], s[6:7], vcc
	s_and_saveexec_b64 s[6:7], s[14:15]
	s_cbranch_execz .LBB40_346
; %bb.345:
	v_ashrrev_i32_e32 v49, 31, v48
	v_lshlrev_b64 v[50:51], 2, v[48:49]
	v_add_co_u32_e32 v50, vcc, v42, v50
	v_addc_co_u32_e32 v51, vcc, v43, v51, vcc
	flat_load_dword v49, v[50:51]
	flat_load_dword v55, v[42:43] offset:80
	s_waitcnt vmcnt(0) lgkmcnt(0)
	flat_store_dword v[42:43], v49 offset:80
	flat_store_dword v[50:51], v55
.LBB40_346:
	s_or_b64 exec, exec, s[6:7]
	v_mov_b32_e32 v49, v48
	v_mov_b32_e32 v51, v48
.LBB40_347:
	s_or_b64 exec, exec, s[2:3]
	v_mov_b32_e32 v50, v51
.LBB40_348:
	s_or_b64 exec, exec, s[0:1]
	s_load_dwordx8 s[0:7], s[4:5], 0x28
	v_cmp_gt_i32_e32 vcc, 21, v50
	v_ashrrev_i32_e32 v51, 31, v50
	s_waitcnt lgkmcnt(0)
	s_barrier
	s_barrier
	s_and_saveexec_b64 s[14:15], vcc
	s_cbranch_execz .LBB40_350
; %bb.349:
	v_mul_lo_u32 v48, v3, s4
	v_mul_lo_u32 v55, v2, s5
	v_mad_u64_u32 v[42:43], s[4:5], v2, s4, 0
	s_lshl_b64 s[2:3], s[2:3], 2
	v_add3_u32 v43, v43, v55, v48
	s_add_u32 s0, s2, s0
	v_lshlrev_b64 v[42:43], 2, v[42:43]
	s_addc_u32 s1, s3, s1
	v_mov_b32_e32 v48, s1
	v_add_co_u32_e32 v55, vcc, s0, v42
	v_addc_co_u32_e32 v48, vcc, v48, v43, vcc
	v_lshlrev_b64 v[42:43], 2, v[50:51]
	v_add_co_u32_e32 v42, vcc, v55, v42
	v_addc_co_u32_e32 v43, vcc, v48, v43, vcc
	v_add3_u32 v48, v49, s13, 1
	global_store_dword v[42:43], v48, off
.LBB40_350:
	s_or_b64 exec, exec, s[14:15]
	v_cmp_eq_u32_e32 vcc, 0, v50
	s_and_saveexec_b64 s[2:3], vcc
	s_cbranch_execz .LBB40_353
; %bb.351:
	v_lshlrev_b64 v[2:3], 2, v[2:3]
	v_mov_b32_e32 v42, s7
	v_add_co_u32_e32 v2, vcc, s6, v2
	v_addc_co_u32_e32 v3, vcc, v42, v3, vcc
	global_load_dword v42, v[2:3], off
	v_cmp_lt_i32_e64 s[0:1], 0, v54
	s_waitcnt vmcnt(0)
	v_cmp_eq_u32_e32 vcc, 0, v42
	s_and_b64 s[0:1], vcc, s[0:1]
	s_and_b64 exec, exec, s[0:1]
	s_cbranch_execz .LBB40_353
; %bb.352:
	v_add_u32_e32 v42, s13, v54
	global_store_dword v[2:3], v42, off
.LBB40_353:
	s_or_b64 exec, exec, s[2:3]
	v_mul_f64 v[2:3], v[46:47], v[44:45]
	v_cmp_lt_i32_e32 vcc, 20, v50
	v_lshlrev_b64 v[42:43], 3, v[50:51]
	v_cndmask_b32_e32 v3, v45, v3, vcc
	v_cndmask_b32_e32 v2, v44, v2, vcc
	v_add_co_u32_e32 v42, vcc, v52, v42
	v_addc_co_u32_e32 v43, vcc, v53, v43, vcc
	global_store_dwordx2 v[42:43], v[18:19], off
	v_mov_b32_e32 v19, s11
	v_add_co_u32_e32 v18, vcc, s10, v42
	v_addc_co_u32_e32 v19, vcc, v43, v19, vcc
	global_store_dwordx2 v[18:19], v[12:13], off
	v_add_u32_e32 v12, s9, v50
	v_ashrrev_i32_e32 v13, 31, v12
	v_lshlrev_b64 v[18:19], 3, v[12:13]
	v_add_co_u32_e32 v18, vcc, v52, v18
	v_addc_co_u32_e32 v19, vcc, v53, v19, vcc
	global_store_dwordx2 v[18:19], v[6:7], off
	v_add_u32_e32 v6, s8, v12
	v_ashrrev_i32_e32 v7, 31, v6
	v_lshlrev_b64 v[12:13], 3, v[6:7]
	;; [unrolled: 6-line block ×3, first 2 shown]
	v_add_co_u32_e32 v6, vcc, v52, v6
	v_add_u32_e32 v0, s8, v0
	v_addc_co_u32_e32 v7, vcc, v53, v7, vcc
	v_ashrrev_i32_e32 v1, 31, v0
	global_store_dwordx2 v[6:7], v[28:29], off
	v_lshlrev_b64 v[6:7], 3, v[0:1]
	v_add_co_u32_e32 v6, vcc, v52, v6
	v_add_u32_e32 v0, s8, v0
	v_addc_co_u32_e32 v7, vcc, v53, v7, vcc
	v_ashrrev_i32_e32 v1, 31, v0
	global_store_dwordx2 v[6:7], v[20:21], off
	v_lshlrev_b64 v[6:7], 3, v[0:1]
	;; [unrolled: 6-line block ×15, first 2 shown]
	v_add_u32_e32 v0, s8, v0
	v_add_co_u32_e32 v4, vcc, v52, v4
	v_ashrrev_i32_e32 v1, 31, v0
	v_addc_co_u32_e32 v5, vcc, v53, v5, vcc
	v_lshlrev_b64 v[0:1], 3, v[0:1]
	v_add_co_u32_e32 v0, vcc, v52, v0
	v_addc_co_u32_e32 v1, vcc, v53, v1, vcc
	global_store_dwordx2 v[4:5], v[22:23], off
	global_store_dwordx2 v[0:1], v[2:3], off
.LBB40_354:
	s_endpgm
	.section	.rodata,"a",@progbits
	.p2align	6, 0x0
	.amdhsa_kernel _ZN9rocsolver6v33100L18getf2_small_kernelILi21EdiiPKPdEEvT1_T3_lS5_lPS5_llPT2_S5_S5_S7_l
		.amdhsa_group_segment_fixed_size 0
		.amdhsa_private_segment_fixed_size 0
		.amdhsa_kernarg_size 352
		.amdhsa_user_sgpr_count 6
		.amdhsa_user_sgpr_private_segment_buffer 1
		.amdhsa_user_sgpr_dispatch_ptr 0
		.amdhsa_user_sgpr_queue_ptr 0
		.amdhsa_user_sgpr_kernarg_segment_ptr 1
		.amdhsa_user_sgpr_dispatch_id 0
		.amdhsa_user_sgpr_flat_scratch_init 0
		.amdhsa_user_sgpr_kernarg_preload_length 0
		.amdhsa_user_sgpr_kernarg_preload_offset 0
		.amdhsa_user_sgpr_private_segment_size 0
		.amdhsa_uses_dynamic_stack 0
		.amdhsa_system_sgpr_private_segment_wavefront_offset 0
		.amdhsa_system_sgpr_workgroup_id_x 1
		.amdhsa_system_sgpr_workgroup_id_y 1
		.amdhsa_system_sgpr_workgroup_id_z 0
		.amdhsa_system_sgpr_workgroup_info 0
		.amdhsa_system_vgpr_workitem_id 1
		.amdhsa_next_free_vgpr 68
		.amdhsa_next_free_sgpr 20
		.amdhsa_accum_offset 68
		.amdhsa_reserve_vcc 1
		.amdhsa_reserve_flat_scratch 0
		.amdhsa_float_round_mode_32 0
		.amdhsa_float_round_mode_16_64 0
		.amdhsa_float_denorm_mode_32 3
		.amdhsa_float_denorm_mode_16_64 3
		.amdhsa_dx10_clamp 1
		.amdhsa_ieee_mode 1
		.amdhsa_fp16_overflow 0
		.amdhsa_tg_split 0
		.amdhsa_exception_fp_ieee_invalid_op 0
		.amdhsa_exception_fp_denorm_src 0
		.amdhsa_exception_fp_ieee_div_zero 0
		.amdhsa_exception_fp_ieee_overflow 0
		.amdhsa_exception_fp_ieee_underflow 0
		.amdhsa_exception_fp_ieee_inexact 0
		.amdhsa_exception_int_div_zero 0
	.end_amdhsa_kernel
	.section	.text._ZN9rocsolver6v33100L18getf2_small_kernelILi21EdiiPKPdEEvT1_T3_lS5_lPS5_llPT2_S5_S5_S7_l,"axG",@progbits,_ZN9rocsolver6v33100L18getf2_small_kernelILi21EdiiPKPdEEvT1_T3_lS5_lPS5_llPT2_S5_S5_S7_l,comdat
.Lfunc_end40:
	.size	_ZN9rocsolver6v33100L18getf2_small_kernelILi21EdiiPKPdEEvT1_T3_lS5_lPS5_llPT2_S5_S5_S7_l, .Lfunc_end40-_ZN9rocsolver6v33100L18getf2_small_kernelILi21EdiiPKPdEEvT1_T3_lS5_lPS5_llPT2_S5_S5_S7_l
                                        ; -- End function
	.section	.AMDGPU.csdata,"",@progbits
; Kernel info:
; codeLenInByte = 14364
; NumSgprs: 24
; NumVgprs: 68
; NumAgprs: 0
; TotalNumVgprs: 68
; ScratchSize: 0
; MemoryBound: 0
; FloatMode: 240
; IeeeMode: 1
; LDSByteSize: 0 bytes/workgroup (compile time only)
; SGPRBlocks: 2
; VGPRBlocks: 8
; NumSGPRsForWavesPerEU: 24
; NumVGPRsForWavesPerEU: 68
; AccumOffset: 68
; Occupancy: 7
; WaveLimiterHint : 1
; COMPUTE_PGM_RSRC2:SCRATCH_EN: 0
; COMPUTE_PGM_RSRC2:USER_SGPR: 6
; COMPUTE_PGM_RSRC2:TRAP_HANDLER: 0
; COMPUTE_PGM_RSRC2:TGID_X_EN: 1
; COMPUTE_PGM_RSRC2:TGID_Y_EN: 1
; COMPUTE_PGM_RSRC2:TGID_Z_EN: 0
; COMPUTE_PGM_RSRC2:TIDIG_COMP_CNT: 1
; COMPUTE_PGM_RSRC3_GFX90A:ACCUM_OFFSET: 16
; COMPUTE_PGM_RSRC3_GFX90A:TG_SPLIT: 0
	.section	.text._ZN9rocsolver6v33100L23getf2_npvt_small_kernelILi21EdiiPKPdEEvT1_T3_lS5_lPT2_S5_S5_,"axG",@progbits,_ZN9rocsolver6v33100L23getf2_npvt_small_kernelILi21EdiiPKPdEEvT1_T3_lS5_lPT2_S5_S5_,comdat
	.globl	_ZN9rocsolver6v33100L23getf2_npvt_small_kernelILi21EdiiPKPdEEvT1_T3_lS5_lPT2_S5_S5_ ; -- Begin function _ZN9rocsolver6v33100L23getf2_npvt_small_kernelILi21EdiiPKPdEEvT1_T3_lS5_lPT2_S5_S5_
	.p2align	8
	.type	_ZN9rocsolver6v33100L23getf2_npvt_small_kernelILi21EdiiPKPdEEvT1_T3_lS5_lPT2_S5_S5_,@function
_ZN9rocsolver6v33100L23getf2_npvt_small_kernelILi21EdiiPKPdEEvT1_T3_lS5_lPT2_S5_S5_: ; @_ZN9rocsolver6v33100L23getf2_npvt_small_kernelILi21EdiiPKPdEEvT1_T3_lS5_lPT2_S5_S5_
; %bb.0:
	s_load_dword s0, s[4:5], 0x44
	s_load_dwordx2 s[8:9], s[4:5], 0x30
	v_bfe_u32 v86, v0, 10, 10
	s_waitcnt lgkmcnt(0)
	s_lshr_b32 s10, s0, 16
	s_mul_i32 s7, s7, s10
	v_add_u32_e32 v2, s7, v86
	v_cmp_gt_i32_e32 vcc, s8, v2
	s_and_saveexec_b64 s[0:1], vcc
	s_cbranch_execz .LBB41_108
; %bb.1:
	s_load_dwordx4 s[12:15], s[4:5], 0x8
	s_load_dword s0, s[4:5], 0x18
	v_ashrrev_i32_e32 v3, 31, v2
	v_lshlrev_b64 v[4:5], 3, v[2:3]
	v_and_b32_e32 v128, 0x3ff, v0
	s_waitcnt lgkmcnt(0)
	v_mov_b32_e32 v1, s13
	v_add_co_u32_e32 v4, vcc, s12, v4
	v_addc_co_u32_e32 v5, vcc, v1, v5, vcc
	global_load_dwordx2 v[4:5], v[4:5], off
	s_add_i32 s8, s0, s0
	v_add_u32_e32 v0, s8, v128
	v_ashrrev_i32_e32 v1, 31, v0
	v_add_u32_e32 v6, s0, v0
	v_lshlrev_b64 v[8:9], 3, v[0:1]
	v_add_u32_e32 v0, s0, v6
	v_ashrrev_i32_e32 v1, 31, v0
	v_add_u32_e32 v10, s0, v0
	v_lshlrev_b64 v[12:13], 3, v[0:1]
	v_add_u32_e32 v0, s0, v10
	s_lshl_b64 s[6:7], s[14:15], 3
	v_ashrrev_i32_e32 v1, 31, v0
	v_add_u32_e32 v14, s0, v0
	v_mov_b32_e32 v23, s7
	v_lshlrev_b64 v[16:17], 3, v[0:1]
	v_add_u32_e32 v0, s0, v14
	v_lshlrev_b32_e32 v22, 3, v128
	v_ashrrev_i32_e32 v1, 31, v0
	v_add_u32_e32 v18, s0, v0
	v_lshlrev_b64 v[20:21], 3, v[0:1]
	v_ashrrev_i32_e32 v7, 31, v6
	v_lshlrev_b64 v[6:7], 3, v[6:7]
	v_ashrrev_i32_e32 v11, 31, v10
	;; [unrolled: 2-line block ×4, first 2 shown]
	v_add_u32_e32 v32, s0, v18
	v_lshlrev_b64 v[18:19], 3, v[18:19]
	s_ashr_i32 s1, s0, 31
	s_lshl_b64 s[2:3], s[0:1], 3
	v_mov_b32_e32 v24, s3
	v_ashrrev_i32_e32 v33, 31, v32
	v_add_u32_e32 v34, s0, v32
	v_ashrrev_i32_e32 v35, 31, v34
	v_add_u32_e32 v36, s0, v34
	;; [unrolled: 2-line block ×9, first 2 shown]
	v_ashrrev_i32_e32 v51, 31, v50
	s_mulk_i32 s10, 0xa8
	s_add_i32 s1, s10, 0
	v_lshl_add_u32 v126, v86, 3, s1
	s_waitcnt vmcnt(0)
	v_add_co_u32_e32 v52, vcc, s6, v4
	v_addc_co_u32_e32 v53, vcc, v5, v23, vcc
	v_add_co_u32_e32 v0, vcc, v52, v22
	v_addc_co_u32_e32 v1, vcc, 0, v53, vcc
	;; [unrolled: 2-line block ×11, first 2 shown]
	v_lshlrev_b64 v[22:23], 3, v[32:33]
	v_add_co_u32_e32 v22, vcc, v52, v22
	v_addc_co_u32_e32 v23, vcc, v53, v23, vcc
	v_lshlrev_b64 v[32:33], 3, v[34:35]
	v_add_co_u32_e32 v32, vcc, v52, v32
	v_addc_co_u32_e32 v33, vcc, v53, v33, vcc
	;; [unrolled: 3-line block ×9, first 2 shown]
	v_lshlrev_b64 v[48:49], 3, v[50:51]
	v_add_u32_e32 v50, s0, v50
	v_add_co_u32_e32 v48, vcc, v52, v48
	v_ashrrev_i32_e32 v51, 31, v50
	v_addc_co_u32_e32 v49, vcc, v53, v49, vcc
	v_lshlrev_b64 v[50:51], 3, v[50:51]
	v_add_co_u32_e32 v50, vcc, v52, v50
	global_load_dwordx2 v[24:25], v[0:1], off
	global_load_dwordx2 v[28:29], v[20:21], off
	;; [unrolled: 1-line block ×4, first 2 shown]
	v_addc_co_u32_e32 v51, vcc, v53, v51, vcc
	global_load_dwordx2 v[82:83], v[8:9], off
	global_load_dwordx2 v[66:67], v[10:11], off
	;; [unrolled: 1-line block ×17, first 2 shown]
	s_movk_i32 s0, 0xa8
	v_mad_u32_u24 v127, v86, s0, 0
	v_cmp_ne_u32_e64 s[2:3], 0, v128
	v_cmp_eq_u32_e64 s[0:1], 0, v128
	s_and_saveexec_b64 s[6:7], s[0:1]
	s_cbranch_execz .LBB41_4
; %bb.2:
	s_waitcnt vmcnt(20)
	ds_write_b64 v126, v[24:25]
	s_waitcnt vmcnt(18)
	ds_write2_b64 v127, v[28:29], v[30:31] offset0:1 offset1:2
	s_waitcnt vmcnt(16)
	ds_write2_b64 v127, v[26:27], v[82:83] offset0:3 offset1:4
	;; [unrolled: 2-line block ×10, first 2 shown]
	ds_read_b64 v[86:87], v126
	s_waitcnt lgkmcnt(0)
	v_cmp_neq_f64_e32 vcc, 0, v[86:87]
	s_and_b64 exec, exec, vcc
	s_cbranch_execz .LBB41_4
; %bb.3:
	v_div_scale_f64 v[88:89], s[10:11], v[86:87], v[86:87], 1.0
	v_rcp_f64_e32 v[90:91], v[88:89]
	v_div_scale_f64 v[92:93], vcc, 1.0, v[86:87], 1.0
	v_fma_f64 v[94:95], -v[88:89], v[90:91], 1.0
	v_fmac_f64_e32 v[90:91], v[90:91], v[94:95]
	v_fma_f64 v[94:95], -v[88:89], v[90:91], 1.0
	v_fmac_f64_e32 v[90:91], v[90:91], v[94:95]
	v_mul_f64 v[94:95], v[92:93], v[90:91]
	v_fma_f64 v[88:89], -v[88:89], v[94:95], v[92:93]
	v_div_fmas_f64 v[88:89], v[88:89], v[90:91], v[94:95]
	v_div_fixup_f64 v[86:87], v[88:89], v[86:87], 1.0
	ds_write_b64 v126, v[86:87]
.LBB41_4:
	s_or_b64 exec, exec, s[6:7]
	s_waitcnt lgkmcnt(0)
	s_barrier
	ds_read_b64 v[86:87], v126
	s_and_saveexec_b64 s[6:7], s[2:3]
	s_cbranch_execz .LBB41_6
; %bb.5:
	ds_read2_b64 v[88:91], v127 offset0:1 offset1:2
	ds_read2_b64 v[92:95], v127 offset0:3 offset1:4
	s_waitcnt vmcnt(20) lgkmcnt(2)
	v_mul_f64 v[24:25], v[86:87], v[24:25]
	ds_read2_b64 v[96:99], v127 offset0:5 offset1:6
	s_waitcnt vmcnt(19) lgkmcnt(2)
	v_fma_f64 v[28:29], -v[24:25], v[88:89], v[28:29]
	s_waitcnt vmcnt(18)
	v_fma_f64 v[30:31], -v[24:25], v[90:91], v[30:31]
	ds_read2_b64 v[88:91], v127 offset0:7 offset1:8
	s_waitcnt vmcnt(17) lgkmcnt(2)
	v_fma_f64 v[26:27], -v[24:25], v[92:93], v[26:27]
	s_waitcnt vmcnt(16)
	v_fma_f64 v[82:83], -v[24:25], v[94:95], v[82:83]
	s_waitcnt vmcnt(15) lgkmcnt(1)
	v_fma_f64 v[66:67], -v[24:25], v[96:97], v[66:67]
	ds_read2_b64 v[92:95], v127 offset0:9 offset1:10
	s_waitcnt vmcnt(14)
	v_fma_f64 v[80:81], -v[24:25], v[98:99], v[80:81]
	ds_read2_b64 v[96:99], v127 offset0:11 offset1:12
	s_waitcnt vmcnt(13) lgkmcnt(2)
	v_fma_f64 v[64:65], -v[24:25], v[88:89], v[64:65]
	s_waitcnt vmcnt(12)
	v_fma_f64 v[78:79], -v[24:25], v[90:91], v[78:79]
	ds_read2_b64 v[88:91], v127 offset0:13 offset1:14
	s_waitcnt vmcnt(11) lgkmcnt(2)
	v_fma_f64 v[62:63], -v[24:25], v[92:93], v[62:63]
	;; [unrolled: 5-line block ×3, first 2 shown]
	s_waitcnt vmcnt(8)
	v_fma_f64 v[74:75], -v[24:25], v[98:99], v[74:75]
	s_waitcnt vmcnt(7) lgkmcnt(1)
	v_fma_f64 v[58:59], -v[24:25], v[88:89], v[58:59]
	ds_read2_b64 v[96:99], v127 offset0:17 offset1:18
	s_waitcnt vmcnt(6)
	v_fma_f64 v[72:73], -v[24:25], v[90:91], v[72:73]
	ds_read2_b64 v[88:91], v127 offset0:19 offset1:20
	s_waitcnt vmcnt(5) lgkmcnt(2)
	v_fma_f64 v[56:57], -v[24:25], v[92:93], v[56:57]
	s_waitcnt vmcnt(4)
	v_fma_f64 v[70:71], -v[24:25], v[94:95], v[70:71]
	s_waitcnt vmcnt(3) lgkmcnt(1)
	v_fma_f64 v[54:55], -v[24:25], v[96:97], v[54:55]
	s_waitcnt vmcnt(2)
	v_fma_f64 v[68:69], -v[24:25], v[98:99], v[68:69]
	;; [unrolled: 4-line block ×3, first 2 shown]
.LBB41_6:
	s_or_b64 exec, exec, s[6:7]
	v_cmp_eq_u32_e32 vcc, 1, v128
	s_waitcnt lgkmcnt(0)
	s_barrier
	s_and_saveexec_b64 s[2:3], vcc
	s_cbranch_execz .LBB41_9
; %bb.7:
	s_waitcnt vmcnt(18)
	v_mov_b32_e32 v88, v30
	v_mov_b32_e32 v89, v31
	s_waitcnt vmcnt(17)
	v_mov_b32_e32 v90, v26
	v_mov_b32_e32 v91, v27
	ds_write_b64 v126, v[28:29]
	ds_write2_b64 v127, v[88:89], v[90:91] offset0:2 offset1:3
	s_waitcnt vmcnt(16)
	v_mov_b32_e32 v88, v82
	v_mov_b32_e32 v89, v83
	s_waitcnt vmcnt(15)
	v_mov_b32_e32 v90, v66
	v_mov_b32_e32 v91, v67
	ds_write2_b64 v127, v[88:89], v[90:91] offset0:4 offset1:5
	s_waitcnt vmcnt(14)
	v_mov_b32_e32 v88, v80
	v_mov_b32_e32 v89, v81
	s_waitcnt vmcnt(13)
	v_mov_b32_e32 v90, v64
	v_mov_b32_e32 v91, v65
	;; [unrolled: 7-line block ×8, first 2 shown]
	ds_write2_b64 v127, v[88:89], v[90:91] offset0:18 offset1:19
	s_waitcnt vmcnt(0)
	ds_write_b64 v127, v[84:85] offset:160
	ds_read_b64 v[88:89], v126
	s_waitcnt lgkmcnt(0)
	v_cmp_neq_f64_e32 vcc, 0, v[88:89]
	s_and_b64 exec, exec, vcc
	s_cbranch_execz .LBB41_9
; %bb.8:
	v_div_scale_f64 v[90:91], s[6:7], v[88:89], v[88:89], 1.0
	v_rcp_f64_e32 v[92:93], v[90:91]
	v_div_scale_f64 v[94:95], vcc, 1.0, v[88:89], 1.0
	v_fma_f64 v[96:97], -v[90:91], v[92:93], 1.0
	v_fmac_f64_e32 v[92:93], v[92:93], v[96:97]
	v_fma_f64 v[96:97], -v[90:91], v[92:93], 1.0
	v_fmac_f64_e32 v[92:93], v[92:93], v[96:97]
	v_mul_f64 v[96:97], v[94:95], v[92:93]
	v_fma_f64 v[90:91], -v[90:91], v[96:97], v[94:95]
	v_div_fmas_f64 v[90:91], v[90:91], v[92:93], v[96:97]
	v_div_fixup_f64 v[88:89], v[90:91], v[88:89], 1.0
	ds_write_b64 v126, v[88:89]
.LBB41_9:
	s_or_b64 exec, exec, s[2:3]
	s_waitcnt lgkmcnt(0)
	s_barrier
	ds_read_b64 v[88:89], v126
	v_cmp_lt_u32_e32 vcc, 1, v128
	s_and_saveexec_b64 s[2:3], vcc
	s_cbranch_execz .LBB41_11
; %bb.10:
	ds_read2_b64 v[90:93], v127 offset0:2 offset1:3
	ds_read2_b64 v[94:97], v127 offset0:4 offset1:5
	s_waitcnt vmcnt(19) lgkmcnt(2)
	v_mul_f64 v[28:29], v[88:89], v[28:29]
	ds_read2_b64 v[98:101], v127 offset0:6 offset1:7
	s_waitcnt vmcnt(18) lgkmcnt(2)
	v_fma_f64 v[30:31], -v[28:29], v[90:91], v[30:31]
	s_waitcnt vmcnt(17)
	v_fma_f64 v[26:27], -v[28:29], v[92:93], v[26:27]
	ds_read2_b64 v[90:93], v127 offset0:8 offset1:9
	s_waitcnt vmcnt(16) lgkmcnt(2)
	v_fma_f64 v[82:83], -v[28:29], v[94:95], v[82:83]
	s_waitcnt vmcnt(15)
	v_fma_f64 v[66:67], -v[28:29], v[96:97], v[66:67]
	s_waitcnt vmcnt(14) lgkmcnt(1)
	v_fma_f64 v[80:81], -v[28:29], v[98:99], v[80:81]
	ds_read2_b64 v[94:97], v127 offset0:10 offset1:11
	s_waitcnt vmcnt(13)
	v_fma_f64 v[64:65], -v[28:29], v[100:101], v[64:65]
	ds_read2_b64 v[98:101], v127 offset0:12 offset1:13
	s_waitcnt vmcnt(12) lgkmcnt(2)
	v_fma_f64 v[78:79], -v[28:29], v[90:91], v[78:79]
	s_waitcnt vmcnt(11)
	v_fma_f64 v[62:63], -v[28:29], v[92:93], v[62:63]
	ds_read2_b64 v[90:93], v127 offset0:14 offset1:15
	s_waitcnt vmcnt(10) lgkmcnt(2)
	v_fma_f64 v[76:77], -v[28:29], v[94:95], v[76:77]
	;; [unrolled: 5-line block ×3, first 2 shown]
	s_waitcnt vmcnt(7)
	v_fma_f64 v[58:59], -v[28:29], v[100:101], v[58:59]
	s_waitcnt vmcnt(6) lgkmcnt(1)
	v_fma_f64 v[72:73], -v[28:29], v[90:91], v[72:73]
	ds_read2_b64 v[98:101], v127 offset0:18 offset1:19
	ds_read_b64 v[90:91], v127 offset:160
	s_waitcnt vmcnt(5)
	v_fma_f64 v[56:57], -v[28:29], v[92:93], v[56:57]
	s_waitcnt vmcnt(4) lgkmcnt(2)
	v_fma_f64 v[70:71], -v[28:29], v[94:95], v[70:71]
	s_waitcnt vmcnt(3)
	v_fma_f64 v[54:55], -v[28:29], v[96:97], v[54:55]
	s_waitcnt vmcnt(2) lgkmcnt(1)
	v_fma_f64 v[68:69], -v[28:29], v[98:99], v[68:69]
	;; [unrolled: 4-line block ×3, first 2 shown]
.LBB41_11:
	s_or_b64 exec, exec, s[2:3]
	v_cmp_eq_u32_e32 vcc, 2, v128
	s_waitcnt lgkmcnt(0)
	s_barrier
	s_and_saveexec_b64 s[2:3], vcc
	s_cbranch_execz .LBB41_14
; %bb.12:
	s_waitcnt vmcnt(18)
	ds_write_b64 v126, v[30:31]
	s_waitcnt vmcnt(16)
	ds_write2_b64 v127, v[26:27], v[82:83] offset0:3 offset1:4
	s_waitcnt vmcnt(14)
	ds_write2_b64 v127, v[66:67], v[80:81] offset0:5 offset1:6
	;; [unrolled: 2-line block ×9, first 2 shown]
	ds_read_b64 v[90:91], v126
	s_waitcnt lgkmcnt(0)
	v_cmp_neq_f64_e32 vcc, 0, v[90:91]
	s_and_b64 exec, exec, vcc
	s_cbranch_execz .LBB41_14
; %bb.13:
	v_div_scale_f64 v[92:93], s[6:7], v[90:91], v[90:91], 1.0
	v_rcp_f64_e32 v[94:95], v[92:93]
	v_div_scale_f64 v[96:97], vcc, 1.0, v[90:91], 1.0
	v_fma_f64 v[98:99], -v[92:93], v[94:95], 1.0
	v_fmac_f64_e32 v[94:95], v[94:95], v[98:99]
	v_fma_f64 v[98:99], -v[92:93], v[94:95], 1.0
	v_fmac_f64_e32 v[94:95], v[94:95], v[98:99]
	v_mul_f64 v[98:99], v[96:97], v[94:95]
	v_fma_f64 v[92:93], -v[92:93], v[98:99], v[96:97]
	v_div_fmas_f64 v[92:93], v[92:93], v[94:95], v[98:99]
	v_div_fixup_f64 v[90:91], v[92:93], v[90:91], 1.0
	ds_write_b64 v126, v[90:91]
.LBB41_14:
	s_or_b64 exec, exec, s[2:3]
	s_waitcnt lgkmcnt(0)
	s_barrier
	ds_read_b64 v[90:91], v126
	v_cmp_lt_u32_e32 vcc, 2, v128
	s_and_saveexec_b64 s[2:3], vcc
	s_cbranch_execz .LBB41_16
; %bb.15:
	ds_read2_b64 v[92:95], v127 offset0:3 offset1:4
	ds_read2_b64 v[96:99], v127 offset0:5 offset1:6
	;; [unrolled: 1-line block ×3, first 2 shown]
	s_waitcnt vmcnt(18) lgkmcnt(3)
	v_mul_f64 v[30:31], v[90:91], v[30:31]
	s_waitcnt vmcnt(17) lgkmcnt(2)
	v_fma_f64 v[26:27], -v[30:31], v[92:93], v[26:27]
	s_waitcnt vmcnt(16)
	v_fma_f64 v[82:83], -v[30:31], v[94:95], v[82:83]
	ds_read2_b64 v[92:95], v127 offset0:9 offset1:10
	s_waitcnt vmcnt(15) lgkmcnt(2)
	v_fma_f64 v[66:67], -v[30:31], v[96:97], v[66:67]
	s_waitcnt vmcnt(14)
	v_fma_f64 v[80:81], -v[30:31], v[98:99], v[80:81]
	s_waitcnt vmcnt(13) lgkmcnt(1)
	v_fma_f64 v[64:65], -v[30:31], v[100:101], v[64:65]
	ds_read2_b64 v[96:99], v127 offset0:11 offset1:12
	s_waitcnt vmcnt(12)
	v_fma_f64 v[78:79], -v[30:31], v[102:103], v[78:79]
	ds_read2_b64 v[100:103], v127 offset0:13 offset1:14
	s_waitcnt vmcnt(11) lgkmcnt(2)
	v_fma_f64 v[62:63], -v[30:31], v[92:93], v[62:63]
	s_waitcnt vmcnt(10)
	v_fma_f64 v[76:77], -v[30:31], v[94:95], v[76:77]
	s_waitcnt vmcnt(9) lgkmcnt(1)
	v_fma_f64 v[60:61], -v[30:31], v[96:97], v[60:61]
	s_waitcnt vmcnt(8)
	v_fma_f64 v[74:75], -v[30:31], v[98:99], v[74:75]
	ds_read2_b64 v[92:95], v127 offset0:15 offset1:16
	ds_read2_b64 v[96:99], v127 offset0:17 offset1:18
	s_waitcnt vmcnt(7) lgkmcnt(2)
	v_fma_f64 v[58:59], -v[30:31], v[100:101], v[58:59]
	s_waitcnt vmcnt(6)
	v_fma_f64 v[72:73], -v[30:31], v[102:103], v[72:73]
	ds_read2_b64 v[100:103], v127 offset0:19 offset1:20
	s_waitcnt vmcnt(5) lgkmcnt(2)
	v_fma_f64 v[56:57], -v[30:31], v[92:93], v[56:57]
	s_waitcnt vmcnt(4)
	v_fma_f64 v[70:71], -v[30:31], v[94:95], v[70:71]
	s_waitcnt vmcnt(3) lgkmcnt(1)
	v_fma_f64 v[54:55], -v[30:31], v[96:97], v[54:55]
	s_waitcnt vmcnt(2)
	v_fma_f64 v[68:69], -v[30:31], v[98:99], v[68:69]
	;; [unrolled: 4-line block ×3, first 2 shown]
.LBB41_16:
	s_or_b64 exec, exec, s[2:3]
	v_cmp_eq_u32_e32 vcc, 3, v128
	s_waitcnt lgkmcnt(0)
	s_barrier
	s_and_saveexec_b64 s[2:3], vcc
	s_cbranch_execz .LBB41_19
; %bb.17:
	s_waitcnt vmcnt(16)
	v_mov_b32_e32 v92, v82
	v_mov_b32_e32 v93, v83
	s_waitcnt vmcnt(15)
	v_mov_b32_e32 v94, v66
	v_mov_b32_e32 v95, v67
	ds_write_b64 v126, v[26:27]
	ds_write2_b64 v127, v[92:93], v[94:95] offset0:4 offset1:5
	s_waitcnt vmcnt(14)
	v_mov_b32_e32 v92, v80
	v_mov_b32_e32 v93, v81
	s_waitcnt vmcnt(13)
	v_mov_b32_e32 v94, v64
	v_mov_b32_e32 v95, v65
	ds_write2_b64 v127, v[92:93], v[94:95] offset0:6 offset1:7
	s_waitcnt vmcnt(12)
	v_mov_b32_e32 v92, v78
	v_mov_b32_e32 v93, v79
	s_waitcnt vmcnt(11)
	v_mov_b32_e32 v94, v62
	v_mov_b32_e32 v95, v63
	;; [unrolled: 7-line block ×7, first 2 shown]
	ds_write2_b64 v127, v[92:93], v[94:95] offset0:18 offset1:19
	s_waitcnt vmcnt(0)
	ds_write_b64 v127, v[84:85] offset:160
	ds_read_b64 v[92:93], v126
	s_waitcnt lgkmcnt(0)
	v_cmp_neq_f64_e32 vcc, 0, v[92:93]
	s_and_b64 exec, exec, vcc
	s_cbranch_execz .LBB41_19
; %bb.18:
	v_div_scale_f64 v[94:95], s[6:7], v[92:93], v[92:93], 1.0
	v_rcp_f64_e32 v[96:97], v[94:95]
	v_div_scale_f64 v[98:99], vcc, 1.0, v[92:93], 1.0
	v_fma_f64 v[100:101], -v[94:95], v[96:97], 1.0
	v_fmac_f64_e32 v[96:97], v[96:97], v[100:101]
	v_fma_f64 v[100:101], -v[94:95], v[96:97], 1.0
	v_fmac_f64_e32 v[96:97], v[96:97], v[100:101]
	v_mul_f64 v[100:101], v[98:99], v[96:97]
	v_fma_f64 v[94:95], -v[94:95], v[100:101], v[98:99]
	v_div_fmas_f64 v[94:95], v[94:95], v[96:97], v[100:101]
	v_div_fixup_f64 v[92:93], v[94:95], v[92:93], 1.0
	ds_write_b64 v126, v[92:93]
.LBB41_19:
	s_or_b64 exec, exec, s[2:3]
	s_waitcnt lgkmcnt(0)
	s_barrier
	ds_read_b64 v[92:93], v126
	v_cmp_lt_u32_e32 vcc, 3, v128
	s_and_saveexec_b64 s[2:3], vcc
	s_cbranch_execz .LBB41_21
; %bb.20:
	ds_read2_b64 v[94:97], v127 offset0:4 offset1:5
	ds_read2_b64 v[98:101], v127 offset0:6 offset1:7
	;; [unrolled: 1-line block ×3, first 2 shown]
	s_waitcnt vmcnt(17) lgkmcnt(3)
	v_mul_f64 v[26:27], v[92:93], v[26:27]
	s_waitcnt vmcnt(16) lgkmcnt(2)
	v_fma_f64 v[82:83], -v[26:27], v[94:95], v[82:83]
	s_waitcnt vmcnt(15)
	v_fma_f64 v[66:67], -v[26:27], v[96:97], v[66:67]
	ds_read2_b64 v[94:97], v127 offset0:10 offset1:11
	s_waitcnt vmcnt(14) lgkmcnt(2)
	v_fma_f64 v[80:81], -v[26:27], v[98:99], v[80:81]
	s_waitcnt vmcnt(13)
	v_fma_f64 v[64:65], -v[26:27], v[100:101], v[64:65]
	s_waitcnt vmcnt(12) lgkmcnt(1)
	v_fma_f64 v[78:79], -v[26:27], v[102:103], v[78:79]
	ds_read2_b64 v[98:101], v127 offset0:12 offset1:13
	s_waitcnt vmcnt(11)
	v_fma_f64 v[62:63], -v[26:27], v[104:105], v[62:63]
	ds_read2_b64 v[102:105], v127 offset0:14 offset1:15
	s_waitcnt vmcnt(10) lgkmcnt(2)
	v_fma_f64 v[76:77], -v[26:27], v[94:95], v[76:77]
	s_waitcnt vmcnt(9)
	v_fma_f64 v[60:61], -v[26:27], v[96:97], v[60:61]
	s_waitcnt vmcnt(8) lgkmcnt(1)
	v_fma_f64 v[74:75], -v[26:27], v[98:99], v[74:75]
	s_waitcnt vmcnt(7)
	v_fma_f64 v[58:59], -v[26:27], v[100:101], v[58:59]
	ds_read2_b64 v[94:97], v127 offset0:16 offset1:17
	ds_read2_b64 v[98:101], v127 offset0:18 offset1:19
	s_waitcnt vmcnt(6) lgkmcnt(2)
	v_fma_f64 v[72:73], -v[26:27], v[102:103], v[72:73]
	ds_read_b64 v[102:103], v127 offset:160
	s_waitcnt vmcnt(5)
	v_fma_f64 v[56:57], -v[26:27], v[104:105], v[56:57]
	s_waitcnt vmcnt(4) lgkmcnt(2)
	v_fma_f64 v[70:71], -v[26:27], v[94:95], v[70:71]
	s_waitcnt vmcnt(3)
	v_fma_f64 v[54:55], -v[26:27], v[96:97], v[54:55]
	s_waitcnt vmcnt(2) lgkmcnt(1)
	v_fma_f64 v[68:69], -v[26:27], v[98:99], v[68:69]
	;; [unrolled: 4-line block ×3, first 2 shown]
.LBB41_21:
	s_or_b64 exec, exec, s[2:3]
	v_cmp_eq_u32_e32 vcc, 4, v128
	s_waitcnt lgkmcnt(0)
	s_barrier
	s_and_saveexec_b64 s[2:3], vcc
	s_cbranch_execz .LBB41_24
; %bb.22:
	s_waitcnt vmcnt(16)
	ds_write_b64 v126, v[82:83]
	s_waitcnt vmcnt(14)
	ds_write2_b64 v127, v[66:67], v[80:81] offset0:5 offset1:6
	s_waitcnt vmcnt(12)
	ds_write2_b64 v127, v[64:65], v[78:79] offset0:7 offset1:8
	;; [unrolled: 2-line block ×8, first 2 shown]
	ds_read_b64 v[94:95], v126
	s_waitcnt lgkmcnt(0)
	v_cmp_neq_f64_e32 vcc, 0, v[94:95]
	s_and_b64 exec, exec, vcc
	s_cbranch_execz .LBB41_24
; %bb.23:
	v_div_scale_f64 v[96:97], s[6:7], v[94:95], v[94:95], 1.0
	v_rcp_f64_e32 v[98:99], v[96:97]
	v_div_scale_f64 v[100:101], vcc, 1.0, v[94:95], 1.0
	v_fma_f64 v[102:103], -v[96:97], v[98:99], 1.0
	v_fmac_f64_e32 v[98:99], v[98:99], v[102:103]
	v_fma_f64 v[102:103], -v[96:97], v[98:99], 1.0
	v_fmac_f64_e32 v[98:99], v[98:99], v[102:103]
	v_mul_f64 v[102:103], v[100:101], v[98:99]
	v_fma_f64 v[96:97], -v[96:97], v[102:103], v[100:101]
	v_div_fmas_f64 v[96:97], v[96:97], v[98:99], v[102:103]
	v_div_fixup_f64 v[94:95], v[96:97], v[94:95], 1.0
	ds_write_b64 v126, v[94:95]
.LBB41_24:
	s_or_b64 exec, exec, s[2:3]
	s_waitcnt lgkmcnt(0)
	s_barrier
	ds_read_b64 v[94:95], v126
	v_cmp_lt_u32_e32 vcc, 4, v128
	s_and_saveexec_b64 s[2:3], vcc
	s_cbranch_execz .LBB41_26
; %bb.25:
	ds_read2_b64 v[96:99], v127 offset0:5 offset1:6
	ds_read2_b64 v[100:103], v127 offset0:7 offset1:8
	s_waitcnt vmcnt(16) lgkmcnt(2)
	v_mul_f64 v[82:83], v[94:95], v[82:83]
	ds_read2_b64 v[104:107], v127 offset0:9 offset1:10
	s_waitcnt vmcnt(15) lgkmcnt(2)
	v_fma_f64 v[66:67], -v[82:83], v[96:97], v[66:67]
	s_waitcnt vmcnt(14)
	v_fma_f64 v[80:81], -v[82:83], v[98:99], v[80:81]
	ds_read2_b64 v[96:99], v127 offset0:11 offset1:12
	s_waitcnt vmcnt(13) lgkmcnt(2)
	v_fma_f64 v[64:65], -v[82:83], v[100:101], v[64:65]
	s_waitcnt vmcnt(12)
	v_fma_f64 v[78:79], -v[82:83], v[102:103], v[78:79]
	;; [unrolled: 5-line block ×3, first 2 shown]
	s_waitcnt vmcnt(9) lgkmcnt(1)
	v_fma_f64 v[60:61], -v[82:83], v[96:97], v[60:61]
	s_waitcnt vmcnt(8)
	v_fma_f64 v[74:75], -v[82:83], v[98:99], v[74:75]
	ds_read2_b64 v[96:99], v127 offset0:15 offset1:16
	s_waitcnt vmcnt(7) lgkmcnt(1)
	v_fma_f64 v[58:59], -v[82:83], v[100:101], v[58:59]
	ds_read2_b64 v[104:107], v127 offset0:17 offset1:18
	s_waitcnt vmcnt(6)
	v_fma_f64 v[72:73], -v[82:83], v[102:103], v[72:73]
	ds_read2_b64 v[100:103], v127 offset0:19 offset1:20
	s_waitcnt vmcnt(5) lgkmcnt(2)
	v_fma_f64 v[56:57], -v[82:83], v[96:97], v[56:57]
	s_waitcnt vmcnt(4)
	v_fma_f64 v[70:71], -v[82:83], v[98:99], v[70:71]
	s_waitcnt vmcnt(3) lgkmcnt(1)
	v_fma_f64 v[54:55], -v[82:83], v[104:105], v[54:55]
	s_waitcnt vmcnt(2)
	v_fma_f64 v[68:69], -v[82:83], v[106:107], v[68:69]
	;; [unrolled: 4-line block ×3, first 2 shown]
.LBB41_26:
	s_or_b64 exec, exec, s[2:3]
	v_cmp_eq_u32_e32 vcc, 5, v128
	s_waitcnt lgkmcnt(0)
	s_barrier
	s_and_saveexec_b64 s[2:3], vcc
	s_cbranch_execz .LBB41_29
; %bb.27:
	s_waitcnt vmcnt(14)
	v_mov_b32_e32 v96, v80
	v_mov_b32_e32 v97, v81
	s_waitcnt vmcnt(13)
	v_mov_b32_e32 v98, v64
	v_mov_b32_e32 v99, v65
	ds_write_b64 v126, v[66:67]
	ds_write2_b64 v127, v[96:97], v[98:99] offset0:6 offset1:7
	s_waitcnt vmcnt(12)
	v_mov_b32_e32 v96, v78
	v_mov_b32_e32 v97, v79
	s_waitcnt vmcnt(11)
	v_mov_b32_e32 v98, v62
	v_mov_b32_e32 v99, v63
	ds_write2_b64 v127, v[96:97], v[98:99] offset0:8 offset1:9
	s_waitcnt vmcnt(10)
	v_mov_b32_e32 v96, v76
	v_mov_b32_e32 v97, v77
	s_waitcnt vmcnt(9)
	v_mov_b32_e32 v98, v60
	v_mov_b32_e32 v99, v61
	;; [unrolled: 7-line block ×6, first 2 shown]
	ds_write2_b64 v127, v[96:97], v[98:99] offset0:18 offset1:19
	s_waitcnt vmcnt(0)
	ds_write_b64 v127, v[84:85] offset:160
	ds_read_b64 v[96:97], v126
	s_waitcnt lgkmcnt(0)
	v_cmp_neq_f64_e32 vcc, 0, v[96:97]
	s_and_b64 exec, exec, vcc
	s_cbranch_execz .LBB41_29
; %bb.28:
	v_div_scale_f64 v[98:99], s[6:7], v[96:97], v[96:97], 1.0
	v_rcp_f64_e32 v[100:101], v[98:99]
	v_div_scale_f64 v[102:103], vcc, 1.0, v[96:97], 1.0
	v_fma_f64 v[104:105], -v[98:99], v[100:101], 1.0
	v_fmac_f64_e32 v[100:101], v[100:101], v[104:105]
	v_fma_f64 v[104:105], -v[98:99], v[100:101], 1.0
	v_fmac_f64_e32 v[100:101], v[100:101], v[104:105]
	v_mul_f64 v[104:105], v[102:103], v[100:101]
	v_fma_f64 v[98:99], -v[98:99], v[104:105], v[102:103]
	v_div_fmas_f64 v[98:99], v[98:99], v[100:101], v[104:105]
	v_div_fixup_f64 v[96:97], v[98:99], v[96:97], 1.0
	ds_write_b64 v126, v[96:97]
.LBB41_29:
	s_or_b64 exec, exec, s[2:3]
	s_waitcnt lgkmcnt(0)
	s_barrier
	ds_read_b64 v[96:97], v126
	v_cmp_lt_u32_e32 vcc, 5, v128
	s_and_saveexec_b64 s[2:3], vcc
	s_cbranch_execz .LBB41_31
; %bb.30:
	ds_read2_b64 v[98:101], v127 offset0:6 offset1:7
	ds_read2_b64 v[102:105], v127 offset0:8 offset1:9
	s_waitcnt vmcnt(15) lgkmcnt(2)
	v_mul_f64 v[66:67], v[96:97], v[66:67]
	ds_read2_b64 v[106:109], v127 offset0:10 offset1:11
	s_waitcnt vmcnt(14) lgkmcnt(2)
	v_fma_f64 v[80:81], -v[66:67], v[98:99], v[80:81]
	s_waitcnt vmcnt(13)
	v_fma_f64 v[64:65], -v[66:67], v[100:101], v[64:65]
	ds_read2_b64 v[98:101], v127 offset0:12 offset1:13
	s_waitcnt vmcnt(12) lgkmcnt(2)
	v_fma_f64 v[78:79], -v[66:67], v[102:103], v[78:79]
	s_waitcnt vmcnt(11)
	v_fma_f64 v[62:63], -v[66:67], v[104:105], v[62:63]
	;; [unrolled: 5-line block ×3, first 2 shown]
	s_waitcnt vmcnt(8) lgkmcnt(1)
	v_fma_f64 v[74:75], -v[66:67], v[98:99], v[74:75]
	s_waitcnt vmcnt(7)
	v_fma_f64 v[58:59], -v[66:67], v[100:101], v[58:59]
	ds_read2_b64 v[98:101], v127 offset0:16 offset1:17
	s_waitcnt vmcnt(6) lgkmcnt(1)
	v_fma_f64 v[72:73], -v[66:67], v[102:103], v[72:73]
	ds_read2_b64 v[106:109], v127 offset0:18 offset1:19
	ds_read_b64 v[102:103], v127 offset:160
	s_waitcnt vmcnt(5)
	v_fma_f64 v[56:57], -v[66:67], v[104:105], v[56:57]
	s_waitcnt vmcnt(4) lgkmcnt(2)
	v_fma_f64 v[70:71], -v[66:67], v[98:99], v[70:71]
	s_waitcnt vmcnt(3)
	v_fma_f64 v[54:55], -v[66:67], v[100:101], v[54:55]
	s_waitcnt vmcnt(2) lgkmcnt(1)
	v_fma_f64 v[68:69], -v[66:67], v[106:107], v[68:69]
	;; [unrolled: 4-line block ×3, first 2 shown]
.LBB41_31:
	s_or_b64 exec, exec, s[2:3]
	v_cmp_eq_u32_e32 vcc, 6, v128
	s_waitcnt lgkmcnt(0)
	s_barrier
	s_and_saveexec_b64 s[2:3], vcc
	s_cbranch_execz .LBB41_34
; %bb.32:
	s_waitcnt vmcnt(14)
	ds_write_b64 v126, v[80:81]
	s_waitcnt vmcnt(12)
	ds_write2_b64 v127, v[64:65], v[78:79] offset0:7 offset1:8
	s_waitcnt vmcnt(10)
	ds_write2_b64 v127, v[62:63], v[76:77] offset0:9 offset1:10
	;; [unrolled: 2-line block ×7, first 2 shown]
	ds_read_b64 v[98:99], v126
	s_waitcnt lgkmcnt(0)
	v_cmp_neq_f64_e32 vcc, 0, v[98:99]
	s_and_b64 exec, exec, vcc
	s_cbranch_execz .LBB41_34
; %bb.33:
	v_div_scale_f64 v[100:101], s[6:7], v[98:99], v[98:99], 1.0
	v_rcp_f64_e32 v[102:103], v[100:101]
	v_div_scale_f64 v[104:105], vcc, 1.0, v[98:99], 1.0
	v_fma_f64 v[106:107], -v[100:101], v[102:103], 1.0
	v_fmac_f64_e32 v[102:103], v[102:103], v[106:107]
	v_fma_f64 v[106:107], -v[100:101], v[102:103], 1.0
	v_fmac_f64_e32 v[102:103], v[102:103], v[106:107]
	v_mul_f64 v[106:107], v[104:105], v[102:103]
	v_fma_f64 v[100:101], -v[100:101], v[106:107], v[104:105]
	v_div_fmas_f64 v[100:101], v[100:101], v[102:103], v[106:107]
	v_div_fixup_f64 v[98:99], v[100:101], v[98:99], 1.0
	ds_write_b64 v126, v[98:99]
.LBB41_34:
	s_or_b64 exec, exec, s[2:3]
	s_waitcnt lgkmcnt(0)
	s_barrier
	ds_read_b64 v[98:99], v126
	v_cmp_lt_u32_e32 vcc, 6, v128
	s_and_saveexec_b64 s[2:3], vcc
	s_cbranch_execz .LBB41_36
; %bb.35:
	ds_read2_b64 v[100:103], v127 offset0:7 offset1:8
	ds_read2_b64 v[104:107], v127 offset0:9 offset1:10
	s_waitcnt vmcnt(14) lgkmcnt(2)
	v_mul_f64 v[80:81], v[98:99], v[80:81]
	ds_read2_b64 v[108:111], v127 offset0:11 offset1:12
	s_waitcnt vmcnt(13) lgkmcnt(2)
	v_fma_f64 v[64:65], -v[80:81], v[100:101], v[64:65]
	s_waitcnt vmcnt(12)
	v_fma_f64 v[78:79], -v[80:81], v[102:103], v[78:79]
	ds_read2_b64 v[100:103], v127 offset0:13 offset1:14
	s_waitcnt vmcnt(11) lgkmcnt(2)
	v_fma_f64 v[62:63], -v[80:81], v[104:105], v[62:63]
	s_waitcnt vmcnt(10)
	v_fma_f64 v[76:77], -v[80:81], v[106:107], v[76:77]
	s_waitcnt vmcnt(9) lgkmcnt(1)
	v_fma_f64 v[60:61], -v[80:81], v[108:109], v[60:61]
	s_waitcnt vmcnt(8)
	v_fma_f64 v[74:75], -v[80:81], v[110:111], v[74:75]
	ds_read2_b64 v[104:107], v127 offset0:15 offset1:16
	ds_read2_b64 v[108:111], v127 offset0:17 offset1:18
	s_waitcnt vmcnt(7) lgkmcnt(2)
	v_fma_f64 v[58:59], -v[80:81], v[100:101], v[58:59]
	s_waitcnt vmcnt(6)
	v_fma_f64 v[72:73], -v[80:81], v[102:103], v[72:73]
	ds_read2_b64 v[100:103], v127 offset0:19 offset1:20
	s_waitcnt vmcnt(5) lgkmcnt(2)
	v_fma_f64 v[56:57], -v[80:81], v[104:105], v[56:57]
	s_waitcnt vmcnt(4)
	v_fma_f64 v[70:71], -v[80:81], v[106:107], v[70:71]
	s_waitcnt vmcnt(3) lgkmcnt(1)
	v_fma_f64 v[54:55], -v[80:81], v[108:109], v[54:55]
	s_waitcnt vmcnt(2)
	v_fma_f64 v[68:69], -v[80:81], v[110:111], v[68:69]
	s_waitcnt vmcnt(1) lgkmcnt(0)
	v_fma_f64 v[52:53], -v[80:81], v[100:101], v[52:53]
	s_waitcnt vmcnt(0)
	v_fma_f64 v[84:85], -v[80:81], v[102:103], v[84:85]
.LBB41_36:
	s_or_b64 exec, exec, s[2:3]
	v_cmp_eq_u32_e32 vcc, 7, v128
	s_waitcnt lgkmcnt(0)
	s_barrier
	s_and_saveexec_b64 s[2:3], vcc
	s_cbranch_execz .LBB41_39
; %bb.37:
	s_waitcnt vmcnt(12)
	v_mov_b32_e32 v100, v78
	v_mov_b32_e32 v101, v79
	s_waitcnt vmcnt(11)
	v_mov_b32_e32 v102, v62
	v_mov_b32_e32 v103, v63
	ds_write_b64 v126, v[64:65]
	ds_write2_b64 v127, v[100:101], v[102:103] offset0:8 offset1:9
	s_waitcnt vmcnt(10)
	v_mov_b32_e32 v100, v76
	v_mov_b32_e32 v101, v77
	s_waitcnt vmcnt(9)
	v_mov_b32_e32 v102, v60
	v_mov_b32_e32 v103, v61
	ds_write2_b64 v127, v[100:101], v[102:103] offset0:10 offset1:11
	s_waitcnt vmcnt(8)
	v_mov_b32_e32 v100, v74
	v_mov_b32_e32 v101, v75
	s_waitcnt vmcnt(7)
	v_mov_b32_e32 v102, v58
	v_mov_b32_e32 v103, v59
	;; [unrolled: 7-line block ×5, first 2 shown]
	ds_write2_b64 v127, v[100:101], v[102:103] offset0:18 offset1:19
	s_waitcnt vmcnt(0)
	ds_write_b64 v127, v[84:85] offset:160
	ds_read_b64 v[100:101], v126
	s_waitcnt lgkmcnt(0)
	v_cmp_neq_f64_e32 vcc, 0, v[100:101]
	s_and_b64 exec, exec, vcc
	s_cbranch_execz .LBB41_39
; %bb.38:
	v_div_scale_f64 v[102:103], s[6:7], v[100:101], v[100:101], 1.0
	v_rcp_f64_e32 v[104:105], v[102:103]
	v_div_scale_f64 v[106:107], vcc, 1.0, v[100:101], 1.0
	v_fma_f64 v[108:109], -v[102:103], v[104:105], 1.0
	v_fmac_f64_e32 v[104:105], v[104:105], v[108:109]
	v_fma_f64 v[108:109], -v[102:103], v[104:105], 1.0
	v_fmac_f64_e32 v[104:105], v[104:105], v[108:109]
	v_mul_f64 v[108:109], v[106:107], v[104:105]
	v_fma_f64 v[102:103], -v[102:103], v[108:109], v[106:107]
	v_div_fmas_f64 v[102:103], v[102:103], v[104:105], v[108:109]
	v_div_fixup_f64 v[100:101], v[102:103], v[100:101], 1.0
	ds_write_b64 v126, v[100:101]
.LBB41_39:
	s_or_b64 exec, exec, s[2:3]
	s_waitcnt lgkmcnt(0)
	s_barrier
	ds_read_b64 v[100:101], v126
	v_cmp_lt_u32_e32 vcc, 7, v128
	s_and_saveexec_b64 s[2:3], vcc
	s_cbranch_execz .LBB41_41
; %bb.40:
	ds_read2_b64 v[102:105], v127 offset0:8 offset1:9
	ds_read2_b64 v[106:109], v127 offset0:10 offset1:11
	s_waitcnt vmcnt(13) lgkmcnt(2)
	v_mul_f64 v[64:65], v[100:101], v[64:65]
	ds_read2_b64 v[110:113], v127 offset0:12 offset1:13
	s_waitcnt vmcnt(12) lgkmcnt(2)
	v_fma_f64 v[78:79], -v[64:65], v[102:103], v[78:79]
	s_waitcnt vmcnt(11)
	v_fma_f64 v[62:63], -v[64:65], v[104:105], v[62:63]
	ds_read2_b64 v[102:105], v127 offset0:14 offset1:15
	s_waitcnt vmcnt(10) lgkmcnt(2)
	v_fma_f64 v[76:77], -v[64:65], v[106:107], v[76:77]
	s_waitcnt vmcnt(9)
	v_fma_f64 v[60:61], -v[64:65], v[108:109], v[60:61]
	s_waitcnt vmcnt(8) lgkmcnt(1)
	v_fma_f64 v[74:75], -v[64:65], v[110:111], v[74:75]
	s_waitcnt vmcnt(7)
	v_fma_f64 v[58:59], -v[64:65], v[112:113], v[58:59]
	ds_read2_b64 v[106:109], v127 offset0:16 offset1:17
	ds_read2_b64 v[110:113], v127 offset0:18 offset1:19
	s_waitcnt vmcnt(6) lgkmcnt(2)
	v_fma_f64 v[72:73], -v[64:65], v[102:103], v[72:73]
	ds_read_b64 v[102:103], v127 offset:160
	s_waitcnt vmcnt(5)
	v_fma_f64 v[56:57], -v[64:65], v[104:105], v[56:57]
	s_waitcnt vmcnt(4) lgkmcnt(2)
	v_fma_f64 v[70:71], -v[64:65], v[106:107], v[70:71]
	s_waitcnt vmcnt(3)
	v_fma_f64 v[54:55], -v[64:65], v[108:109], v[54:55]
	s_waitcnt vmcnt(2) lgkmcnt(1)
	v_fma_f64 v[68:69], -v[64:65], v[110:111], v[68:69]
	s_waitcnt vmcnt(1)
	v_fma_f64 v[52:53], -v[64:65], v[112:113], v[52:53]
	s_waitcnt vmcnt(0) lgkmcnt(0)
	v_fma_f64 v[84:85], -v[64:65], v[102:103], v[84:85]
.LBB41_41:
	s_or_b64 exec, exec, s[2:3]
	v_cmp_eq_u32_e32 vcc, 8, v128
	s_waitcnt lgkmcnt(0)
	s_barrier
	s_and_saveexec_b64 s[2:3], vcc
	s_cbranch_execz .LBB41_44
; %bb.42:
	s_waitcnt vmcnt(12)
	ds_write_b64 v126, v[78:79]
	s_waitcnt vmcnt(10)
	ds_write2_b64 v127, v[62:63], v[76:77] offset0:9 offset1:10
	s_waitcnt vmcnt(8)
	ds_write2_b64 v127, v[60:61], v[74:75] offset0:11 offset1:12
	s_waitcnt vmcnt(6)
	ds_write2_b64 v127, v[58:59], v[72:73] offset0:13 offset1:14
	s_waitcnt vmcnt(4)
	ds_write2_b64 v127, v[56:57], v[70:71] offset0:15 offset1:16
	s_waitcnt vmcnt(2)
	ds_write2_b64 v127, v[54:55], v[68:69] offset0:17 offset1:18
	s_waitcnt vmcnt(0)
	ds_write2_b64 v127, v[52:53], v[84:85] offset0:19 offset1:20
	ds_read_b64 v[102:103], v126
	s_waitcnt lgkmcnt(0)
	v_cmp_neq_f64_e32 vcc, 0, v[102:103]
	s_and_b64 exec, exec, vcc
	s_cbranch_execz .LBB41_44
; %bb.43:
	v_div_scale_f64 v[104:105], s[6:7], v[102:103], v[102:103], 1.0
	v_rcp_f64_e32 v[106:107], v[104:105]
	v_div_scale_f64 v[108:109], vcc, 1.0, v[102:103], 1.0
	v_fma_f64 v[110:111], -v[104:105], v[106:107], 1.0
	v_fmac_f64_e32 v[106:107], v[106:107], v[110:111]
	v_fma_f64 v[110:111], -v[104:105], v[106:107], 1.0
	v_fmac_f64_e32 v[106:107], v[106:107], v[110:111]
	v_mul_f64 v[110:111], v[108:109], v[106:107]
	v_fma_f64 v[104:105], -v[104:105], v[110:111], v[108:109]
	v_div_fmas_f64 v[104:105], v[104:105], v[106:107], v[110:111]
	v_div_fixup_f64 v[102:103], v[104:105], v[102:103], 1.0
	ds_write_b64 v126, v[102:103]
.LBB41_44:
	s_or_b64 exec, exec, s[2:3]
	s_waitcnt lgkmcnt(0)
	s_barrier
	ds_read_b64 v[102:103], v126
	v_cmp_lt_u32_e32 vcc, 8, v128
	s_and_saveexec_b64 s[2:3], vcc
	s_cbranch_execz .LBB41_46
; %bb.45:
	ds_read2_b64 v[104:107], v127 offset0:9 offset1:10
	ds_read2_b64 v[108:111], v127 offset0:11 offset1:12
	;; [unrolled: 1-line block ×3, first 2 shown]
	s_waitcnt vmcnt(12) lgkmcnt(3)
	v_mul_f64 v[78:79], v[102:103], v[78:79]
	s_waitcnt vmcnt(11) lgkmcnt(2)
	v_fma_f64 v[62:63], -v[78:79], v[104:105], v[62:63]
	s_waitcnt vmcnt(10)
	v_fma_f64 v[76:77], -v[78:79], v[106:107], v[76:77]
	ds_read2_b64 v[104:107], v127 offset0:15 offset1:16
	s_waitcnt vmcnt(9) lgkmcnt(2)
	v_fma_f64 v[60:61], -v[78:79], v[108:109], v[60:61]
	s_waitcnt vmcnt(8)
	v_fma_f64 v[74:75], -v[78:79], v[110:111], v[74:75]
	s_waitcnt vmcnt(7) lgkmcnt(1)
	v_fma_f64 v[58:59], -v[78:79], v[112:113], v[58:59]
	ds_read2_b64 v[108:111], v127 offset0:17 offset1:18
	s_waitcnt vmcnt(6)
	v_fma_f64 v[72:73], -v[78:79], v[114:115], v[72:73]
	ds_read2_b64 v[112:115], v127 offset0:19 offset1:20
	s_waitcnt vmcnt(5) lgkmcnt(2)
	v_fma_f64 v[56:57], -v[78:79], v[104:105], v[56:57]
	s_waitcnt vmcnt(4)
	v_fma_f64 v[70:71], -v[78:79], v[106:107], v[70:71]
	s_waitcnt vmcnt(3) lgkmcnt(1)
	v_fma_f64 v[54:55], -v[78:79], v[108:109], v[54:55]
	s_waitcnt vmcnt(2)
	v_fma_f64 v[68:69], -v[78:79], v[110:111], v[68:69]
	;; [unrolled: 4-line block ×3, first 2 shown]
.LBB41_46:
	s_or_b64 exec, exec, s[2:3]
	v_cmp_eq_u32_e32 vcc, 9, v128
	s_waitcnt lgkmcnt(0)
	s_barrier
	s_and_saveexec_b64 s[2:3], vcc
	s_cbranch_execz .LBB41_49
; %bb.47:
	s_waitcnt vmcnt(10)
	v_mov_b32_e32 v104, v76
	v_mov_b32_e32 v105, v77
	s_waitcnt vmcnt(9)
	v_mov_b32_e32 v106, v60
	v_mov_b32_e32 v107, v61
	ds_write_b64 v126, v[62:63]
	ds_write2_b64 v127, v[104:105], v[106:107] offset0:10 offset1:11
	s_waitcnt vmcnt(8)
	v_mov_b32_e32 v104, v74
	v_mov_b32_e32 v105, v75
	s_waitcnt vmcnt(7)
	v_mov_b32_e32 v106, v58
	v_mov_b32_e32 v107, v59
	ds_write2_b64 v127, v[104:105], v[106:107] offset0:12 offset1:13
	s_waitcnt vmcnt(6)
	v_mov_b32_e32 v104, v72
	v_mov_b32_e32 v105, v73
	s_waitcnt vmcnt(5)
	v_mov_b32_e32 v106, v56
	v_mov_b32_e32 v107, v57
	ds_write2_b64 v127, v[104:105], v[106:107] offset0:14 offset1:15
	s_waitcnt vmcnt(4)
	v_mov_b32_e32 v104, v70
	v_mov_b32_e32 v105, v71
	s_waitcnt vmcnt(3)
	v_mov_b32_e32 v106, v54
	v_mov_b32_e32 v107, v55
	ds_write2_b64 v127, v[104:105], v[106:107] offset0:16 offset1:17
	s_waitcnt vmcnt(2)
	v_mov_b32_e32 v104, v68
	v_mov_b32_e32 v105, v69
	s_waitcnt vmcnt(1)
	v_mov_b32_e32 v106, v52
	v_mov_b32_e32 v107, v53
	ds_write2_b64 v127, v[104:105], v[106:107] offset0:18 offset1:19
	s_waitcnt vmcnt(0)
	ds_write_b64 v127, v[84:85] offset:160
	ds_read_b64 v[104:105], v126
	s_waitcnt lgkmcnt(0)
	v_cmp_neq_f64_e32 vcc, 0, v[104:105]
	s_and_b64 exec, exec, vcc
	s_cbranch_execz .LBB41_49
; %bb.48:
	v_div_scale_f64 v[106:107], s[6:7], v[104:105], v[104:105], 1.0
	v_rcp_f64_e32 v[108:109], v[106:107]
	v_div_scale_f64 v[110:111], vcc, 1.0, v[104:105], 1.0
	v_fma_f64 v[112:113], -v[106:107], v[108:109], 1.0
	v_fmac_f64_e32 v[108:109], v[108:109], v[112:113]
	v_fma_f64 v[112:113], -v[106:107], v[108:109], 1.0
	v_fmac_f64_e32 v[108:109], v[108:109], v[112:113]
	v_mul_f64 v[112:113], v[110:111], v[108:109]
	v_fma_f64 v[106:107], -v[106:107], v[112:113], v[110:111]
	v_div_fmas_f64 v[106:107], v[106:107], v[108:109], v[112:113]
	v_div_fixup_f64 v[104:105], v[106:107], v[104:105], 1.0
	ds_write_b64 v126, v[104:105]
.LBB41_49:
	s_or_b64 exec, exec, s[2:3]
	s_waitcnt lgkmcnt(0)
	s_barrier
	ds_read_b64 v[104:105], v126
	v_cmp_lt_u32_e32 vcc, 9, v128
	s_and_saveexec_b64 s[2:3], vcc
	s_cbranch_execz .LBB41_51
; %bb.50:
	ds_read2_b64 v[106:109], v127 offset0:10 offset1:11
	ds_read2_b64 v[110:113], v127 offset0:12 offset1:13
	;; [unrolled: 1-line block ×3, first 2 shown]
	s_waitcnt vmcnt(11) lgkmcnt(3)
	v_mul_f64 v[62:63], v[104:105], v[62:63]
	s_waitcnt vmcnt(10) lgkmcnt(2)
	v_fma_f64 v[76:77], -v[62:63], v[106:107], v[76:77]
	s_waitcnt vmcnt(9)
	v_fma_f64 v[60:61], -v[62:63], v[108:109], v[60:61]
	ds_read2_b64 v[106:109], v127 offset0:16 offset1:17
	s_waitcnt vmcnt(8) lgkmcnt(2)
	v_fma_f64 v[74:75], -v[62:63], v[110:111], v[74:75]
	s_waitcnt vmcnt(7)
	v_fma_f64 v[58:59], -v[62:63], v[112:113], v[58:59]
	s_waitcnt vmcnt(6) lgkmcnt(1)
	v_fma_f64 v[72:73], -v[62:63], v[114:115], v[72:73]
	ds_read2_b64 v[110:113], v127 offset0:18 offset1:19
	ds_read_b64 v[114:115], v127 offset:160
	s_waitcnt vmcnt(5)
	v_fma_f64 v[56:57], -v[62:63], v[116:117], v[56:57]
	s_waitcnt vmcnt(4) lgkmcnt(2)
	v_fma_f64 v[70:71], -v[62:63], v[106:107], v[70:71]
	s_waitcnt vmcnt(3)
	v_fma_f64 v[54:55], -v[62:63], v[108:109], v[54:55]
	s_waitcnt vmcnt(2) lgkmcnt(1)
	v_fma_f64 v[68:69], -v[62:63], v[110:111], v[68:69]
	;; [unrolled: 4-line block ×3, first 2 shown]
.LBB41_51:
	s_or_b64 exec, exec, s[2:3]
	v_cmp_eq_u32_e32 vcc, 10, v128
	s_waitcnt lgkmcnt(0)
	s_barrier
	s_and_saveexec_b64 s[2:3], vcc
	s_cbranch_execz .LBB41_54
; %bb.52:
	s_waitcnt vmcnt(10)
	ds_write_b64 v126, v[76:77]
	s_waitcnt vmcnt(8)
	ds_write2_b64 v127, v[60:61], v[74:75] offset0:11 offset1:12
	s_waitcnt vmcnt(6)
	ds_write2_b64 v127, v[58:59], v[72:73] offset0:13 offset1:14
	;; [unrolled: 2-line block ×5, first 2 shown]
	ds_read_b64 v[106:107], v126
	s_waitcnt lgkmcnt(0)
	v_cmp_neq_f64_e32 vcc, 0, v[106:107]
	s_and_b64 exec, exec, vcc
	s_cbranch_execz .LBB41_54
; %bb.53:
	v_div_scale_f64 v[108:109], s[6:7], v[106:107], v[106:107], 1.0
	v_rcp_f64_e32 v[110:111], v[108:109]
	v_div_scale_f64 v[112:113], vcc, 1.0, v[106:107], 1.0
	v_fma_f64 v[114:115], -v[108:109], v[110:111], 1.0
	v_fmac_f64_e32 v[110:111], v[110:111], v[114:115]
	v_fma_f64 v[114:115], -v[108:109], v[110:111], 1.0
	v_fmac_f64_e32 v[110:111], v[110:111], v[114:115]
	v_mul_f64 v[114:115], v[112:113], v[110:111]
	v_fma_f64 v[108:109], -v[108:109], v[114:115], v[112:113]
	v_div_fmas_f64 v[108:109], v[108:109], v[110:111], v[114:115]
	v_div_fixup_f64 v[106:107], v[108:109], v[106:107], 1.0
	ds_write_b64 v126, v[106:107]
.LBB41_54:
	s_or_b64 exec, exec, s[2:3]
	s_waitcnt lgkmcnt(0)
	s_barrier
	ds_read_b64 v[106:107], v126
	v_cmp_lt_u32_e32 vcc, 10, v128
	s_and_saveexec_b64 s[2:3], vcc
	s_cbranch_execz .LBB41_56
; %bb.55:
	ds_read2_b64 v[108:111], v127 offset0:11 offset1:12
	ds_read2_b64 v[112:115], v127 offset0:13 offset1:14
	s_waitcnt vmcnt(10) lgkmcnt(2)
	v_mul_f64 v[76:77], v[106:107], v[76:77]
	ds_read2_b64 v[116:119], v127 offset0:17 offset1:18
	s_waitcnt vmcnt(9) lgkmcnt(2)
	v_fma_f64 v[60:61], -v[76:77], v[108:109], v[60:61]
	s_waitcnt vmcnt(8)
	v_fma_f64 v[74:75], -v[76:77], v[110:111], v[74:75]
	ds_read2_b64 v[108:111], v127 offset0:15 offset1:16
	s_waitcnt vmcnt(7) lgkmcnt(2)
	v_fma_f64 v[58:59], -v[76:77], v[112:113], v[58:59]
	s_waitcnt vmcnt(6)
	v_fma_f64 v[72:73], -v[76:77], v[114:115], v[72:73]
	ds_read2_b64 v[112:115], v127 offset0:19 offset1:20
	s_waitcnt vmcnt(3) lgkmcnt(2)
	v_fma_f64 v[54:55], -v[76:77], v[116:117], v[54:55]
	s_waitcnt lgkmcnt(1)
	v_fma_f64 v[56:57], -v[76:77], v[108:109], v[56:57]
	v_fma_f64 v[70:71], -v[76:77], v[110:111], v[70:71]
	s_waitcnt vmcnt(2)
	v_fma_f64 v[68:69], -v[76:77], v[118:119], v[68:69]
	s_waitcnt vmcnt(1) lgkmcnt(0)
	v_fma_f64 v[52:53], -v[76:77], v[112:113], v[52:53]
	s_waitcnt vmcnt(0)
	v_fma_f64 v[84:85], -v[76:77], v[114:115], v[84:85]
.LBB41_56:
	s_or_b64 exec, exec, s[2:3]
	v_cmp_eq_u32_e32 vcc, 11, v128
	s_waitcnt lgkmcnt(0)
	s_barrier
	s_and_saveexec_b64 s[2:3], vcc
	s_cbranch_execz .LBB41_59
; %bb.57:
	s_waitcnt vmcnt(8)
	v_mov_b32_e32 v108, v74
	v_mov_b32_e32 v109, v75
	s_waitcnt vmcnt(7)
	v_mov_b32_e32 v110, v58
	v_mov_b32_e32 v111, v59
	ds_write_b64 v126, v[60:61]
	ds_write2_b64 v127, v[108:109], v[110:111] offset0:12 offset1:13
	s_waitcnt vmcnt(6)
	v_mov_b32_e32 v108, v72
	v_mov_b32_e32 v109, v73
	s_waitcnt vmcnt(5)
	v_mov_b32_e32 v110, v56
	v_mov_b32_e32 v111, v57
	ds_write2_b64 v127, v[108:109], v[110:111] offset0:14 offset1:15
	s_waitcnt vmcnt(4)
	v_mov_b32_e32 v108, v70
	v_mov_b32_e32 v109, v71
	s_waitcnt vmcnt(3)
	v_mov_b32_e32 v110, v54
	v_mov_b32_e32 v111, v55
	;; [unrolled: 7-line block ×3, first 2 shown]
	ds_write2_b64 v127, v[108:109], v[110:111] offset0:18 offset1:19
	s_waitcnt vmcnt(0)
	ds_write_b64 v127, v[84:85] offset:160
	ds_read_b64 v[108:109], v126
	s_waitcnt lgkmcnt(0)
	v_cmp_neq_f64_e32 vcc, 0, v[108:109]
	s_and_b64 exec, exec, vcc
	s_cbranch_execz .LBB41_59
; %bb.58:
	v_div_scale_f64 v[110:111], s[6:7], v[108:109], v[108:109], 1.0
	v_rcp_f64_e32 v[112:113], v[110:111]
	v_div_scale_f64 v[114:115], vcc, 1.0, v[108:109], 1.0
	v_fma_f64 v[116:117], -v[110:111], v[112:113], 1.0
	v_fmac_f64_e32 v[112:113], v[112:113], v[116:117]
	v_fma_f64 v[116:117], -v[110:111], v[112:113], 1.0
	v_fmac_f64_e32 v[112:113], v[112:113], v[116:117]
	v_mul_f64 v[116:117], v[114:115], v[112:113]
	v_fma_f64 v[110:111], -v[110:111], v[116:117], v[114:115]
	v_div_fmas_f64 v[110:111], v[110:111], v[112:113], v[116:117]
	v_div_fixup_f64 v[108:109], v[110:111], v[108:109], 1.0
	ds_write_b64 v126, v[108:109]
.LBB41_59:
	s_or_b64 exec, exec, s[2:3]
	s_waitcnt lgkmcnt(0)
	s_barrier
	ds_read_b64 v[108:109], v126
	v_cmp_lt_u32_e32 vcc, 11, v128
	s_and_saveexec_b64 s[2:3], vcc
	s_cbranch_execz .LBB41_61
; %bb.60:
	ds_read2_b64 v[110:113], v127 offset0:12 offset1:13
	ds_read2_b64 v[114:117], v127 offset0:14 offset1:15
	s_waitcnt vmcnt(9) lgkmcnt(2)
	v_mul_f64 v[60:61], v[108:109], v[60:61]
	ds_read2_b64 v[118:121], v127 offset0:18 offset1:19
	s_waitcnt vmcnt(8) lgkmcnt(2)
	v_fma_f64 v[74:75], -v[60:61], v[110:111], v[74:75]
	s_waitcnt vmcnt(7)
	v_fma_f64 v[58:59], -v[60:61], v[112:113], v[58:59]
	ds_read2_b64 v[110:113], v127 offset0:16 offset1:17
	s_waitcnt vmcnt(6) lgkmcnt(2)
	v_fma_f64 v[72:73], -v[60:61], v[114:115], v[72:73]
	ds_read_b64 v[114:115], v127 offset:160
	s_waitcnt vmcnt(5)
	v_fma_f64 v[56:57], -v[60:61], v[116:117], v[56:57]
	s_waitcnt vmcnt(2) lgkmcnt(2)
	v_fma_f64 v[68:69], -v[60:61], v[118:119], v[68:69]
	s_waitcnt lgkmcnt(1)
	v_fma_f64 v[70:71], -v[60:61], v[110:111], v[70:71]
	v_fma_f64 v[54:55], -v[60:61], v[112:113], v[54:55]
	s_waitcnt vmcnt(1)
	v_fma_f64 v[52:53], -v[60:61], v[120:121], v[52:53]
	s_waitcnt vmcnt(0) lgkmcnt(0)
	v_fma_f64 v[84:85], -v[60:61], v[114:115], v[84:85]
.LBB41_61:
	s_or_b64 exec, exec, s[2:3]
	v_cmp_eq_u32_e32 vcc, 12, v128
	s_waitcnt lgkmcnt(0)
	s_barrier
	s_and_saveexec_b64 s[2:3], vcc
	s_cbranch_execz .LBB41_64
; %bb.62:
	s_waitcnt vmcnt(8)
	ds_write_b64 v126, v[74:75]
	s_waitcnt vmcnt(6)
	ds_write2_b64 v127, v[58:59], v[72:73] offset0:13 offset1:14
	s_waitcnt vmcnt(4)
	ds_write2_b64 v127, v[56:57], v[70:71] offset0:15 offset1:16
	;; [unrolled: 2-line block ×4, first 2 shown]
	ds_read_b64 v[110:111], v126
	s_waitcnt lgkmcnt(0)
	v_cmp_neq_f64_e32 vcc, 0, v[110:111]
	s_and_b64 exec, exec, vcc
	s_cbranch_execz .LBB41_64
; %bb.63:
	v_div_scale_f64 v[112:113], s[6:7], v[110:111], v[110:111], 1.0
	v_rcp_f64_e32 v[114:115], v[112:113]
	v_div_scale_f64 v[116:117], vcc, 1.0, v[110:111], 1.0
	v_fma_f64 v[118:119], -v[112:113], v[114:115], 1.0
	v_fmac_f64_e32 v[114:115], v[114:115], v[118:119]
	v_fma_f64 v[118:119], -v[112:113], v[114:115], 1.0
	v_fmac_f64_e32 v[114:115], v[114:115], v[118:119]
	v_mul_f64 v[118:119], v[116:117], v[114:115]
	v_fma_f64 v[112:113], -v[112:113], v[118:119], v[116:117]
	v_div_fmas_f64 v[112:113], v[112:113], v[114:115], v[118:119]
	v_div_fixup_f64 v[110:111], v[112:113], v[110:111], 1.0
	ds_write_b64 v126, v[110:111]
.LBB41_64:
	s_or_b64 exec, exec, s[2:3]
	s_waitcnt lgkmcnt(0)
	s_barrier
	ds_read_b64 v[110:111], v126
	v_cmp_lt_u32_e32 vcc, 12, v128
	s_and_saveexec_b64 s[2:3], vcc
	s_cbranch_execz .LBB41_66
; %bb.65:
	ds_read2_b64 v[112:115], v127 offset0:13 offset1:14
	ds_read2_b64 v[116:119], v127 offset0:15 offset1:16
	s_waitcnt vmcnt(8) lgkmcnt(2)
	v_mul_f64 v[74:75], v[110:111], v[74:75]
	ds_read2_b64 v[120:123], v127 offset0:17 offset1:18
	s_waitcnt vmcnt(7) lgkmcnt(2)
	v_fma_f64 v[58:59], -v[74:75], v[112:113], v[58:59]
	s_waitcnt vmcnt(6)
	v_fma_f64 v[72:73], -v[74:75], v[114:115], v[72:73]
	ds_read2_b64 v[112:115], v127 offset0:19 offset1:20
	s_waitcnt vmcnt(5) lgkmcnt(2)
	v_fma_f64 v[56:57], -v[74:75], v[116:117], v[56:57]
	s_waitcnt vmcnt(4)
	v_fma_f64 v[70:71], -v[74:75], v[118:119], v[70:71]
	s_waitcnt vmcnt(3) lgkmcnt(1)
	v_fma_f64 v[54:55], -v[74:75], v[120:121], v[54:55]
	s_waitcnt vmcnt(2)
	v_fma_f64 v[68:69], -v[74:75], v[122:123], v[68:69]
	;; [unrolled: 4-line block ×3, first 2 shown]
.LBB41_66:
	s_or_b64 exec, exec, s[2:3]
	v_cmp_eq_u32_e32 vcc, 13, v128
	s_waitcnt lgkmcnt(0)
	s_barrier
	s_and_saveexec_b64 s[2:3], vcc
	s_cbranch_execz .LBB41_69
; %bb.67:
	s_waitcnt vmcnt(6)
	v_mov_b32_e32 v112, v72
	v_mov_b32_e32 v113, v73
	s_waitcnt vmcnt(5)
	v_mov_b32_e32 v114, v56
	v_mov_b32_e32 v115, v57
	ds_write_b64 v126, v[58:59]
	ds_write2_b64 v127, v[112:113], v[114:115] offset0:14 offset1:15
	s_waitcnt vmcnt(4)
	v_mov_b32_e32 v112, v70
	v_mov_b32_e32 v113, v71
	s_waitcnt vmcnt(3)
	v_mov_b32_e32 v114, v54
	v_mov_b32_e32 v115, v55
	ds_write2_b64 v127, v[112:113], v[114:115] offset0:16 offset1:17
	s_waitcnt vmcnt(2)
	v_mov_b32_e32 v112, v68
	v_mov_b32_e32 v113, v69
	s_waitcnt vmcnt(1)
	v_mov_b32_e32 v114, v52
	v_mov_b32_e32 v115, v53
	ds_write2_b64 v127, v[112:113], v[114:115] offset0:18 offset1:19
	s_waitcnt vmcnt(0)
	ds_write_b64 v127, v[84:85] offset:160
	ds_read_b64 v[112:113], v126
	s_waitcnt lgkmcnt(0)
	v_cmp_neq_f64_e32 vcc, 0, v[112:113]
	s_and_b64 exec, exec, vcc
	s_cbranch_execz .LBB41_69
; %bb.68:
	v_div_scale_f64 v[114:115], s[6:7], v[112:113], v[112:113], 1.0
	v_rcp_f64_e32 v[116:117], v[114:115]
	v_div_scale_f64 v[118:119], vcc, 1.0, v[112:113], 1.0
	v_fma_f64 v[120:121], -v[114:115], v[116:117], 1.0
	v_fmac_f64_e32 v[116:117], v[116:117], v[120:121]
	v_fma_f64 v[120:121], -v[114:115], v[116:117], 1.0
	v_fmac_f64_e32 v[116:117], v[116:117], v[120:121]
	v_mul_f64 v[120:121], v[118:119], v[116:117]
	v_fma_f64 v[114:115], -v[114:115], v[120:121], v[118:119]
	v_div_fmas_f64 v[114:115], v[114:115], v[116:117], v[120:121]
	v_div_fixup_f64 v[112:113], v[114:115], v[112:113], 1.0
	ds_write_b64 v126, v[112:113]
.LBB41_69:
	s_or_b64 exec, exec, s[2:3]
	s_waitcnt lgkmcnt(0)
	s_barrier
	ds_read_b64 v[112:113], v126
	v_cmp_lt_u32_e32 vcc, 13, v128
	s_and_saveexec_b64 s[2:3], vcc
	s_cbranch_execz .LBB41_71
; %bb.70:
	ds_read2_b64 v[114:117], v127 offset0:14 offset1:15
	ds_read2_b64 v[118:121], v127 offset0:16 offset1:17
	s_waitcnt vmcnt(7) lgkmcnt(2)
	v_mul_f64 v[58:59], v[112:113], v[58:59]
	ds_read2_b64 v[122:125], v127 offset0:18 offset1:19
	s_waitcnt vmcnt(6) lgkmcnt(2)
	v_fma_f64 v[72:73], -v[58:59], v[114:115], v[72:73]
	ds_read_b64 v[114:115], v127 offset:160
	s_waitcnt vmcnt(5)
	v_fma_f64 v[56:57], -v[58:59], v[116:117], v[56:57]
	s_waitcnt vmcnt(4) lgkmcnt(2)
	v_fma_f64 v[70:71], -v[58:59], v[118:119], v[70:71]
	s_waitcnt vmcnt(3)
	v_fma_f64 v[54:55], -v[58:59], v[120:121], v[54:55]
	s_waitcnt vmcnt(2) lgkmcnt(1)
	v_fma_f64 v[68:69], -v[58:59], v[122:123], v[68:69]
	;; [unrolled: 4-line block ×3, first 2 shown]
.LBB41_71:
	s_or_b64 exec, exec, s[2:3]
	v_cmp_eq_u32_e32 vcc, 14, v128
	s_waitcnt lgkmcnt(0)
	s_barrier
	s_and_saveexec_b64 s[2:3], vcc
	s_cbranch_execz .LBB41_74
; %bb.72:
	s_waitcnt vmcnt(6)
	ds_write_b64 v126, v[72:73]
	s_waitcnt vmcnt(4)
	ds_write2_b64 v127, v[56:57], v[70:71] offset0:15 offset1:16
	s_waitcnt vmcnt(2)
	ds_write2_b64 v127, v[54:55], v[68:69] offset0:17 offset1:18
	s_waitcnt vmcnt(0)
	ds_write2_b64 v127, v[52:53], v[84:85] offset0:19 offset1:20
	ds_read_b64 v[114:115], v126
	s_waitcnt lgkmcnt(0)
	v_cmp_neq_f64_e32 vcc, 0, v[114:115]
	s_and_b64 exec, exec, vcc
	s_cbranch_execz .LBB41_74
; %bb.73:
	v_div_scale_f64 v[116:117], s[6:7], v[114:115], v[114:115], 1.0
	v_rcp_f64_e32 v[118:119], v[116:117]
	v_div_scale_f64 v[120:121], vcc, 1.0, v[114:115], 1.0
	v_fma_f64 v[122:123], -v[116:117], v[118:119], 1.0
	v_fmac_f64_e32 v[118:119], v[118:119], v[122:123]
	v_fma_f64 v[122:123], -v[116:117], v[118:119], 1.0
	v_fmac_f64_e32 v[118:119], v[118:119], v[122:123]
	v_mul_f64 v[122:123], v[120:121], v[118:119]
	v_fma_f64 v[116:117], -v[116:117], v[122:123], v[120:121]
	v_div_fmas_f64 v[116:117], v[116:117], v[118:119], v[122:123]
	v_div_fixup_f64 v[114:115], v[116:117], v[114:115], 1.0
	ds_write_b64 v126, v[114:115]
.LBB41_74:
	s_or_b64 exec, exec, s[2:3]
	s_waitcnt lgkmcnt(0)
	s_barrier
	ds_read_b64 v[114:115], v126
	v_cmp_lt_u32_e32 vcc, 14, v128
	s_and_saveexec_b64 s[2:3], vcc
	s_cbranch_execz .LBB41_76
; %bb.75:
	ds_read2_b64 v[116:119], v127 offset0:15 offset1:16
	ds_read2_b64 v[120:123], v127 offset0:17 offset1:18
	;; [unrolled: 1-line block ×3, first 2 shown]
	s_waitcnt vmcnt(6) lgkmcnt(3)
	v_mul_f64 v[72:73], v[114:115], v[72:73]
	s_waitcnt vmcnt(5) lgkmcnt(2)
	v_fma_f64 v[56:57], -v[72:73], v[116:117], v[56:57]
	s_waitcnt vmcnt(4)
	v_fma_f64 v[70:71], -v[72:73], v[118:119], v[70:71]
	s_waitcnt vmcnt(3) lgkmcnt(1)
	v_fma_f64 v[54:55], -v[72:73], v[120:121], v[54:55]
	s_waitcnt vmcnt(2)
	v_fma_f64 v[68:69], -v[72:73], v[122:123], v[68:69]
	s_waitcnt vmcnt(1) lgkmcnt(0)
	v_fma_f64 v[52:53], -v[72:73], v[130:131], v[52:53]
	s_waitcnt vmcnt(0)
	v_fma_f64 v[84:85], -v[72:73], v[132:133], v[84:85]
.LBB41_76:
	s_or_b64 exec, exec, s[2:3]
	v_cmp_eq_u32_e32 vcc, 15, v128
	s_waitcnt lgkmcnt(0)
	s_barrier
	s_and_saveexec_b64 s[2:3], vcc
	s_cbranch_execz .LBB41_79
; %bb.77:
	s_waitcnt vmcnt(4)
	v_mov_b32_e32 v116, v70
	v_mov_b32_e32 v117, v71
	s_waitcnt vmcnt(3)
	v_mov_b32_e32 v118, v54
	v_mov_b32_e32 v119, v55
	ds_write_b64 v126, v[56:57]
	ds_write2_b64 v127, v[116:117], v[118:119] offset0:16 offset1:17
	s_waitcnt vmcnt(2)
	v_mov_b32_e32 v116, v68
	v_mov_b32_e32 v117, v69
	s_waitcnt vmcnt(1)
	v_mov_b32_e32 v118, v52
	v_mov_b32_e32 v119, v53
	ds_write2_b64 v127, v[116:117], v[118:119] offset0:18 offset1:19
	s_waitcnt vmcnt(0)
	ds_write_b64 v127, v[84:85] offset:160
	ds_read_b64 v[116:117], v126
	s_waitcnt lgkmcnt(0)
	v_cmp_neq_f64_e32 vcc, 0, v[116:117]
	s_and_b64 exec, exec, vcc
	s_cbranch_execz .LBB41_79
; %bb.78:
	v_div_scale_f64 v[118:119], s[6:7], v[116:117], v[116:117], 1.0
	v_rcp_f64_e32 v[120:121], v[118:119]
	v_div_scale_f64 v[122:123], vcc, 1.0, v[116:117], 1.0
	v_fma_f64 v[124:125], -v[118:119], v[120:121], 1.0
	v_fmac_f64_e32 v[120:121], v[120:121], v[124:125]
	v_fma_f64 v[124:125], -v[118:119], v[120:121], 1.0
	v_fmac_f64_e32 v[120:121], v[120:121], v[124:125]
	v_mul_f64 v[124:125], v[122:123], v[120:121]
	v_fma_f64 v[118:119], -v[118:119], v[124:125], v[122:123]
	v_div_fmas_f64 v[118:119], v[118:119], v[120:121], v[124:125]
	v_div_fixup_f64 v[116:117], v[118:119], v[116:117], 1.0
	ds_write_b64 v126, v[116:117]
.LBB41_79:
	s_or_b64 exec, exec, s[2:3]
	s_waitcnt lgkmcnt(0)
	s_barrier
	ds_read_b64 v[116:117], v126
	v_cmp_lt_u32_e32 vcc, 15, v128
	s_and_saveexec_b64 s[2:3], vcc
	s_cbranch_execz .LBB41_81
; %bb.80:
	ds_read2_b64 v[118:121], v127 offset0:16 offset1:17
	ds_read2_b64 v[122:125], v127 offset0:18 offset1:19
	ds_read_b64 v[130:131], v127 offset:160
	s_waitcnt vmcnt(5) lgkmcnt(3)
	v_mul_f64 v[56:57], v[116:117], v[56:57]
	s_waitcnt vmcnt(4) lgkmcnt(2)
	v_fma_f64 v[70:71], -v[56:57], v[118:119], v[70:71]
	s_waitcnt vmcnt(3)
	v_fma_f64 v[54:55], -v[56:57], v[120:121], v[54:55]
	s_waitcnt vmcnt(2) lgkmcnt(1)
	v_fma_f64 v[68:69], -v[56:57], v[122:123], v[68:69]
	s_waitcnt vmcnt(1)
	v_fma_f64 v[52:53], -v[56:57], v[124:125], v[52:53]
	s_waitcnt vmcnt(0) lgkmcnt(0)
	v_fma_f64 v[84:85], -v[56:57], v[130:131], v[84:85]
.LBB41_81:
	s_or_b64 exec, exec, s[2:3]
	v_cmp_eq_u32_e32 vcc, 16, v128
	s_waitcnt lgkmcnt(0)
	s_barrier
	s_and_saveexec_b64 s[2:3], vcc
	s_cbranch_execz .LBB41_84
; %bb.82:
	s_waitcnt vmcnt(4)
	ds_write_b64 v126, v[70:71]
	s_waitcnt vmcnt(2)
	ds_write2_b64 v127, v[54:55], v[68:69] offset0:17 offset1:18
	s_waitcnt vmcnt(0)
	ds_write2_b64 v127, v[52:53], v[84:85] offset0:19 offset1:20
	ds_read_b64 v[118:119], v126
	s_waitcnt lgkmcnt(0)
	v_cmp_neq_f64_e32 vcc, 0, v[118:119]
	s_and_b64 exec, exec, vcc
	s_cbranch_execz .LBB41_84
; %bb.83:
	v_div_scale_f64 v[120:121], s[6:7], v[118:119], v[118:119], 1.0
	v_rcp_f64_e32 v[122:123], v[120:121]
	v_div_scale_f64 v[124:125], vcc, 1.0, v[118:119], 1.0
	v_fma_f64 v[130:131], -v[120:121], v[122:123], 1.0
	v_fmac_f64_e32 v[122:123], v[122:123], v[130:131]
	v_fma_f64 v[130:131], -v[120:121], v[122:123], 1.0
	v_fmac_f64_e32 v[122:123], v[122:123], v[130:131]
	v_mul_f64 v[130:131], v[124:125], v[122:123]
	v_fma_f64 v[120:121], -v[120:121], v[130:131], v[124:125]
	v_div_fmas_f64 v[120:121], v[120:121], v[122:123], v[130:131]
	v_div_fixup_f64 v[118:119], v[120:121], v[118:119], 1.0
	ds_write_b64 v126, v[118:119]
.LBB41_84:
	s_or_b64 exec, exec, s[2:3]
	s_waitcnt lgkmcnt(0)
	s_barrier
	ds_read_b64 v[118:119], v126
	v_cmp_lt_u32_e32 vcc, 16, v128
	s_and_saveexec_b64 s[2:3], vcc
	s_cbranch_execz .LBB41_86
; %bb.85:
	ds_read2_b64 v[120:123], v127 offset0:17 offset1:18
	ds_read2_b64 v[130:133], v127 offset0:19 offset1:20
	s_waitcnt vmcnt(4) lgkmcnt(2)
	v_mul_f64 v[70:71], v[118:119], v[70:71]
	s_waitcnt vmcnt(3) lgkmcnt(1)
	v_fma_f64 v[54:55], -v[70:71], v[120:121], v[54:55]
	s_waitcnt vmcnt(2)
	v_fma_f64 v[68:69], -v[70:71], v[122:123], v[68:69]
	s_waitcnt vmcnt(1) lgkmcnt(0)
	v_fma_f64 v[52:53], -v[70:71], v[130:131], v[52:53]
	s_waitcnt vmcnt(0)
	v_fma_f64 v[84:85], -v[70:71], v[132:133], v[84:85]
.LBB41_86:
	s_or_b64 exec, exec, s[2:3]
	v_cmp_eq_u32_e32 vcc, 17, v128
	s_waitcnt lgkmcnt(0)
	s_barrier
	s_and_saveexec_b64 s[2:3], vcc
	s_cbranch_execz .LBB41_89
; %bb.87:
	s_waitcnt vmcnt(2)
	v_mov_b32_e32 v120, v68
	v_mov_b32_e32 v121, v69
	s_waitcnt vmcnt(1)
	v_mov_b32_e32 v122, v52
	v_mov_b32_e32 v123, v53
	ds_write_b64 v126, v[54:55]
	ds_write2_b64 v127, v[120:121], v[122:123] offset0:18 offset1:19
	s_waitcnt vmcnt(0)
	ds_write_b64 v127, v[84:85] offset:160
	ds_read_b64 v[120:121], v126
	s_waitcnt lgkmcnt(0)
	v_cmp_neq_f64_e32 vcc, 0, v[120:121]
	s_and_b64 exec, exec, vcc
	s_cbranch_execz .LBB41_89
; %bb.88:
	v_div_scale_f64 v[122:123], s[6:7], v[120:121], v[120:121], 1.0
	v_rcp_f64_e32 v[124:125], v[122:123]
	v_div_scale_f64 v[130:131], vcc, 1.0, v[120:121], 1.0
	v_fma_f64 v[132:133], -v[122:123], v[124:125], 1.0
	v_fmac_f64_e32 v[124:125], v[124:125], v[132:133]
	v_fma_f64 v[132:133], -v[122:123], v[124:125], 1.0
	v_fmac_f64_e32 v[124:125], v[124:125], v[132:133]
	v_mul_f64 v[132:133], v[130:131], v[124:125]
	v_fma_f64 v[122:123], -v[122:123], v[132:133], v[130:131]
	v_div_fmas_f64 v[122:123], v[122:123], v[124:125], v[132:133]
	v_div_fixup_f64 v[120:121], v[122:123], v[120:121], 1.0
	ds_write_b64 v126, v[120:121]
.LBB41_89:
	s_or_b64 exec, exec, s[2:3]
	s_waitcnt lgkmcnt(0)
	s_barrier
	ds_read_b64 v[120:121], v126
	v_cmp_lt_u32_e32 vcc, 17, v128
	s_and_saveexec_b64 s[2:3], vcc
	s_cbranch_execz .LBB41_91
; %bb.90:
	ds_read2_b64 v[122:125], v127 offset0:18 offset1:19
	ds_read_b64 v[130:131], v127 offset:160
	s_waitcnt vmcnt(3) lgkmcnt(2)
	v_mul_f64 v[54:55], v[120:121], v[54:55]
	s_waitcnt vmcnt(2) lgkmcnt(1)
	v_fma_f64 v[68:69], -v[54:55], v[122:123], v[68:69]
	s_waitcnt vmcnt(1)
	v_fma_f64 v[52:53], -v[54:55], v[124:125], v[52:53]
	s_waitcnt vmcnt(0) lgkmcnt(0)
	v_fma_f64 v[84:85], -v[54:55], v[130:131], v[84:85]
.LBB41_91:
	s_or_b64 exec, exec, s[2:3]
	v_cmp_eq_u32_e32 vcc, 18, v128
	s_waitcnt lgkmcnt(0)
	s_barrier
	s_and_saveexec_b64 s[2:3], vcc
	s_cbranch_execz .LBB41_94
; %bb.92:
	s_waitcnt vmcnt(2)
	ds_write_b64 v126, v[68:69]
	s_waitcnt vmcnt(0)
	ds_write2_b64 v127, v[52:53], v[84:85] offset0:19 offset1:20
	ds_read_b64 v[122:123], v126
	s_waitcnt lgkmcnt(0)
	v_cmp_neq_f64_e32 vcc, 0, v[122:123]
	s_and_b64 exec, exec, vcc
	s_cbranch_execz .LBB41_94
; %bb.93:
	v_div_scale_f64 v[124:125], s[6:7], v[122:123], v[122:123], 1.0
	v_rcp_f64_e32 v[130:131], v[124:125]
	v_div_scale_f64 v[132:133], vcc, 1.0, v[122:123], 1.0
	v_fma_f64 v[134:135], -v[124:125], v[130:131], 1.0
	v_fmac_f64_e32 v[130:131], v[130:131], v[134:135]
	v_fma_f64 v[134:135], -v[124:125], v[130:131], 1.0
	v_fmac_f64_e32 v[130:131], v[130:131], v[134:135]
	v_mul_f64 v[134:135], v[132:133], v[130:131]
	v_fma_f64 v[124:125], -v[124:125], v[134:135], v[132:133]
	v_div_fmas_f64 v[124:125], v[124:125], v[130:131], v[134:135]
	v_div_fixup_f64 v[122:123], v[124:125], v[122:123], 1.0
	ds_write_b64 v126, v[122:123]
.LBB41_94:
	s_or_b64 exec, exec, s[2:3]
	s_waitcnt lgkmcnt(0)
	s_barrier
	ds_read_b64 v[122:123], v126
	v_cmp_lt_u32_e32 vcc, 18, v128
	s_and_saveexec_b64 s[2:3], vcc
	s_cbranch_execz .LBB41_96
; %bb.95:
	ds_read2_b64 v[130:133], v127 offset0:19 offset1:20
	s_waitcnt vmcnt(2) lgkmcnt(1)
	v_mul_f64 v[68:69], v[122:123], v[68:69]
	s_waitcnt vmcnt(1) lgkmcnt(0)
	v_fma_f64 v[52:53], -v[68:69], v[130:131], v[52:53]
	s_waitcnt vmcnt(0)
	v_fma_f64 v[84:85], -v[68:69], v[132:133], v[84:85]
.LBB41_96:
	s_or_b64 exec, exec, s[2:3]
	v_cmp_eq_u32_e32 vcc, 19, v128
	s_waitcnt lgkmcnt(0)
	s_barrier
	s_and_saveexec_b64 s[2:3], vcc
	s_cbranch_execz .LBB41_99
; %bb.97:
	s_waitcnt vmcnt(1)
	ds_write_b64 v126, v[52:53]
	s_waitcnt vmcnt(0)
	ds_write_b64 v127, v[84:85] offset:160
	ds_read_b64 v[124:125], v126
	s_waitcnt lgkmcnt(0)
	v_cmp_neq_f64_e32 vcc, 0, v[124:125]
	s_and_b64 exec, exec, vcc
	s_cbranch_execz .LBB41_99
; %bb.98:
	v_div_scale_f64 v[130:131], s[6:7], v[124:125], v[124:125], 1.0
	v_rcp_f64_e32 v[132:133], v[130:131]
	v_div_scale_f64 v[134:135], vcc, 1.0, v[124:125], 1.0
	v_fma_f64 v[136:137], -v[130:131], v[132:133], 1.0
	v_fmac_f64_e32 v[132:133], v[132:133], v[136:137]
	v_fma_f64 v[136:137], -v[130:131], v[132:133], 1.0
	v_fmac_f64_e32 v[132:133], v[132:133], v[136:137]
	v_mul_f64 v[136:137], v[134:135], v[132:133]
	v_fma_f64 v[130:131], -v[130:131], v[136:137], v[134:135]
	v_div_fmas_f64 v[130:131], v[130:131], v[132:133], v[136:137]
	v_div_fixup_f64 v[124:125], v[130:131], v[124:125], 1.0
	ds_write_b64 v126, v[124:125]
.LBB41_99:
	s_or_b64 exec, exec, s[2:3]
	s_waitcnt lgkmcnt(0)
	s_barrier
	ds_read_b64 v[124:125], v126
	v_cmp_lt_u32_e32 vcc, 19, v128
	s_and_saveexec_b64 s[2:3], vcc
	s_cbranch_execz .LBB41_101
; %bb.100:
	ds_read_b64 v[130:131], v127 offset:160
	s_waitcnt vmcnt(1) lgkmcnt(1)
	v_mul_f64 v[52:53], v[124:125], v[52:53]
	s_waitcnt vmcnt(0) lgkmcnt(0)
	v_fma_f64 v[84:85], -v[52:53], v[130:131], v[84:85]
.LBB41_101:
	s_or_b64 exec, exec, s[2:3]
	v_cmp_eq_u32_e32 vcc, 20, v128
	s_waitcnt lgkmcnt(0)
	s_barrier
	s_and_saveexec_b64 s[2:3], vcc
	s_cbranch_execz .LBB41_104
; %bb.102:
	s_waitcnt vmcnt(0)
	v_cmp_neq_f64_e32 vcc, 0, v[84:85]
	ds_write_b64 v126, v[84:85]
	s_and_b64 exec, exec, vcc
	s_cbranch_execz .LBB41_104
; %bb.103:
	v_div_scale_f64 v[130:131], s[6:7], v[84:85], v[84:85], 1.0
	v_rcp_f64_e32 v[132:133], v[130:131]
	v_div_scale_f64 v[134:135], vcc, 1.0, v[84:85], 1.0
	v_fma_f64 v[136:137], -v[130:131], v[132:133], 1.0
	v_fmac_f64_e32 v[132:133], v[132:133], v[136:137]
	v_fma_f64 v[136:137], -v[130:131], v[132:133], 1.0
	v_fmac_f64_e32 v[132:133], v[132:133], v[136:137]
	v_mul_f64 v[136:137], v[134:135], v[132:133]
	v_fma_f64 v[130:131], -v[130:131], v[136:137], v[134:135]
	v_div_fmas_f64 v[130:131], v[130:131], v[132:133], v[136:137]
	v_div_fixup_f64 v[130:131], v[130:131], v[84:85], 1.0
	ds_write_b64 v126, v[130:131]
.LBB41_104:
	s_or_b64 exec, exec, s[2:3]
	s_waitcnt lgkmcnt(0)
	s_barrier
	ds_read_b64 v[126:127], v126
	s_waitcnt lgkmcnt(0)
	s_barrier
	s_and_saveexec_b64 s[2:3], s[0:1]
	s_cbranch_execz .LBB41_107
; %bb.105:
	s_load_dwordx2 s[0:1], s[4:5], 0x28
	v_lshlrev_b64 v[2:3], 2, v[2:3]
	v_cmp_eq_f64_e32 vcc, 0, v[86:87]
	v_cndmask_b32_e64 v86, 0, 1, vcc
	s_waitcnt lgkmcnt(0)
	v_mov_b32_e32 v87, s1
	v_add_co_u32_e64 v2, s[0:1], s0, v2
	v_addc_co_u32_e64 v3, s[0:1], v87, v3, s[0:1]
	global_load_dword v87, v[2:3], off
	v_cmp_neq_f64_e64 s[0:1], 0, v[88:89]
	s_or_b64 vcc, s[0:1], vcc
	v_cndmask_b32_e32 v86, 2, v86, vcc
	v_cmp_eq_f64_e32 vcc, 0, v[90:91]
	v_cmp_eq_u32_e64 s[0:1], 0, v86
	s_and_b64 s[0:1], vcc, s[0:1]
	v_cndmask_b32_e64 v86, v86, 3, s[0:1]
	v_cmp_eq_f64_e32 vcc, 0, v[92:93]
	v_cmp_eq_u32_e64 s[0:1], 0, v86
	s_and_b64 s[0:1], vcc, s[0:1]
	v_cndmask_b32_e64 v86, v86, 4, s[0:1]
	;; [unrolled: 4-line block ×19, first 2 shown]
	s_waitcnt vmcnt(0)
	v_cmp_eq_u32_e32 vcc, 0, v87
	v_cmp_ne_u32_e64 s[0:1], 0, v86
	s_and_b64 s[0:1], vcc, s[0:1]
	s_and_b64 exec, exec, s[0:1]
	s_cbranch_execz .LBB41_107
; %bb.106:
	v_add_u32_e32 v86, s9, v86
	global_store_dword v[2:3], v86, off
.LBB41_107:
	s_or_b64 exec, exec, s[2:3]
	s_waitcnt vmcnt(0)
	v_mul_f64 v[2:3], v[126:127], v[84:85]
	v_cmp_lt_u32_e32 vcc, 20, v128
	v_cndmask_b32_e32 v3, v85, v3, vcc
	v_cndmask_b32_e32 v2, v84, v2, vcc
	global_store_dwordx2 v[0:1], v[24:25], off
	global_store_dwordx2 v[20:21], v[28:29], off
	;; [unrolled: 1-line block ×21, first 2 shown]
.LBB41_108:
	s_endpgm
	.section	.rodata,"a",@progbits
	.p2align	6, 0x0
	.amdhsa_kernel _ZN9rocsolver6v33100L23getf2_npvt_small_kernelILi21EdiiPKPdEEvT1_T3_lS5_lPT2_S5_S5_
		.amdhsa_group_segment_fixed_size 0
		.amdhsa_private_segment_fixed_size 0
		.amdhsa_kernarg_size 312
		.amdhsa_user_sgpr_count 6
		.amdhsa_user_sgpr_private_segment_buffer 1
		.amdhsa_user_sgpr_dispatch_ptr 0
		.amdhsa_user_sgpr_queue_ptr 0
		.amdhsa_user_sgpr_kernarg_segment_ptr 1
		.amdhsa_user_sgpr_dispatch_id 0
		.amdhsa_user_sgpr_flat_scratch_init 0
		.amdhsa_user_sgpr_kernarg_preload_length 0
		.amdhsa_user_sgpr_kernarg_preload_offset 0
		.amdhsa_user_sgpr_private_segment_size 0
		.amdhsa_uses_dynamic_stack 0
		.amdhsa_system_sgpr_private_segment_wavefront_offset 0
		.amdhsa_system_sgpr_workgroup_id_x 1
		.amdhsa_system_sgpr_workgroup_id_y 1
		.amdhsa_system_sgpr_workgroup_id_z 0
		.amdhsa_system_sgpr_workgroup_info 0
		.amdhsa_system_vgpr_workitem_id 1
		.amdhsa_next_free_vgpr 138
		.amdhsa_next_free_sgpr 16
		.amdhsa_accum_offset 140
		.amdhsa_reserve_vcc 1
		.amdhsa_reserve_flat_scratch 0
		.amdhsa_float_round_mode_32 0
		.amdhsa_float_round_mode_16_64 0
		.amdhsa_float_denorm_mode_32 3
		.amdhsa_float_denorm_mode_16_64 3
		.amdhsa_dx10_clamp 1
		.amdhsa_ieee_mode 1
		.amdhsa_fp16_overflow 0
		.amdhsa_tg_split 0
		.amdhsa_exception_fp_ieee_invalid_op 0
		.amdhsa_exception_fp_denorm_src 0
		.amdhsa_exception_fp_ieee_div_zero 0
		.amdhsa_exception_fp_ieee_overflow 0
		.amdhsa_exception_fp_ieee_underflow 0
		.amdhsa_exception_fp_ieee_inexact 0
		.amdhsa_exception_int_div_zero 0
	.end_amdhsa_kernel
	.section	.text._ZN9rocsolver6v33100L23getf2_npvt_small_kernelILi21EdiiPKPdEEvT1_T3_lS5_lPT2_S5_S5_,"axG",@progbits,_ZN9rocsolver6v33100L23getf2_npvt_small_kernelILi21EdiiPKPdEEvT1_T3_lS5_lPT2_S5_S5_,comdat
.Lfunc_end41:
	.size	_ZN9rocsolver6v33100L23getf2_npvt_small_kernelILi21EdiiPKPdEEvT1_T3_lS5_lPT2_S5_S5_, .Lfunc_end41-_ZN9rocsolver6v33100L23getf2_npvt_small_kernelILi21EdiiPKPdEEvT1_T3_lS5_lPT2_S5_S5_
                                        ; -- End function
	.section	.AMDGPU.csdata,"",@progbits
; Kernel info:
; codeLenInByte = 11092
; NumSgprs: 20
; NumVgprs: 138
; NumAgprs: 0
; TotalNumVgprs: 138
; ScratchSize: 0
; MemoryBound: 0
; FloatMode: 240
; IeeeMode: 1
; LDSByteSize: 0 bytes/workgroup (compile time only)
; SGPRBlocks: 2
; VGPRBlocks: 17
; NumSGPRsForWavesPerEU: 20
; NumVGPRsForWavesPerEU: 138
; AccumOffset: 140
; Occupancy: 3
; WaveLimiterHint : 1
; COMPUTE_PGM_RSRC2:SCRATCH_EN: 0
; COMPUTE_PGM_RSRC2:USER_SGPR: 6
; COMPUTE_PGM_RSRC2:TRAP_HANDLER: 0
; COMPUTE_PGM_RSRC2:TGID_X_EN: 1
; COMPUTE_PGM_RSRC2:TGID_Y_EN: 1
; COMPUTE_PGM_RSRC2:TGID_Z_EN: 0
; COMPUTE_PGM_RSRC2:TIDIG_COMP_CNT: 1
; COMPUTE_PGM_RSRC3_GFX90A:ACCUM_OFFSET: 34
; COMPUTE_PGM_RSRC3_GFX90A:TG_SPLIT: 0
	.section	.text._ZN9rocsolver6v33100L18getf2_small_kernelILi22EdiiPKPdEEvT1_T3_lS5_lPS5_llPT2_S5_S5_S7_l,"axG",@progbits,_ZN9rocsolver6v33100L18getf2_small_kernelILi22EdiiPKPdEEvT1_T3_lS5_lPS5_llPT2_S5_S5_S7_l,comdat
	.globl	_ZN9rocsolver6v33100L18getf2_small_kernelILi22EdiiPKPdEEvT1_T3_lS5_lPS5_llPT2_S5_S5_S7_l ; -- Begin function _ZN9rocsolver6v33100L18getf2_small_kernelILi22EdiiPKPdEEvT1_T3_lS5_lPS5_llPT2_S5_S5_S7_l
	.p2align	8
	.type	_ZN9rocsolver6v33100L18getf2_small_kernelILi22EdiiPKPdEEvT1_T3_lS5_lPS5_llPT2_S5_S5_S7_l,@function
_ZN9rocsolver6v33100L18getf2_small_kernelILi22EdiiPKPdEEvT1_T3_lS5_lPS5_llPT2_S5_S5_S7_l: ; @_ZN9rocsolver6v33100L18getf2_small_kernelILi22EdiiPKPdEEvT1_T3_lS5_lPS5_llPT2_S5_S5_S7_l
; %bb.0:
	s_load_dword s0, s[4:5], 0x6c
	s_load_dwordx2 s[12:13], s[4:5], 0x48
	v_bfe_u32 v48, v0, 10, 10
	s_waitcnt lgkmcnt(0)
	s_lshr_b32 s0, s0, 16
	s_mul_i32 s7, s7, s0
	v_add_u32_e32 v2, s7, v48
	v_cmp_gt_i32_e32 vcc, s12, v2
	s_and_saveexec_b64 s[0:1], vcc
	s_cbranch_execz .LBB42_371
; %bb.1:
	s_load_dwordx4 s[0:3], s[4:5], 0x8
	s_load_dwordx4 s[8:11], s[4:5], 0x50
	v_ashrrev_i32_e32 v3, 31, v2
	v_lshlrev_b64 v[4:5], 3, v[2:3]
	v_pk_mov_b32 v[44:45], 0, 0
	s_waitcnt lgkmcnt(0)
	v_mov_b32_e32 v1, s1
	v_add_co_u32_e32 v4, vcc, s0, v4
	v_addc_co_u32_e32 v5, vcc, v1, v5, vcc
	global_load_dwordx2 v[4:5], v[4:5], off
	s_cmp_eq_u64 s[8:9], 0
	s_cselect_b64 s[6:7], -1, 0
	s_and_b64 vcc, exec, s[6:7]
	s_cbranch_vccnz .LBB42_3
; %bb.2:
	v_mul_lo_u32 v1, v3, s10
	v_mul_lo_u32 v8, v2, s11
	v_mad_u64_u32 v[6:7], s[0:1], v2, s10, 0
	v_add3_u32 v7, v7, v8, v1
	v_lshlrev_b64 v[6:7], 2, v[6:7]
	v_mov_b32_e32 v1, s9
	v_add_co_u32_e32 v44, vcc, s8, v6
	v_addc_co_u32_e32 v45, vcc, v1, v7, vcc
.LBB42_3:
	s_load_dword s8, s[4:5], 0x18
	s_load_dword s12, s[4:5], 0x0
	s_lshl_b64 s[0:1], s[2:3], 3
	v_mov_b32_e32 v1, s1
	s_waitcnt vmcnt(0)
	v_add_co_u32_e32 v54, vcc, s0, v4
	v_and_b32_e32 v56, 0x3ff, v0
	v_addc_co_u32_e32 v55, vcc, v5, v1, vcc
	v_lshlrev_b32_e32 v49, 3, v56
	v_add_co_u32_e32 v4, vcc, v54, v49
	s_waitcnt lgkmcnt(0)
	s_ashr_i32 s9, s8, 31
	v_addc_co_u32_e32 v5, vcc, 0, v55, vcc
	s_lshl_b64 s[10:11], s[8:9], 3
	v_mov_b32_e32 v0, s11
	v_add_co_u32_e32 v8, vcc, s10, v4
	s_add_i32 s9, s8, s8
	v_addc_co_u32_e32 v9, vcc, v5, v0, vcc
	v_add_u32_e32 v0, s9, v56
	v_ashrrev_i32_e32 v1, 31, v0
	v_lshlrev_b64 v[6:7], 3, v[0:1]
	v_add_u32_e32 v14, s8, v0
	v_add_co_u32_e32 v10, vcc, v54, v6
	v_ashrrev_i32_e32 v15, 31, v14
	v_addc_co_u32_e32 v11, vcc, v55, v7, vcc
	v_lshlrev_b64 v[0:1], 3, v[14:15]
	v_add_co_u32_e32 v16, vcc, v54, v0
	v_addc_co_u32_e32 v17, vcc, v55, v1, vcc
	global_load_dwordx2 v[18:19], v[4:5], off
	global_load_dwordx2 v[12:13], v[8:9], off
	global_load_dwordx2 v[6:7], v[10:11], off
	global_load_dwordx2 v[0:1], v[16:17], off
	v_add_u32_e32 v4, s8, v14
	v_ashrrev_i32_e32 v5, 31, v4
	v_lshlrev_b64 v[8:9], 3, v[4:5]
	v_add_u32_e32 v4, s8, v4
	v_add_co_u32_e32 v8, vcc, v54, v8
	v_ashrrev_i32_e32 v5, 31, v4
	v_addc_co_u32_e32 v9, vcc, v55, v9, vcc
	v_lshlrev_b64 v[10:11], 3, v[4:5]
	v_add_u32_e32 v4, s8, v4
	v_add_co_u32_e32 v14, vcc, v54, v10
	v_ashrrev_i32_e32 v5, 31, v4
	v_addc_co_u32_e32 v15, vcc, v55, v11, vcc
	v_lshlrev_b64 v[10:11], 3, v[4:5]
	v_add_u32_e32 v22, s8, v4
	v_add_co_u32_e32 v16, vcc, v54, v10
	v_ashrrev_i32_e32 v23, 31, v22
	v_addc_co_u32_e32 v17, vcc, v55, v11, vcc
	v_lshlrev_b64 v[4:5], 3, v[22:23]
	v_add_co_u32_e32 v24, vcc, v54, v4
	v_addc_co_u32_e32 v25, vcc, v55, v5, vcc
	global_load_dwordx2 v[28:29], v[8:9], off
	global_load_dwordx2 v[20:21], v[14:15], off
	global_load_dwordx2 v[10:11], v[16:17], off
	global_load_dwordx2 v[4:5], v[24:25], off
	v_add_u32_e32 v8, s8, v22
	v_ashrrev_i32_e32 v9, 31, v8
	v_lshlrev_b64 v[14:15], 3, v[8:9]
	v_add_u32_e32 v8, s8, v8
	v_add_co_u32_e32 v14, vcc, v54, v14
	v_ashrrev_i32_e32 v9, 31, v8
	v_addc_co_u32_e32 v15, vcc, v55, v15, vcc
	v_lshlrev_b64 v[16:17], 3, v[8:9]
	v_add_u32_e32 v8, s8, v8
	v_add_co_u32_e32 v22, vcc, v54, v16
	v_ashrrev_i32_e32 v9, 31, v8
	v_addc_co_u32_e32 v23, vcc, v55, v17, vcc
	;; [unrolled: 24-line block ×4, first 2 shown]
	v_lshlrev_b64 v[30:31], 3, v[22:23]
	v_add_u32_e32 v52, s8, v22
	v_add_co_u32_e32 v50, vcc, v54, v30
	v_ashrrev_i32_e32 v53, 31, v52
	v_addc_co_u32_e32 v51, vcc, v55, v31, vcc
	v_lshlrev_b64 v[22:23], 3, v[52:53]
	v_add_co_u32_e32 v58, vcc, v54, v22
	v_addc_co_u32_e32 v59, vcc, v55, v23, vcc
	global_load_dwordx2 v[42:43], v[36:37], off
	global_load_dwordx2 v[38:39], v[46:47], off
	;; [unrolled: 1-line block ×4, first 2 shown]
	v_add_u32_e32 v36, s8, v52
	v_ashrrev_i32_e32 v37, 31, v36
	v_lshlrev_b64 v[46:47], 3, v[36:37]
	v_add_u32_e32 v36, s8, v36
	v_add_co_u32_e32 v50, vcc, v54, v46
	v_ashrrev_i32_e32 v37, 31, v36
	v_addc_co_u32_e32 v51, vcc, v55, v47, vcc
	v_lshlrev_b64 v[36:37], 3, v[36:37]
	v_add_co_u32_e32 v52, vcc, v54, v36
	v_addc_co_u32_e32 v53, vcc, v55, v37, vcc
	global_load_dwordx2 v[36:37], v[50:51], off
	global_load_dwordx2 v[46:47], v[52:53], off
	s_max_i32 s0, s12, 22
	v_mul_lo_u32 v51, s0, v48
	v_lshl_add_u32 v52, v51, 3, 0
	v_add_u32_e32 v48, v52, v49
	s_waitcnt vmcnt(21)
	ds_write_b64 v48, v[18:19]
	s_waitcnt lgkmcnt(0)
	s_barrier
	ds_read_b64 v[48:49], v52
	v_mov_b32_e32 v50, 0
	s_cmp_lt_i32 s12, 2
	v_lshlrev_b32_e32 v57, 3, v51
	s_cbranch_scc1 .LBB42_6
; %bb.4:
	v_add3_u32 v51, v57, 0, 8
	s_mov_b32 s0, 1
	v_mov_b32_e32 v50, 0
.LBB42_5:                               ; =>This Inner Loop Header: Depth=1
	ds_read_b64 v[58:59], v51
	v_mov_b32_e32 v53, s0
	s_add_i32 s0, s0, 1
	v_add_u32_e32 v51, 8, v51
	s_cmp_eq_u32 s12, s0
	s_waitcnt lgkmcnt(0)
	v_cmp_lt_f64_e64 vcc, |v[48:49]|, |v[58:59]|
	v_cndmask_b32_e32 v49, v49, v59, vcc
	v_cndmask_b32_e32 v48, v48, v58, vcc
	;; [unrolled: 1-line block ×3, first 2 shown]
	s_cbranch_scc0 .LBB42_5
.LBB42_6:
	v_cmp_ne_u32_e32 vcc, v56, v50
                                        ; implicit-def: $vgpr53
	s_and_saveexec_b64 s[0:1], vcc
	s_xor_b64 s[0:1], exec, s[0:1]
	s_cbranch_execz .LBB42_12
; %bb.7:
	v_cmp_eq_u32_e32 vcc, 0, v56
	s_and_saveexec_b64 s[2:3], vcc
	s_cbranch_execz .LBB42_11
; %bb.8:
	v_cmp_ne_u32_e32 vcc, 0, v50
	s_xor_b64 s[14:15], s[6:7], -1
	s_and_b64 s[16:17], s[14:15], vcc
	s_and_saveexec_b64 s[14:15], s[16:17]
	s_cbranch_execz .LBB42_10
; %bb.9:
	v_ashrrev_i32_e32 v51, 31, v50
	v_lshlrev_b64 v[58:59], 2, v[50:51]
	v_add_co_u32_e32 v58, vcc, v44, v58
	v_addc_co_u32_e32 v59, vcc, v45, v59, vcc
	flat_load_dword v51, v[58:59]
	flat_load_dword v53, v[44:45]
	s_waitcnt vmcnt(0) lgkmcnt(0)
	flat_store_dword v[44:45], v51
	flat_store_dword v[58:59], v53
.LBB42_10:
	s_or_b64 exec, exec, s[14:15]
	v_mov_b32_e32 v56, v50
.LBB42_11:
	s_or_b64 exec, exec, s[2:3]
	v_mov_b32_e32 v53, v56
                                        ; implicit-def: $vgpr56
.LBB42_12:
	s_or_saveexec_b64 s[0:1], s[0:1]
	v_mov_b32_e32 v51, v53
	s_xor_b64 exec, exec, s[0:1]
	s_cbranch_execz .LBB42_14
; %bb.13:
	v_mov_b32_e32 v53, 0
	v_mov_b32_e32 v51, v56
	s_waitcnt vmcnt(0)
	ds_write2_b64 v52, v[12:13], v[6:7] offset0:1 offset1:2
	ds_write2_b64 v52, v[0:1], v[28:29] offset0:3 offset1:4
	;; [unrolled: 1-line block ×10, first 2 shown]
	ds_write_b64 v52, v[46:47] offset:168
.LBB42_14:
	s_or_b64 exec, exec, s[0:1]
	s_waitcnt lgkmcnt(0)
	v_cmp_eq_f64_e64 s[0:1], 0, v[48:49]
	v_cmp_lt_i32_e32 vcc, 0, v53
	s_barrier
	s_and_saveexec_b64 s[2:3], vcc
	s_cbranch_execz .LBB42_16
; %bb.15:
	v_div_scale_f64 v[58:59], s[14:15], v[48:49], v[48:49], 1.0
	v_rcp_f64_e32 v[60:61], v[58:59]
	v_div_scale_f64 v[62:63], vcc, 1.0, v[48:49], 1.0
	ds_read2_b64 v[66:69], v52 offset0:5 offset1:6
	v_fma_f64 v[64:65], -v[58:59], v[60:61], 1.0
	v_fmac_f64_e32 v[60:61], v[60:61], v[64:65]
	v_fma_f64 v[64:65], -v[58:59], v[60:61], 1.0
	v_fmac_f64_e32 v[60:61], v[60:61], v[64:65]
	v_mul_f64 v[64:65], v[62:63], v[60:61]
	v_fma_f64 v[58:59], -v[58:59], v[64:65], v[62:63]
	v_div_fmas_f64 v[58:59], v[58:59], v[60:61], v[64:65]
	v_div_fixup_f64 v[62:63], v[58:59], v[48:49], 1.0
	ds_read2_b64 v[58:61], v52 offset0:1 offset1:2
	v_cndmask_b32_e64 v49, v63, v49, s[0:1]
	v_cndmask_b32_e64 v48, v62, v48, s[0:1]
	ds_read2_b64 v[62:65], v52 offset0:3 offset1:4
	v_mul_f64 v[18:19], v[48:49], v[18:19]
	s_waitcnt vmcnt(0) lgkmcnt(0)
	v_fma_f64 v[12:13], -v[18:19], v[58:59], v[12:13]
	v_fma_f64 v[6:7], -v[18:19], v[60:61], v[6:7]
	ds_read2_b64 v[58:61], v52 offset0:7 offset1:8
	v_fma_f64 v[0:1], -v[18:19], v[62:63], v[0:1]
	v_fma_f64 v[28:29], -v[18:19], v[64:65], v[28:29]
	;; [unrolled: 1-line block ×3, first 2 shown]
	ds_read2_b64 v[62:65], v52 offset0:9 offset1:10
	v_fma_f64 v[10:11], -v[18:19], v[68:69], v[10:11]
	ds_read2_b64 v[66:69], v52 offset0:11 offset1:12
	s_waitcnt lgkmcnt(2)
	v_fma_f64 v[4:5], -v[18:19], v[58:59], v[4:5]
	v_fma_f64 v[34:35], -v[18:19], v[60:61], v[34:35]
	ds_read2_b64 v[58:61], v52 offset0:13 offset1:14
	s_waitcnt lgkmcnt(2)
	v_fma_f64 v[26:27], -v[18:19], v[62:63], v[26:27]
	;; [unrolled: 4-line block ×3, first 2 shown]
	v_fma_f64 v[40:41], -v[18:19], v[68:69], v[40:41]
	s_waitcnt lgkmcnt(1)
	v_fma_f64 v[32:33], -v[18:19], v[58:59], v[32:33]
	v_fma_f64 v[24:25], -v[18:19], v[60:61], v[24:25]
	ds_read2_b64 v[58:61], v52 offset0:17 offset1:18
	ds_read2_b64 v[66:69], v52 offset0:19 offset1:20
	ds_read_b64 v[48:49], v52 offset:168
	s_waitcnt lgkmcnt(3)
	v_fma_f64 v[14:15], -v[18:19], v[62:63], v[14:15]
	v_fma_f64 v[42:43], -v[18:19], v[64:65], v[42:43]
	s_waitcnt lgkmcnt(2)
	v_fma_f64 v[38:39], -v[18:19], v[58:59], v[38:39]
	v_fma_f64 v[30:31], -v[18:19], v[60:61], v[30:31]
	s_waitcnt lgkmcnt(1)
	v_fma_f64 v[22:23], -v[18:19], v[66:67], v[22:23]
	v_fma_f64 v[36:37], -v[18:19], v[68:69], v[36:37]
	s_waitcnt lgkmcnt(0)
	v_fma_f64 v[46:47], -v[18:19], v[48:49], v[46:47]
.LBB42_16:
	s_or_b64 exec, exec, s[2:3]
	v_lshl_add_u32 v48, v53, 3, v52
	s_barrier
	s_waitcnt vmcnt(0)
	ds_write_b64 v48, v[12:13]
	s_waitcnt lgkmcnt(0)
	s_barrier
	ds_read_b64 v[48:49], v52 offset:8
	s_cmp_lt_i32 s12, 3
	v_mov_b32_e32 v50, 1
	s_cbranch_scc1 .LBB42_19
; %bb.17:
	v_add3_u32 v56, v57, 0, 16
	s_mov_b32 s2, 2
	v_mov_b32_e32 v50, 1
.LBB42_18:                              ; =>This Inner Loop Header: Depth=1
	ds_read_b64 v[58:59], v56
	v_mov_b32_e32 v60, s2
	s_add_i32 s2, s2, 1
	v_add_u32_e32 v56, 8, v56
	s_cmp_lg_u32 s12, s2
	s_waitcnt lgkmcnt(0)
	v_cmp_lt_f64_e64 vcc, |v[48:49]|, |v[58:59]|
	v_cndmask_b32_e32 v49, v49, v59, vcc
	v_cndmask_b32_e32 v48, v48, v58, vcc
	;; [unrolled: 1-line block ×3, first 2 shown]
	s_cbranch_scc1 .LBB42_18
.LBB42_19:
	v_cmp_ne_u32_e32 vcc, v53, v50
	s_and_saveexec_b64 s[2:3], vcc
	s_xor_b64 s[2:3], exec, s[2:3]
	s_cbranch_execz .LBB42_25
; %bb.20:
	v_cmp_eq_u32_e32 vcc, 1, v53
	s_and_saveexec_b64 s[14:15], vcc
	s_cbranch_execz .LBB42_24
; %bb.21:
	v_cmp_ne_u32_e32 vcc, 1, v50
	s_xor_b64 s[16:17], s[6:7], -1
	s_and_b64 s[18:19], s[16:17], vcc
	s_and_saveexec_b64 s[16:17], s[18:19]
	s_cbranch_execz .LBB42_23
; %bb.22:
	v_ashrrev_i32_e32 v51, 31, v50
	v_lshlrev_b64 v[58:59], 2, v[50:51]
	v_add_co_u32_e32 v58, vcc, v44, v58
	v_addc_co_u32_e32 v59, vcc, v45, v59, vcc
	flat_load_dword v51, v[58:59]
	flat_load_dword v53, v[44:45] offset:4
	s_waitcnt vmcnt(0) lgkmcnt(0)
	flat_store_dword v[44:45], v51 offset:4
	flat_store_dword v[58:59], v53
.LBB42_23:
	s_or_b64 exec, exec, s[16:17]
	v_mov_b32_e32 v51, v50
	v_mov_b32_e32 v53, v50
.LBB42_24:
	s_or_b64 exec, exec, s[14:15]
.LBB42_25:
	s_andn2_saveexec_b64 s[2:3], s[2:3]
	s_cbranch_execz .LBB42_27
; %bb.26:
	v_mov_b32_e32 v58, v6
	v_mov_b32_e32 v59, v7
	v_mov_b32_e32 v60, v0
	v_mov_b32_e32 v61, v1
	ds_write2_b64 v52, v[58:59], v[60:61] offset0:2 offset1:3
	v_mov_b32_e32 v58, v28
	v_mov_b32_e32 v59, v29
	v_mov_b32_e32 v60, v20
	v_mov_b32_e32 v61, v21
	ds_write2_b64 v52, v[58:59], v[60:61] offset0:4 offset1:5
	;; [unrolled: 5-line block ×9, first 2 shown]
	v_mov_b32_e32 v58, v36
	v_mov_b32_e32 v59, v37
	;; [unrolled: 1-line block ×3, first 2 shown]
	ds_write2_b64 v52, v[58:59], v[46:47] offset0:20 offset1:21
.LBB42_27:
	s_or_b64 exec, exec, s[2:3]
	s_waitcnt lgkmcnt(0)
	v_cmp_neq_f64_e64 s[2:3], 0, v[48:49]
	v_cmp_lt_i32_e32 vcc, 1, v53
	s_barrier
	s_and_saveexec_b64 s[14:15], vcc
	s_cbranch_execz .LBB42_29
; %bb.28:
	v_div_scale_f64 v[58:59], s[16:17], v[48:49], v[48:49], 1.0
	v_rcp_f64_e32 v[60:61], v[58:59]
	v_div_scale_f64 v[62:63], vcc, 1.0, v[48:49], 1.0
	ds_read2_b64 v[66:69], v52 offset0:6 offset1:7
	v_fma_f64 v[64:65], -v[58:59], v[60:61], 1.0
	v_fmac_f64_e32 v[60:61], v[60:61], v[64:65]
	v_fma_f64 v[64:65], -v[58:59], v[60:61], 1.0
	v_fmac_f64_e32 v[60:61], v[60:61], v[64:65]
	v_mul_f64 v[64:65], v[62:63], v[60:61]
	v_fma_f64 v[58:59], -v[58:59], v[64:65], v[62:63]
	v_div_fmas_f64 v[58:59], v[58:59], v[60:61], v[64:65]
	v_div_fixup_f64 v[62:63], v[58:59], v[48:49], 1.0
	ds_read2_b64 v[58:61], v52 offset0:2 offset1:3
	v_cndmask_b32_e64 v49, v49, v63, s[2:3]
	v_cndmask_b32_e64 v48, v48, v62, s[2:3]
	ds_read2_b64 v[62:65], v52 offset0:4 offset1:5
	v_mul_f64 v[12:13], v[48:49], v[12:13]
	s_waitcnt lgkmcnt(0)
	v_fma_f64 v[6:7], -v[12:13], v[58:59], v[6:7]
	v_fma_f64 v[0:1], -v[12:13], v[60:61], v[0:1]
	ds_read2_b64 v[58:61], v52 offset0:8 offset1:9
	v_fma_f64 v[28:29], -v[12:13], v[62:63], v[28:29]
	v_fma_f64 v[20:21], -v[12:13], v[64:65], v[20:21]
	;; [unrolled: 1-line block ×3, first 2 shown]
	ds_read2_b64 v[62:65], v52 offset0:10 offset1:11
	v_fma_f64 v[4:5], -v[12:13], v[68:69], v[4:5]
	ds_read2_b64 v[66:69], v52 offset0:12 offset1:13
	s_waitcnt lgkmcnt(0)
	v_fma_f64 v[34:35], -v[12:13], v[58:59], v[34:35]
	v_fma_f64 v[26:27], -v[12:13], v[60:61], v[26:27]
	ds_read2_b64 v[58:61], v52 offset0:14 offset1:15
	v_fma_f64 v[16:17], -v[12:13], v[62:63], v[16:17]
	v_fma_f64 v[8:9], -v[12:13], v[64:65], v[8:9]
	ds_read2_b64 v[62:65], v52 offset0:16 offset1:17
	v_fma_f64 v[40:41], -v[12:13], v[66:67], v[40:41]
	v_fma_f64 v[32:33], -v[12:13], v[68:69], v[32:33]
	s_waitcnt lgkmcnt(0)
	v_fma_f64 v[24:25], -v[12:13], v[58:59], v[24:25]
	ds_read2_b64 v[66:69], v52 offset0:18 offset1:19
	v_fma_f64 v[14:15], -v[12:13], v[60:61], v[14:15]
	ds_read2_b64 v[58:61], v52 offset0:20 offset1:21
	v_fma_f64 v[42:43], -v[12:13], v[62:63], v[42:43]
	v_fma_f64 v[38:39], -v[12:13], v[64:65], v[38:39]
	s_waitcnt lgkmcnt(0)
	v_fma_f64 v[30:31], -v[12:13], v[66:67], v[30:31]
	v_fma_f64 v[22:23], -v[12:13], v[68:69], v[22:23]
	;; [unrolled: 1-line block ×4, first 2 shown]
.LBB42_29:
	s_or_b64 exec, exec, s[14:15]
	v_lshl_add_u32 v48, v53, 3, v52
	s_barrier
	ds_write_b64 v48, v[6:7]
	s_waitcnt lgkmcnt(0)
	s_barrier
	ds_read_b64 v[48:49], v52 offset:16
	s_mov_b32 s14, 3
	s_cmp_lt_i32 s12, 4
	v_mov_b32_e32 v50, 2
	s_cbranch_scc1 .LBB42_32
; %bb.30:
	v_add3_u32 v56, v57, 0, 24
	v_mov_b32_e32 v50, 2
.LBB42_31:                              ; =>This Inner Loop Header: Depth=1
	ds_read_b64 v[58:59], v56
	v_mov_b32_e32 v60, s14
	s_add_i32 s14, s14, 1
	v_add_u32_e32 v56, 8, v56
	s_cmp_lg_u32 s12, s14
	s_waitcnt lgkmcnt(0)
	v_cmp_lt_f64_e64 vcc, |v[48:49]|, |v[58:59]|
	v_cndmask_b32_e32 v49, v49, v59, vcc
	v_cndmask_b32_e32 v48, v48, v58, vcc
	;; [unrolled: 1-line block ×3, first 2 shown]
	s_cbranch_scc1 .LBB42_31
.LBB42_32:
	v_cndmask_b32_e64 v56, 2, 1, s[0:1]
	v_cndmask_b32_e64 v58, 0, 1, s[0:1]
	;; [unrolled: 1-line block ×3, first 2 shown]
	s_waitcnt lgkmcnt(0)
	v_cmp_eq_f64_e32 vcc, 0, v[48:49]
	s_and_saveexec_b64 s[0:1], vcc
	s_xor_b64 s[0:1], exec, s[0:1]
; %bb.33:
	v_cmp_ne_u32_e32 vcc, 0, v56
	v_cndmask_b32_e32 v56, 3, v56, vcc
; %bb.34:
	s_andn2_saveexec_b64 s[0:1], s[0:1]
; %bb.35:
	v_div_scale_f64 v[58:59], s[2:3], v[48:49], v[48:49], 1.0
	v_rcp_f64_e32 v[60:61], v[58:59]
	v_div_scale_f64 v[62:63], vcc, 1.0, v[48:49], 1.0
	v_fma_f64 v[64:65], -v[58:59], v[60:61], 1.0
	v_fmac_f64_e32 v[60:61], v[60:61], v[64:65]
	v_fma_f64 v[64:65], -v[58:59], v[60:61], 1.0
	v_fmac_f64_e32 v[60:61], v[60:61], v[64:65]
	v_mul_f64 v[64:65], v[62:63], v[60:61]
	v_fma_f64 v[58:59], -v[58:59], v[64:65], v[62:63]
	v_div_fmas_f64 v[58:59], v[58:59], v[60:61], v[64:65]
	v_div_fixup_f64 v[48:49], v[58:59], v[48:49], 1.0
; %bb.36:
	s_or_b64 exec, exec, s[0:1]
	v_cmp_ne_u32_e32 vcc, v53, v50
	s_and_saveexec_b64 s[0:1], vcc
	s_xor_b64 s[0:1], exec, s[0:1]
	s_cbranch_execz .LBB42_42
; %bb.37:
	v_cmp_eq_u32_e32 vcc, 2, v53
	s_and_saveexec_b64 s[2:3], vcc
	s_cbranch_execz .LBB42_41
; %bb.38:
	v_cmp_ne_u32_e32 vcc, 2, v50
	s_xor_b64 s[14:15], s[6:7], -1
	s_and_b64 s[16:17], s[14:15], vcc
	s_and_saveexec_b64 s[14:15], s[16:17]
	s_cbranch_execz .LBB42_40
; %bb.39:
	v_ashrrev_i32_e32 v51, 31, v50
	v_lshlrev_b64 v[58:59], 2, v[50:51]
	v_add_co_u32_e32 v58, vcc, v44, v58
	v_addc_co_u32_e32 v59, vcc, v45, v59, vcc
	flat_load_dword v51, v[58:59]
	flat_load_dword v53, v[44:45] offset:8
	s_waitcnt vmcnt(0) lgkmcnt(0)
	flat_store_dword v[44:45], v51 offset:8
	flat_store_dword v[58:59], v53
.LBB42_40:
	s_or_b64 exec, exec, s[14:15]
	v_mov_b32_e32 v51, v50
	v_mov_b32_e32 v53, v50
.LBB42_41:
	s_or_b64 exec, exec, s[2:3]
.LBB42_42:
	s_andn2_saveexec_b64 s[0:1], s[0:1]
	s_cbranch_execz .LBB42_44
; %bb.43:
	v_mov_b32_e32 v53, 2
	ds_write2_b64 v52, v[0:1], v[28:29] offset0:3 offset1:4
	ds_write2_b64 v52, v[20:21], v[10:11] offset0:5 offset1:6
	;; [unrolled: 1-line block ×9, first 2 shown]
	ds_write_b64 v52, v[46:47] offset:168
.LBB42_44:
	s_or_b64 exec, exec, s[0:1]
	v_cmp_lt_i32_e32 vcc, 2, v53
	s_waitcnt lgkmcnt(0)
	s_barrier
	s_and_saveexec_b64 s[0:1], vcc
	s_cbranch_execz .LBB42_46
; %bb.45:
	ds_read2_b64 v[58:61], v52 offset0:3 offset1:4
	ds_read2_b64 v[62:65], v52 offset0:5 offset1:6
	;; [unrolled: 1-line block ×3, first 2 shown]
	v_mul_f64 v[6:7], v[48:49], v[6:7]
	ds_read_b64 v[48:49], v52 offset:168
	s_waitcnt lgkmcnt(0)
	v_fma_f64 v[0:1], -v[6:7], v[58:59], v[0:1]
	v_fma_f64 v[28:29], -v[6:7], v[60:61], v[28:29]
	ds_read2_b64 v[58:61], v52 offset0:9 offset1:10
	v_fma_f64 v[20:21], -v[6:7], v[62:63], v[20:21]
	v_fma_f64 v[10:11], -v[6:7], v[64:65], v[10:11]
	;; [unrolled: 1-line block ×3, first 2 shown]
	ds_read2_b64 v[62:65], v52 offset0:11 offset1:12
	v_fma_f64 v[34:35], -v[6:7], v[68:69], v[34:35]
	ds_read2_b64 v[66:69], v52 offset0:13 offset1:14
	s_waitcnt lgkmcnt(0)
	v_fma_f64 v[26:27], -v[6:7], v[58:59], v[26:27]
	v_fma_f64 v[16:17], -v[6:7], v[60:61], v[16:17]
	v_fma_f64 v[8:9], -v[6:7], v[62:63], v[8:9]
	ds_read2_b64 v[58:61], v52 offset0:15 offset1:16
	v_fma_f64 v[40:41], -v[6:7], v[64:65], v[40:41]
	ds_read2_b64 v[62:65], v52 offset0:17 offset1:18
	v_fma_f64 v[32:33], -v[6:7], v[66:67], v[32:33]
	v_fma_f64 v[24:25], -v[6:7], v[68:69], v[24:25]
	ds_read2_b64 v[66:69], v52 offset0:19 offset1:20
	s_waitcnt lgkmcnt(0)
	v_fma_f64 v[14:15], -v[6:7], v[58:59], v[14:15]
	v_fma_f64 v[42:43], -v[6:7], v[60:61], v[42:43]
	;; [unrolled: 1-line block ×7, first 2 shown]
.LBB42_46:
	s_or_b64 exec, exec, s[0:1]
	v_lshl_add_u32 v48, v53, 3, v52
	s_barrier
	ds_write_b64 v48, v[0:1]
	s_waitcnt lgkmcnt(0)
	s_barrier
	ds_read_b64 v[48:49], v52 offset:24
	s_cmp_lt_i32 s12, 5
	v_mov_b32_e32 v50, 3
	s_cbranch_scc1 .LBB42_49
; %bb.47:
	v_add3_u32 v58, v57, 0, 32
	s_mov_b32 s0, 4
	v_mov_b32_e32 v50, 3
.LBB42_48:                              ; =>This Inner Loop Header: Depth=1
	ds_read_b64 v[60:61], v58
	v_mov_b32_e32 v59, s0
	s_add_i32 s0, s0, 1
	v_add_u32_e32 v58, 8, v58
	s_cmp_lg_u32 s12, s0
	s_waitcnt lgkmcnt(0)
	v_cmp_lt_f64_e64 vcc, |v[48:49]|, |v[60:61]|
	v_cndmask_b32_e32 v49, v49, v61, vcc
	v_cndmask_b32_e32 v48, v48, v60, vcc
	;; [unrolled: 1-line block ×3, first 2 shown]
	s_cbranch_scc1 .LBB42_48
.LBB42_49:
	s_waitcnt lgkmcnt(0)
	v_cmp_eq_f64_e32 vcc, 0, v[48:49]
	s_and_saveexec_b64 s[0:1], vcc
	s_xor_b64 s[0:1], exec, s[0:1]
; %bb.50:
	v_cmp_ne_u32_e32 vcc, 0, v56
	v_cndmask_b32_e32 v56, 4, v56, vcc
; %bb.51:
	s_andn2_saveexec_b64 s[0:1], s[0:1]
; %bb.52:
	v_div_scale_f64 v[58:59], s[2:3], v[48:49], v[48:49], 1.0
	v_rcp_f64_e32 v[60:61], v[58:59]
	v_div_scale_f64 v[62:63], vcc, 1.0, v[48:49], 1.0
	v_fma_f64 v[64:65], -v[58:59], v[60:61], 1.0
	v_fmac_f64_e32 v[60:61], v[60:61], v[64:65]
	v_fma_f64 v[64:65], -v[58:59], v[60:61], 1.0
	v_fmac_f64_e32 v[60:61], v[60:61], v[64:65]
	v_mul_f64 v[64:65], v[62:63], v[60:61]
	v_fma_f64 v[58:59], -v[58:59], v[64:65], v[62:63]
	v_div_fmas_f64 v[58:59], v[58:59], v[60:61], v[64:65]
	v_div_fixup_f64 v[48:49], v[58:59], v[48:49], 1.0
; %bb.53:
	s_or_b64 exec, exec, s[0:1]
	v_cmp_ne_u32_e32 vcc, v53, v50
	s_and_saveexec_b64 s[0:1], vcc
	s_xor_b64 s[0:1], exec, s[0:1]
	s_cbranch_execz .LBB42_59
; %bb.54:
	v_cmp_eq_u32_e32 vcc, 3, v53
	s_and_saveexec_b64 s[2:3], vcc
	s_cbranch_execz .LBB42_58
; %bb.55:
	v_cmp_ne_u32_e32 vcc, 3, v50
	s_xor_b64 s[14:15], s[6:7], -1
	s_and_b64 s[16:17], s[14:15], vcc
	s_and_saveexec_b64 s[14:15], s[16:17]
	s_cbranch_execz .LBB42_57
; %bb.56:
	v_ashrrev_i32_e32 v51, 31, v50
	v_lshlrev_b64 v[58:59], 2, v[50:51]
	v_add_co_u32_e32 v58, vcc, v44, v58
	v_addc_co_u32_e32 v59, vcc, v45, v59, vcc
	flat_load_dword v51, v[58:59]
	flat_load_dword v53, v[44:45] offset:12
	s_waitcnt vmcnt(0) lgkmcnt(0)
	flat_store_dword v[44:45], v51 offset:12
	flat_store_dword v[58:59], v53
.LBB42_57:
	s_or_b64 exec, exec, s[14:15]
	v_mov_b32_e32 v51, v50
	v_mov_b32_e32 v53, v50
.LBB42_58:
	s_or_b64 exec, exec, s[2:3]
.LBB42_59:
	s_andn2_saveexec_b64 s[0:1], s[0:1]
	s_cbranch_execz .LBB42_61
; %bb.60:
	v_mov_b32_e32 v58, v28
	v_mov_b32_e32 v59, v29
	v_mov_b32_e32 v60, v20
	v_mov_b32_e32 v61, v21
	ds_write2_b64 v52, v[58:59], v[60:61] offset0:4 offset1:5
	v_mov_b32_e32 v58, v10
	v_mov_b32_e32 v59, v11
	v_mov_b32_e32 v60, v4
	v_mov_b32_e32 v61, v5
	ds_write2_b64 v52, v[58:59], v[60:61] offset0:6 offset1:7
	;; [unrolled: 5-line block ×8, first 2 shown]
	v_mov_b32_e32 v58, v36
	v_mov_b32_e32 v59, v37
	;; [unrolled: 1-line block ×3, first 2 shown]
	ds_write2_b64 v52, v[58:59], v[46:47] offset0:20 offset1:21
.LBB42_61:
	s_or_b64 exec, exec, s[0:1]
	v_cmp_lt_i32_e32 vcc, 3, v53
	s_waitcnt lgkmcnt(0)
	s_barrier
	s_and_saveexec_b64 s[0:1], vcc
	s_cbranch_execz .LBB42_63
; %bb.62:
	ds_read2_b64 v[58:61], v52 offset0:4 offset1:5
	ds_read2_b64 v[62:65], v52 offset0:6 offset1:7
	;; [unrolled: 1-line block ×3, first 2 shown]
	v_mul_f64 v[0:1], v[48:49], v[0:1]
	s_waitcnt lgkmcnt(0)
	v_fma_f64 v[28:29], -v[0:1], v[58:59], v[28:29]
	v_fma_f64 v[20:21], -v[0:1], v[60:61], v[20:21]
	ds_read2_b64 v[58:61], v52 offset0:10 offset1:11
	v_fma_f64 v[10:11], -v[0:1], v[62:63], v[10:11]
	v_fma_f64 v[4:5], -v[0:1], v[64:65], v[4:5]
	;; [unrolled: 1-line block ×3, first 2 shown]
	ds_read2_b64 v[62:65], v52 offset0:12 offset1:13
	v_fma_f64 v[26:27], -v[0:1], v[68:69], v[26:27]
	ds_read2_b64 v[66:69], v52 offset0:14 offset1:15
	s_waitcnt lgkmcnt(0)
	v_fma_f64 v[16:17], -v[0:1], v[58:59], v[16:17]
	v_fma_f64 v[8:9], -v[0:1], v[60:61], v[8:9]
	;; [unrolled: 1-line block ×4, first 2 shown]
	ds_read2_b64 v[58:61], v52 offset0:16 offset1:17
	ds_read2_b64 v[62:65], v52 offset0:18 offset1:19
	v_fma_f64 v[24:25], -v[0:1], v[66:67], v[24:25]
	v_fma_f64 v[14:15], -v[0:1], v[68:69], v[14:15]
	ds_read2_b64 v[66:69], v52 offset0:20 offset1:21
	s_waitcnt lgkmcnt(0)
	v_fma_f64 v[42:43], -v[0:1], v[58:59], v[42:43]
	v_fma_f64 v[38:39], -v[0:1], v[60:61], v[38:39]
	;; [unrolled: 1-line block ×6, first 2 shown]
.LBB42_63:
	s_or_b64 exec, exec, s[0:1]
	v_lshl_add_u32 v48, v53, 3, v52
	s_barrier
	ds_write_b64 v48, v[28:29]
	s_waitcnt lgkmcnt(0)
	s_barrier
	ds_read_b64 v[48:49], v52 offset:32
	s_cmp_lt_i32 s12, 6
	v_mov_b32_e32 v50, 4
	s_cbranch_scc1 .LBB42_66
; %bb.64:
	v_add3_u32 v58, v57, 0, 40
	s_mov_b32 s0, 5
	v_mov_b32_e32 v50, 4
.LBB42_65:                              ; =>This Inner Loop Header: Depth=1
	ds_read_b64 v[60:61], v58
	v_mov_b32_e32 v59, s0
	s_add_i32 s0, s0, 1
	v_add_u32_e32 v58, 8, v58
	s_cmp_lg_u32 s12, s0
	s_waitcnt lgkmcnt(0)
	v_cmp_lt_f64_e64 vcc, |v[48:49]|, |v[60:61]|
	v_cndmask_b32_e32 v49, v49, v61, vcc
	v_cndmask_b32_e32 v48, v48, v60, vcc
	;; [unrolled: 1-line block ×3, first 2 shown]
	s_cbranch_scc1 .LBB42_65
.LBB42_66:
	s_waitcnt lgkmcnt(0)
	v_cmp_eq_f64_e32 vcc, 0, v[48:49]
	s_and_saveexec_b64 s[0:1], vcc
	s_xor_b64 s[0:1], exec, s[0:1]
; %bb.67:
	v_cmp_ne_u32_e32 vcc, 0, v56
	v_cndmask_b32_e32 v56, 5, v56, vcc
; %bb.68:
	s_andn2_saveexec_b64 s[0:1], s[0:1]
; %bb.69:
	v_div_scale_f64 v[58:59], s[2:3], v[48:49], v[48:49], 1.0
	v_rcp_f64_e32 v[60:61], v[58:59]
	v_div_scale_f64 v[62:63], vcc, 1.0, v[48:49], 1.0
	v_fma_f64 v[64:65], -v[58:59], v[60:61], 1.0
	v_fmac_f64_e32 v[60:61], v[60:61], v[64:65]
	v_fma_f64 v[64:65], -v[58:59], v[60:61], 1.0
	v_fmac_f64_e32 v[60:61], v[60:61], v[64:65]
	v_mul_f64 v[64:65], v[62:63], v[60:61]
	v_fma_f64 v[58:59], -v[58:59], v[64:65], v[62:63]
	v_div_fmas_f64 v[58:59], v[58:59], v[60:61], v[64:65]
	v_div_fixup_f64 v[48:49], v[58:59], v[48:49], 1.0
; %bb.70:
	s_or_b64 exec, exec, s[0:1]
	v_cmp_ne_u32_e32 vcc, v53, v50
	s_and_saveexec_b64 s[0:1], vcc
	s_xor_b64 s[0:1], exec, s[0:1]
	s_cbranch_execz .LBB42_76
; %bb.71:
	v_cmp_eq_u32_e32 vcc, 4, v53
	s_and_saveexec_b64 s[2:3], vcc
	s_cbranch_execz .LBB42_75
; %bb.72:
	v_cmp_ne_u32_e32 vcc, 4, v50
	s_xor_b64 s[14:15], s[6:7], -1
	s_and_b64 s[16:17], s[14:15], vcc
	s_and_saveexec_b64 s[14:15], s[16:17]
	s_cbranch_execz .LBB42_74
; %bb.73:
	v_ashrrev_i32_e32 v51, 31, v50
	v_lshlrev_b64 v[58:59], 2, v[50:51]
	v_add_co_u32_e32 v58, vcc, v44, v58
	v_addc_co_u32_e32 v59, vcc, v45, v59, vcc
	flat_load_dword v51, v[58:59]
	flat_load_dword v53, v[44:45] offset:16
	s_waitcnt vmcnt(0) lgkmcnt(0)
	flat_store_dword v[44:45], v51 offset:16
	flat_store_dword v[58:59], v53
.LBB42_74:
	s_or_b64 exec, exec, s[14:15]
	v_mov_b32_e32 v51, v50
	v_mov_b32_e32 v53, v50
.LBB42_75:
	s_or_b64 exec, exec, s[2:3]
.LBB42_76:
	s_andn2_saveexec_b64 s[0:1], s[0:1]
	s_cbranch_execz .LBB42_78
; %bb.77:
	v_mov_b32_e32 v53, 4
	ds_write2_b64 v52, v[20:21], v[10:11] offset0:5 offset1:6
	ds_write2_b64 v52, v[4:5], v[34:35] offset0:7 offset1:8
	;; [unrolled: 1-line block ×8, first 2 shown]
	ds_write_b64 v52, v[46:47] offset:168
.LBB42_78:
	s_or_b64 exec, exec, s[0:1]
	v_cmp_lt_i32_e32 vcc, 4, v53
	s_waitcnt lgkmcnt(0)
	s_barrier
	s_and_saveexec_b64 s[0:1], vcc
	s_cbranch_execz .LBB42_80
; %bb.79:
	ds_read2_b64 v[58:61], v52 offset0:5 offset1:6
	ds_read2_b64 v[62:65], v52 offset0:7 offset1:8
	v_mul_f64 v[28:29], v[48:49], v[28:29]
	ds_read2_b64 v[66:69], v52 offset0:9 offset1:10
	ds_read_b64 v[48:49], v52 offset:168
	s_waitcnt lgkmcnt(0)
	v_fma_f64 v[20:21], -v[28:29], v[58:59], v[20:21]
	v_fma_f64 v[10:11], -v[28:29], v[60:61], v[10:11]
	ds_read2_b64 v[58:61], v52 offset0:11 offset1:12
	v_fma_f64 v[4:5], -v[28:29], v[62:63], v[4:5]
	v_fma_f64 v[34:35], -v[28:29], v[64:65], v[34:35]
	ds_read2_b64 v[62:65], v52 offset0:13 offset1:14
	;; [unrolled: 3-line block ×3, first 2 shown]
	s_waitcnt lgkmcnt(0)
	v_fma_f64 v[8:9], -v[28:29], v[58:59], v[8:9]
	v_fma_f64 v[40:41], -v[28:29], v[60:61], v[40:41]
	v_fma_f64 v[32:33], -v[28:29], v[62:63], v[32:33]
	v_fma_f64 v[24:25], -v[28:29], v[64:65], v[24:25]
	ds_read2_b64 v[58:61], v52 offset0:17 offset1:18
	ds_read2_b64 v[62:65], v52 offset0:19 offset1:20
	v_fma_f64 v[14:15], -v[28:29], v[66:67], v[14:15]
	v_fma_f64 v[42:43], -v[28:29], v[68:69], v[42:43]
	;; [unrolled: 1-line block ×3, first 2 shown]
	s_waitcnt lgkmcnt(0)
	v_fma_f64 v[38:39], -v[28:29], v[58:59], v[38:39]
	v_fma_f64 v[30:31], -v[28:29], v[60:61], v[30:31]
	;; [unrolled: 1-line block ×4, first 2 shown]
.LBB42_80:
	s_or_b64 exec, exec, s[0:1]
	v_lshl_add_u32 v48, v53, 3, v52
	s_barrier
	ds_write_b64 v48, v[20:21]
	s_waitcnt lgkmcnt(0)
	s_barrier
	ds_read_b64 v[48:49], v52 offset:40
	s_cmp_lt_i32 s12, 7
	v_mov_b32_e32 v50, 5
	s_cbranch_scc1 .LBB42_83
; %bb.81:
	v_add3_u32 v58, v57, 0, 48
	s_mov_b32 s0, 6
	v_mov_b32_e32 v50, 5
.LBB42_82:                              ; =>This Inner Loop Header: Depth=1
	ds_read_b64 v[60:61], v58
	v_mov_b32_e32 v59, s0
	s_add_i32 s0, s0, 1
	v_add_u32_e32 v58, 8, v58
	s_cmp_lg_u32 s12, s0
	s_waitcnt lgkmcnt(0)
	v_cmp_lt_f64_e64 vcc, |v[48:49]|, |v[60:61]|
	v_cndmask_b32_e32 v49, v49, v61, vcc
	v_cndmask_b32_e32 v48, v48, v60, vcc
	;; [unrolled: 1-line block ×3, first 2 shown]
	s_cbranch_scc1 .LBB42_82
.LBB42_83:
	s_waitcnt lgkmcnt(0)
	v_cmp_eq_f64_e32 vcc, 0, v[48:49]
	s_and_saveexec_b64 s[0:1], vcc
	s_xor_b64 s[0:1], exec, s[0:1]
; %bb.84:
	v_cmp_ne_u32_e32 vcc, 0, v56
	v_cndmask_b32_e32 v56, 6, v56, vcc
; %bb.85:
	s_andn2_saveexec_b64 s[0:1], s[0:1]
; %bb.86:
	v_div_scale_f64 v[58:59], s[2:3], v[48:49], v[48:49], 1.0
	v_rcp_f64_e32 v[60:61], v[58:59]
	v_div_scale_f64 v[62:63], vcc, 1.0, v[48:49], 1.0
	v_fma_f64 v[64:65], -v[58:59], v[60:61], 1.0
	v_fmac_f64_e32 v[60:61], v[60:61], v[64:65]
	v_fma_f64 v[64:65], -v[58:59], v[60:61], 1.0
	v_fmac_f64_e32 v[60:61], v[60:61], v[64:65]
	v_mul_f64 v[64:65], v[62:63], v[60:61]
	v_fma_f64 v[58:59], -v[58:59], v[64:65], v[62:63]
	v_div_fmas_f64 v[58:59], v[58:59], v[60:61], v[64:65]
	v_div_fixup_f64 v[48:49], v[58:59], v[48:49], 1.0
; %bb.87:
	s_or_b64 exec, exec, s[0:1]
	v_cmp_ne_u32_e32 vcc, v53, v50
	s_and_saveexec_b64 s[0:1], vcc
	s_xor_b64 s[0:1], exec, s[0:1]
	s_cbranch_execz .LBB42_93
; %bb.88:
	v_cmp_eq_u32_e32 vcc, 5, v53
	s_and_saveexec_b64 s[2:3], vcc
	s_cbranch_execz .LBB42_92
; %bb.89:
	v_cmp_ne_u32_e32 vcc, 5, v50
	s_xor_b64 s[14:15], s[6:7], -1
	s_and_b64 s[16:17], s[14:15], vcc
	s_and_saveexec_b64 s[14:15], s[16:17]
	s_cbranch_execz .LBB42_91
; %bb.90:
	v_ashrrev_i32_e32 v51, 31, v50
	v_lshlrev_b64 v[58:59], 2, v[50:51]
	v_add_co_u32_e32 v58, vcc, v44, v58
	v_addc_co_u32_e32 v59, vcc, v45, v59, vcc
	flat_load_dword v51, v[58:59]
	flat_load_dword v53, v[44:45] offset:20
	s_waitcnt vmcnt(0) lgkmcnt(0)
	flat_store_dword v[44:45], v51 offset:20
	flat_store_dword v[58:59], v53
.LBB42_91:
	s_or_b64 exec, exec, s[14:15]
	v_mov_b32_e32 v51, v50
	v_mov_b32_e32 v53, v50
.LBB42_92:
	s_or_b64 exec, exec, s[2:3]
.LBB42_93:
	s_andn2_saveexec_b64 s[0:1], s[0:1]
	s_cbranch_execz .LBB42_95
; %bb.94:
	v_mov_b32_e32 v58, v10
	v_mov_b32_e32 v59, v11
	v_mov_b32_e32 v60, v4
	v_mov_b32_e32 v61, v5
	ds_write2_b64 v52, v[58:59], v[60:61] offset0:6 offset1:7
	v_mov_b32_e32 v58, v34
	v_mov_b32_e32 v59, v35
	v_mov_b32_e32 v60, v26
	v_mov_b32_e32 v61, v27
	ds_write2_b64 v52, v[58:59], v[60:61] offset0:8 offset1:9
	;; [unrolled: 5-line block ×7, first 2 shown]
	v_mov_b32_e32 v58, v36
	v_mov_b32_e32 v59, v37
	;; [unrolled: 1-line block ×3, first 2 shown]
	ds_write2_b64 v52, v[58:59], v[46:47] offset0:20 offset1:21
.LBB42_95:
	s_or_b64 exec, exec, s[0:1]
	v_cmp_lt_i32_e32 vcc, 5, v53
	s_waitcnt lgkmcnt(0)
	s_barrier
	s_and_saveexec_b64 s[0:1], vcc
	s_cbranch_execz .LBB42_97
; %bb.96:
	ds_read2_b64 v[58:61], v52 offset0:6 offset1:7
	ds_read2_b64 v[62:65], v52 offset0:8 offset1:9
	v_mul_f64 v[20:21], v[48:49], v[20:21]
	ds_read2_b64 v[66:69], v52 offset0:10 offset1:11
	s_waitcnt lgkmcnt(0)
	v_fma_f64 v[10:11], -v[20:21], v[58:59], v[10:11]
	v_fma_f64 v[4:5], -v[20:21], v[60:61], v[4:5]
	ds_read2_b64 v[58:61], v52 offset0:12 offset1:13
	v_fma_f64 v[34:35], -v[20:21], v[62:63], v[34:35]
	v_fma_f64 v[26:27], -v[20:21], v[64:65], v[26:27]
	ds_read2_b64 v[62:65], v52 offset0:14 offset1:15
	v_fma_f64 v[16:17], -v[20:21], v[66:67], v[16:17]
	v_fma_f64 v[8:9], -v[20:21], v[68:69], v[8:9]
	s_waitcnt lgkmcnt(0)
	v_fma_f64 v[40:41], -v[20:21], v[58:59], v[40:41]
	v_fma_f64 v[32:33], -v[20:21], v[60:61], v[32:33]
	ds_read2_b64 v[58:61], v52 offset0:16 offset1:17
	v_fma_f64 v[24:25], -v[20:21], v[62:63], v[24:25]
	ds_read2_b64 v[66:69], v52 offset0:18 offset1:19
	;; [unrolled: 2-line block ×3, first 2 shown]
	s_waitcnt lgkmcnt(0)
	v_fma_f64 v[42:43], -v[20:21], v[58:59], v[42:43]
	v_fma_f64 v[38:39], -v[20:21], v[60:61], v[38:39]
	;; [unrolled: 1-line block ×6, first 2 shown]
.LBB42_97:
	s_or_b64 exec, exec, s[0:1]
	v_lshl_add_u32 v48, v53, 3, v52
	s_barrier
	ds_write_b64 v48, v[10:11]
	s_waitcnt lgkmcnt(0)
	s_barrier
	ds_read_b64 v[48:49], v52 offset:48
	s_cmp_lt_i32 s12, 8
	v_mov_b32_e32 v50, 6
	s_cbranch_scc1 .LBB42_100
; %bb.98:
	v_add3_u32 v58, v57, 0, 56
	s_mov_b32 s0, 7
	v_mov_b32_e32 v50, 6
.LBB42_99:                              ; =>This Inner Loop Header: Depth=1
	ds_read_b64 v[60:61], v58
	v_mov_b32_e32 v59, s0
	s_add_i32 s0, s0, 1
	v_add_u32_e32 v58, 8, v58
	s_cmp_lg_u32 s12, s0
	s_waitcnt lgkmcnt(0)
	v_cmp_lt_f64_e64 vcc, |v[48:49]|, |v[60:61]|
	v_cndmask_b32_e32 v49, v49, v61, vcc
	v_cndmask_b32_e32 v48, v48, v60, vcc
	;; [unrolled: 1-line block ×3, first 2 shown]
	s_cbranch_scc1 .LBB42_99
.LBB42_100:
	s_waitcnt lgkmcnt(0)
	v_cmp_eq_f64_e32 vcc, 0, v[48:49]
	s_and_saveexec_b64 s[0:1], vcc
	s_xor_b64 s[0:1], exec, s[0:1]
; %bb.101:
	v_cmp_ne_u32_e32 vcc, 0, v56
	v_cndmask_b32_e32 v56, 7, v56, vcc
; %bb.102:
	s_andn2_saveexec_b64 s[0:1], s[0:1]
; %bb.103:
	v_div_scale_f64 v[58:59], s[2:3], v[48:49], v[48:49], 1.0
	v_rcp_f64_e32 v[60:61], v[58:59]
	v_div_scale_f64 v[62:63], vcc, 1.0, v[48:49], 1.0
	v_fma_f64 v[64:65], -v[58:59], v[60:61], 1.0
	v_fmac_f64_e32 v[60:61], v[60:61], v[64:65]
	v_fma_f64 v[64:65], -v[58:59], v[60:61], 1.0
	v_fmac_f64_e32 v[60:61], v[60:61], v[64:65]
	v_mul_f64 v[64:65], v[62:63], v[60:61]
	v_fma_f64 v[58:59], -v[58:59], v[64:65], v[62:63]
	v_div_fmas_f64 v[58:59], v[58:59], v[60:61], v[64:65]
	v_div_fixup_f64 v[48:49], v[58:59], v[48:49], 1.0
; %bb.104:
	s_or_b64 exec, exec, s[0:1]
	v_cmp_ne_u32_e32 vcc, v53, v50
	s_and_saveexec_b64 s[0:1], vcc
	s_xor_b64 s[0:1], exec, s[0:1]
	s_cbranch_execz .LBB42_110
; %bb.105:
	v_cmp_eq_u32_e32 vcc, 6, v53
	s_and_saveexec_b64 s[2:3], vcc
	s_cbranch_execz .LBB42_109
; %bb.106:
	v_cmp_ne_u32_e32 vcc, 6, v50
	s_xor_b64 s[14:15], s[6:7], -1
	s_and_b64 s[16:17], s[14:15], vcc
	s_and_saveexec_b64 s[14:15], s[16:17]
	s_cbranch_execz .LBB42_108
; %bb.107:
	v_ashrrev_i32_e32 v51, 31, v50
	v_lshlrev_b64 v[58:59], 2, v[50:51]
	v_add_co_u32_e32 v58, vcc, v44, v58
	v_addc_co_u32_e32 v59, vcc, v45, v59, vcc
	flat_load_dword v51, v[58:59]
	flat_load_dword v53, v[44:45] offset:24
	s_waitcnt vmcnt(0) lgkmcnt(0)
	flat_store_dword v[44:45], v51 offset:24
	flat_store_dword v[58:59], v53
.LBB42_108:
	s_or_b64 exec, exec, s[14:15]
	v_mov_b32_e32 v51, v50
	v_mov_b32_e32 v53, v50
.LBB42_109:
	s_or_b64 exec, exec, s[2:3]
.LBB42_110:
	s_andn2_saveexec_b64 s[0:1], s[0:1]
	s_cbranch_execz .LBB42_112
; %bb.111:
	v_mov_b32_e32 v53, 6
	ds_write2_b64 v52, v[4:5], v[34:35] offset0:7 offset1:8
	ds_write2_b64 v52, v[26:27], v[16:17] offset0:9 offset1:10
	;; [unrolled: 1-line block ×7, first 2 shown]
	ds_write_b64 v52, v[46:47] offset:168
.LBB42_112:
	s_or_b64 exec, exec, s[0:1]
	v_cmp_lt_i32_e32 vcc, 6, v53
	s_waitcnt lgkmcnt(0)
	s_barrier
	s_and_saveexec_b64 s[0:1], vcc
	s_cbranch_execz .LBB42_114
; %bb.113:
	ds_read2_b64 v[58:61], v52 offset0:7 offset1:8
	ds_read2_b64 v[62:65], v52 offset0:9 offset1:10
	v_mul_f64 v[10:11], v[48:49], v[10:11]
	ds_read2_b64 v[66:69], v52 offset0:11 offset1:12
	ds_read_b64 v[48:49], v52 offset:168
	s_waitcnt lgkmcnt(0)
	v_fma_f64 v[4:5], -v[10:11], v[58:59], v[4:5]
	v_fma_f64 v[34:35], -v[10:11], v[60:61], v[34:35]
	ds_read2_b64 v[58:61], v52 offset0:13 offset1:14
	v_fma_f64 v[26:27], -v[10:11], v[62:63], v[26:27]
	v_fma_f64 v[16:17], -v[10:11], v[64:65], v[16:17]
	;; [unrolled: 1-line block ×3, first 2 shown]
	ds_read2_b64 v[62:65], v52 offset0:15 offset1:16
	v_fma_f64 v[40:41], -v[10:11], v[68:69], v[40:41]
	s_waitcnt lgkmcnt(0)
	v_fma_f64 v[32:33], -v[10:11], v[58:59], v[32:33]
	v_fma_f64 v[24:25], -v[10:11], v[60:61], v[24:25]
	ds_read2_b64 v[58:61], v52 offset0:17 offset1:18
	ds_read2_b64 v[66:69], v52 offset0:19 offset1:20
	v_fma_f64 v[14:15], -v[10:11], v[62:63], v[14:15]
	v_fma_f64 v[42:43], -v[10:11], v[64:65], v[42:43]
	;; [unrolled: 1-line block ×3, first 2 shown]
	s_waitcnt lgkmcnt(0)
	v_fma_f64 v[38:39], -v[10:11], v[58:59], v[38:39]
	v_fma_f64 v[30:31], -v[10:11], v[60:61], v[30:31]
	;; [unrolled: 1-line block ×4, first 2 shown]
.LBB42_114:
	s_or_b64 exec, exec, s[0:1]
	v_lshl_add_u32 v48, v53, 3, v52
	s_barrier
	ds_write_b64 v48, v[4:5]
	s_waitcnt lgkmcnt(0)
	s_barrier
	ds_read_b64 v[48:49], v52 offset:56
	s_cmp_lt_i32 s12, 9
	v_mov_b32_e32 v50, 7
	s_cbranch_scc1 .LBB42_117
; %bb.115:
	v_add3_u32 v57, v57, 0, 64
	s_mov_b32 s0, 8
	v_mov_b32_e32 v50, 7
.LBB42_116:                             ; =>This Inner Loop Header: Depth=1
	ds_read_b64 v[58:59], v57
	v_mov_b32_e32 v60, s0
	s_add_i32 s0, s0, 1
	v_add_u32_e32 v57, 8, v57
	s_cmp_lg_u32 s12, s0
	s_waitcnt lgkmcnt(0)
	v_cmp_lt_f64_e64 vcc, |v[48:49]|, |v[58:59]|
	v_cndmask_b32_e32 v49, v49, v59, vcc
	v_cndmask_b32_e32 v48, v48, v58, vcc
	;; [unrolled: 1-line block ×3, first 2 shown]
	s_cbranch_scc1 .LBB42_116
.LBB42_117:
	s_waitcnt lgkmcnt(0)
	v_cmp_eq_f64_e32 vcc, 0, v[48:49]
	s_and_saveexec_b64 s[0:1], vcc
	s_xor_b64 s[0:1], exec, s[0:1]
; %bb.118:
	v_cmp_ne_u32_e32 vcc, 0, v56
	v_cndmask_b32_e32 v56, 8, v56, vcc
; %bb.119:
	s_andn2_saveexec_b64 s[0:1], s[0:1]
; %bb.120:
	v_div_scale_f64 v[58:59], s[2:3], v[48:49], v[48:49], 1.0
	v_rcp_f64_e32 v[60:61], v[58:59]
	v_div_scale_f64 v[62:63], vcc, 1.0, v[48:49], 1.0
	v_fma_f64 v[64:65], -v[58:59], v[60:61], 1.0
	v_fmac_f64_e32 v[60:61], v[60:61], v[64:65]
	v_fma_f64 v[64:65], -v[58:59], v[60:61], 1.0
	v_fmac_f64_e32 v[60:61], v[60:61], v[64:65]
	v_mul_f64 v[64:65], v[62:63], v[60:61]
	v_fma_f64 v[58:59], -v[58:59], v[64:65], v[62:63]
	v_div_fmas_f64 v[58:59], v[58:59], v[60:61], v[64:65]
	v_div_fixup_f64 v[48:49], v[58:59], v[48:49], 1.0
; %bb.121:
	s_or_b64 exec, exec, s[0:1]
	v_cmp_ne_u32_e32 vcc, v53, v50
	s_and_saveexec_b64 s[0:1], vcc
	s_xor_b64 s[0:1], exec, s[0:1]
	s_cbranch_execz .LBB42_127
; %bb.122:
	v_cmp_eq_u32_e32 vcc, 7, v53
	s_and_saveexec_b64 s[2:3], vcc
	s_cbranch_execz .LBB42_126
; %bb.123:
	v_cmp_ne_u32_e32 vcc, 7, v50
	s_xor_b64 s[14:15], s[6:7], -1
	s_and_b64 s[16:17], s[14:15], vcc
	s_and_saveexec_b64 s[14:15], s[16:17]
	s_cbranch_execz .LBB42_125
; %bb.124:
	v_ashrrev_i32_e32 v51, 31, v50
	v_lshlrev_b64 v[58:59], 2, v[50:51]
	v_add_co_u32_e32 v58, vcc, v44, v58
	v_addc_co_u32_e32 v59, vcc, v45, v59, vcc
	flat_load_dword v51, v[58:59]
	flat_load_dword v53, v[44:45] offset:28
	s_waitcnt vmcnt(0) lgkmcnt(0)
	flat_store_dword v[44:45], v51 offset:28
	flat_store_dword v[58:59], v53
.LBB42_125:
	s_or_b64 exec, exec, s[14:15]
	v_mov_b32_e32 v51, v50
	v_mov_b32_e32 v53, v50
.LBB42_126:
	s_or_b64 exec, exec, s[2:3]
.LBB42_127:
	s_andn2_saveexec_b64 s[0:1], s[0:1]
	s_cbranch_execz .LBB42_129
; %bb.128:
	v_mov_b32_e32 v58, v34
	v_mov_b32_e32 v59, v35
	v_mov_b32_e32 v60, v26
	v_mov_b32_e32 v61, v27
	ds_write2_b64 v52, v[58:59], v[60:61] offset0:8 offset1:9
	v_mov_b32_e32 v58, v16
	v_mov_b32_e32 v59, v17
	v_mov_b32_e32 v60, v8
	v_mov_b32_e32 v61, v9
	ds_write2_b64 v52, v[58:59], v[60:61] offset0:10 offset1:11
	;; [unrolled: 5-line block ×6, first 2 shown]
	v_mov_b32_e32 v58, v36
	v_mov_b32_e32 v59, v37
	;; [unrolled: 1-line block ×3, first 2 shown]
	ds_write2_b64 v52, v[58:59], v[46:47] offset0:20 offset1:21
.LBB42_129:
	s_or_b64 exec, exec, s[0:1]
	v_cmp_lt_i32_e32 vcc, 7, v53
	s_waitcnt lgkmcnt(0)
	s_barrier
	s_and_saveexec_b64 s[0:1], vcc
	s_cbranch_execz .LBB42_131
; %bb.130:
	ds_read2_b64 v[58:61], v52 offset0:8 offset1:9
	ds_read2_b64 v[62:65], v52 offset0:10 offset1:11
	v_mul_f64 v[4:5], v[48:49], v[4:5]
	ds_read2_b64 v[66:69], v52 offset0:12 offset1:13
	s_waitcnt lgkmcnt(0)
	v_fma_f64 v[34:35], -v[4:5], v[58:59], v[34:35]
	v_fma_f64 v[26:27], -v[4:5], v[60:61], v[26:27]
	ds_read2_b64 v[58:61], v52 offset0:14 offset1:15
	v_fma_f64 v[16:17], -v[4:5], v[62:63], v[16:17]
	v_fma_f64 v[8:9], -v[4:5], v[64:65], v[8:9]
	v_fma_f64 v[40:41], -v[4:5], v[66:67], v[40:41]
	v_fma_f64 v[32:33], -v[4:5], v[68:69], v[32:33]
	ds_read2_b64 v[62:65], v52 offset0:16 offset1:17
	ds_read2_b64 v[66:69], v52 offset0:18 offset1:19
	s_waitcnt lgkmcnt(0)
	v_fma_f64 v[24:25], -v[4:5], v[58:59], v[24:25]
	v_fma_f64 v[14:15], -v[4:5], v[60:61], v[14:15]
	ds_read2_b64 v[58:61], v52 offset0:20 offset1:21
	v_fma_f64 v[42:43], -v[4:5], v[62:63], v[42:43]
	v_fma_f64 v[38:39], -v[4:5], v[64:65], v[38:39]
	;; [unrolled: 1-line block ×4, first 2 shown]
	s_waitcnt lgkmcnt(0)
	v_fma_f64 v[36:37], -v[4:5], v[58:59], v[36:37]
	v_fma_f64 v[46:47], -v[4:5], v[60:61], v[46:47]
.LBB42_131:
	s_or_b64 exec, exec, s[0:1]
	v_lshl_add_u32 v48, v53, 3, v52
	s_barrier
	ds_write_b64 v48, v[34:35]
	s_waitcnt lgkmcnt(0)
	s_barrier
	ds_read_b64 v[48:49], v52 offset:64
	s_cmp_lt_i32 s12, 10
	v_mov_b32_e32 v50, 8
	s_cbranch_scc1 .LBB42_134
; %bb.132:
	v_add_u32_e32 v57, 0x48, v52
	s_mov_b32 s0, 9
	v_mov_b32_e32 v50, 8
.LBB42_133:                             ; =>This Inner Loop Header: Depth=1
	ds_read_b64 v[58:59], v57
	v_mov_b32_e32 v60, s0
	s_add_i32 s0, s0, 1
	v_add_u32_e32 v57, 8, v57
	s_cmp_lg_u32 s12, s0
	s_waitcnt lgkmcnt(0)
	v_cmp_lt_f64_e64 vcc, |v[48:49]|, |v[58:59]|
	v_cndmask_b32_e32 v49, v49, v59, vcc
	v_cndmask_b32_e32 v48, v48, v58, vcc
	;; [unrolled: 1-line block ×3, first 2 shown]
	s_cbranch_scc1 .LBB42_133
.LBB42_134:
	s_waitcnt lgkmcnt(0)
	v_cmp_eq_f64_e32 vcc, 0, v[48:49]
	s_and_saveexec_b64 s[0:1], vcc
	s_xor_b64 s[0:1], exec, s[0:1]
; %bb.135:
	v_cmp_ne_u32_e32 vcc, 0, v56
	v_cndmask_b32_e32 v56, 9, v56, vcc
; %bb.136:
	s_andn2_saveexec_b64 s[0:1], s[0:1]
; %bb.137:
	v_div_scale_f64 v[58:59], s[2:3], v[48:49], v[48:49], 1.0
	v_rcp_f64_e32 v[60:61], v[58:59]
	v_div_scale_f64 v[62:63], vcc, 1.0, v[48:49], 1.0
	v_fma_f64 v[64:65], -v[58:59], v[60:61], 1.0
	v_fmac_f64_e32 v[60:61], v[60:61], v[64:65]
	v_fma_f64 v[64:65], -v[58:59], v[60:61], 1.0
	v_fmac_f64_e32 v[60:61], v[60:61], v[64:65]
	v_mul_f64 v[64:65], v[62:63], v[60:61]
	v_fma_f64 v[58:59], -v[58:59], v[64:65], v[62:63]
	v_div_fmas_f64 v[58:59], v[58:59], v[60:61], v[64:65]
	v_div_fixup_f64 v[48:49], v[58:59], v[48:49], 1.0
; %bb.138:
	s_or_b64 exec, exec, s[0:1]
	v_cmp_ne_u32_e32 vcc, v53, v50
	s_and_saveexec_b64 s[0:1], vcc
	s_xor_b64 s[0:1], exec, s[0:1]
	s_cbranch_execz .LBB42_144
; %bb.139:
	v_cmp_eq_u32_e32 vcc, 8, v53
	s_and_saveexec_b64 s[2:3], vcc
	s_cbranch_execz .LBB42_143
; %bb.140:
	v_cmp_ne_u32_e32 vcc, 8, v50
	s_xor_b64 s[14:15], s[6:7], -1
	s_and_b64 s[16:17], s[14:15], vcc
	s_and_saveexec_b64 s[14:15], s[16:17]
	s_cbranch_execz .LBB42_142
; %bb.141:
	v_ashrrev_i32_e32 v51, 31, v50
	v_lshlrev_b64 v[58:59], 2, v[50:51]
	v_add_co_u32_e32 v58, vcc, v44, v58
	v_addc_co_u32_e32 v59, vcc, v45, v59, vcc
	flat_load_dword v51, v[58:59]
	flat_load_dword v53, v[44:45] offset:32
	s_waitcnt vmcnt(0) lgkmcnt(0)
	flat_store_dword v[44:45], v51 offset:32
	flat_store_dword v[58:59], v53
.LBB42_142:
	s_or_b64 exec, exec, s[14:15]
	v_mov_b32_e32 v51, v50
	v_mov_b32_e32 v53, v50
.LBB42_143:
	s_or_b64 exec, exec, s[2:3]
.LBB42_144:
	s_andn2_saveexec_b64 s[0:1], s[0:1]
	s_cbranch_execz .LBB42_146
; %bb.145:
	v_mov_b32_e32 v53, 8
	ds_write2_b64 v52, v[26:27], v[16:17] offset0:9 offset1:10
	ds_write2_b64 v52, v[8:9], v[40:41] offset0:11 offset1:12
	;; [unrolled: 1-line block ×6, first 2 shown]
	ds_write_b64 v52, v[46:47] offset:168
.LBB42_146:
	s_or_b64 exec, exec, s[0:1]
	v_cmp_lt_i32_e32 vcc, 8, v53
	s_waitcnt lgkmcnt(0)
	s_barrier
	s_and_saveexec_b64 s[0:1], vcc
	s_cbranch_execz .LBB42_148
; %bb.147:
	ds_read2_b64 v[58:61], v52 offset0:9 offset1:10
	ds_read2_b64 v[62:65], v52 offset0:11 offset1:12
	ds_read2_b64 v[66:69], v52 offset0:13 offset1:14
	v_mul_f64 v[34:35], v[48:49], v[34:35]
	ds_read_b64 v[48:49], v52 offset:168
	s_waitcnt lgkmcnt(0)
	v_fma_f64 v[26:27], -v[34:35], v[58:59], v[26:27]
	v_fma_f64 v[16:17], -v[34:35], v[60:61], v[16:17]
	ds_read2_b64 v[58:61], v52 offset0:15 offset1:16
	v_fma_f64 v[8:9], -v[34:35], v[62:63], v[8:9]
	v_fma_f64 v[40:41], -v[34:35], v[64:65], v[40:41]
	v_fma_f64 v[32:33], -v[34:35], v[66:67], v[32:33]
	v_fma_f64 v[24:25], -v[34:35], v[68:69], v[24:25]
	ds_read2_b64 v[62:65], v52 offset0:17 offset1:18
	ds_read2_b64 v[66:69], v52 offset0:19 offset1:20
	s_waitcnt lgkmcnt(0)
	v_fma_f64 v[14:15], -v[34:35], v[58:59], v[14:15]
	v_fma_f64 v[42:43], -v[34:35], v[60:61], v[42:43]
	;; [unrolled: 1-line block ×7, first 2 shown]
.LBB42_148:
	s_or_b64 exec, exec, s[0:1]
	v_lshl_add_u32 v48, v53, 3, v52
	s_barrier
	ds_write_b64 v48, v[26:27]
	s_waitcnt lgkmcnt(0)
	s_barrier
	ds_read_b64 v[48:49], v52 offset:72
	s_cmp_lt_i32 s12, 11
	v_mov_b32_e32 v50, 9
	s_cbranch_scc1 .LBB42_151
; %bb.149:
	v_add_u32_e32 v57, 0x50, v52
	s_mov_b32 s0, 10
	v_mov_b32_e32 v50, 9
.LBB42_150:                             ; =>This Inner Loop Header: Depth=1
	ds_read_b64 v[58:59], v57
	v_mov_b32_e32 v60, s0
	s_add_i32 s0, s0, 1
	v_add_u32_e32 v57, 8, v57
	s_cmp_lg_u32 s12, s0
	s_waitcnt lgkmcnt(0)
	v_cmp_lt_f64_e64 vcc, |v[48:49]|, |v[58:59]|
	v_cndmask_b32_e32 v49, v49, v59, vcc
	v_cndmask_b32_e32 v48, v48, v58, vcc
	v_cndmask_b32_e32 v50, v50, v60, vcc
	s_cbranch_scc1 .LBB42_150
.LBB42_151:
	s_waitcnt lgkmcnt(0)
	v_cmp_eq_f64_e32 vcc, 0, v[48:49]
	s_and_saveexec_b64 s[0:1], vcc
	s_xor_b64 s[0:1], exec, s[0:1]
; %bb.152:
	v_cmp_ne_u32_e32 vcc, 0, v56
	v_cndmask_b32_e32 v56, 10, v56, vcc
; %bb.153:
	s_andn2_saveexec_b64 s[0:1], s[0:1]
; %bb.154:
	v_div_scale_f64 v[58:59], s[2:3], v[48:49], v[48:49], 1.0
	v_rcp_f64_e32 v[60:61], v[58:59]
	v_div_scale_f64 v[62:63], vcc, 1.0, v[48:49], 1.0
	v_fma_f64 v[64:65], -v[58:59], v[60:61], 1.0
	v_fmac_f64_e32 v[60:61], v[60:61], v[64:65]
	v_fma_f64 v[64:65], -v[58:59], v[60:61], 1.0
	v_fmac_f64_e32 v[60:61], v[60:61], v[64:65]
	v_mul_f64 v[64:65], v[62:63], v[60:61]
	v_fma_f64 v[58:59], -v[58:59], v[64:65], v[62:63]
	v_div_fmas_f64 v[58:59], v[58:59], v[60:61], v[64:65]
	v_div_fixup_f64 v[48:49], v[58:59], v[48:49], 1.0
; %bb.155:
	s_or_b64 exec, exec, s[0:1]
	v_cmp_ne_u32_e32 vcc, v53, v50
	s_and_saveexec_b64 s[0:1], vcc
	s_xor_b64 s[0:1], exec, s[0:1]
	s_cbranch_execz .LBB42_161
; %bb.156:
	v_cmp_eq_u32_e32 vcc, 9, v53
	s_and_saveexec_b64 s[2:3], vcc
	s_cbranch_execz .LBB42_160
; %bb.157:
	v_cmp_ne_u32_e32 vcc, 9, v50
	s_xor_b64 s[14:15], s[6:7], -1
	s_and_b64 s[16:17], s[14:15], vcc
	s_and_saveexec_b64 s[14:15], s[16:17]
	s_cbranch_execz .LBB42_159
; %bb.158:
	v_ashrrev_i32_e32 v51, 31, v50
	v_lshlrev_b64 v[58:59], 2, v[50:51]
	v_add_co_u32_e32 v58, vcc, v44, v58
	v_addc_co_u32_e32 v59, vcc, v45, v59, vcc
	flat_load_dword v51, v[58:59]
	flat_load_dword v53, v[44:45] offset:36
	s_waitcnt vmcnt(0) lgkmcnt(0)
	flat_store_dword v[44:45], v51 offset:36
	flat_store_dword v[58:59], v53
.LBB42_159:
	s_or_b64 exec, exec, s[14:15]
	v_mov_b32_e32 v51, v50
	v_mov_b32_e32 v53, v50
.LBB42_160:
	s_or_b64 exec, exec, s[2:3]
.LBB42_161:
	s_andn2_saveexec_b64 s[0:1], s[0:1]
	s_cbranch_execz .LBB42_163
; %bb.162:
	v_mov_b32_e32 v58, v16
	v_mov_b32_e32 v59, v17
	v_mov_b32_e32 v60, v8
	v_mov_b32_e32 v61, v9
	ds_write2_b64 v52, v[58:59], v[60:61] offset0:10 offset1:11
	v_mov_b32_e32 v58, v40
	v_mov_b32_e32 v59, v41
	v_mov_b32_e32 v60, v32
	v_mov_b32_e32 v61, v33
	ds_write2_b64 v52, v[58:59], v[60:61] offset0:12 offset1:13
	;; [unrolled: 5-line block ×5, first 2 shown]
	v_mov_b32_e32 v58, v36
	v_mov_b32_e32 v59, v37
	;; [unrolled: 1-line block ×3, first 2 shown]
	ds_write2_b64 v52, v[58:59], v[46:47] offset0:20 offset1:21
.LBB42_163:
	s_or_b64 exec, exec, s[0:1]
	v_cmp_lt_i32_e32 vcc, 9, v53
	s_waitcnt lgkmcnt(0)
	s_barrier
	s_and_saveexec_b64 s[0:1], vcc
	s_cbranch_execz .LBB42_165
; %bb.164:
	ds_read2_b64 v[58:61], v52 offset0:10 offset1:11
	ds_read2_b64 v[62:65], v52 offset0:12 offset1:13
	;; [unrolled: 1-line block ×3, first 2 shown]
	v_mul_f64 v[26:27], v[48:49], v[26:27]
	s_waitcnt lgkmcnt(0)
	v_fma_f64 v[16:17], -v[26:27], v[58:59], v[16:17]
	v_fma_f64 v[8:9], -v[26:27], v[60:61], v[8:9]
	ds_read2_b64 v[58:61], v52 offset0:16 offset1:17
	v_fma_f64 v[40:41], -v[26:27], v[62:63], v[40:41]
	v_fma_f64 v[32:33], -v[26:27], v[64:65], v[32:33]
	;; [unrolled: 1-line block ×3, first 2 shown]
	ds_read2_b64 v[62:65], v52 offset0:18 offset1:19
	v_fma_f64 v[14:15], -v[26:27], v[68:69], v[14:15]
	ds_read2_b64 v[66:69], v52 offset0:20 offset1:21
	s_waitcnt lgkmcnt(0)
	v_fma_f64 v[42:43], -v[26:27], v[58:59], v[42:43]
	v_fma_f64 v[38:39], -v[26:27], v[60:61], v[38:39]
	;; [unrolled: 1-line block ×6, first 2 shown]
.LBB42_165:
	s_or_b64 exec, exec, s[0:1]
	v_lshl_add_u32 v48, v53, 3, v52
	s_barrier
	ds_write_b64 v48, v[16:17]
	s_waitcnt lgkmcnt(0)
	s_barrier
	ds_read_b64 v[48:49], v52 offset:80
	s_cmp_lt_i32 s12, 12
	v_mov_b32_e32 v50, 10
	s_cbranch_scc1 .LBB42_168
; %bb.166:
	v_add_u32_e32 v57, 0x58, v52
	s_mov_b32 s0, 11
	v_mov_b32_e32 v50, 10
.LBB42_167:                             ; =>This Inner Loop Header: Depth=1
	ds_read_b64 v[58:59], v57
	v_mov_b32_e32 v60, s0
	s_add_i32 s0, s0, 1
	v_add_u32_e32 v57, 8, v57
	s_cmp_lg_u32 s12, s0
	s_waitcnt lgkmcnt(0)
	v_cmp_lt_f64_e64 vcc, |v[48:49]|, |v[58:59]|
	v_cndmask_b32_e32 v49, v49, v59, vcc
	v_cndmask_b32_e32 v48, v48, v58, vcc
	;; [unrolled: 1-line block ×3, first 2 shown]
	s_cbranch_scc1 .LBB42_167
.LBB42_168:
	s_waitcnt lgkmcnt(0)
	v_cmp_eq_f64_e32 vcc, 0, v[48:49]
	s_and_saveexec_b64 s[0:1], vcc
	s_xor_b64 s[0:1], exec, s[0:1]
; %bb.169:
	v_cmp_ne_u32_e32 vcc, 0, v56
	v_cndmask_b32_e32 v56, 11, v56, vcc
; %bb.170:
	s_andn2_saveexec_b64 s[0:1], s[0:1]
; %bb.171:
	v_div_scale_f64 v[58:59], s[2:3], v[48:49], v[48:49], 1.0
	v_rcp_f64_e32 v[60:61], v[58:59]
	v_div_scale_f64 v[62:63], vcc, 1.0, v[48:49], 1.0
	v_fma_f64 v[64:65], -v[58:59], v[60:61], 1.0
	v_fmac_f64_e32 v[60:61], v[60:61], v[64:65]
	v_fma_f64 v[64:65], -v[58:59], v[60:61], 1.0
	v_fmac_f64_e32 v[60:61], v[60:61], v[64:65]
	v_mul_f64 v[64:65], v[62:63], v[60:61]
	v_fma_f64 v[58:59], -v[58:59], v[64:65], v[62:63]
	v_div_fmas_f64 v[58:59], v[58:59], v[60:61], v[64:65]
	v_div_fixup_f64 v[48:49], v[58:59], v[48:49], 1.0
; %bb.172:
	s_or_b64 exec, exec, s[0:1]
	v_cmp_ne_u32_e32 vcc, v53, v50
	s_and_saveexec_b64 s[0:1], vcc
	s_xor_b64 s[0:1], exec, s[0:1]
	s_cbranch_execz .LBB42_178
; %bb.173:
	v_cmp_eq_u32_e32 vcc, 10, v53
	s_and_saveexec_b64 s[2:3], vcc
	s_cbranch_execz .LBB42_177
; %bb.174:
	v_cmp_ne_u32_e32 vcc, 10, v50
	s_xor_b64 s[14:15], s[6:7], -1
	s_and_b64 s[16:17], s[14:15], vcc
	s_and_saveexec_b64 s[14:15], s[16:17]
	s_cbranch_execz .LBB42_176
; %bb.175:
	v_ashrrev_i32_e32 v51, 31, v50
	v_lshlrev_b64 v[58:59], 2, v[50:51]
	v_add_co_u32_e32 v58, vcc, v44, v58
	v_addc_co_u32_e32 v59, vcc, v45, v59, vcc
	flat_load_dword v51, v[58:59]
	flat_load_dword v53, v[44:45] offset:40
	s_waitcnt vmcnt(0) lgkmcnt(0)
	flat_store_dword v[44:45], v51 offset:40
	flat_store_dword v[58:59], v53
.LBB42_176:
	s_or_b64 exec, exec, s[14:15]
	v_mov_b32_e32 v51, v50
	v_mov_b32_e32 v53, v50
.LBB42_177:
	s_or_b64 exec, exec, s[2:3]
.LBB42_178:
	s_andn2_saveexec_b64 s[0:1], s[0:1]
	s_cbranch_execz .LBB42_180
; %bb.179:
	v_mov_b32_e32 v53, 10
	ds_write2_b64 v52, v[8:9], v[40:41] offset0:11 offset1:12
	ds_write2_b64 v52, v[32:33], v[24:25] offset0:13 offset1:14
	;; [unrolled: 1-line block ×5, first 2 shown]
	ds_write_b64 v52, v[46:47] offset:168
.LBB42_180:
	s_or_b64 exec, exec, s[0:1]
	v_cmp_lt_i32_e32 vcc, 10, v53
	s_waitcnt lgkmcnt(0)
	s_barrier
	s_and_saveexec_b64 s[0:1], vcc
	s_cbranch_execz .LBB42_182
; %bb.181:
	ds_read2_b64 v[58:61], v52 offset0:11 offset1:12
	ds_read2_b64 v[62:65], v52 offset0:13 offset1:14
	v_mul_f64 v[16:17], v[48:49], v[16:17]
	ds_read2_b64 v[66:69], v52 offset0:15 offset1:16
	ds_read_b64 v[48:49], v52 offset:168
	s_waitcnt lgkmcnt(0)
	v_fma_f64 v[8:9], -v[16:17], v[58:59], v[8:9]
	v_fma_f64 v[40:41], -v[16:17], v[60:61], v[40:41]
	ds_read2_b64 v[58:61], v52 offset0:17 offset1:18
	v_fma_f64 v[32:33], -v[16:17], v[62:63], v[32:33]
	v_fma_f64 v[24:25], -v[16:17], v[64:65], v[24:25]
	ds_read2_b64 v[62:65], v52 offset0:19 offset1:20
	v_fma_f64 v[14:15], -v[16:17], v[66:67], v[14:15]
	v_fma_f64 v[42:43], -v[16:17], v[68:69], v[42:43]
	s_waitcnt lgkmcnt(0)
	v_fma_f64 v[38:39], -v[16:17], v[58:59], v[38:39]
	v_fma_f64 v[30:31], -v[16:17], v[60:61], v[30:31]
	;; [unrolled: 1-line block ×5, first 2 shown]
.LBB42_182:
	s_or_b64 exec, exec, s[0:1]
	v_lshl_add_u32 v48, v53, 3, v52
	s_barrier
	ds_write_b64 v48, v[8:9]
	s_waitcnt lgkmcnt(0)
	s_barrier
	ds_read_b64 v[48:49], v52 offset:88
	s_cmp_lt_i32 s12, 13
	v_mov_b32_e32 v50, 11
	s_cbranch_scc1 .LBB42_185
; %bb.183:
	v_add_u32_e32 v57, 0x60, v52
	s_mov_b32 s0, 12
	v_mov_b32_e32 v50, 11
.LBB42_184:                             ; =>This Inner Loop Header: Depth=1
	ds_read_b64 v[58:59], v57
	v_mov_b32_e32 v60, s0
	s_add_i32 s0, s0, 1
	v_add_u32_e32 v57, 8, v57
	s_cmp_lg_u32 s12, s0
	s_waitcnt lgkmcnt(0)
	v_cmp_lt_f64_e64 vcc, |v[48:49]|, |v[58:59]|
	v_cndmask_b32_e32 v49, v49, v59, vcc
	v_cndmask_b32_e32 v48, v48, v58, vcc
	;; [unrolled: 1-line block ×3, first 2 shown]
	s_cbranch_scc1 .LBB42_184
.LBB42_185:
	s_waitcnt lgkmcnt(0)
	v_cmp_eq_f64_e32 vcc, 0, v[48:49]
	s_and_saveexec_b64 s[0:1], vcc
	s_xor_b64 s[0:1], exec, s[0:1]
; %bb.186:
	v_cmp_ne_u32_e32 vcc, 0, v56
	v_cndmask_b32_e32 v56, 12, v56, vcc
; %bb.187:
	s_andn2_saveexec_b64 s[0:1], s[0:1]
; %bb.188:
	v_div_scale_f64 v[58:59], s[2:3], v[48:49], v[48:49], 1.0
	v_rcp_f64_e32 v[60:61], v[58:59]
	v_div_scale_f64 v[62:63], vcc, 1.0, v[48:49], 1.0
	v_fma_f64 v[64:65], -v[58:59], v[60:61], 1.0
	v_fmac_f64_e32 v[60:61], v[60:61], v[64:65]
	v_fma_f64 v[64:65], -v[58:59], v[60:61], 1.0
	v_fmac_f64_e32 v[60:61], v[60:61], v[64:65]
	v_mul_f64 v[64:65], v[62:63], v[60:61]
	v_fma_f64 v[58:59], -v[58:59], v[64:65], v[62:63]
	v_div_fmas_f64 v[58:59], v[58:59], v[60:61], v[64:65]
	v_div_fixup_f64 v[48:49], v[58:59], v[48:49], 1.0
; %bb.189:
	s_or_b64 exec, exec, s[0:1]
	v_cmp_ne_u32_e32 vcc, v53, v50
	s_and_saveexec_b64 s[0:1], vcc
	s_xor_b64 s[0:1], exec, s[0:1]
	s_cbranch_execz .LBB42_195
; %bb.190:
	v_cmp_eq_u32_e32 vcc, 11, v53
	s_and_saveexec_b64 s[2:3], vcc
	s_cbranch_execz .LBB42_194
; %bb.191:
	v_cmp_ne_u32_e32 vcc, 11, v50
	s_xor_b64 s[14:15], s[6:7], -1
	s_and_b64 s[16:17], s[14:15], vcc
	s_and_saveexec_b64 s[14:15], s[16:17]
	s_cbranch_execz .LBB42_193
; %bb.192:
	v_ashrrev_i32_e32 v51, 31, v50
	v_lshlrev_b64 v[58:59], 2, v[50:51]
	v_add_co_u32_e32 v58, vcc, v44, v58
	v_addc_co_u32_e32 v59, vcc, v45, v59, vcc
	flat_load_dword v51, v[58:59]
	flat_load_dword v53, v[44:45] offset:44
	s_waitcnt vmcnt(0) lgkmcnt(0)
	flat_store_dword v[44:45], v51 offset:44
	flat_store_dword v[58:59], v53
.LBB42_193:
	s_or_b64 exec, exec, s[14:15]
	v_mov_b32_e32 v51, v50
	v_mov_b32_e32 v53, v50
.LBB42_194:
	s_or_b64 exec, exec, s[2:3]
.LBB42_195:
	s_andn2_saveexec_b64 s[0:1], s[0:1]
	s_cbranch_execz .LBB42_197
; %bb.196:
	v_mov_b32_e32 v58, v40
	v_mov_b32_e32 v59, v41
	v_mov_b32_e32 v60, v32
	v_mov_b32_e32 v61, v33
	ds_write2_b64 v52, v[58:59], v[60:61] offset0:12 offset1:13
	v_mov_b32_e32 v58, v24
	v_mov_b32_e32 v59, v25
	v_mov_b32_e32 v60, v14
	v_mov_b32_e32 v61, v15
	ds_write2_b64 v52, v[58:59], v[60:61] offset0:14 offset1:15
	;; [unrolled: 5-line block ×4, first 2 shown]
	v_mov_b32_e32 v58, v36
	v_mov_b32_e32 v59, v37
	;; [unrolled: 1-line block ×3, first 2 shown]
	ds_write2_b64 v52, v[58:59], v[46:47] offset0:20 offset1:21
.LBB42_197:
	s_or_b64 exec, exec, s[0:1]
	v_cmp_lt_i32_e32 vcc, 11, v53
	s_waitcnt lgkmcnt(0)
	s_barrier
	s_and_saveexec_b64 s[0:1], vcc
	s_cbranch_execz .LBB42_199
; %bb.198:
	ds_read2_b64 v[58:61], v52 offset0:12 offset1:13
	ds_read2_b64 v[62:65], v52 offset0:14 offset1:15
	v_mul_f64 v[8:9], v[48:49], v[8:9]
	ds_read2_b64 v[66:69], v52 offset0:18 offset1:19
	s_waitcnt lgkmcnt(0)
	v_fma_f64 v[40:41], -v[8:9], v[58:59], v[40:41]
	v_fma_f64 v[32:33], -v[8:9], v[60:61], v[32:33]
	ds_read2_b64 v[58:61], v52 offset0:16 offset1:17
	v_fma_f64 v[24:25], -v[8:9], v[62:63], v[24:25]
	v_fma_f64 v[14:15], -v[8:9], v[64:65], v[14:15]
	ds_read2_b64 v[62:65], v52 offset0:20 offset1:21
	v_fma_f64 v[30:31], -v[8:9], v[66:67], v[30:31]
	s_waitcnt lgkmcnt(0)
	v_fma_f64 v[42:43], -v[8:9], v[58:59], v[42:43]
	v_fma_f64 v[38:39], -v[8:9], v[60:61], v[38:39]
	;; [unrolled: 1-line block ×5, first 2 shown]
.LBB42_199:
	s_or_b64 exec, exec, s[0:1]
	v_lshl_add_u32 v48, v53, 3, v52
	s_barrier
	ds_write_b64 v48, v[40:41]
	s_waitcnt lgkmcnt(0)
	s_barrier
	ds_read_b64 v[48:49], v52 offset:96
	s_cmp_lt_i32 s12, 14
	v_mov_b32_e32 v50, 12
	s_cbranch_scc1 .LBB42_202
; %bb.200:
	v_add_u32_e32 v57, 0x68, v52
	s_mov_b32 s0, 13
	v_mov_b32_e32 v50, 12
.LBB42_201:                             ; =>This Inner Loop Header: Depth=1
	ds_read_b64 v[58:59], v57
	v_mov_b32_e32 v60, s0
	s_add_i32 s0, s0, 1
	v_add_u32_e32 v57, 8, v57
	s_cmp_lg_u32 s12, s0
	s_waitcnt lgkmcnt(0)
	v_cmp_lt_f64_e64 vcc, |v[48:49]|, |v[58:59]|
	v_cndmask_b32_e32 v49, v49, v59, vcc
	v_cndmask_b32_e32 v48, v48, v58, vcc
	;; [unrolled: 1-line block ×3, first 2 shown]
	s_cbranch_scc1 .LBB42_201
.LBB42_202:
	s_waitcnt lgkmcnt(0)
	v_cmp_eq_f64_e32 vcc, 0, v[48:49]
	s_and_saveexec_b64 s[0:1], vcc
	s_xor_b64 s[0:1], exec, s[0:1]
; %bb.203:
	v_cmp_ne_u32_e32 vcc, 0, v56
	v_cndmask_b32_e32 v56, 13, v56, vcc
; %bb.204:
	s_andn2_saveexec_b64 s[0:1], s[0:1]
; %bb.205:
	v_div_scale_f64 v[58:59], s[2:3], v[48:49], v[48:49], 1.0
	v_rcp_f64_e32 v[60:61], v[58:59]
	v_div_scale_f64 v[62:63], vcc, 1.0, v[48:49], 1.0
	v_fma_f64 v[64:65], -v[58:59], v[60:61], 1.0
	v_fmac_f64_e32 v[60:61], v[60:61], v[64:65]
	v_fma_f64 v[64:65], -v[58:59], v[60:61], 1.0
	v_fmac_f64_e32 v[60:61], v[60:61], v[64:65]
	v_mul_f64 v[64:65], v[62:63], v[60:61]
	v_fma_f64 v[58:59], -v[58:59], v[64:65], v[62:63]
	v_div_fmas_f64 v[58:59], v[58:59], v[60:61], v[64:65]
	v_div_fixup_f64 v[48:49], v[58:59], v[48:49], 1.0
; %bb.206:
	s_or_b64 exec, exec, s[0:1]
	v_cmp_ne_u32_e32 vcc, v53, v50
	s_and_saveexec_b64 s[0:1], vcc
	s_xor_b64 s[0:1], exec, s[0:1]
	s_cbranch_execz .LBB42_212
; %bb.207:
	v_cmp_eq_u32_e32 vcc, 12, v53
	s_and_saveexec_b64 s[2:3], vcc
	s_cbranch_execz .LBB42_211
; %bb.208:
	v_cmp_ne_u32_e32 vcc, 12, v50
	s_xor_b64 s[14:15], s[6:7], -1
	s_and_b64 s[16:17], s[14:15], vcc
	s_and_saveexec_b64 s[14:15], s[16:17]
	s_cbranch_execz .LBB42_210
; %bb.209:
	v_ashrrev_i32_e32 v51, 31, v50
	v_lshlrev_b64 v[58:59], 2, v[50:51]
	v_add_co_u32_e32 v58, vcc, v44, v58
	v_addc_co_u32_e32 v59, vcc, v45, v59, vcc
	flat_load_dword v51, v[58:59]
	flat_load_dword v53, v[44:45] offset:48
	s_waitcnt vmcnt(0) lgkmcnt(0)
	flat_store_dword v[44:45], v51 offset:48
	flat_store_dword v[58:59], v53
.LBB42_210:
	s_or_b64 exec, exec, s[14:15]
	v_mov_b32_e32 v51, v50
	v_mov_b32_e32 v53, v50
.LBB42_211:
	s_or_b64 exec, exec, s[2:3]
.LBB42_212:
	s_andn2_saveexec_b64 s[0:1], s[0:1]
	s_cbranch_execz .LBB42_214
; %bb.213:
	v_mov_b32_e32 v53, 12
	ds_write2_b64 v52, v[32:33], v[24:25] offset0:13 offset1:14
	ds_write2_b64 v52, v[14:15], v[42:43] offset0:15 offset1:16
	;; [unrolled: 1-line block ×4, first 2 shown]
	ds_write_b64 v52, v[46:47] offset:168
.LBB42_214:
	s_or_b64 exec, exec, s[0:1]
	v_cmp_lt_i32_e32 vcc, 12, v53
	s_waitcnt lgkmcnt(0)
	s_barrier
	s_and_saveexec_b64 s[0:1], vcc
	s_cbranch_execz .LBB42_216
; %bb.215:
	ds_read2_b64 v[58:61], v52 offset0:13 offset1:14
	ds_read2_b64 v[62:65], v52 offset0:15 offset1:16
	v_mul_f64 v[40:41], v[48:49], v[40:41]
	ds_read_b64 v[48:49], v52 offset:168
	ds_read2_b64 v[66:69], v52 offset0:19 offset1:20
	s_waitcnt lgkmcnt(0)
	v_fma_f64 v[32:33], -v[40:41], v[58:59], v[32:33]
	v_fma_f64 v[24:25], -v[40:41], v[60:61], v[24:25]
	ds_read2_b64 v[58:61], v52 offset0:17 offset1:18
	v_fma_f64 v[14:15], -v[40:41], v[62:63], v[14:15]
	v_fma_f64 v[42:43], -v[40:41], v[64:65], v[42:43]
	;; [unrolled: 1-line block ×4, first 2 shown]
	s_waitcnt lgkmcnt(0)
	v_fma_f64 v[38:39], -v[40:41], v[58:59], v[38:39]
	v_fma_f64 v[30:31], -v[40:41], v[60:61], v[30:31]
	;; [unrolled: 1-line block ×3, first 2 shown]
.LBB42_216:
	s_or_b64 exec, exec, s[0:1]
	v_lshl_add_u32 v48, v53, 3, v52
	s_barrier
	ds_write_b64 v48, v[32:33]
	s_waitcnt lgkmcnt(0)
	s_barrier
	ds_read_b64 v[48:49], v52 offset:104
	s_cmp_lt_i32 s12, 15
	v_mov_b32_e32 v50, 13
	s_cbranch_scc1 .LBB42_219
; %bb.217:
	v_add_u32_e32 v57, 0x70, v52
	s_mov_b32 s0, 14
	v_mov_b32_e32 v50, 13
.LBB42_218:                             ; =>This Inner Loop Header: Depth=1
	ds_read_b64 v[58:59], v57
	v_mov_b32_e32 v60, s0
	s_add_i32 s0, s0, 1
	v_add_u32_e32 v57, 8, v57
	s_cmp_lg_u32 s12, s0
	s_waitcnt lgkmcnt(0)
	v_cmp_lt_f64_e64 vcc, |v[48:49]|, |v[58:59]|
	v_cndmask_b32_e32 v49, v49, v59, vcc
	v_cndmask_b32_e32 v48, v48, v58, vcc
	;; [unrolled: 1-line block ×3, first 2 shown]
	s_cbranch_scc1 .LBB42_218
.LBB42_219:
	s_waitcnt lgkmcnt(0)
	v_cmp_eq_f64_e32 vcc, 0, v[48:49]
	s_and_saveexec_b64 s[0:1], vcc
	s_xor_b64 s[0:1], exec, s[0:1]
; %bb.220:
	v_cmp_ne_u32_e32 vcc, 0, v56
	v_cndmask_b32_e32 v56, 14, v56, vcc
; %bb.221:
	s_andn2_saveexec_b64 s[0:1], s[0:1]
; %bb.222:
	v_div_scale_f64 v[58:59], s[2:3], v[48:49], v[48:49], 1.0
	v_rcp_f64_e32 v[60:61], v[58:59]
	v_div_scale_f64 v[62:63], vcc, 1.0, v[48:49], 1.0
	v_fma_f64 v[64:65], -v[58:59], v[60:61], 1.0
	v_fmac_f64_e32 v[60:61], v[60:61], v[64:65]
	v_fma_f64 v[64:65], -v[58:59], v[60:61], 1.0
	v_fmac_f64_e32 v[60:61], v[60:61], v[64:65]
	v_mul_f64 v[64:65], v[62:63], v[60:61]
	v_fma_f64 v[58:59], -v[58:59], v[64:65], v[62:63]
	v_div_fmas_f64 v[58:59], v[58:59], v[60:61], v[64:65]
	v_div_fixup_f64 v[48:49], v[58:59], v[48:49], 1.0
; %bb.223:
	s_or_b64 exec, exec, s[0:1]
	v_cmp_ne_u32_e32 vcc, v53, v50
	s_and_saveexec_b64 s[0:1], vcc
	s_xor_b64 s[0:1], exec, s[0:1]
	s_cbranch_execz .LBB42_229
; %bb.224:
	v_cmp_eq_u32_e32 vcc, 13, v53
	s_and_saveexec_b64 s[2:3], vcc
	s_cbranch_execz .LBB42_228
; %bb.225:
	v_cmp_ne_u32_e32 vcc, 13, v50
	s_xor_b64 s[14:15], s[6:7], -1
	s_and_b64 s[16:17], s[14:15], vcc
	s_and_saveexec_b64 s[14:15], s[16:17]
	s_cbranch_execz .LBB42_227
; %bb.226:
	v_ashrrev_i32_e32 v51, 31, v50
	v_lshlrev_b64 v[58:59], 2, v[50:51]
	v_add_co_u32_e32 v58, vcc, v44, v58
	v_addc_co_u32_e32 v59, vcc, v45, v59, vcc
	flat_load_dword v51, v[58:59]
	flat_load_dword v53, v[44:45] offset:52
	s_waitcnt vmcnt(0) lgkmcnt(0)
	flat_store_dword v[44:45], v51 offset:52
	flat_store_dword v[58:59], v53
.LBB42_227:
	s_or_b64 exec, exec, s[14:15]
	v_mov_b32_e32 v51, v50
	v_mov_b32_e32 v53, v50
.LBB42_228:
	s_or_b64 exec, exec, s[2:3]
.LBB42_229:
	s_andn2_saveexec_b64 s[0:1], s[0:1]
	s_cbranch_execz .LBB42_231
; %bb.230:
	v_mov_b32_e32 v58, v24
	v_mov_b32_e32 v59, v25
	v_mov_b32_e32 v60, v14
	v_mov_b32_e32 v61, v15
	ds_write2_b64 v52, v[58:59], v[60:61] offset0:14 offset1:15
	v_mov_b32_e32 v58, v42
	v_mov_b32_e32 v59, v43
	v_mov_b32_e32 v60, v38
	v_mov_b32_e32 v61, v39
	ds_write2_b64 v52, v[58:59], v[60:61] offset0:16 offset1:17
	;; [unrolled: 5-line block ×3, first 2 shown]
	v_mov_b32_e32 v58, v36
	v_mov_b32_e32 v59, v37
	;; [unrolled: 1-line block ×3, first 2 shown]
	ds_write2_b64 v52, v[58:59], v[46:47] offset0:20 offset1:21
.LBB42_231:
	s_or_b64 exec, exec, s[0:1]
	v_cmp_lt_i32_e32 vcc, 13, v53
	s_waitcnt lgkmcnt(0)
	s_barrier
	s_and_saveexec_b64 s[0:1], vcc
	s_cbranch_execz .LBB42_233
; %bb.232:
	ds_read2_b64 v[58:61], v52 offset0:14 offset1:15
	ds_read2_b64 v[62:65], v52 offset0:16 offset1:17
	v_mul_f64 v[32:33], v[48:49], v[32:33]
	ds_read2_b64 v[66:69], v52 offset0:18 offset1:19
	s_waitcnt lgkmcnt(0)
	v_fma_f64 v[24:25], -v[32:33], v[58:59], v[24:25]
	v_fma_f64 v[14:15], -v[32:33], v[60:61], v[14:15]
	ds_read2_b64 v[58:61], v52 offset0:20 offset1:21
	v_fma_f64 v[42:43], -v[32:33], v[62:63], v[42:43]
	v_fma_f64 v[38:39], -v[32:33], v[64:65], v[38:39]
	;; [unrolled: 1-line block ×4, first 2 shown]
	s_waitcnt lgkmcnt(0)
	v_fma_f64 v[36:37], -v[32:33], v[58:59], v[36:37]
	v_fma_f64 v[46:47], -v[32:33], v[60:61], v[46:47]
.LBB42_233:
	s_or_b64 exec, exec, s[0:1]
	v_lshl_add_u32 v48, v53, 3, v52
	s_barrier
	ds_write_b64 v48, v[24:25]
	s_waitcnt lgkmcnt(0)
	s_barrier
	ds_read_b64 v[48:49], v52 offset:112
	s_cmp_lt_i32 s12, 16
	v_mov_b32_e32 v50, 14
	s_cbranch_scc1 .LBB42_236
; %bb.234:
	v_add_u32_e32 v57, 0x78, v52
	s_mov_b32 s0, 15
	v_mov_b32_e32 v50, 14
.LBB42_235:                             ; =>This Inner Loop Header: Depth=1
	ds_read_b64 v[58:59], v57
	v_mov_b32_e32 v60, s0
	s_add_i32 s0, s0, 1
	v_add_u32_e32 v57, 8, v57
	s_cmp_lg_u32 s12, s0
	s_waitcnt lgkmcnt(0)
	v_cmp_lt_f64_e64 vcc, |v[48:49]|, |v[58:59]|
	v_cndmask_b32_e32 v49, v49, v59, vcc
	v_cndmask_b32_e32 v48, v48, v58, vcc
	;; [unrolled: 1-line block ×3, first 2 shown]
	s_cbranch_scc1 .LBB42_235
.LBB42_236:
	s_waitcnt lgkmcnt(0)
	v_cmp_eq_f64_e32 vcc, 0, v[48:49]
	s_and_saveexec_b64 s[0:1], vcc
	s_xor_b64 s[0:1], exec, s[0:1]
; %bb.237:
	v_cmp_ne_u32_e32 vcc, 0, v56
	v_cndmask_b32_e32 v56, 15, v56, vcc
; %bb.238:
	s_andn2_saveexec_b64 s[0:1], s[0:1]
; %bb.239:
	v_div_scale_f64 v[58:59], s[2:3], v[48:49], v[48:49], 1.0
	v_rcp_f64_e32 v[60:61], v[58:59]
	v_div_scale_f64 v[62:63], vcc, 1.0, v[48:49], 1.0
	v_fma_f64 v[64:65], -v[58:59], v[60:61], 1.0
	v_fmac_f64_e32 v[60:61], v[60:61], v[64:65]
	v_fma_f64 v[64:65], -v[58:59], v[60:61], 1.0
	v_fmac_f64_e32 v[60:61], v[60:61], v[64:65]
	v_mul_f64 v[64:65], v[62:63], v[60:61]
	v_fma_f64 v[58:59], -v[58:59], v[64:65], v[62:63]
	v_div_fmas_f64 v[58:59], v[58:59], v[60:61], v[64:65]
	v_div_fixup_f64 v[48:49], v[58:59], v[48:49], 1.0
; %bb.240:
	s_or_b64 exec, exec, s[0:1]
	v_cmp_ne_u32_e32 vcc, v53, v50
	s_and_saveexec_b64 s[0:1], vcc
	s_xor_b64 s[0:1], exec, s[0:1]
	s_cbranch_execz .LBB42_246
; %bb.241:
	v_cmp_eq_u32_e32 vcc, 14, v53
	s_and_saveexec_b64 s[2:3], vcc
	s_cbranch_execz .LBB42_245
; %bb.242:
	v_cmp_ne_u32_e32 vcc, 14, v50
	s_xor_b64 s[14:15], s[6:7], -1
	s_and_b64 s[16:17], s[14:15], vcc
	s_and_saveexec_b64 s[14:15], s[16:17]
	s_cbranch_execz .LBB42_244
; %bb.243:
	v_ashrrev_i32_e32 v51, 31, v50
	v_lshlrev_b64 v[58:59], 2, v[50:51]
	v_add_co_u32_e32 v58, vcc, v44, v58
	v_addc_co_u32_e32 v59, vcc, v45, v59, vcc
	flat_load_dword v51, v[58:59]
	flat_load_dword v53, v[44:45] offset:56
	s_waitcnt vmcnt(0) lgkmcnt(0)
	flat_store_dword v[44:45], v51 offset:56
	flat_store_dword v[58:59], v53
.LBB42_244:
	s_or_b64 exec, exec, s[14:15]
	v_mov_b32_e32 v51, v50
	v_mov_b32_e32 v53, v50
.LBB42_245:
	s_or_b64 exec, exec, s[2:3]
.LBB42_246:
	s_andn2_saveexec_b64 s[0:1], s[0:1]
	s_cbranch_execz .LBB42_248
; %bb.247:
	v_mov_b32_e32 v53, 14
	ds_write2_b64 v52, v[14:15], v[42:43] offset0:15 offset1:16
	ds_write2_b64 v52, v[38:39], v[30:31] offset0:17 offset1:18
	;; [unrolled: 1-line block ×3, first 2 shown]
	ds_write_b64 v52, v[46:47] offset:168
.LBB42_248:
	s_or_b64 exec, exec, s[0:1]
	v_cmp_lt_i32_e32 vcc, 14, v53
	s_waitcnt lgkmcnt(0)
	s_barrier
	s_and_saveexec_b64 s[0:1], vcc
	s_cbranch_execz .LBB42_250
; %bb.249:
	ds_read2_b64 v[58:61], v52 offset0:15 offset1:16
	ds_read2_b64 v[62:65], v52 offset0:17 offset1:18
	v_mul_f64 v[24:25], v[48:49], v[24:25]
	ds_read2_b64 v[66:69], v52 offset0:19 offset1:20
	ds_read_b64 v[48:49], v52 offset:168
	s_waitcnt lgkmcnt(0)
	v_fma_f64 v[14:15], -v[24:25], v[58:59], v[14:15]
	v_fma_f64 v[42:43], -v[24:25], v[60:61], v[42:43]
	;; [unrolled: 1-line block ×7, first 2 shown]
.LBB42_250:
	s_or_b64 exec, exec, s[0:1]
	v_lshl_add_u32 v48, v53, 3, v52
	s_barrier
	ds_write_b64 v48, v[14:15]
	s_waitcnt lgkmcnt(0)
	s_barrier
	ds_read_b64 v[48:49], v52 offset:120
	s_cmp_lt_i32 s12, 17
	v_mov_b32_e32 v50, 15
	s_cbranch_scc1 .LBB42_253
; %bb.251:
	v_add_u32_e32 v57, 0x80, v52
	s_mov_b32 s0, 16
	v_mov_b32_e32 v50, 15
.LBB42_252:                             ; =>This Inner Loop Header: Depth=1
	ds_read_b64 v[58:59], v57
	v_mov_b32_e32 v60, s0
	s_add_i32 s0, s0, 1
	v_add_u32_e32 v57, 8, v57
	s_cmp_lg_u32 s12, s0
	s_waitcnt lgkmcnt(0)
	v_cmp_lt_f64_e64 vcc, |v[48:49]|, |v[58:59]|
	v_cndmask_b32_e32 v49, v49, v59, vcc
	v_cndmask_b32_e32 v48, v48, v58, vcc
	;; [unrolled: 1-line block ×3, first 2 shown]
	s_cbranch_scc1 .LBB42_252
.LBB42_253:
	s_waitcnt lgkmcnt(0)
	v_cmp_eq_f64_e32 vcc, 0, v[48:49]
	s_and_saveexec_b64 s[0:1], vcc
	s_xor_b64 s[0:1], exec, s[0:1]
; %bb.254:
	v_cmp_ne_u32_e32 vcc, 0, v56
	v_cndmask_b32_e32 v56, 16, v56, vcc
; %bb.255:
	s_andn2_saveexec_b64 s[0:1], s[0:1]
; %bb.256:
	v_div_scale_f64 v[58:59], s[2:3], v[48:49], v[48:49], 1.0
	v_rcp_f64_e32 v[60:61], v[58:59]
	v_div_scale_f64 v[62:63], vcc, 1.0, v[48:49], 1.0
	v_fma_f64 v[64:65], -v[58:59], v[60:61], 1.0
	v_fmac_f64_e32 v[60:61], v[60:61], v[64:65]
	v_fma_f64 v[64:65], -v[58:59], v[60:61], 1.0
	v_fmac_f64_e32 v[60:61], v[60:61], v[64:65]
	v_mul_f64 v[64:65], v[62:63], v[60:61]
	v_fma_f64 v[58:59], -v[58:59], v[64:65], v[62:63]
	v_div_fmas_f64 v[58:59], v[58:59], v[60:61], v[64:65]
	v_div_fixup_f64 v[48:49], v[58:59], v[48:49], 1.0
; %bb.257:
	s_or_b64 exec, exec, s[0:1]
	v_cmp_ne_u32_e32 vcc, v53, v50
	s_and_saveexec_b64 s[0:1], vcc
	s_xor_b64 s[0:1], exec, s[0:1]
	s_cbranch_execz .LBB42_263
; %bb.258:
	v_cmp_eq_u32_e32 vcc, 15, v53
	s_and_saveexec_b64 s[2:3], vcc
	s_cbranch_execz .LBB42_262
; %bb.259:
	v_cmp_ne_u32_e32 vcc, 15, v50
	s_xor_b64 s[14:15], s[6:7], -1
	s_and_b64 s[16:17], s[14:15], vcc
	s_and_saveexec_b64 s[14:15], s[16:17]
	s_cbranch_execz .LBB42_261
; %bb.260:
	v_ashrrev_i32_e32 v51, 31, v50
	v_lshlrev_b64 v[58:59], 2, v[50:51]
	v_add_co_u32_e32 v58, vcc, v44, v58
	v_addc_co_u32_e32 v59, vcc, v45, v59, vcc
	flat_load_dword v51, v[58:59]
	flat_load_dword v53, v[44:45] offset:60
	s_waitcnt vmcnt(0) lgkmcnt(0)
	flat_store_dword v[44:45], v51 offset:60
	flat_store_dword v[58:59], v53
.LBB42_261:
	s_or_b64 exec, exec, s[14:15]
	v_mov_b32_e32 v51, v50
	v_mov_b32_e32 v53, v50
.LBB42_262:
	s_or_b64 exec, exec, s[2:3]
.LBB42_263:
	s_andn2_saveexec_b64 s[0:1], s[0:1]
	s_cbranch_execz .LBB42_265
; %bb.264:
	v_mov_b32_e32 v58, v42
	v_mov_b32_e32 v59, v43
	;; [unrolled: 1-line block ×4, first 2 shown]
	ds_write2_b64 v52, v[58:59], v[60:61] offset0:16 offset1:17
	v_mov_b32_e32 v58, v30
	v_mov_b32_e32 v59, v31
	;; [unrolled: 1-line block ×4, first 2 shown]
	ds_write2_b64 v52, v[58:59], v[60:61] offset0:18 offset1:19
	v_mov_b32_e32 v58, v36
	v_mov_b32_e32 v59, v37
	v_mov_b32_e32 v53, 15
	ds_write2_b64 v52, v[58:59], v[46:47] offset0:20 offset1:21
.LBB42_265:
	s_or_b64 exec, exec, s[0:1]
	v_cmp_lt_i32_e32 vcc, 15, v53
	s_waitcnt lgkmcnt(0)
	s_barrier
	s_and_saveexec_b64 s[0:1], vcc
	s_cbranch_execz .LBB42_267
; %bb.266:
	ds_read2_b64 v[58:61], v52 offset0:16 offset1:17
	ds_read2_b64 v[62:65], v52 offset0:18 offset1:19
	;; [unrolled: 1-line block ×3, first 2 shown]
	v_mul_f64 v[14:15], v[48:49], v[14:15]
	s_waitcnt lgkmcnt(0)
	v_fma_f64 v[42:43], -v[14:15], v[58:59], v[42:43]
	v_fma_f64 v[38:39], -v[14:15], v[60:61], v[38:39]
	v_fma_f64 v[30:31], -v[14:15], v[62:63], v[30:31]
	v_fma_f64 v[22:23], -v[14:15], v[64:65], v[22:23]
	v_fma_f64 v[36:37], -v[14:15], v[66:67], v[36:37]
	v_fma_f64 v[46:47], -v[14:15], v[68:69], v[46:47]
.LBB42_267:
	s_or_b64 exec, exec, s[0:1]
	v_lshl_add_u32 v48, v53, 3, v52
	s_barrier
	ds_write_b64 v48, v[42:43]
	s_waitcnt lgkmcnt(0)
	s_barrier
	ds_read_b64 v[48:49], v52 offset:128
	s_cmp_lt_i32 s12, 18
	v_mov_b32_e32 v50, 16
	s_cbranch_scc1 .LBB42_270
; %bb.268:
	v_add_u32_e32 v57, 0x88, v52
	s_mov_b32 s0, 17
	v_mov_b32_e32 v50, 16
.LBB42_269:                             ; =>This Inner Loop Header: Depth=1
	ds_read_b64 v[58:59], v57
	v_mov_b32_e32 v60, s0
	s_add_i32 s0, s0, 1
	v_add_u32_e32 v57, 8, v57
	s_cmp_lg_u32 s12, s0
	s_waitcnt lgkmcnt(0)
	v_cmp_lt_f64_e64 vcc, |v[48:49]|, |v[58:59]|
	v_cndmask_b32_e32 v49, v49, v59, vcc
	v_cndmask_b32_e32 v48, v48, v58, vcc
	v_cndmask_b32_e32 v50, v50, v60, vcc
	s_cbranch_scc1 .LBB42_269
.LBB42_270:
	s_waitcnt lgkmcnt(0)
	v_cmp_eq_f64_e32 vcc, 0, v[48:49]
	s_and_saveexec_b64 s[0:1], vcc
	s_xor_b64 s[0:1], exec, s[0:1]
; %bb.271:
	v_cmp_ne_u32_e32 vcc, 0, v56
	v_cndmask_b32_e32 v56, 17, v56, vcc
; %bb.272:
	s_andn2_saveexec_b64 s[0:1], s[0:1]
; %bb.273:
	v_div_scale_f64 v[58:59], s[2:3], v[48:49], v[48:49], 1.0
	v_rcp_f64_e32 v[60:61], v[58:59]
	v_div_scale_f64 v[62:63], vcc, 1.0, v[48:49], 1.0
	v_fma_f64 v[64:65], -v[58:59], v[60:61], 1.0
	v_fmac_f64_e32 v[60:61], v[60:61], v[64:65]
	v_fma_f64 v[64:65], -v[58:59], v[60:61], 1.0
	v_fmac_f64_e32 v[60:61], v[60:61], v[64:65]
	v_mul_f64 v[64:65], v[62:63], v[60:61]
	v_fma_f64 v[58:59], -v[58:59], v[64:65], v[62:63]
	v_div_fmas_f64 v[58:59], v[58:59], v[60:61], v[64:65]
	v_div_fixup_f64 v[48:49], v[58:59], v[48:49], 1.0
; %bb.274:
	s_or_b64 exec, exec, s[0:1]
	v_cmp_ne_u32_e32 vcc, v53, v50
	s_and_saveexec_b64 s[0:1], vcc
	s_xor_b64 s[0:1], exec, s[0:1]
	s_cbranch_execz .LBB42_280
; %bb.275:
	v_cmp_eq_u32_e32 vcc, 16, v53
	s_and_saveexec_b64 s[2:3], vcc
	s_cbranch_execz .LBB42_279
; %bb.276:
	v_cmp_ne_u32_e32 vcc, 16, v50
	s_xor_b64 s[14:15], s[6:7], -1
	s_and_b64 s[16:17], s[14:15], vcc
	s_and_saveexec_b64 s[14:15], s[16:17]
	s_cbranch_execz .LBB42_278
; %bb.277:
	v_ashrrev_i32_e32 v51, 31, v50
	v_lshlrev_b64 v[58:59], 2, v[50:51]
	v_add_co_u32_e32 v58, vcc, v44, v58
	v_addc_co_u32_e32 v59, vcc, v45, v59, vcc
	flat_load_dword v51, v[58:59]
	flat_load_dword v53, v[44:45] offset:64
	s_waitcnt vmcnt(0) lgkmcnt(0)
	flat_store_dword v[44:45], v51 offset:64
	flat_store_dword v[58:59], v53
.LBB42_278:
	s_or_b64 exec, exec, s[14:15]
	v_mov_b32_e32 v51, v50
	v_mov_b32_e32 v53, v50
.LBB42_279:
	s_or_b64 exec, exec, s[2:3]
.LBB42_280:
	s_andn2_saveexec_b64 s[0:1], s[0:1]
	s_cbranch_execz .LBB42_282
; %bb.281:
	v_mov_b32_e32 v53, 16
	ds_write2_b64 v52, v[38:39], v[30:31] offset0:17 offset1:18
	ds_write2_b64 v52, v[22:23], v[36:37] offset0:19 offset1:20
	ds_write_b64 v52, v[46:47] offset:168
.LBB42_282:
	s_or_b64 exec, exec, s[0:1]
	v_cmp_lt_i32_e32 vcc, 16, v53
	s_waitcnt lgkmcnt(0)
	s_barrier
	s_and_saveexec_b64 s[0:1], vcc
	s_cbranch_execz .LBB42_284
; %bb.283:
	ds_read2_b64 v[58:61], v52 offset0:17 offset1:18
	ds_read2_b64 v[62:65], v52 offset0:19 offset1:20
	v_mul_f64 v[42:43], v[48:49], v[42:43]
	ds_read_b64 v[48:49], v52 offset:168
	s_waitcnt lgkmcnt(0)
	v_fma_f64 v[38:39], -v[42:43], v[58:59], v[38:39]
	v_fma_f64 v[30:31], -v[42:43], v[60:61], v[30:31]
	;; [unrolled: 1-line block ×5, first 2 shown]
.LBB42_284:
	s_or_b64 exec, exec, s[0:1]
	v_lshl_add_u32 v48, v53, 3, v52
	s_barrier
	ds_write_b64 v48, v[38:39]
	s_waitcnt lgkmcnt(0)
	s_barrier
	ds_read_b64 v[48:49], v52 offset:136
	s_cmp_lt_i32 s12, 19
	v_mov_b32_e32 v50, 17
	s_cbranch_scc1 .LBB42_287
; %bb.285:
	v_add_u32_e32 v57, 0x90, v52
	s_mov_b32 s0, 18
	v_mov_b32_e32 v50, 17
.LBB42_286:                             ; =>This Inner Loop Header: Depth=1
	ds_read_b64 v[58:59], v57
	v_mov_b32_e32 v60, s0
	s_add_i32 s0, s0, 1
	v_add_u32_e32 v57, 8, v57
	s_cmp_lg_u32 s12, s0
	s_waitcnt lgkmcnt(0)
	v_cmp_lt_f64_e64 vcc, |v[48:49]|, |v[58:59]|
	v_cndmask_b32_e32 v49, v49, v59, vcc
	v_cndmask_b32_e32 v48, v48, v58, vcc
	;; [unrolled: 1-line block ×3, first 2 shown]
	s_cbranch_scc1 .LBB42_286
.LBB42_287:
	s_waitcnt lgkmcnt(0)
	v_cmp_eq_f64_e32 vcc, 0, v[48:49]
	s_and_saveexec_b64 s[0:1], vcc
	s_xor_b64 s[0:1], exec, s[0:1]
; %bb.288:
	v_cmp_ne_u32_e32 vcc, 0, v56
	v_cndmask_b32_e32 v56, 18, v56, vcc
; %bb.289:
	s_andn2_saveexec_b64 s[0:1], s[0:1]
; %bb.290:
	v_div_scale_f64 v[58:59], s[2:3], v[48:49], v[48:49], 1.0
	v_rcp_f64_e32 v[60:61], v[58:59]
	v_div_scale_f64 v[62:63], vcc, 1.0, v[48:49], 1.0
	v_fma_f64 v[64:65], -v[58:59], v[60:61], 1.0
	v_fmac_f64_e32 v[60:61], v[60:61], v[64:65]
	v_fma_f64 v[64:65], -v[58:59], v[60:61], 1.0
	v_fmac_f64_e32 v[60:61], v[60:61], v[64:65]
	v_mul_f64 v[64:65], v[62:63], v[60:61]
	v_fma_f64 v[58:59], -v[58:59], v[64:65], v[62:63]
	v_div_fmas_f64 v[58:59], v[58:59], v[60:61], v[64:65]
	v_div_fixup_f64 v[48:49], v[58:59], v[48:49], 1.0
; %bb.291:
	s_or_b64 exec, exec, s[0:1]
	v_cmp_ne_u32_e32 vcc, v53, v50
	s_and_saveexec_b64 s[0:1], vcc
	s_xor_b64 s[0:1], exec, s[0:1]
	s_cbranch_execz .LBB42_297
; %bb.292:
	v_cmp_eq_u32_e32 vcc, 17, v53
	s_and_saveexec_b64 s[2:3], vcc
	s_cbranch_execz .LBB42_296
; %bb.293:
	v_cmp_ne_u32_e32 vcc, 17, v50
	s_xor_b64 s[14:15], s[6:7], -1
	s_and_b64 s[16:17], s[14:15], vcc
	s_and_saveexec_b64 s[14:15], s[16:17]
	s_cbranch_execz .LBB42_295
; %bb.294:
	v_ashrrev_i32_e32 v51, 31, v50
	v_lshlrev_b64 v[58:59], 2, v[50:51]
	v_add_co_u32_e32 v58, vcc, v44, v58
	v_addc_co_u32_e32 v59, vcc, v45, v59, vcc
	flat_load_dword v51, v[58:59]
	flat_load_dword v53, v[44:45] offset:68
	s_waitcnt vmcnt(0) lgkmcnt(0)
	flat_store_dword v[44:45], v51 offset:68
	flat_store_dword v[58:59], v53
.LBB42_295:
	s_or_b64 exec, exec, s[14:15]
	v_mov_b32_e32 v51, v50
	v_mov_b32_e32 v53, v50
.LBB42_296:
	s_or_b64 exec, exec, s[2:3]
.LBB42_297:
	s_andn2_saveexec_b64 s[0:1], s[0:1]
	s_cbranch_execz .LBB42_299
; %bb.298:
	v_mov_b32_e32 v58, v30
	v_mov_b32_e32 v59, v31
	;; [unrolled: 1-line block ×4, first 2 shown]
	ds_write2_b64 v52, v[58:59], v[60:61] offset0:18 offset1:19
	v_mov_b32_e32 v58, v36
	v_mov_b32_e32 v59, v37
	;; [unrolled: 1-line block ×3, first 2 shown]
	ds_write2_b64 v52, v[58:59], v[46:47] offset0:20 offset1:21
.LBB42_299:
	s_or_b64 exec, exec, s[0:1]
	v_cmp_lt_i32_e32 vcc, 17, v53
	s_waitcnt lgkmcnt(0)
	s_barrier
	s_and_saveexec_b64 s[0:1], vcc
	s_cbranch_execz .LBB42_301
; %bb.300:
	ds_read2_b64 v[58:61], v52 offset0:18 offset1:19
	ds_read2_b64 v[62:65], v52 offset0:20 offset1:21
	v_mul_f64 v[38:39], v[48:49], v[38:39]
	s_waitcnt lgkmcnt(0)
	v_fma_f64 v[30:31], -v[38:39], v[58:59], v[30:31]
	v_fma_f64 v[22:23], -v[38:39], v[60:61], v[22:23]
	;; [unrolled: 1-line block ×4, first 2 shown]
.LBB42_301:
	s_or_b64 exec, exec, s[0:1]
	v_lshl_add_u32 v48, v53, 3, v52
	s_barrier
	ds_write_b64 v48, v[30:31]
	s_waitcnt lgkmcnt(0)
	s_barrier
	ds_read_b64 v[48:49], v52 offset:144
	s_cmp_lt_i32 s12, 20
	v_mov_b32_e32 v50, 18
	s_cbranch_scc1 .LBB42_304
; %bb.302:
	v_add_u32_e32 v57, 0x98, v52
	s_mov_b32 s0, 19
	v_mov_b32_e32 v50, 18
.LBB42_303:                             ; =>This Inner Loop Header: Depth=1
	ds_read_b64 v[58:59], v57
	v_mov_b32_e32 v60, s0
	s_add_i32 s0, s0, 1
	v_add_u32_e32 v57, 8, v57
	s_cmp_lg_u32 s12, s0
	s_waitcnt lgkmcnt(0)
	v_cmp_lt_f64_e64 vcc, |v[48:49]|, |v[58:59]|
	v_cndmask_b32_e32 v49, v49, v59, vcc
	v_cndmask_b32_e32 v48, v48, v58, vcc
	;; [unrolled: 1-line block ×3, first 2 shown]
	s_cbranch_scc1 .LBB42_303
.LBB42_304:
	s_waitcnt lgkmcnt(0)
	v_cmp_eq_f64_e32 vcc, 0, v[48:49]
	s_and_saveexec_b64 s[0:1], vcc
	s_xor_b64 s[0:1], exec, s[0:1]
; %bb.305:
	v_cmp_ne_u32_e32 vcc, 0, v56
	v_cndmask_b32_e32 v56, 19, v56, vcc
; %bb.306:
	s_andn2_saveexec_b64 s[0:1], s[0:1]
; %bb.307:
	v_div_scale_f64 v[58:59], s[2:3], v[48:49], v[48:49], 1.0
	v_rcp_f64_e32 v[60:61], v[58:59]
	v_div_scale_f64 v[62:63], vcc, 1.0, v[48:49], 1.0
	v_fma_f64 v[64:65], -v[58:59], v[60:61], 1.0
	v_fmac_f64_e32 v[60:61], v[60:61], v[64:65]
	v_fma_f64 v[64:65], -v[58:59], v[60:61], 1.0
	v_fmac_f64_e32 v[60:61], v[60:61], v[64:65]
	v_mul_f64 v[64:65], v[62:63], v[60:61]
	v_fma_f64 v[58:59], -v[58:59], v[64:65], v[62:63]
	v_div_fmas_f64 v[58:59], v[58:59], v[60:61], v[64:65]
	v_div_fixup_f64 v[48:49], v[58:59], v[48:49], 1.0
; %bb.308:
	s_or_b64 exec, exec, s[0:1]
	v_cmp_ne_u32_e32 vcc, v53, v50
	s_and_saveexec_b64 s[0:1], vcc
	s_xor_b64 s[0:1], exec, s[0:1]
	s_cbranch_execz .LBB42_314
; %bb.309:
	v_cmp_eq_u32_e32 vcc, 18, v53
	s_and_saveexec_b64 s[2:3], vcc
	s_cbranch_execz .LBB42_313
; %bb.310:
	v_cmp_ne_u32_e32 vcc, 18, v50
	s_xor_b64 s[14:15], s[6:7], -1
	s_and_b64 s[16:17], s[14:15], vcc
	s_and_saveexec_b64 s[14:15], s[16:17]
	s_cbranch_execz .LBB42_312
; %bb.311:
	v_ashrrev_i32_e32 v51, 31, v50
	v_lshlrev_b64 v[58:59], 2, v[50:51]
	v_add_co_u32_e32 v58, vcc, v44, v58
	v_addc_co_u32_e32 v59, vcc, v45, v59, vcc
	flat_load_dword v51, v[58:59]
	flat_load_dword v53, v[44:45] offset:72
	s_waitcnt vmcnt(0) lgkmcnt(0)
	flat_store_dword v[44:45], v51 offset:72
	flat_store_dword v[58:59], v53
.LBB42_312:
	s_or_b64 exec, exec, s[14:15]
	v_mov_b32_e32 v51, v50
	v_mov_b32_e32 v53, v50
.LBB42_313:
	s_or_b64 exec, exec, s[2:3]
.LBB42_314:
	s_andn2_saveexec_b64 s[0:1], s[0:1]
	s_cbranch_execz .LBB42_316
; %bb.315:
	v_mov_b32_e32 v53, 18
	ds_write2_b64 v52, v[22:23], v[36:37] offset0:19 offset1:20
	ds_write_b64 v52, v[46:47] offset:168
.LBB42_316:
	s_or_b64 exec, exec, s[0:1]
	v_cmp_lt_i32_e32 vcc, 18, v53
	s_waitcnt lgkmcnt(0)
	s_barrier
	s_and_saveexec_b64 s[0:1], vcc
	s_cbranch_execz .LBB42_318
; %bb.317:
	ds_read2_b64 v[58:61], v52 offset0:19 offset1:20
	ds_read_b64 v[62:63], v52 offset:168
	v_mul_f64 v[30:31], v[48:49], v[30:31]
	s_waitcnt lgkmcnt(0)
	v_fma_f64 v[22:23], -v[30:31], v[58:59], v[22:23]
	v_fma_f64 v[36:37], -v[30:31], v[60:61], v[36:37]
	;; [unrolled: 1-line block ×3, first 2 shown]
.LBB42_318:
	s_or_b64 exec, exec, s[0:1]
	v_lshl_add_u32 v48, v53, 3, v52
	s_barrier
	ds_write_b64 v48, v[22:23]
	s_waitcnt lgkmcnt(0)
	s_barrier
	ds_read_b64 v[48:49], v52 offset:152
	s_cmp_lt_i32 s12, 21
	v_mov_b32_e32 v50, 19
	s_cbranch_scc1 .LBB42_321
; %bb.319:
	v_add_u32_e32 v57, 0xa0, v52
	s_mov_b32 s0, 20
	v_mov_b32_e32 v50, 19
.LBB42_320:                             ; =>This Inner Loop Header: Depth=1
	ds_read_b64 v[58:59], v57
	v_mov_b32_e32 v60, s0
	s_add_i32 s0, s0, 1
	v_add_u32_e32 v57, 8, v57
	s_cmp_lg_u32 s12, s0
	s_waitcnt lgkmcnt(0)
	v_cmp_lt_f64_e64 vcc, |v[48:49]|, |v[58:59]|
	v_cndmask_b32_e32 v49, v49, v59, vcc
	v_cndmask_b32_e32 v48, v48, v58, vcc
	;; [unrolled: 1-line block ×3, first 2 shown]
	s_cbranch_scc1 .LBB42_320
.LBB42_321:
	s_waitcnt lgkmcnt(0)
	v_cmp_eq_f64_e32 vcc, 0, v[48:49]
	s_and_saveexec_b64 s[0:1], vcc
	s_xor_b64 s[0:1], exec, s[0:1]
; %bb.322:
	v_cmp_ne_u32_e32 vcc, 0, v56
	v_cndmask_b32_e32 v56, 20, v56, vcc
; %bb.323:
	s_andn2_saveexec_b64 s[0:1], s[0:1]
; %bb.324:
	v_div_scale_f64 v[58:59], s[2:3], v[48:49], v[48:49], 1.0
	v_rcp_f64_e32 v[60:61], v[58:59]
	v_div_scale_f64 v[62:63], vcc, 1.0, v[48:49], 1.0
	v_fma_f64 v[64:65], -v[58:59], v[60:61], 1.0
	v_fmac_f64_e32 v[60:61], v[60:61], v[64:65]
	v_fma_f64 v[64:65], -v[58:59], v[60:61], 1.0
	v_fmac_f64_e32 v[60:61], v[60:61], v[64:65]
	v_mul_f64 v[64:65], v[62:63], v[60:61]
	v_fma_f64 v[58:59], -v[58:59], v[64:65], v[62:63]
	v_div_fmas_f64 v[58:59], v[58:59], v[60:61], v[64:65]
	v_div_fixup_f64 v[48:49], v[58:59], v[48:49], 1.0
; %bb.325:
	s_or_b64 exec, exec, s[0:1]
	v_cmp_ne_u32_e32 vcc, v53, v50
	s_and_saveexec_b64 s[0:1], vcc
	s_xor_b64 s[0:1], exec, s[0:1]
	s_cbranch_execz .LBB42_331
; %bb.326:
	v_cmp_eq_u32_e32 vcc, 19, v53
	s_and_saveexec_b64 s[2:3], vcc
	s_cbranch_execz .LBB42_330
; %bb.327:
	v_cmp_ne_u32_e32 vcc, 19, v50
	s_xor_b64 s[14:15], s[6:7], -1
	s_and_b64 s[16:17], s[14:15], vcc
	s_and_saveexec_b64 s[14:15], s[16:17]
	s_cbranch_execz .LBB42_329
; %bb.328:
	v_ashrrev_i32_e32 v51, 31, v50
	v_lshlrev_b64 v[58:59], 2, v[50:51]
	v_add_co_u32_e32 v58, vcc, v44, v58
	v_addc_co_u32_e32 v59, vcc, v45, v59, vcc
	flat_load_dword v51, v[58:59]
	flat_load_dword v53, v[44:45] offset:76
	s_waitcnt vmcnt(0) lgkmcnt(0)
	flat_store_dword v[44:45], v51 offset:76
	flat_store_dword v[58:59], v53
.LBB42_329:
	s_or_b64 exec, exec, s[14:15]
	v_mov_b32_e32 v51, v50
	v_mov_b32_e32 v53, v50
.LBB42_330:
	s_or_b64 exec, exec, s[2:3]
.LBB42_331:
	s_andn2_saveexec_b64 s[0:1], s[0:1]
	s_cbranch_execz .LBB42_333
; %bb.332:
	v_mov_b32_e32 v58, v36
	v_mov_b32_e32 v59, v37
	v_mov_b32_e32 v53, 19
	ds_write2_b64 v52, v[58:59], v[46:47] offset0:20 offset1:21
.LBB42_333:
	s_or_b64 exec, exec, s[0:1]
	v_cmp_lt_i32_e32 vcc, 19, v53
	s_waitcnt lgkmcnt(0)
	s_barrier
	s_and_saveexec_b64 s[0:1], vcc
	s_cbranch_execz .LBB42_335
; %bb.334:
	ds_read2_b64 v[58:61], v52 offset0:20 offset1:21
	v_mul_f64 v[22:23], v[48:49], v[22:23]
	s_waitcnt lgkmcnt(0)
	v_fma_f64 v[36:37], -v[22:23], v[58:59], v[36:37]
	v_fma_f64 v[46:47], -v[22:23], v[60:61], v[46:47]
.LBB42_335:
	s_or_b64 exec, exec, s[0:1]
	v_lshl_add_u32 v48, v53, 3, v52
	s_barrier
	ds_write_b64 v48, v[36:37]
	s_waitcnt lgkmcnt(0)
	s_barrier
	ds_read_b64 v[48:49], v52 offset:160
	s_cmp_lt_i32 s12, 22
	v_mov_b32_e32 v50, 20
	s_cbranch_scc1 .LBB42_338
; %bb.336:
	v_add_u32_e32 v57, 0xa8, v52
	s_mov_b32 s0, 21
	v_mov_b32_e32 v50, 20
.LBB42_337:                             ; =>This Inner Loop Header: Depth=1
	ds_read_b64 v[58:59], v57
	v_mov_b32_e32 v60, s0
	s_add_i32 s0, s0, 1
	v_add_u32_e32 v57, 8, v57
	s_cmp_lg_u32 s12, s0
	s_waitcnt lgkmcnt(0)
	v_cmp_lt_f64_e64 vcc, |v[48:49]|, |v[58:59]|
	v_cndmask_b32_e32 v49, v49, v59, vcc
	v_cndmask_b32_e32 v48, v48, v58, vcc
	;; [unrolled: 1-line block ×3, first 2 shown]
	s_cbranch_scc1 .LBB42_337
.LBB42_338:
	s_waitcnt lgkmcnt(0)
	v_cmp_eq_f64_e32 vcc, 0, v[48:49]
	s_and_saveexec_b64 s[0:1], vcc
	s_xor_b64 s[0:1], exec, s[0:1]
; %bb.339:
	v_cmp_ne_u32_e32 vcc, 0, v56
	v_cndmask_b32_e32 v56, 21, v56, vcc
; %bb.340:
	s_andn2_saveexec_b64 s[0:1], s[0:1]
; %bb.341:
	v_div_scale_f64 v[58:59], s[2:3], v[48:49], v[48:49], 1.0
	v_rcp_f64_e32 v[60:61], v[58:59]
	v_div_scale_f64 v[62:63], vcc, 1.0, v[48:49], 1.0
	v_fma_f64 v[64:65], -v[58:59], v[60:61], 1.0
	v_fmac_f64_e32 v[60:61], v[60:61], v[64:65]
	v_fma_f64 v[64:65], -v[58:59], v[60:61], 1.0
	v_fmac_f64_e32 v[60:61], v[60:61], v[64:65]
	v_mul_f64 v[64:65], v[62:63], v[60:61]
	v_fma_f64 v[58:59], -v[58:59], v[64:65], v[62:63]
	v_div_fmas_f64 v[58:59], v[58:59], v[60:61], v[64:65]
	v_div_fixup_f64 v[48:49], v[58:59], v[48:49], 1.0
; %bb.342:
	s_or_b64 exec, exec, s[0:1]
	v_cmp_ne_u32_e32 vcc, v53, v50
	s_and_saveexec_b64 s[0:1], vcc
	s_xor_b64 s[0:1], exec, s[0:1]
	s_cbranch_execz .LBB42_348
; %bb.343:
	v_cmp_eq_u32_e32 vcc, 20, v53
	s_and_saveexec_b64 s[2:3], vcc
	s_cbranch_execz .LBB42_347
; %bb.344:
	v_cmp_ne_u32_e32 vcc, 20, v50
	s_xor_b64 s[14:15], s[6:7], -1
	s_and_b64 s[16:17], s[14:15], vcc
	s_and_saveexec_b64 s[14:15], s[16:17]
	s_cbranch_execz .LBB42_346
; %bb.345:
	v_ashrrev_i32_e32 v51, 31, v50
	v_lshlrev_b64 v[58:59], 2, v[50:51]
	v_add_co_u32_e32 v58, vcc, v44, v58
	v_addc_co_u32_e32 v59, vcc, v45, v59, vcc
	flat_load_dword v51, v[58:59]
	flat_load_dword v53, v[44:45] offset:80
	s_waitcnt vmcnt(0) lgkmcnt(0)
	flat_store_dword v[44:45], v51 offset:80
	flat_store_dword v[58:59], v53
.LBB42_346:
	s_or_b64 exec, exec, s[14:15]
	v_mov_b32_e32 v51, v50
	v_mov_b32_e32 v53, v50
.LBB42_347:
	s_or_b64 exec, exec, s[2:3]
.LBB42_348:
	s_andn2_saveexec_b64 s[0:1], s[0:1]
	s_cbranch_execz .LBB42_350
; %bb.349:
	v_mov_b32_e32 v53, 20
	ds_write_b64 v52, v[46:47] offset:168
.LBB42_350:
	s_or_b64 exec, exec, s[0:1]
	v_cmp_lt_i32_e32 vcc, 20, v53
	s_waitcnt lgkmcnt(0)
	s_barrier
	s_and_saveexec_b64 s[0:1], vcc
	s_cbranch_execz .LBB42_352
; %bb.351:
	ds_read_b64 v[58:59], v52 offset:168
	v_mul_f64 v[36:37], v[48:49], v[36:37]
	s_waitcnt lgkmcnt(0)
	v_fma_f64 v[46:47], -v[36:37], v[58:59], v[46:47]
.LBB42_352:
	s_or_b64 exec, exec, s[0:1]
	v_lshl_add_u32 v48, v53, 3, v52
	s_barrier
	ds_write_b64 v48, v[46:47]
	s_waitcnt lgkmcnt(0)
	s_barrier
	ds_read_b64 v[48:49], v52 offset:168
	s_cmp_lt_i32 s12, 23
	v_mov_b32_e32 v50, 21
	s_cbranch_scc1 .LBB42_355
; %bb.353:
	v_add_u32_e32 v52, 0xb0, v52
	s_mov_b32 s0, 22
	v_mov_b32_e32 v50, 21
.LBB42_354:                             ; =>This Inner Loop Header: Depth=1
	ds_read_b64 v[58:59], v52
	v_mov_b32_e32 v57, s0
	s_add_i32 s0, s0, 1
	v_add_u32_e32 v52, 8, v52
	s_cmp_lg_u32 s12, s0
	s_waitcnt lgkmcnt(0)
	v_cmp_lt_f64_e64 vcc, |v[48:49]|, |v[58:59]|
	v_cndmask_b32_e32 v49, v49, v59, vcc
	v_cndmask_b32_e32 v48, v48, v58, vcc
	;; [unrolled: 1-line block ×3, first 2 shown]
	s_cbranch_scc1 .LBB42_354
.LBB42_355:
	s_waitcnt lgkmcnt(0)
	v_cmp_eq_f64_e32 vcc, 0, v[48:49]
	s_and_saveexec_b64 s[0:1], vcc
	s_xor_b64 s[0:1], exec, s[0:1]
; %bb.356:
	v_cmp_ne_u32_e32 vcc, 0, v56
	v_cndmask_b32_e32 v56, 22, v56, vcc
; %bb.357:
	s_andn2_saveexec_b64 s[0:1], s[0:1]
; %bb.358:
	v_div_scale_f64 v[58:59], s[2:3], v[48:49], v[48:49], 1.0
	v_rcp_f64_e32 v[60:61], v[58:59]
	v_div_scale_f64 v[62:63], vcc, 1.0, v[48:49], 1.0
	v_fma_f64 v[64:65], -v[58:59], v[60:61], 1.0
	v_fmac_f64_e32 v[60:61], v[60:61], v[64:65]
	v_fma_f64 v[64:65], -v[58:59], v[60:61], 1.0
	v_fmac_f64_e32 v[60:61], v[60:61], v[64:65]
	v_mul_f64 v[64:65], v[62:63], v[60:61]
	v_fma_f64 v[58:59], -v[58:59], v[64:65], v[62:63]
	v_div_fmas_f64 v[58:59], v[58:59], v[60:61], v[64:65]
	v_div_fixup_f64 v[48:49], v[58:59], v[48:49], 1.0
; %bb.359:
	s_or_b64 exec, exec, s[0:1]
	v_cmp_ne_u32_e32 vcc, v53, v50
	v_mov_b32_e32 v52, 21
	s_and_saveexec_b64 s[0:1], vcc
	s_cbranch_execz .LBB42_365
; %bb.360:
	v_cmp_eq_u32_e32 vcc, 21, v53
	s_and_saveexec_b64 s[2:3], vcc
	s_cbranch_execz .LBB42_364
; %bb.361:
	v_cmp_ne_u32_e32 vcc, 21, v50
	s_xor_b64 s[6:7], s[6:7], -1
	s_and_b64 s[14:15], s[6:7], vcc
	s_and_saveexec_b64 s[6:7], s[14:15]
	s_cbranch_execz .LBB42_363
; %bb.362:
	v_ashrrev_i32_e32 v51, 31, v50
	v_lshlrev_b64 v[52:53], 2, v[50:51]
	v_add_co_u32_e32 v52, vcc, v44, v52
	v_addc_co_u32_e32 v53, vcc, v45, v53, vcc
	flat_load_dword v51, v[52:53]
	flat_load_dword v57, v[44:45] offset:84
	s_waitcnt vmcnt(0) lgkmcnt(0)
	flat_store_dword v[44:45], v51 offset:84
	flat_store_dword v[52:53], v57
.LBB42_363:
	s_or_b64 exec, exec, s[6:7]
	v_mov_b32_e32 v51, v50
	v_mov_b32_e32 v53, v50
.LBB42_364:
	s_or_b64 exec, exec, s[2:3]
	v_mov_b32_e32 v52, v53
.LBB42_365:
	s_or_b64 exec, exec, s[0:1]
	s_load_dwordx8 s[0:7], s[4:5], 0x28
	v_cmp_gt_i32_e32 vcc, 22, v52
	v_ashrrev_i32_e32 v53, 31, v52
	s_waitcnt lgkmcnt(0)
	s_barrier
	s_barrier
	s_and_saveexec_b64 s[14:15], vcc
	s_cbranch_execz .LBB42_367
; %bb.366:
	v_mul_lo_u32 v50, v3, s4
	v_mul_lo_u32 v57, v2, s5
	v_mad_u64_u32 v[44:45], s[4:5], v2, s4, 0
	s_lshl_b64 s[2:3], s[2:3], 2
	v_add3_u32 v45, v45, v57, v50
	s_add_u32 s0, s2, s0
	v_lshlrev_b64 v[44:45], 2, v[44:45]
	s_addc_u32 s1, s3, s1
	v_mov_b32_e32 v50, s1
	v_add_co_u32_e32 v57, vcc, s0, v44
	v_addc_co_u32_e32 v50, vcc, v50, v45, vcc
	v_lshlrev_b64 v[44:45], 2, v[52:53]
	v_add_co_u32_e32 v44, vcc, v57, v44
	v_addc_co_u32_e32 v45, vcc, v50, v45, vcc
	v_add3_u32 v50, v51, s13, 1
	global_store_dword v[44:45], v50, off
.LBB42_367:
	s_or_b64 exec, exec, s[14:15]
	v_cmp_eq_u32_e32 vcc, 0, v52
	s_and_saveexec_b64 s[2:3], vcc
	s_cbranch_execz .LBB42_370
; %bb.368:
	v_lshlrev_b64 v[2:3], 2, v[2:3]
	v_mov_b32_e32 v44, s7
	v_add_co_u32_e32 v2, vcc, s6, v2
	v_addc_co_u32_e32 v3, vcc, v44, v3, vcc
	global_load_dword v44, v[2:3], off
	v_cmp_lt_i32_e64 s[0:1], 0, v56
	s_waitcnt vmcnt(0)
	v_cmp_eq_u32_e32 vcc, 0, v44
	s_and_b64 s[0:1], vcc, s[0:1]
	s_and_b64 exec, exec, s[0:1]
	s_cbranch_execz .LBB42_370
; %bb.369:
	v_add_u32_e32 v44, s13, v56
	global_store_dword v[2:3], v44, off
.LBB42_370:
	s_or_b64 exec, exec, s[2:3]
	v_mul_f64 v[2:3], v[48:49], v[46:47]
	v_cmp_lt_i32_e32 vcc, 21, v52
	v_lshlrev_b64 v[44:45], 3, v[52:53]
	v_cndmask_b32_e32 v3, v47, v3, vcc
	v_cndmask_b32_e32 v2, v46, v2, vcc
	v_add_co_u32_e32 v44, vcc, v54, v44
	v_addc_co_u32_e32 v45, vcc, v55, v45, vcc
	global_store_dwordx2 v[44:45], v[18:19], off
	v_mov_b32_e32 v19, s11
	v_add_co_u32_e32 v18, vcc, s10, v44
	v_addc_co_u32_e32 v19, vcc, v45, v19, vcc
	global_store_dwordx2 v[18:19], v[12:13], off
	v_add_u32_e32 v12, s9, v52
	v_ashrrev_i32_e32 v13, 31, v12
	v_lshlrev_b64 v[18:19], 3, v[12:13]
	v_add_co_u32_e32 v18, vcc, v54, v18
	v_addc_co_u32_e32 v19, vcc, v55, v19, vcc
	global_store_dwordx2 v[18:19], v[6:7], off
	v_add_u32_e32 v6, s8, v12
	v_ashrrev_i32_e32 v7, 31, v6
	v_lshlrev_b64 v[12:13], 3, v[6:7]
	v_add_co_u32_e32 v12, vcc, v54, v12
	v_addc_co_u32_e32 v13, vcc, v55, v13, vcc
	global_store_dwordx2 v[12:13], v[0:1], off
	v_add_u32_e32 v0, s8, v6
	v_ashrrev_i32_e32 v1, 31, v0
	v_lshlrev_b64 v[6:7], 3, v[0:1]
	v_add_co_u32_e32 v6, vcc, v54, v6
	v_add_u32_e32 v0, s8, v0
	v_addc_co_u32_e32 v7, vcc, v55, v7, vcc
	v_ashrrev_i32_e32 v1, 31, v0
	global_store_dwordx2 v[6:7], v[28:29], off
	v_lshlrev_b64 v[6:7], 3, v[0:1]
	v_add_co_u32_e32 v6, vcc, v54, v6
	v_add_u32_e32 v0, s8, v0
	v_addc_co_u32_e32 v7, vcc, v55, v7, vcc
	v_ashrrev_i32_e32 v1, 31, v0
	global_store_dwordx2 v[6:7], v[20:21], off
	v_lshlrev_b64 v[6:7], 3, v[0:1]
	;; [unrolled: 6-line block ×16, first 2 shown]
	v_add_u32_e32 v0, s8, v0
	v_add_co_u32_e32 v4, vcc, v54, v4
	v_ashrrev_i32_e32 v1, 31, v0
	v_addc_co_u32_e32 v5, vcc, v55, v5, vcc
	v_lshlrev_b64 v[0:1], 3, v[0:1]
	v_add_co_u32_e32 v0, vcc, v54, v0
	v_addc_co_u32_e32 v1, vcc, v55, v1, vcc
	global_store_dwordx2 v[4:5], v[36:37], off
	global_store_dwordx2 v[0:1], v[2:3], off
.LBB42_371:
	s_endpgm
	.section	.rodata,"a",@progbits
	.p2align	6, 0x0
	.amdhsa_kernel _ZN9rocsolver6v33100L18getf2_small_kernelILi22EdiiPKPdEEvT1_T3_lS5_lPS5_llPT2_S5_S5_S7_l
		.amdhsa_group_segment_fixed_size 0
		.amdhsa_private_segment_fixed_size 0
		.amdhsa_kernarg_size 352
		.amdhsa_user_sgpr_count 6
		.amdhsa_user_sgpr_private_segment_buffer 1
		.amdhsa_user_sgpr_dispatch_ptr 0
		.amdhsa_user_sgpr_queue_ptr 0
		.amdhsa_user_sgpr_kernarg_segment_ptr 1
		.amdhsa_user_sgpr_dispatch_id 0
		.amdhsa_user_sgpr_flat_scratch_init 0
		.amdhsa_user_sgpr_kernarg_preload_length 0
		.amdhsa_user_sgpr_kernarg_preload_offset 0
		.amdhsa_user_sgpr_private_segment_size 0
		.amdhsa_uses_dynamic_stack 0
		.amdhsa_system_sgpr_private_segment_wavefront_offset 0
		.amdhsa_system_sgpr_workgroup_id_x 1
		.amdhsa_system_sgpr_workgroup_id_y 1
		.amdhsa_system_sgpr_workgroup_id_z 0
		.amdhsa_system_sgpr_workgroup_info 0
		.amdhsa_system_vgpr_workitem_id 1
		.amdhsa_next_free_vgpr 70
		.amdhsa_next_free_sgpr 20
		.amdhsa_accum_offset 72
		.amdhsa_reserve_vcc 1
		.amdhsa_reserve_flat_scratch 0
		.amdhsa_float_round_mode_32 0
		.amdhsa_float_round_mode_16_64 0
		.amdhsa_float_denorm_mode_32 3
		.amdhsa_float_denorm_mode_16_64 3
		.amdhsa_dx10_clamp 1
		.amdhsa_ieee_mode 1
		.amdhsa_fp16_overflow 0
		.amdhsa_tg_split 0
		.amdhsa_exception_fp_ieee_invalid_op 0
		.amdhsa_exception_fp_denorm_src 0
		.amdhsa_exception_fp_ieee_div_zero 0
		.amdhsa_exception_fp_ieee_overflow 0
		.amdhsa_exception_fp_ieee_underflow 0
		.amdhsa_exception_fp_ieee_inexact 0
		.amdhsa_exception_int_div_zero 0
	.end_amdhsa_kernel
	.section	.text._ZN9rocsolver6v33100L18getf2_small_kernelILi22EdiiPKPdEEvT1_T3_lS5_lPS5_llPT2_S5_S5_S7_l,"axG",@progbits,_ZN9rocsolver6v33100L18getf2_small_kernelILi22EdiiPKPdEEvT1_T3_lS5_lPS5_llPT2_S5_S5_S7_l,comdat
.Lfunc_end42:
	.size	_ZN9rocsolver6v33100L18getf2_small_kernelILi22EdiiPKPdEEvT1_T3_lS5_lPS5_llPT2_S5_S5_S7_l, .Lfunc_end42-_ZN9rocsolver6v33100L18getf2_small_kernelILi22EdiiPKPdEEvT1_T3_lS5_lPS5_llPT2_S5_S5_S7_l
                                        ; -- End function
	.section	.AMDGPU.csdata,"",@progbits
; Kernel info:
; codeLenInByte = 15264
; NumSgprs: 24
; NumVgprs: 70
; NumAgprs: 0
; TotalNumVgprs: 70
; ScratchSize: 0
; MemoryBound: 0
; FloatMode: 240
; IeeeMode: 1
; LDSByteSize: 0 bytes/workgroup (compile time only)
; SGPRBlocks: 2
; VGPRBlocks: 8
; NumSGPRsForWavesPerEU: 24
; NumVGPRsForWavesPerEU: 70
; AccumOffset: 72
; Occupancy: 7
; WaveLimiterHint : 1
; COMPUTE_PGM_RSRC2:SCRATCH_EN: 0
; COMPUTE_PGM_RSRC2:USER_SGPR: 6
; COMPUTE_PGM_RSRC2:TRAP_HANDLER: 0
; COMPUTE_PGM_RSRC2:TGID_X_EN: 1
; COMPUTE_PGM_RSRC2:TGID_Y_EN: 1
; COMPUTE_PGM_RSRC2:TGID_Z_EN: 0
; COMPUTE_PGM_RSRC2:TIDIG_COMP_CNT: 1
; COMPUTE_PGM_RSRC3_GFX90A:ACCUM_OFFSET: 17
; COMPUTE_PGM_RSRC3_GFX90A:TG_SPLIT: 0
	.section	.text._ZN9rocsolver6v33100L23getf2_npvt_small_kernelILi22EdiiPKPdEEvT1_T3_lS5_lPT2_S5_S5_,"axG",@progbits,_ZN9rocsolver6v33100L23getf2_npvt_small_kernelILi22EdiiPKPdEEvT1_T3_lS5_lPT2_S5_S5_,comdat
	.globl	_ZN9rocsolver6v33100L23getf2_npvt_small_kernelILi22EdiiPKPdEEvT1_T3_lS5_lPT2_S5_S5_ ; -- Begin function _ZN9rocsolver6v33100L23getf2_npvt_small_kernelILi22EdiiPKPdEEvT1_T3_lS5_lPT2_S5_S5_
	.p2align	8
	.type	_ZN9rocsolver6v33100L23getf2_npvt_small_kernelILi22EdiiPKPdEEvT1_T3_lS5_lPT2_S5_S5_,@function
_ZN9rocsolver6v33100L23getf2_npvt_small_kernelILi22EdiiPKPdEEvT1_T3_lS5_lPT2_S5_S5_: ; @_ZN9rocsolver6v33100L23getf2_npvt_small_kernelILi22EdiiPKPdEEvT1_T3_lS5_lPT2_S5_S5_
; %bb.0:
	s_load_dword s0, s[4:5], 0x44
	s_load_dwordx2 s[8:9], s[4:5], 0x30
	v_bfe_u32 v90, v0, 10, 10
	s_waitcnt lgkmcnt(0)
	s_lshr_b32 s10, s0, 16
	s_mul_i32 s7, s7, s10
	v_add_u32_e32 v2, s7, v90
	v_cmp_gt_i32_e32 vcc, s8, v2
	s_and_saveexec_b64 s[0:1], vcc
	s_cbranch_execz .LBB43_113
; %bb.1:
	s_load_dwordx4 s[12:15], s[4:5], 0x8
	s_load_dword s0, s[4:5], 0x18
	v_ashrrev_i32_e32 v3, 31, v2
	v_lshlrev_b64 v[4:5], 3, v[2:3]
	v_and_b32_e32 v134, 0x3ff, v0
	s_waitcnt lgkmcnt(0)
	v_mov_b32_e32 v1, s13
	v_add_co_u32_e32 v4, vcc, s12, v4
	v_addc_co_u32_e32 v5, vcc, v1, v5, vcc
	global_load_dwordx2 v[4:5], v[4:5], off
	s_add_i32 s8, s0, s0
	v_add_u32_e32 v0, s8, v134
	v_ashrrev_i32_e32 v1, 31, v0
	v_add_u32_e32 v6, s0, v0
	v_lshlrev_b64 v[8:9], 3, v[0:1]
	v_add_u32_e32 v0, s0, v6
	v_ashrrev_i32_e32 v1, 31, v0
	v_add_u32_e32 v10, s0, v0
	v_lshlrev_b64 v[12:13], 3, v[0:1]
	v_add_u32_e32 v0, s0, v10
	s_lshl_b64 s[6:7], s[14:15], 3
	v_ashrrev_i32_e32 v1, 31, v0
	v_add_u32_e32 v14, s0, v0
	v_mov_b32_e32 v23, s7
	v_lshlrev_b64 v[16:17], 3, v[0:1]
	v_add_u32_e32 v0, s0, v14
	v_lshlrev_b32_e32 v22, 3, v134
	v_ashrrev_i32_e32 v1, 31, v0
	v_add_u32_e32 v18, s0, v0
	v_lshlrev_b64 v[20:21], 3, v[0:1]
	v_ashrrev_i32_e32 v7, 31, v6
	v_lshlrev_b64 v[6:7], 3, v[6:7]
	v_ashrrev_i32_e32 v11, 31, v10
	;; [unrolled: 2-line block ×4, first 2 shown]
	v_add_u32_e32 v32, s0, v18
	v_lshlrev_b64 v[18:19], 3, v[18:19]
	s_ashr_i32 s1, s0, 31
	s_lshl_b64 s[2:3], s[0:1], 3
	v_mov_b32_e32 v24, s3
	v_ashrrev_i32_e32 v33, 31, v32
	v_add_u32_e32 v34, s0, v32
	v_ashrrev_i32_e32 v35, 31, v34
	v_add_u32_e32 v36, s0, v34
	;; [unrolled: 2-line block ×10, first 2 shown]
	v_ashrrev_i32_e32 v53, 31, v52
	s_mulk_i32 s10, 0xb0
	s_add_i32 s1, s10, 0
	v_lshl_add_u32 v132, v90, 3, s1
	s_waitcnt vmcnt(0)
	v_add_co_u32_e32 v54, vcc, s6, v4
	v_addc_co_u32_e32 v55, vcc, v5, v23, vcc
	v_add_co_u32_e32 v0, vcc, v54, v22
	v_addc_co_u32_e32 v1, vcc, 0, v55, vcc
	;; [unrolled: 2-line block ×11, first 2 shown]
	v_lshlrev_b64 v[22:23], 3, v[32:33]
	v_add_co_u32_e32 v22, vcc, v54, v22
	v_addc_co_u32_e32 v23, vcc, v55, v23, vcc
	v_lshlrev_b64 v[32:33], 3, v[34:35]
	v_add_co_u32_e32 v32, vcc, v54, v32
	v_addc_co_u32_e32 v33, vcc, v55, v33, vcc
	;; [unrolled: 3-line block ×10, first 2 shown]
	v_lshlrev_b64 v[50:51], 3, v[52:53]
	v_add_u32_e32 v52, s0, v52
	v_add_co_u32_e32 v50, vcc, v54, v50
	v_ashrrev_i32_e32 v53, 31, v52
	v_addc_co_u32_e32 v51, vcc, v55, v51, vcc
	v_lshlrev_b64 v[52:53], 3, v[52:53]
	v_add_co_u32_e32 v52, vcc, v54, v52
	global_load_dwordx2 v[24:25], v[0:1], off
	global_load_dwordx2 v[28:29], v[20:21], off
	;; [unrolled: 1-line block ×4, first 2 shown]
	v_addc_co_u32_e32 v53, vcc, v55, v53, vcc
	global_load_dwordx2 v[86:87], v[8:9], off
	global_load_dwordx2 v[68:69], v[10:11], off
	;; [unrolled: 1-line block ×18, first 2 shown]
	s_movk_i32 s0, 0xb0
	v_mad_u32_u24 v133, v90, s0, 0
	v_cmp_ne_u32_e64 s[2:3], 0, v134
	v_cmp_eq_u32_e64 s[0:1], 0, v134
	s_and_saveexec_b64 s[6:7], s[0:1]
	s_cbranch_execz .LBB43_4
; %bb.2:
	s_waitcnt vmcnt(21)
	ds_write_b64 v132, v[24:25]
	s_waitcnt vmcnt(19)
	ds_write2_b64 v133, v[28:29], v[30:31] offset0:1 offset1:2
	s_waitcnt vmcnt(17)
	ds_write2_b64 v133, v[26:27], v[86:87] offset0:3 offset1:4
	;; [unrolled: 2-line block ×10, first 2 shown]
	s_waitcnt vmcnt(0)
	ds_write_b64 v133, v[88:89] offset:168
	ds_read_b64 v[90:91], v132
	s_waitcnt lgkmcnt(0)
	v_cmp_neq_f64_e32 vcc, 0, v[90:91]
	s_and_b64 exec, exec, vcc
	s_cbranch_execz .LBB43_4
; %bb.3:
	v_div_scale_f64 v[92:93], s[10:11], v[90:91], v[90:91], 1.0
	v_rcp_f64_e32 v[94:95], v[92:93]
	v_div_scale_f64 v[96:97], vcc, 1.0, v[90:91], 1.0
	v_fma_f64 v[98:99], -v[92:93], v[94:95], 1.0
	v_fmac_f64_e32 v[94:95], v[94:95], v[98:99]
	v_fma_f64 v[98:99], -v[92:93], v[94:95], 1.0
	v_fmac_f64_e32 v[94:95], v[94:95], v[98:99]
	v_mul_f64 v[98:99], v[96:97], v[94:95]
	v_fma_f64 v[92:93], -v[92:93], v[98:99], v[96:97]
	v_div_fmas_f64 v[92:93], v[92:93], v[94:95], v[98:99]
	v_div_fixup_f64 v[90:91], v[92:93], v[90:91], 1.0
	ds_write_b64 v132, v[90:91]
.LBB43_4:
	s_or_b64 exec, exec, s[6:7]
	s_waitcnt lgkmcnt(0)
	s_barrier
	ds_read_b64 v[90:91], v132
	s_and_saveexec_b64 s[6:7], s[2:3]
	s_cbranch_execz .LBB43_6
; %bb.5:
	ds_read2_b64 v[92:95], v133 offset0:1 offset1:2
	ds_read2_b64 v[96:99], v133 offset0:3 offset1:4
	s_waitcnt vmcnt(21) lgkmcnt(2)
	v_mul_f64 v[24:25], v[90:91], v[24:25]
	ds_read2_b64 v[100:103], v133 offset0:5 offset1:6
	s_waitcnt vmcnt(20) lgkmcnt(2)
	v_fma_f64 v[28:29], -v[24:25], v[92:93], v[28:29]
	s_waitcnt vmcnt(19)
	v_fma_f64 v[30:31], -v[24:25], v[94:95], v[30:31]
	ds_read2_b64 v[92:95], v133 offset0:7 offset1:8
	s_waitcnt vmcnt(18) lgkmcnt(2)
	v_fma_f64 v[26:27], -v[24:25], v[96:97], v[26:27]
	s_waitcnt vmcnt(17)
	v_fma_f64 v[86:87], -v[24:25], v[98:99], v[86:87]
	;; [unrolled: 5-line block ×4, first 2 shown]
	s_waitcnt vmcnt(12) lgkmcnt(1)
	v_fma_f64 v[64:65], -v[24:25], v[96:97], v[64:65]
	ds_read2_b64 v[92:95], v133 offset0:13 offset1:14
	s_waitcnt vmcnt(11)
	v_fma_f64 v[80:81], -v[24:25], v[98:99], v[80:81]
	ds_read2_b64 v[96:99], v133 offset0:15 offset1:16
	s_waitcnt vmcnt(10) lgkmcnt(2)
	v_fma_f64 v[62:63], -v[24:25], v[100:101], v[62:63]
	s_waitcnt vmcnt(9)
	v_fma_f64 v[78:79], -v[24:25], v[102:103], v[78:79]
	s_waitcnt vmcnt(8) lgkmcnt(1)
	v_fma_f64 v[60:61], -v[24:25], v[92:93], v[60:61]
	s_waitcnt vmcnt(7)
	v_fma_f64 v[76:77], -v[24:25], v[94:95], v[76:77]
	ds_read2_b64 v[92:95], v133 offset0:17 offset1:18
	ds_read2_b64 v[100:103], v133 offset0:19 offset1:20
	s_waitcnt vmcnt(6) lgkmcnt(2)
	v_fma_f64 v[58:59], -v[24:25], v[96:97], v[58:59]
	ds_read_b64 v[96:97], v133 offset:168
	s_waitcnt vmcnt(5)
	v_fma_f64 v[74:75], -v[24:25], v[98:99], v[74:75]
	s_waitcnt vmcnt(4) lgkmcnt(2)
	v_fma_f64 v[56:57], -v[24:25], v[92:93], v[56:57]
	s_waitcnt vmcnt(3)
	v_fma_f64 v[72:73], -v[24:25], v[94:95], v[72:73]
	s_waitcnt vmcnt(2) lgkmcnt(1)
	v_fma_f64 v[54:55], -v[24:25], v[100:101], v[54:55]
	;; [unrolled: 4-line block ×3, first 2 shown]
.LBB43_6:
	s_or_b64 exec, exec, s[6:7]
	v_cmp_eq_u32_e32 vcc, 1, v134
	s_waitcnt lgkmcnt(0)
	s_barrier
	s_and_saveexec_b64 s[2:3], vcc
	s_cbranch_execz .LBB43_9
; %bb.7:
	s_waitcnt vmcnt(19)
	v_mov_b32_e32 v92, v30
	v_mov_b32_e32 v93, v31
	s_waitcnt vmcnt(18)
	v_mov_b32_e32 v94, v26
	v_mov_b32_e32 v95, v27
	ds_write_b64 v132, v[28:29]
	ds_write2_b64 v133, v[92:93], v[94:95] offset0:2 offset1:3
	s_waitcnt vmcnt(17)
	v_mov_b32_e32 v92, v86
	v_mov_b32_e32 v93, v87
	s_waitcnt vmcnt(16)
	v_mov_b32_e32 v94, v68
	v_mov_b32_e32 v95, v69
	ds_write2_b64 v133, v[92:93], v[94:95] offset0:4 offset1:5
	s_waitcnt vmcnt(15)
	v_mov_b32_e32 v92, v84
	v_mov_b32_e32 v93, v85
	s_waitcnt vmcnt(14)
	v_mov_b32_e32 v94, v66
	v_mov_b32_e32 v95, v67
	;; [unrolled: 7-line block ×8, first 2 shown]
	ds_write2_b64 v133, v[92:93], v[94:95] offset0:18 offset1:19
	s_waitcnt vmcnt(1)
	v_mov_b32_e32 v92, v70
	v_mov_b32_e32 v93, v71
	s_waitcnt vmcnt(0)
	ds_write2_b64 v133, v[92:93], v[88:89] offset0:20 offset1:21
	ds_read_b64 v[92:93], v132
	s_waitcnt lgkmcnt(0)
	v_cmp_neq_f64_e32 vcc, 0, v[92:93]
	s_and_b64 exec, exec, vcc
	s_cbranch_execz .LBB43_9
; %bb.8:
	v_div_scale_f64 v[94:95], s[6:7], v[92:93], v[92:93], 1.0
	v_rcp_f64_e32 v[96:97], v[94:95]
	v_div_scale_f64 v[98:99], vcc, 1.0, v[92:93], 1.0
	v_fma_f64 v[100:101], -v[94:95], v[96:97], 1.0
	v_fmac_f64_e32 v[96:97], v[96:97], v[100:101]
	v_fma_f64 v[100:101], -v[94:95], v[96:97], 1.0
	v_fmac_f64_e32 v[96:97], v[96:97], v[100:101]
	v_mul_f64 v[100:101], v[98:99], v[96:97]
	v_fma_f64 v[94:95], -v[94:95], v[100:101], v[98:99]
	v_div_fmas_f64 v[94:95], v[94:95], v[96:97], v[100:101]
	v_div_fixup_f64 v[92:93], v[94:95], v[92:93], 1.0
	ds_write_b64 v132, v[92:93]
.LBB43_9:
	s_or_b64 exec, exec, s[2:3]
	s_waitcnt lgkmcnt(0)
	s_barrier
	ds_read_b64 v[92:93], v132
	v_cmp_lt_u32_e32 vcc, 1, v134
	s_and_saveexec_b64 s[2:3], vcc
	s_cbranch_execz .LBB43_11
; %bb.10:
	ds_read2_b64 v[94:97], v133 offset0:2 offset1:3
	ds_read2_b64 v[98:101], v133 offset0:4 offset1:5
	s_waitcnt vmcnt(20) lgkmcnt(2)
	v_mul_f64 v[28:29], v[92:93], v[28:29]
	ds_read2_b64 v[102:105], v133 offset0:6 offset1:7
	s_waitcnt vmcnt(19) lgkmcnt(2)
	v_fma_f64 v[30:31], -v[28:29], v[94:95], v[30:31]
	s_waitcnt vmcnt(18)
	v_fma_f64 v[26:27], -v[28:29], v[96:97], v[26:27]
	ds_read2_b64 v[94:97], v133 offset0:8 offset1:9
	s_waitcnt vmcnt(17) lgkmcnt(2)
	v_fma_f64 v[86:87], -v[28:29], v[98:99], v[86:87]
	s_waitcnt vmcnt(16)
	v_fma_f64 v[68:69], -v[28:29], v[100:101], v[68:69]
	s_waitcnt vmcnt(15) lgkmcnt(1)
	v_fma_f64 v[84:85], -v[28:29], v[102:103], v[84:85]
	ds_read2_b64 v[98:101], v133 offset0:10 offset1:11
	s_waitcnt vmcnt(14)
	v_fma_f64 v[66:67], -v[28:29], v[104:105], v[66:67]
	ds_read2_b64 v[102:105], v133 offset0:12 offset1:13
	s_waitcnt vmcnt(13) lgkmcnt(2)
	v_fma_f64 v[82:83], -v[28:29], v[94:95], v[82:83]
	s_waitcnt vmcnt(12)
	v_fma_f64 v[64:65], -v[28:29], v[96:97], v[64:65]
	ds_read2_b64 v[94:97], v133 offset0:14 offset1:15
	s_waitcnt vmcnt(11) lgkmcnt(2)
	v_fma_f64 v[80:81], -v[28:29], v[98:99], v[80:81]
	;; [unrolled: 5-line block ×3, first 2 shown]
	s_waitcnt vmcnt(8)
	v_fma_f64 v[60:61], -v[28:29], v[104:105], v[60:61]
	s_waitcnt vmcnt(7) lgkmcnt(1)
	v_fma_f64 v[76:77], -v[28:29], v[94:95], v[76:77]
	ds_read2_b64 v[102:105], v133 offset0:18 offset1:19
	s_waitcnt vmcnt(6)
	v_fma_f64 v[58:59], -v[28:29], v[96:97], v[58:59]
	ds_read2_b64 v[94:97], v133 offset0:20 offset1:21
	s_waitcnt vmcnt(5) lgkmcnt(2)
	v_fma_f64 v[74:75], -v[28:29], v[98:99], v[74:75]
	s_waitcnt vmcnt(4)
	v_fma_f64 v[56:57], -v[28:29], v[100:101], v[56:57]
	s_waitcnt vmcnt(3) lgkmcnt(1)
	v_fma_f64 v[72:73], -v[28:29], v[102:103], v[72:73]
	s_waitcnt vmcnt(2)
	v_fma_f64 v[54:55], -v[28:29], v[104:105], v[54:55]
	s_waitcnt vmcnt(1) lgkmcnt(0)
	v_fma_f64 v[70:71], -v[28:29], v[94:95], v[70:71]
	s_waitcnt vmcnt(0)
	v_fma_f64 v[88:89], -v[28:29], v[96:97], v[88:89]
.LBB43_11:
	s_or_b64 exec, exec, s[2:3]
	v_cmp_eq_u32_e32 vcc, 2, v134
	s_waitcnt lgkmcnt(0)
	s_barrier
	s_and_saveexec_b64 s[2:3], vcc
	s_cbranch_execz .LBB43_14
; %bb.12:
	s_waitcnt vmcnt(19)
	ds_write_b64 v132, v[30:31]
	s_waitcnt vmcnt(17)
	ds_write2_b64 v133, v[26:27], v[86:87] offset0:3 offset1:4
	s_waitcnt vmcnt(15)
	ds_write2_b64 v133, v[68:69], v[84:85] offset0:5 offset1:6
	;; [unrolled: 2-line block ×9, first 2 shown]
	s_waitcnt vmcnt(0)
	ds_write_b64 v133, v[88:89] offset:168
	ds_read_b64 v[94:95], v132
	s_waitcnt lgkmcnt(0)
	v_cmp_neq_f64_e32 vcc, 0, v[94:95]
	s_and_b64 exec, exec, vcc
	s_cbranch_execz .LBB43_14
; %bb.13:
	v_div_scale_f64 v[96:97], s[6:7], v[94:95], v[94:95], 1.0
	v_rcp_f64_e32 v[98:99], v[96:97]
	v_div_scale_f64 v[100:101], vcc, 1.0, v[94:95], 1.0
	v_fma_f64 v[102:103], -v[96:97], v[98:99], 1.0
	v_fmac_f64_e32 v[98:99], v[98:99], v[102:103]
	v_fma_f64 v[102:103], -v[96:97], v[98:99], 1.0
	v_fmac_f64_e32 v[98:99], v[98:99], v[102:103]
	v_mul_f64 v[102:103], v[100:101], v[98:99]
	v_fma_f64 v[96:97], -v[96:97], v[102:103], v[100:101]
	v_div_fmas_f64 v[96:97], v[96:97], v[98:99], v[102:103]
	v_div_fixup_f64 v[94:95], v[96:97], v[94:95], 1.0
	ds_write_b64 v132, v[94:95]
.LBB43_14:
	s_or_b64 exec, exec, s[2:3]
	s_waitcnt lgkmcnt(0)
	s_barrier
	ds_read_b64 v[94:95], v132
	v_cmp_lt_u32_e32 vcc, 2, v134
	s_and_saveexec_b64 s[2:3], vcc
	s_cbranch_execz .LBB43_16
; %bb.15:
	ds_read2_b64 v[96:99], v133 offset0:3 offset1:4
	ds_read2_b64 v[100:103], v133 offset0:5 offset1:6
	s_waitcnt vmcnt(19) lgkmcnt(2)
	v_mul_f64 v[30:31], v[94:95], v[30:31]
	ds_read2_b64 v[104:107], v133 offset0:7 offset1:8
	s_waitcnt vmcnt(18) lgkmcnt(2)
	v_fma_f64 v[26:27], -v[30:31], v[96:97], v[26:27]
	s_waitcnt vmcnt(17)
	v_fma_f64 v[86:87], -v[30:31], v[98:99], v[86:87]
	ds_read2_b64 v[96:99], v133 offset0:9 offset1:10
	s_waitcnt vmcnt(16) lgkmcnt(2)
	v_fma_f64 v[68:69], -v[30:31], v[100:101], v[68:69]
	s_waitcnt vmcnt(15)
	v_fma_f64 v[84:85], -v[30:31], v[102:103], v[84:85]
	s_waitcnt vmcnt(14) lgkmcnt(1)
	v_fma_f64 v[66:67], -v[30:31], v[104:105], v[66:67]
	ds_read2_b64 v[100:103], v133 offset0:11 offset1:12
	s_waitcnt vmcnt(13)
	v_fma_f64 v[82:83], -v[30:31], v[106:107], v[82:83]
	ds_read2_b64 v[104:107], v133 offset0:13 offset1:14
	s_waitcnt vmcnt(12) lgkmcnt(2)
	v_fma_f64 v[64:65], -v[30:31], v[96:97], v[64:65]
	s_waitcnt vmcnt(11)
	v_fma_f64 v[80:81], -v[30:31], v[98:99], v[80:81]
	ds_read2_b64 v[96:99], v133 offset0:15 offset1:16
	s_waitcnt vmcnt(10) lgkmcnt(2)
	v_fma_f64 v[62:63], -v[30:31], v[100:101], v[62:63]
	;; [unrolled: 5-line block ×3, first 2 shown]
	s_waitcnt vmcnt(7)
	v_fma_f64 v[76:77], -v[30:31], v[106:107], v[76:77]
	s_waitcnt vmcnt(6) lgkmcnt(1)
	v_fma_f64 v[58:59], -v[30:31], v[96:97], v[58:59]
	ds_read2_b64 v[104:107], v133 offset0:19 offset1:20
	ds_read_b64 v[96:97], v133 offset:168
	s_waitcnt vmcnt(5)
	v_fma_f64 v[74:75], -v[30:31], v[98:99], v[74:75]
	s_waitcnt vmcnt(4) lgkmcnt(2)
	v_fma_f64 v[56:57], -v[30:31], v[100:101], v[56:57]
	s_waitcnt vmcnt(3)
	v_fma_f64 v[72:73], -v[30:31], v[102:103], v[72:73]
	s_waitcnt vmcnt(2) lgkmcnt(1)
	v_fma_f64 v[54:55], -v[30:31], v[104:105], v[54:55]
	;; [unrolled: 4-line block ×3, first 2 shown]
.LBB43_16:
	s_or_b64 exec, exec, s[2:3]
	v_cmp_eq_u32_e32 vcc, 3, v134
	s_waitcnt lgkmcnt(0)
	s_barrier
	s_and_saveexec_b64 s[2:3], vcc
	s_cbranch_execz .LBB43_19
; %bb.17:
	s_waitcnt vmcnt(17)
	v_mov_b32_e32 v96, v86
	v_mov_b32_e32 v97, v87
	s_waitcnt vmcnt(16)
	v_mov_b32_e32 v98, v68
	v_mov_b32_e32 v99, v69
	ds_write_b64 v132, v[26:27]
	ds_write2_b64 v133, v[96:97], v[98:99] offset0:4 offset1:5
	s_waitcnt vmcnt(15)
	v_mov_b32_e32 v96, v84
	v_mov_b32_e32 v97, v85
	s_waitcnt vmcnt(14)
	v_mov_b32_e32 v98, v66
	v_mov_b32_e32 v99, v67
	ds_write2_b64 v133, v[96:97], v[98:99] offset0:6 offset1:7
	s_waitcnt vmcnt(13)
	v_mov_b32_e32 v96, v82
	v_mov_b32_e32 v97, v83
	s_waitcnt vmcnt(12)
	v_mov_b32_e32 v98, v64
	v_mov_b32_e32 v99, v65
	;; [unrolled: 7-line block ×7, first 2 shown]
	ds_write2_b64 v133, v[96:97], v[98:99] offset0:18 offset1:19
	s_waitcnt vmcnt(1)
	v_mov_b32_e32 v96, v70
	v_mov_b32_e32 v97, v71
	s_waitcnt vmcnt(0)
	ds_write2_b64 v133, v[96:97], v[88:89] offset0:20 offset1:21
	ds_read_b64 v[96:97], v132
	s_waitcnt lgkmcnt(0)
	v_cmp_neq_f64_e32 vcc, 0, v[96:97]
	s_and_b64 exec, exec, vcc
	s_cbranch_execz .LBB43_19
; %bb.18:
	v_div_scale_f64 v[98:99], s[6:7], v[96:97], v[96:97], 1.0
	v_rcp_f64_e32 v[100:101], v[98:99]
	v_div_scale_f64 v[102:103], vcc, 1.0, v[96:97], 1.0
	v_fma_f64 v[104:105], -v[98:99], v[100:101], 1.0
	v_fmac_f64_e32 v[100:101], v[100:101], v[104:105]
	v_fma_f64 v[104:105], -v[98:99], v[100:101], 1.0
	v_fmac_f64_e32 v[100:101], v[100:101], v[104:105]
	v_mul_f64 v[104:105], v[102:103], v[100:101]
	v_fma_f64 v[98:99], -v[98:99], v[104:105], v[102:103]
	v_div_fmas_f64 v[98:99], v[98:99], v[100:101], v[104:105]
	v_div_fixup_f64 v[96:97], v[98:99], v[96:97], 1.0
	ds_write_b64 v132, v[96:97]
.LBB43_19:
	s_or_b64 exec, exec, s[2:3]
	s_waitcnt lgkmcnt(0)
	s_barrier
	ds_read_b64 v[96:97], v132
	v_cmp_lt_u32_e32 vcc, 3, v134
	s_and_saveexec_b64 s[2:3], vcc
	s_cbranch_execz .LBB43_21
; %bb.20:
	ds_read2_b64 v[98:101], v133 offset0:4 offset1:5
	ds_read2_b64 v[102:105], v133 offset0:6 offset1:7
	;; [unrolled: 1-line block ×3, first 2 shown]
	s_waitcnt vmcnt(18) lgkmcnt(3)
	v_mul_f64 v[26:27], v[96:97], v[26:27]
	s_waitcnt vmcnt(17) lgkmcnt(2)
	v_fma_f64 v[86:87], -v[26:27], v[98:99], v[86:87]
	s_waitcnt vmcnt(16)
	v_fma_f64 v[68:69], -v[26:27], v[100:101], v[68:69]
	ds_read2_b64 v[98:101], v133 offset0:10 offset1:11
	s_waitcnt vmcnt(15) lgkmcnt(2)
	v_fma_f64 v[84:85], -v[26:27], v[102:103], v[84:85]
	s_waitcnt vmcnt(14)
	v_fma_f64 v[66:67], -v[26:27], v[104:105], v[66:67]
	s_waitcnt vmcnt(13) lgkmcnt(1)
	v_fma_f64 v[82:83], -v[26:27], v[106:107], v[82:83]
	ds_read2_b64 v[102:105], v133 offset0:12 offset1:13
	s_waitcnt vmcnt(12)
	v_fma_f64 v[64:65], -v[26:27], v[108:109], v[64:65]
	ds_read2_b64 v[106:109], v133 offset0:14 offset1:15
	s_waitcnt vmcnt(11) lgkmcnt(2)
	v_fma_f64 v[80:81], -v[26:27], v[98:99], v[80:81]
	s_waitcnt vmcnt(10)
	v_fma_f64 v[62:63], -v[26:27], v[100:101], v[62:63]
	s_waitcnt vmcnt(9) lgkmcnt(1)
	v_fma_f64 v[78:79], -v[26:27], v[102:103], v[78:79]
	s_waitcnt vmcnt(8)
	v_fma_f64 v[60:61], -v[26:27], v[104:105], v[60:61]
	ds_read2_b64 v[98:101], v133 offset0:16 offset1:17
	ds_read2_b64 v[102:105], v133 offset0:18 offset1:19
	s_waitcnt vmcnt(7) lgkmcnt(2)
	v_fma_f64 v[76:77], -v[26:27], v[106:107], v[76:77]
	s_waitcnt vmcnt(6)
	v_fma_f64 v[58:59], -v[26:27], v[108:109], v[58:59]
	ds_read2_b64 v[106:109], v133 offset0:20 offset1:21
	s_waitcnt vmcnt(5) lgkmcnt(2)
	v_fma_f64 v[74:75], -v[26:27], v[98:99], v[74:75]
	s_waitcnt vmcnt(4)
	v_fma_f64 v[56:57], -v[26:27], v[100:101], v[56:57]
	s_waitcnt vmcnt(3) lgkmcnt(1)
	v_fma_f64 v[72:73], -v[26:27], v[102:103], v[72:73]
	s_waitcnt vmcnt(2)
	v_fma_f64 v[54:55], -v[26:27], v[104:105], v[54:55]
	;; [unrolled: 4-line block ×3, first 2 shown]
.LBB43_21:
	s_or_b64 exec, exec, s[2:3]
	v_cmp_eq_u32_e32 vcc, 4, v134
	s_waitcnt lgkmcnt(0)
	s_barrier
	s_and_saveexec_b64 s[2:3], vcc
	s_cbranch_execz .LBB43_24
; %bb.22:
	s_waitcnt vmcnt(17)
	ds_write_b64 v132, v[86:87]
	s_waitcnt vmcnt(15)
	ds_write2_b64 v133, v[68:69], v[84:85] offset0:5 offset1:6
	s_waitcnt vmcnt(13)
	ds_write2_b64 v133, v[66:67], v[82:83] offset0:7 offset1:8
	;; [unrolled: 2-line block ×8, first 2 shown]
	s_waitcnt vmcnt(0)
	ds_write_b64 v133, v[88:89] offset:168
	ds_read_b64 v[98:99], v132
	s_waitcnt lgkmcnt(0)
	v_cmp_neq_f64_e32 vcc, 0, v[98:99]
	s_and_b64 exec, exec, vcc
	s_cbranch_execz .LBB43_24
; %bb.23:
	v_div_scale_f64 v[100:101], s[6:7], v[98:99], v[98:99], 1.0
	v_rcp_f64_e32 v[102:103], v[100:101]
	v_div_scale_f64 v[104:105], vcc, 1.0, v[98:99], 1.0
	v_fma_f64 v[106:107], -v[100:101], v[102:103], 1.0
	v_fmac_f64_e32 v[102:103], v[102:103], v[106:107]
	v_fma_f64 v[106:107], -v[100:101], v[102:103], 1.0
	v_fmac_f64_e32 v[102:103], v[102:103], v[106:107]
	v_mul_f64 v[106:107], v[104:105], v[102:103]
	v_fma_f64 v[100:101], -v[100:101], v[106:107], v[104:105]
	v_div_fmas_f64 v[100:101], v[100:101], v[102:103], v[106:107]
	v_div_fixup_f64 v[98:99], v[100:101], v[98:99], 1.0
	ds_write_b64 v132, v[98:99]
.LBB43_24:
	s_or_b64 exec, exec, s[2:3]
	s_waitcnt lgkmcnt(0)
	s_barrier
	ds_read_b64 v[98:99], v132
	v_cmp_lt_u32_e32 vcc, 4, v134
	s_and_saveexec_b64 s[2:3], vcc
	s_cbranch_execz .LBB43_26
; %bb.25:
	ds_read2_b64 v[100:103], v133 offset0:5 offset1:6
	ds_read2_b64 v[104:107], v133 offset0:7 offset1:8
	;; [unrolled: 1-line block ×3, first 2 shown]
	s_waitcnt vmcnt(17) lgkmcnt(3)
	v_mul_f64 v[86:87], v[98:99], v[86:87]
	s_waitcnt vmcnt(16) lgkmcnt(2)
	v_fma_f64 v[68:69], -v[86:87], v[100:101], v[68:69]
	s_waitcnt vmcnt(15)
	v_fma_f64 v[84:85], -v[86:87], v[102:103], v[84:85]
	ds_read2_b64 v[100:103], v133 offset0:11 offset1:12
	s_waitcnt vmcnt(14) lgkmcnt(2)
	v_fma_f64 v[66:67], -v[86:87], v[104:105], v[66:67]
	s_waitcnt vmcnt(13)
	v_fma_f64 v[82:83], -v[86:87], v[106:107], v[82:83]
	s_waitcnt vmcnt(12) lgkmcnt(1)
	v_fma_f64 v[64:65], -v[86:87], v[108:109], v[64:65]
	ds_read2_b64 v[104:107], v133 offset0:13 offset1:14
	s_waitcnt vmcnt(11)
	v_fma_f64 v[80:81], -v[86:87], v[110:111], v[80:81]
	ds_read2_b64 v[108:111], v133 offset0:15 offset1:16
	s_waitcnt vmcnt(10) lgkmcnt(2)
	v_fma_f64 v[62:63], -v[86:87], v[100:101], v[62:63]
	s_waitcnt vmcnt(9)
	v_fma_f64 v[78:79], -v[86:87], v[102:103], v[78:79]
	s_waitcnt vmcnt(8) lgkmcnt(1)
	v_fma_f64 v[60:61], -v[86:87], v[104:105], v[60:61]
	s_waitcnt vmcnt(7)
	v_fma_f64 v[76:77], -v[86:87], v[106:107], v[76:77]
	ds_read2_b64 v[100:103], v133 offset0:17 offset1:18
	ds_read2_b64 v[104:107], v133 offset0:19 offset1:20
	s_waitcnt vmcnt(6) lgkmcnt(2)
	v_fma_f64 v[58:59], -v[86:87], v[108:109], v[58:59]
	ds_read_b64 v[108:109], v133 offset:168
	s_waitcnt vmcnt(5)
	v_fma_f64 v[74:75], -v[86:87], v[110:111], v[74:75]
	s_waitcnt vmcnt(4) lgkmcnt(2)
	v_fma_f64 v[56:57], -v[86:87], v[100:101], v[56:57]
	s_waitcnt vmcnt(3)
	v_fma_f64 v[72:73], -v[86:87], v[102:103], v[72:73]
	s_waitcnt vmcnt(2) lgkmcnt(1)
	v_fma_f64 v[54:55], -v[86:87], v[104:105], v[54:55]
	;; [unrolled: 4-line block ×3, first 2 shown]
.LBB43_26:
	s_or_b64 exec, exec, s[2:3]
	v_cmp_eq_u32_e32 vcc, 5, v134
	s_waitcnt lgkmcnt(0)
	s_barrier
	s_and_saveexec_b64 s[2:3], vcc
	s_cbranch_execz .LBB43_29
; %bb.27:
	s_waitcnt vmcnt(15)
	v_mov_b32_e32 v100, v84
	v_mov_b32_e32 v101, v85
	s_waitcnt vmcnt(14)
	v_mov_b32_e32 v102, v66
	v_mov_b32_e32 v103, v67
	ds_write_b64 v132, v[68:69]
	ds_write2_b64 v133, v[100:101], v[102:103] offset0:6 offset1:7
	s_waitcnt vmcnt(13)
	v_mov_b32_e32 v100, v82
	v_mov_b32_e32 v101, v83
	s_waitcnt vmcnt(12)
	v_mov_b32_e32 v102, v64
	v_mov_b32_e32 v103, v65
	ds_write2_b64 v133, v[100:101], v[102:103] offset0:8 offset1:9
	s_waitcnt vmcnt(11)
	v_mov_b32_e32 v100, v80
	v_mov_b32_e32 v101, v81
	s_waitcnt vmcnt(10)
	v_mov_b32_e32 v102, v62
	v_mov_b32_e32 v103, v63
	;; [unrolled: 7-line block ×6, first 2 shown]
	ds_write2_b64 v133, v[100:101], v[102:103] offset0:18 offset1:19
	s_waitcnt vmcnt(1)
	v_mov_b32_e32 v100, v70
	v_mov_b32_e32 v101, v71
	s_waitcnt vmcnt(0)
	ds_write2_b64 v133, v[100:101], v[88:89] offset0:20 offset1:21
	ds_read_b64 v[100:101], v132
	s_waitcnt lgkmcnt(0)
	v_cmp_neq_f64_e32 vcc, 0, v[100:101]
	s_and_b64 exec, exec, vcc
	s_cbranch_execz .LBB43_29
; %bb.28:
	v_div_scale_f64 v[102:103], s[6:7], v[100:101], v[100:101], 1.0
	v_rcp_f64_e32 v[104:105], v[102:103]
	v_div_scale_f64 v[106:107], vcc, 1.0, v[100:101], 1.0
	v_fma_f64 v[108:109], -v[102:103], v[104:105], 1.0
	v_fmac_f64_e32 v[104:105], v[104:105], v[108:109]
	v_fma_f64 v[108:109], -v[102:103], v[104:105], 1.0
	v_fmac_f64_e32 v[104:105], v[104:105], v[108:109]
	v_mul_f64 v[108:109], v[106:107], v[104:105]
	v_fma_f64 v[102:103], -v[102:103], v[108:109], v[106:107]
	v_div_fmas_f64 v[102:103], v[102:103], v[104:105], v[108:109]
	v_div_fixup_f64 v[100:101], v[102:103], v[100:101], 1.0
	ds_write_b64 v132, v[100:101]
.LBB43_29:
	s_or_b64 exec, exec, s[2:3]
	s_waitcnt lgkmcnt(0)
	s_barrier
	ds_read_b64 v[100:101], v132
	v_cmp_lt_u32_e32 vcc, 5, v134
	s_and_saveexec_b64 s[2:3], vcc
	s_cbranch_execz .LBB43_31
; %bb.30:
	ds_read2_b64 v[102:105], v133 offset0:6 offset1:7
	ds_read2_b64 v[106:109], v133 offset0:8 offset1:9
	s_waitcnt vmcnt(16) lgkmcnt(2)
	v_mul_f64 v[68:69], v[100:101], v[68:69]
	ds_read2_b64 v[110:113], v133 offset0:10 offset1:11
	s_waitcnt vmcnt(15) lgkmcnt(2)
	v_fma_f64 v[84:85], -v[68:69], v[102:103], v[84:85]
	s_waitcnt vmcnt(14)
	v_fma_f64 v[66:67], -v[68:69], v[104:105], v[66:67]
	ds_read2_b64 v[102:105], v133 offset0:12 offset1:13
	s_waitcnt vmcnt(13) lgkmcnt(2)
	v_fma_f64 v[82:83], -v[68:69], v[106:107], v[82:83]
	s_waitcnt vmcnt(12)
	v_fma_f64 v[64:65], -v[68:69], v[108:109], v[64:65]
	;; [unrolled: 5-line block ×3, first 2 shown]
	s_waitcnt vmcnt(9) lgkmcnt(1)
	v_fma_f64 v[78:79], -v[68:69], v[102:103], v[78:79]
	s_waitcnt vmcnt(8)
	v_fma_f64 v[60:61], -v[68:69], v[104:105], v[60:61]
	ds_read2_b64 v[102:105], v133 offset0:16 offset1:17
	s_waitcnt vmcnt(7) lgkmcnt(1)
	v_fma_f64 v[76:77], -v[68:69], v[106:107], v[76:77]
	ds_read2_b64 v[110:113], v133 offset0:18 offset1:19
	s_waitcnt vmcnt(6)
	v_fma_f64 v[58:59], -v[68:69], v[108:109], v[58:59]
	ds_read2_b64 v[106:109], v133 offset0:20 offset1:21
	s_waitcnt vmcnt(5) lgkmcnt(2)
	v_fma_f64 v[74:75], -v[68:69], v[102:103], v[74:75]
	s_waitcnt vmcnt(4)
	v_fma_f64 v[56:57], -v[68:69], v[104:105], v[56:57]
	s_waitcnt vmcnt(3) lgkmcnt(1)
	v_fma_f64 v[72:73], -v[68:69], v[110:111], v[72:73]
	s_waitcnt vmcnt(2)
	v_fma_f64 v[54:55], -v[68:69], v[112:113], v[54:55]
	;; [unrolled: 4-line block ×3, first 2 shown]
.LBB43_31:
	s_or_b64 exec, exec, s[2:3]
	v_cmp_eq_u32_e32 vcc, 6, v134
	s_waitcnt lgkmcnt(0)
	s_barrier
	s_and_saveexec_b64 s[2:3], vcc
	s_cbranch_execz .LBB43_34
; %bb.32:
	s_waitcnt vmcnt(15)
	ds_write_b64 v132, v[84:85]
	s_waitcnt vmcnt(13)
	ds_write2_b64 v133, v[66:67], v[82:83] offset0:7 offset1:8
	s_waitcnt vmcnt(11)
	ds_write2_b64 v133, v[64:65], v[80:81] offset0:9 offset1:10
	;; [unrolled: 2-line block ×7, first 2 shown]
	s_waitcnt vmcnt(0)
	ds_write_b64 v133, v[88:89] offset:168
	ds_read_b64 v[102:103], v132
	s_waitcnt lgkmcnt(0)
	v_cmp_neq_f64_e32 vcc, 0, v[102:103]
	s_and_b64 exec, exec, vcc
	s_cbranch_execz .LBB43_34
; %bb.33:
	v_div_scale_f64 v[104:105], s[6:7], v[102:103], v[102:103], 1.0
	v_rcp_f64_e32 v[106:107], v[104:105]
	v_div_scale_f64 v[108:109], vcc, 1.0, v[102:103], 1.0
	v_fma_f64 v[110:111], -v[104:105], v[106:107], 1.0
	v_fmac_f64_e32 v[106:107], v[106:107], v[110:111]
	v_fma_f64 v[110:111], -v[104:105], v[106:107], 1.0
	v_fmac_f64_e32 v[106:107], v[106:107], v[110:111]
	v_mul_f64 v[110:111], v[108:109], v[106:107]
	v_fma_f64 v[104:105], -v[104:105], v[110:111], v[108:109]
	v_div_fmas_f64 v[104:105], v[104:105], v[106:107], v[110:111]
	v_div_fixup_f64 v[102:103], v[104:105], v[102:103], 1.0
	ds_write_b64 v132, v[102:103]
.LBB43_34:
	s_or_b64 exec, exec, s[2:3]
	s_waitcnt lgkmcnt(0)
	s_barrier
	ds_read_b64 v[102:103], v132
	v_cmp_lt_u32_e32 vcc, 6, v134
	s_and_saveexec_b64 s[2:3], vcc
	s_cbranch_execz .LBB43_36
; %bb.35:
	ds_read2_b64 v[104:107], v133 offset0:7 offset1:8
	ds_read2_b64 v[108:111], v133 offset0:9 offset1:10
	s_waitcnt vmcnt(15) lgkmcnt(2)
	v_mul_f64 v[84:85], v[102:103], v[84:85]
	ds_read2_b64 v[112:115], v133 offset0:11 offset1:12
	s_waitcnt vmcnt(14) lgkmcnt(2)
	v_fma_f64 v[66:67], -v[84:85], v[104:105], v[66:67]
	s_waitcnt vmcnt(13)
	v_fma_f64 v[82:83], -v[84:85], v[106:107], v[82:83]
	ds_read2_b64 v[104:107], v133 offset0:13 offset1:14
	s_waitcnt vmcnt(12) lgkmcnt(2)
	v_fma_f64 v[64:65], -v[84:85], v[108:109], v[64:65]
	s_waitcnt vmcnt(11)
	v_fma_f64 v[80:81], -v[84:85], v[110:111], v[80:81]
	;; [unrolled: 5-line block ×3, first 2 shown]
	s_waitcnt vmcnt(8) lgkmcnt(1)
	v_fma_f64 v[60:61], -v[84:85], v[104:105], v[60:61]
	s_waitcnt vmcnt(7)
	v_fma_f64 v[76:77], -v[84:85], v[106:107], v[76:77]
	ds_read2_b64 v[104:107], v133 offset0:17 offset1:18
	s_waitcnt vmcnt(6) lgkmcnt(1)
	v_fma_f64 v[58:59], -v[84:85], v[108:109], v[58:59]
	ds_read2_b64 v[112:115], v133 offset0:19 offset1:20
	ds_read_b64 v[108:109], v133 offset:168
	s_waitcnt vmcnt(5)
	v_fma_f64 v[74:75], -v[84:85], v[110:111], v[74:75]
	s_waitcnt vmcnt(4) lgkmcnt(2)
	v_fma_f64 v[56:57], -v[84:85], v[104:105], v[56:57]
	s_waitcnt vmcnt(3)
	v_fma_f64 v[72:73], -v[84:85], v[106:107], v[72:73]
	s_waitcnt vmcnt(2) lgkmcnt(1)
	v_fma_f64 v[54:55], -v[84:85], v[112:113], v[54:55]
	;; [unrolled: 4-line block ×3, first 2 shown]
.LBB43_36:
	s_or_b64 exec, exec, s[2:3]
	v_cmp_eq_u32_e32 vcc, 7, v134
	s_waitcnt lgkmcnt(0)
	s_barrier
	s_and_saveexec_b64 s[2:3], vcc
	s_cbranch_execz .LBB43_39
; %bb.37:
	s_waitcnt vmcnt(13)
	v_mov_b32_e32 v104, v82
	v_mov_b32_e32 v105, v83
	s_waitcnt vmcnt(12)
	v_mov_b32_e32 v106, v64
	v_mov_b32_e32 v107, v65
	ds_write_b64 v132, v[66:67]
	ds_write2_b64 v133, v[104:105], v[106:107] offset0:8 offset1:9
	s_waitcnt vmcnt(11)
	v_mov_b32_e32 v104, v80
	v_mov_b32_e32 v105, v81
	s_waitcnt vmcnt(10)
	v_mov_b32_e32 v106, v62
	v_mov_b32_e32 v107, v63
	ds_write2_b64 v133, v[104:105], v[106:107] offset0:10 offset1:11
	s_waitcnt vmcnt(9)
	v_mov_b32_e32 v104, v78
	v_mov_b32_e32 v105, v79
	s_waitcnt vmcnt(8)
	v_mov_b32_e32 v106, v60
	v_mov_b32_e32 v107, v61
	;; [unrolled: 7-line block ×5, first 2 shown]
	ds_write2_b64 v133, v[104:105], v[106:107] offset0:18 offset1:19
	s_waitcnt vmcnt(1)
	v_mov_b32_e32 v104, v70
	v_mov_b32_e32 v105, v71
	s_waitcnt vmcnt(0)
	ds_write2_b64 v133, v[104:105], v[88:89] offset0:20 offset1:21
	ds_read_b64 v[104:105], v132
	s_waitcnt lgkmcnt(0)
	v_cmp_neq_f64_e32 vcc, 0, v[104:105]
	s_and_b64 exec, exec, vcc
	s_cbranch_execz .LBB43_39
; %bb.38:
	v_div_scale_f64 v[106:107], s[6:7], v[104:105], v[104:105], 1.0
	v_rcp_f64_e32 v[108:109], v[106:107]
	v_div_scale_f64 v[110:111], vcc, 1.0, v[104:105], 1.0
	v_fma_f64 v[112:113], -v[106:107], v[108:109], 1.0
	v_fmac_f64_e32 v[108:109], v[108:109], v[112:113]
	v_fma_f64 v[112:113], -v[106:107], v[108:109], 1.0
	v_fmac_f64_e32 v[108:109], v[108:109], v[112:113]
	v_mul_f64 v[112:113], v[110:111], v[108:109]
	v_fma_f64 v[106:107], -v[106:107], v[112:113], v[110:111]
	v_div_fmas_f64 v[106:107], v[106:107], v[108:109], v[112:113]
	v_div_fixup_f64 v[104:105], v[106:107], v[104:105], 1.0
	ds_write_b64 v132, v[104:105]
.LBB43_39:
	s_or_b64 exec, exec, s[2:3]
	s_waitcnt lgkmcnt(0)
	s_barrier
	ds_read_b64 v[104:105], v132
	v_cmp_lt_u32_e32 vcc, 7, v134
	s_and_saveexec_b64 s[2:3], vcc
	s_cbranch_execz .LBB43_41
; %bb.40:
	ds_read2_b64 v[106:109], v133 offset0:8 offset1:9
	ds_read2_b64 v[110:113], v133 offset0:10 offset1:11
	s_waitcnt vmcnt(14) lgkmcnt(2)
	v_mul_f64 v[66:67], v[104:105], v[66:67]
	ds_read2_b64 v[114:117], v133 offset0:12 offset1:13
	s_waitcnt vmcnt(13) lgkmcnt(2)
	v_fma_f64 v[82:83], -v[66:67], v[106:107], v[82:83]
	s_waitcnt vmcnt(12)
	v_fma_f64 v[64:65], -v[66:67], v[108:109], v[64:65]
	ds_read2_b64 v[106:109], v133 offset0:14 offset1:15
	s_waitcnt vmcnt(11) lgkmcnt(2)
	v_fma_f64 v[80:81], -v[66:67], v[110:111], v[80:81]
	s_waitcnt vmcnt(10)
	v_fma_f64 v[62:63], -v[66:67], v[112:113], v[62:63]
	s_waitcnt vmcnt(9) lgkmcnt(1)
	v_fma_f64 v[78:79], -v[66:67], v[114:115], v[78:79]
	s_waitcnt vmcnt(8)
	v_fma_f64 v[60:61], -v[66:67], v[116:117], v[60:61]
	ds_read2_b64 v[110:113], v133 offset0:16 offset1:17
	ds_read2_b64 v[114:117], v133 offset0:18 offset1:19
	s_waitcnt vmcnt(7) lgkmcnt(2)
	v_fma_f64 v[76:77], -v[66:67], v[106:107], v[76:77]
	s_waitcnt vmcnt(6)
	v_fma_f64 v[58:59], -v[66:67], v[108:109], v[58:59]
	ds_read2_b64 v[106:109], v133 offset0:20 offset1:21
	s_waitcnt vmcnt(5) lgkmcnt(2)
	v_fma_f64 v[74:75], -v[66:67], v[110:111], v[74:75]
	s_waitcnt vmcnt(4)
	v_fma_f64 v[56:57], -v[66:67], v[112:113], v[56:57]
	s_waitcnt vmcnt(3) lgkmcnt(1)
	v_fma_f64 v[72:73], -v[66:67], v[114:115], v[72:73]
	s_waitcnt vmcnt(2)
	v_fma_f64 v[54:55], -v[66:67], v[116:117], v[54:55]
	;; [unrolled: 4-line block ×3, first 2 shown]
.LBB43_41:
	s_or_b64 exec, exec, s[2:3]
	v_cmp_eq_u32_e32 vcc, 8, v134
	s_waitcnt lgkmcnt(0)
	s_barrier
	s_and_saveexec_b64 s[2:3], vcc
	s_cbranch_execz .LBB43_44
; %bb.42:
	s_waitcnt vmcnt(13)
	ds_write_b64 v132, v[82:83]
	s_waitcnt vmcnt(11)
	ds_write2_b64 v133, v[64:65], v[80:81] offset0:9 offset1:10
	s_waitcnt vmcnt(9)
	ds_write2_b64 v133, v[62:63], v[78:79] offset0:11 offset1:12
	;; [unrolled: 2-line block ×6, first 2 shown]
	s_waitcnt vmcnt(0)
	ds_write_b64 v133, v[88:89] offset:168
	ds_read_b64 v[106:107], v132
	s_waitcnt lgkmcnt(0)
	v_cmp_neq_f64_e32 vcc, 0, v[106:107]
	s_and_b64 exec, exec, vcc
	s_cbranch_execz .LBB43_44
; %bb.43:
	v_div_scale_f64 v[108:109], s[6:7], v[106:107], v[106:107], 1.0
	v_rcp_f64_e32 v[110:111], v[108:109]
	v_div_scale_f64 v[112:113], vcc, 1.0, v[106:107], 1.0
	v_fma_f64 v[114:115], -v[108:109], v[110:111], 1.0
	v_fmac_f64_e32 v[110:111], v[110:111], v[114:115]
	v_fma_f64 v[114:115], -v[108:109], v[110:111], 1.0
	v_fmac_f64_e32 v[110:111], v[110:111], v[114:115]
	v_mul_f64 v[114:115], v[112:113], v[110:111]
	v_fma_f64 v[108:109], -v[108:109], v[114:115], v[112:113]
	v_div_fmas_f64 v[108:109], v[108:109], v[110:111], v[114:115]
	v_div_fixup_f64 v[106:107], v[108:109], v[106:107], 1.0
	ds_write_b64 v132, v[106:107]
.LBB43_44:
	s_or_b64 exec, exec, s[2:3]
	s_waitcnt lgkmcnt(0)
	s_barrier
	ds_read_b64 v[106:107], v132
	v_cmp_lt_u32_e32 vcc, 8, v134
	s_and_saveexec_b64 s[2:3], vcc
	s_cbranch_execz .LBB43_46
; %bb.45:
	ds_read2_b64 v[108:111], v133 offset0:9 offset1:10
	ds_read2_b64 v[112:115], v133 offset0:11 offset1:12
	s_waitcnt vmcnt(13) lgkmcnt(2)
	v_mul_f64 v[82:83], v[106:107], v[82:83]
	ds_read2_b64 v[116:119], v133 offset0:13 offset1:14
	s_waitcnt vmcnt(12) lgkmcnt(2)
	v_fma_f64 v[64:65], -v[82:83], v[108:109], v[64:65]
	s_waitcnt vmcnt(11)
	v_fma_f64 v[80:81], -v[82:83], v[110:111], v[80:81]
	ds_read2_b64 v[108:111], v133 offset0:15 offset1:16
	s_waitcnt vmcnt(10) lgkmcnt(2)
	v_fma_f64 v[62:63], -v[82:83], v[112:113], v[62:63]
	s_waitcnt vmcnt(9)
	v_fma_f64 v[78:79], -v[82:83], v[114:115], v[78:79]
	s_waitcnt vmcnt(8) lgkmcnt(1)
	v_fma_f64 v[60:61], -v[82:83], v[116:117], v[60:61]
	s_waitcnt vmcnt(7)
	v_fma_f64 v[76:77], -v[82:83], v[118:119], v[76:77]
	ds_read2_b64 v[112:115], v133 offset0:17 offset1:18
	ds_read2_b64 v[116:119], v133 offset0:19 offset1:20
	s_waitcnt vmcnt(6) lgkmcnt(2)
	v_fma_f64 v[58:59], -v[82:83], v[108:109], v[58:59]
	ds_read_b64 v[108:109], v133 offset:168
	s_waitcnt vmcnt(5)
	v_fma_f64 v[74:75], -v[82:83], v[110:111], v[74:75]
	s_waitcnt vmcnt(4) lgkmcnt(2)
	v_fma_f64 v[56:57], -v[82:83], v[112:113], v[56:57]
	s_waitcnt vmcnt(3)
	v_fma_f64 v[72:73], -v[82:83], v[114:115], v[72:73]
	s_waitcnt vmcnt(2) lgkmcnt(1)
	v_fma_f64 v[54:55], -v[82:83], v[116:117], v[54:55]
	;; [unrolled: 4-line block ×3, first 2 shown]
.LBB43_46:
	s_or_b64 exec, exec, s[2:3]
	v_cmp_eq_u32_e32 vcc, 9, v134
	s_waitcnt lgkmcnt(0)
	s_barrier
	s_and_saveexec_b64 s[2:3], vcc
	s_cbranch_execz .LBB43_49
; %bb.47:
	s_waitcnt vmcnt(11)
	v_mov_b32_e32 v108, v80
	v_mov_b32_e32 v109, v81
	s_waitcnt vmcnt(10)
	v_mov_b32_e32 v110, v62
	v_mov_b32_e32 v111, v63
	ds_write_b64 v132, v[64:65]
	ds_write2_b64 v133, v[108:109], v[110:111] offset0:10 offset1:11
	s_waitcnt vmcnt(9)
	v_mov_b32_e32 v108, v78
	v_mov_b32_e32 v109, v79
	s_waitcnt vmcnt(8)
	v_mov_b32_e32 v110, v60
	v_mov_b32_e32 v111, v61
	ds_write2_b64 v133, v[108:109], v[110:111] offset0:12 offset1:13
	s_waitcnt vmcnt(7)
	v_mov_b32_e32 v108, v76
	v_mov_b32_e32 v109, v77
	s_waitcnt vmcnt(6)
	v_mov_b32_e32 v110, v58
	v_mov_b32_e32 v111, v59
	;; [unrolled: 7-line block ×4, first 2 shown]
	ds_write2_b64 v133, v[108:109], v[110:111] offset0:18 offset1:19
	s_waitcnt vmcnt(1)
	v_mov_b32_e32 v108, v70
	v_mov_b32_e32 v109, v71
	s_waitcnt vmcnt(0)
	ds_write2_b64 v133, v[108:109], v[88:89] offset0:20 offset1:21
	ds_read_b64 v[108:109], v132
	s_waitcnt lgkmcnt(0)
	v_cmp_neq_f64_e32 vcc, 0, v[108:109]
	s_and_b64 exec, exec, vcc
	s_cbranch_execz .LBB43_49
; %bb.48:
	v_div_scale_f64 v[110:111], s[6:7], v[108:109], v[108:109], 1.0
	v_rcp_f64_e32 v[112:113], v[110:111]
	v_div_scale_f64 v[114:115], vcc, 1.0, v[108:109], 1.0
	v_fma_f64 v[116:117], -v[110:111], v[112:113], 1.0
	v_fmac_f64_e32 v[112:113], v[112:113], v[116:117]
	v_fma_f64 v[116:117], -v[110:111], v[112:113], 1.0
	v_fmac_f64_e32 v[112:113], v[112:113], v[116:117]
	v_mul_f64 v[116:117], v[114:115], v[112:113]
	v_fma_f64 v[110:111], -v[110:111], v[116:117], v[114:115]
	v_div_fmas_f64 v[110:111], v[110:111], v[112:113], v[116:117]
	v_div_fixup_f64 v[108:109], v[110:111], v[108:109], 1.0
	ds_write_b64 v132, v[108:109]
.LBB43_49:
	s_or_b64 exec, exec, s[2:3]
	s_waitcnt lgkmcnt(0)
	s_barrier
	ds_read_b64 v[108:109], v132
	v_cmp_lt_u32_e32 vcc, 9, v134
	s_and_saveexec_b64 s[2:3], vcc
	s_cbranch_execz .LBB43_51
; %bb.50:
	ds_read2_b64 v[110:113], v133 offset0:10 offset1:11
	ds_read2_b64 v[114:117], v133 offset0:12 offset1:13
	;; [unrolled: 1-line block ×3, first 2 shown]
	s_waitcnt vmcnt(12) lgkmcnt(3)
	v_mul_f64 v[64:65], v[108:109], v[64:65]
	s_waitcnt vmcnt(11) lgkmcnt(2)
	v_fma_f64 v[80:81], -v[64:65], v[110:111], v[80:81]
	s_waitcnt vmcnt(10)
	v_fma_f64 v[62:63], -v[64:65], v[112:113], v[62:63]
	ds_read2_b64 v[110:113], v133 offset0:16 offset1:17
	s_waitcnt vmcnt(9) lgkmcnt(2)
	v_fma_f64 v[78:79], -v[64:65], v[114:115], v[78:79]
	s_waitcnt vmcnt(8)
	v_fma_f64 v[60:61], -v[64:65], v[116:117], v[60:61]
	s_waitcnt vmcnt(7) lgkmcnt(1)
	v_fma_f64 v[76:77], -v[64:65], v[118:119], v[76:77]
	ds_read2_b64 v[114:117], v133 offset0:18 offset1:19
	s_waitcnt vmcnt(6)
	v_fma_f64 v[58:59], -v[64:65], v[120:121], v[58:59]
	ds_read2_b64 v[118:121], v133 offset0:20 offset1:21
	s_waitcnt vmcnt(5) lgkmcnt(2)
	v_fma_f64 v[74:75], -v[64:65], v[110:111], v[74:75]
	s_waitcnt vmcnt(4)
	v_fma_f64 v[56:57], -v[64:65], v[112:113], v[56:57]
	s_waitcnt vmcnt(3) lgkmcnt(1)
	v_fma_f64 v[72:73], -v[64:65], v[114:115], v[72:73]
	s_waitcnt vmcnt(2)
	v_fma_f64 v[54:55], -v[64:65], v[116:117], v[54:55]
	s_waitcnt vmcnt(1) lgkmcnt(0)
	v_fma_f64 v[70:71], -v[64:65], v[118:119], v[70:71]
	s_waitcnt vmcnt(0)
	v_fma_f64 v[88:89], -v[64:65], v[120:121], v[88:89]
.LBB43_51:
	s_or_b64 exec, exec, s[2:3]
	v_cmp_eq_u32_e32 vcc, 10, v134
	s_waitcnt lgkmcnt(0)
	s_barrier
	s_and_saveexec_b64 s[2:3], vcc
	s_cbranch_execz .LBB43_54
; %bb.52:
	s_waitcnt vmcnt(11)
	ds_write_b64 v132, v[80:81]
	s_waitcnt vmcnt(9)
	ds_write2_b64 v133, v[62:63], v[78:79] offset0:11 offset1:12
	s_waitcnt vmcnt(7)
	ds_write2_b64 v133, v[60:61], v[76:77] offset0:13 offset1:14
	;; [unrolled: 2-line block ×5, first 2 shown]
	s_waitcnt vmcnt(0)
	ds_write_b64 v133, v[88:89] offset:168
	ds_read_b64 v[110:111], v132
	s_waitcnt lgkmcnt(0)
	v_cmp_neq_f64_e32 vcc, 0, v[110:111]
	s_and_b64 exec, exec, vcc
	s_cbranch_execz .LBB43_54
; %bb.53:
	v_div_scale_f64 v[112:113], s[6:7], v[110:111], v[110:111], 1.0
	v_rcp_f64_e32 v[114:115], v[112:113]
	v_div_scale_f64 v[116:117], vcc, 1.0, v[110:111], 1.0
	v_fma_f64 v[118:119], -v[112:113], v[114:115], 1.0
	v_fmac_f64_e32 v[114:115], v[114:115], v[118:119]
	v_fma_f64 v[118:119], -v[112:113], v[114:115], 1.0
	v_fmac_f64_e32 v[114:115], v[114:115], v[118:119]
	v_mul_f64 v[118:119], v[116:117], v[114:115]
	v_fma_f64 v[112:113], -v[112:113], v[118:119], v[116:117]
	v_div_fmas_f64 v[112:113], v[112:113], v[114:115], v[118:119]
	v_div_fixup_f64 v[110:111], v[112:113], v[110:111], 1.0
	ds_write_b64 v132, v[110:111]
.LBB43_54:
	s_or_b64 exec, exec, s[2:3]
	s_waitcnt lgkmcnt(0)
	s_barrier
	ds_read_b64 v[110:111], v132
	v_cmp_lt_u32_e32 vcc, 10, v134
	s_and_saveexec_b64 s[2:3], vcc
	s_cbranch_execz .LBB43_56
; %bb.55:
	ds_read2_b64 v[112:115], v133 offset0:11 offset1:12
	ds_read2_b64 v[116:119], v133 offset0:13 offset1:14
	;; [unrolled: 1-line block ×3, first 2 shown]
	s_waitcnt vmcnt(11) lgkmcnt(3)
	v_mul_f64 v[80:81], v[110:111], v[80:81]
	s_waitcnt vmcnt(10) lgkmcnt(2)
	v_fma_f64 v[62:63], -v[80:81], v[112:113], v[62:63]
	s_waitcnt vmcnt(9)
	v_fma_f64 v[78:79], -v[80:81], v[114:115], v[78:79]
	ds_read2_b64 v[112:115], v133 offset0:17 offset1:18
	s_waitcnt vmcnt(8) lgkmcnt(2)
	v_fma_f64 v[60:61], -v[80:81], v[116:117], v[60:61]
	s_waitcnt vmcnt(7)
	v_fma_f64 v[76:77], -v[80:81], v[118:119], v[76:77]
	s_waitcnt vmcnt(6) lgkmcnt(1)
	v_fma_f64 v[58:59], -v[80:81], v[120:121], v[58:59]
	ds_read2_b64 v[116:119], v133 offset0:19 offset1:20
	ds_read_b64 v[120:121], v133 offset:168
	s_waitcnt vmcnt(5)
	v_fma_f64 v[74:75], -v[80:81], v[122:123], v[74:75]
	s_waitcnt vmcnt(4) lgkmcnt(2)
	v_fma_f64 v[56:57], -v[80:81], v[112:113], v[56:57]
	s_waitcnt vmcnt(3)
	v_fma_f64 v[72:73], -v[80:81], v[114:115], v[72:73]
	s_waitcnt vmcnt(2) lgkmcnt(1)
	v_fma_f64 v[54:55], -v[80:81], v[116:117], v[54:55]
	;; [unrolled: 4-line block ×3, first 2 shown]
.LBB43_56:
	s_or_b64 exec, exec, s[2:3]
	v_cmp_eq_u32_e32 vcc, 11, v134
	s_waitcnt lgkmcnt(0)
	s_barrier
	s_and_saveexec_b64 s[2:3], vcc
	s_cbranch_execz .LBB43_59
; %bb.57:
	s_waitcnt vmcnt(9)
	v_mov_b32_e32 v112, v78
	v_mov_b32_e32 v113, v79
	s_waitcnt vmcnt(8)
	v_mov_b32_e32 v114, v60
	v_mov_b32_e32 v115, v61
	ds_write_b64 v132, v[62:63]
	ds_write2_b64 v133, v[112:113], v[114:115] offset0:12 offset1:13
	s_waitcnt vmcnt(7)
	v_mov_b32_e32 v112, v76
	v_mov_b32_e32 v113, v77
	s_waitcnt vmcnt(6)
	v_mov_b32_e32 v114, v58
	v_mov_b32_e32 v115, v59
	ds_write2_b64 v133, v[112:113], v[114:115] offset0:14 offset1:15
	s_waitcnt vmcnt(5)
	v_mov_b32_e32 v112, v74
	v_mov_b32_e32 v113, v75
	s_waitcnt vmcnt(4)
	v_mov_b32_e32 v114, v56
	v_mov_b32_e32 v115, v57
	;; [unrolled: 7-line block ×3, first 2 shown]
	ds_write2_b64 v133, v[112:113], v[114:115] offset0:18 offset1:19
	s_waitcnt vmcnt(1)
	v_mov_b32_e32 v112, v70
	v_mov_b32_e32 v113, v71
	s_waitcnt vmcnt(0)
	ds_write2_b64 v133, v[112:113], v[88:89] offset0:20 offset1:21
	ds_read_b64 v[112:113], v132
	s_waitcnt lgkmcnt(0)
	v_cmp_neq_f64_e32 vcc, 0, v[112:113]
	s_and_b64 exec, exec, vcc
	s_cbranch_execz .LBB43_59
; %bb.58:
	v_div_scale_f64 v[114:115], s[6:7], v[112:113], v[112:113], 1.0
	v_rcp_f64_e32 v[116:117], v[114:115]
	v_div_scale_f64 v[118:119], vcc, 1.0, v[112:113], 1.0
	v_fma_f64 v[120:121], -v[114:115], v[116:117], 1.0
	v_fmac_f64_e32 v[116:117], v[116:117], v[120:121]
	v_fma_f64 v[120:121], -v[114:115], v[116:117], 1.0
	v_fmac_f64_e32 v[116:117], v[116:117], v[120:121]
	v_mul_f64 v[120:121], v[118:119], v[116:117]
	v_fma_f64 v[114:115], -v[114:115], v[120:121], v[118:119]
	v_div_fmas_f64 v[114:115], v[114:115], v[116:117], v[120:121]
	v_div_fixup_f64 v[112:113], v[114:115], v[112:113], 1.0
	ds_write_b64 v132, v[112:113]
.LBB43_59:
	s_or_b64 exec, exec, s[2:3]
	s_waitcnt lgkmcnt(0)
	s_barrier
	ds_read_b64 v[112:113], v132
	v_cmp_lt_u32_e32 vcc, 11, v134
	s_and_saveexec_b64 s[2:3], vcc
	s_cbranch_execz .LBB43_61
; %bb.60:
	ds_read2_b64 v[114:117], v133 offset0:12 offset1:13
	s_waitcnt vmcnt(10) lgkmcnt(1)
	v_mul_f64 v[62:63], v[112:113], v[62:63]
	s_waitcnt vmcnt(9) lgkmcnt(0)
	v_fma_f64 v[78:79], -v[62:63], v[114:115], v[78:79]
	s_waitcnt vmcnt(8)
	v_fma_f64 v[60:61], -v[62:63], v[116:117], v[60:61]
	ds_read2_b64 v[114:117], v133 offset0:14 offset1:15
	s_waitcnt vmcnt(7) lgkmcnt(0)
	v_fma_f64 v[76:77], -v[62:63], v[114:115], v[76:77]
	s_waitcnt vmcnt(6)
	v_fma_f64 v[58:59], -v[62:63], v[116:117], v[58:59]
	ds_read2_b64 v[114:117], v133 offset0:16 offset1:17
	;; [unrolled: 5-line block ×4, first 2 shown]
	s_waitcnt vmcnt(1) lgkmcnt(0)
	v_fma_f64 v[70:71], -v[62:63], v[114:115], v[70:71]
	s_waitcnt vmcnt(0)
	v_fma_f64 v[88:89], -v[62:63], v[116:117], v[88:89]
.LBB43_61:
	s_or_b64 exec, exec, s[2:3]
	v_cmp_eq_u32_e32 vcc, 12, v134
	s_waitcnt lgkmcnt(0)
	s_barrier
	s_and_saveexec_b64 s[2:3], vcc
	s_cbranch_execz .LBB43_64
; %bb.62:
	s_waitcnt vmcnt(9)
	ds_write_b64 v132, v[78:79]
	s_waitcnt vmcnt(7)
	ds_write2_b64 v133, v[60:61], v[76:77] offset0:13 offset1:14
	s_waitcnt vmcnt(5)
	ds_write2_b64 v133, v[58:59], v[74:75] offset0:15 offset1:16
	;; [unrolled: 2-line block ×4, first 2 shown]
	s_waitcnt vmcnt(0)
	ds_write_b64 v133, v[88:89] offset:168
	ds_read_b64 v[114:115], v132
	s_waitcnt lgkmcnt(0)
	v_cmp_neq_f64_e32 vcc, 0, v[114:115]
	s_and_b64 exec, exec, vcc
	s_cbranch_execz .LBB43_64
; %bb.63:
	v_div_scale_f64 v[116:117], s[6:7], v[114:115], v[114:115], 1.0
	v_rcp_f64_e32 v[118:119], v[116:117]
	v_div_scale_f64 v[120:121], vcc, 1.0, v[114:115], 1.0
	v_fma_f64 v[122:123], -v[116:117], v[118:119], 1.0
	v_fmac_f64_e32 v[118:119], v[118:119], v[122:123]
	v_fma_f64 v[122:123], -v[116:117], v[118:119], 1.0
	v_fmac_f64_e32 v[118:119], v[118:119], v[122:123]
	v_mul_f64 v[122:123], v[120:121], v[118:119]
	v_fma_f64 v[116:117], -v[116:117], v[122:123], v[120:121]
	v_div_fmas_f64 v[116:117], v[116:117], v[118:119], v[122:123]
	v_div_fixup_f64 v[114:115], v[116:117], v[114:115], 1.0
	ds_write_b64 v132, v[114:115]
.LBB43_64:
	s_or_b64 exec, exec, s[2:3]
	s_waitcnt lgkmcnt(0)
	s_barrier
	ds_read_b64 v[114:115], v132
	v_cmp_lt_u32_e32 vcc, 12, v134
	s_and_saveexec_b64 s[2:3], vcc
	s_cbranch_execz .LBB43_66
; %bb.65:
	ds_read2_b64 v[116:119], v133 offset0:13 offset1:14
	ds_read2_b64 v[120:123], v133 offset0:15 offset1:16
	s_waitcnt vmcnt(9) lgkmcnt(2)
	v_mul_f64 v[78:79], v[114:115], v[78:79]
	ds_read2_b64 v[124:127], v133 offset0:19 offset1:20
	s_waitcnt vmcnt(8) lgkmcnt(2)
	v_fma_f64 v[60:61], -v[78:79], v[116:117], v[60:61]
	s_waitcnt vmcnt(7)
	v_fma_f64 v[76:77], -v[78:79], v[118:119], v[76:77]
	ds_read2_b64 v[116:119], v133 offset0:17 offset1:18
	s_waitcnt vmcnt(6) lgkmcnt(2)
	v_fma_f64 v[58:59], -v[78:79], v[120:121], v[58:59]
	ds_read_b64 v[120:121], v133 offset:168
	s_waitcnt vmcnt(5)
	v_fma_f64 v[74:75], -v[78:79], v[122:123], v[74:75]
	s_waitcnt vmcnt(2) lgkmcnt(2)
	v_fma_f64 v[54:55], -v[78:79], v[124:125], v[54:55]
	s_waitcnt lgkmcnt(1)
	v_fma_f64 v[56:57], -v[78:79], v[116:117], v[56:57]
	v_fma_f64 v[72:73], -v[78:79], v[118:119], v[72:73]
	s_waitcnt vmcnt(1)
	v_fma_f64 v[70:71], -v[78:79], v[126:127], v[70:71]
	s_waitcnt vmcnt(0) lgkmcnt(0)
	v_fma_f64 v[88:89], -v[78:79], v[120:121], v[88:89]
.LBB43_66:
	s_or_b64 exec, exec, s[2:3]
	v_cmp_eq_u32_e32 vcc, 13, v134
	s_waitcnt lgkmcnt(0)
	s_barrier
	s_and_saveexec_b64 s[2:3], vcc
	s_cbranch_execz .LBB43_69
; %bb.67:
	s_waitcnt vmcnt(7)
	v_mov_b32_e32 v116, v76
	v_mov_b32_e32 v117, v77
	s_waitcnt vmcnt(6)
	v_mov_b32_e32 v118, v58
	v_mov_b32_e32 v119, v59
	ds_write_b64 v132, v[60:61]
	ds_write2_b64 v133, v[116:117], v[118:119] offset0:14 offset1:15
	s_waitcnt vmcnt(5)
	v_mov_b32_e32 v116, v74
	v_mov_b32_e32 v117, v75
	s_waitcnt vmcnt(4)
	v_mov_b32_e32 v118, v56
	v_mov_b32_e32 v119, v57
	ds_write2_b64 v133, v[116:117], v[118:119] offset0:16 offset1:17
	s_waitcnt vmcnt(3)
	v_mov_b32_e32 v116, v72
	v_mov_b32_e32 v117, v73
	s_waitcnt vmcnt(2)
	v_mov_b32_e32 v118, v54
	v_mov_b32_e32 v119, v55
	ds_write2_b64 v133, v[116:117], v[118:119] offset0:18 offset1:19
	s_waitcnt vmcnt(1)
	v_mov_b32_e32 v116, v70
	v_mov_b32_e32 v117, v71
	s_waitcnt vmcnt(0)
	ds_write2_b64 v133, v[116:117], v[88:89] offset0:20 offset1:21
	ds_read_b64 v[116:117], v132
	s_waitcnt lgkmcnt(0)
	v_cmp_neq_f64_e32 vcc, 0, v[116:117]
	s_and_b64 exec, exec, vcc
	s_cbranch_execz .LBB43_69
; %bb.68:
	v_div_scale_f64 v[118:119], s[6:7], v[116:117], v[116:117], 1.0
	v_rcp_f64_e32 v[120:121], v[118:119]
	v_div_scale_f64 v[122:123], vcc, 1.0, v[116:117], 1.0
	v_fma_f64 v[124:125], -v[118:119], v[120:121], 1.0
	v_fmac_f64_e32 v[120:121], v[120:121], v[124:125]
	v_fma_f64 v[124:125], -v[118:119], v[120:121], 1.0
	v_fmac_f64_e32 v[120:121], v[120:121], v[124:125]
	v_mul_f64 v[124:125], v[122:123], v[120:121]
	v_fma_f64 v[118:119], -v[118:119], v[124:125], v[122:123]
	v_div_fmas_f64 v[118:119], v[118:119], v[120:121], v[124:125]
	v_div_fixup_f64 v[116:117], v[118:119], v[116:117], 1.0
	ds_write_b64 v132, v[116:117]
.LBB43_69:
	s_or_b64 exec, exec, s[2:3]
	s_waitcnt lgkmcnt(0)
	s_barrier
	ds_read_b64 v[116:117], v132
	v_cmp_lt_u32_e32 vcc, 13, v134
	s_and_saveexec_b64 s[2:3], vcc
	s_cbranch_execz .LBB43_71
; %bb.70:
	ds_read2_b64 v[118:121], v133 offset0:14 offset1:15
	ds_read2_b64 v[122:125], v133 offset0:16 offset1:17
	s_waitcnt vmcnt(8) lgkmcnt(2)
	v_mul_f64 v[60:61], v[116:117], v[60:61]
	ds_read2_b64 v[126:129], v133 offset0:18 offset1:19
	s_waitcnt vmcnt(7) lgkmcnt(2)
	v_fma_f64 v[76:77], -v[60:61], v[118:119], v[76:77]
	s_waitcnt vmcnt(6)
	v_fma_f64 v[58:59], -v[60:61], v[120:121], v[58:59]
	ds_read2_b64 v[118:121], v133 offset0:20 offset1:21
	s_waitcnt vmcnt(5) lgkmcnt(2)
	v_fma_f64 v[74:75], -v[60:61], v[122:123], v[74:75]
	s_waitcnt vmcnt(4)
	v_fma_f64 v[56:57], -v[60:61], v[124:125], v[56:57]
	s_waitcnt vmcnt(3) lgkmcnt(1)
	v_fma_f64 v[72:73], -v[60:61], v[126:127], v[72:73]
	s_waitcnt vmcnt(2)
	v_fma_f64 v[54:55], -v[60:61], v[128:129], v[54:55]
	;; [unrolled: 4-line block ×3, first 2 shown]
.LBB43_71:
	s_or_b64 exec, exec, s[2:3]
	v_cmp_eq_u32_e32 vcc, 14, v134
	s_waitcnt lgkmcnt(0)
	s_barrier
	s_and_saveexec_b64 s[2:3], vcc
	s_cbranch_execz .LBB43_74
; %bb.72:
	s_waitcnt vmcnt(7)
	ds_write_b64 v132, v[76:77]
	s_waitcnt vmcnt(5)
	ds_write2_b64 v133, v[58:59], v[74:75] offset0:15 offset1:16
	s_waitcnt vmcnt(3)
	ds_write2_b64 v133, v[56:57], v[72:73] offset0:17 offset1:18
	;; [unrolled: 2-line block ×3, first 2 shown]
	s_waitcnt vmcnt(0)
	ds_write_b64 v133, v[88:89] offset:168
	ds_read_b64 v[118:119], v132
	s_waitcnt lgkmcnt(0)
	v_cmp_neq_f64_e32 vcc, 0, v[118:119]
	s_and_b64 exec, exec, vcc
	s_cbranch_execz .LBB43_74
; %bb.73:
	v_div_scale_f64 v[120:121], s[6:7], v[118:119], v[118:119], 1.0
	v_rcp_f64_e32 v[122:123], v[120:121]
	v_div_scale_f64 v[124:125], vcc, 1.0, v[118:119], 1.0
	v_fma_f64 v[126:127], -v[120:121], v[122:123], 1.0
	v_fmac_f64_e32 v[122:123], v[122:123], v[126:127]
	v_fma_f64 v[126:127], -v[120:121], v[122:123], 1.0
	v_fmac_f64_e32 v[122:123], v[122:123], v[126:127]
	v_mul_f64 v[126:127], v[124:125], v[122:123]
	v_fma_f64 v[120:121], -v[120:121], v[126:127], v[124:125]
	v_div_fmas_f64 v[120:121], v[120:121], v[122:123], v[126:127]
	v_div_fixup_f64 v[118:119], v[120:121], v[118:119], 1.0
	ds_write_b64 v132, v[118:119]
.LBB43_74:
	s_or_b64 exec, exec, s[2:3]
	s_waitcnt lgkmcnt(0)
	s_barrier
	ds_read_b64 v[118:119], v132
	v_cmp_lt_u32_e32 vcc, 14, v134
	s_and_saveexec_b64 s[2:3], vcc
	s_cbranch_execz .LBB43_76
; %bb.75:
	ds_read2_b64 v[120:123], v133 offset0:15 offset1:16
	ds_read2_b64 v[124:127], v133 offset0:17 offset1:18
	s_waitcnt vmcnt(7) lgkmcnt(2)
	v_mul_f64 v[76:77], v[118:119], v[76:77]
	ds_read2_b64 v[128:131], v133 offset0:19 offset1:20
	s_waitcnt vmcnt(6) lgkmcnt(2)
	v_fma_f64 v[58:59], -v[76:77], v[120:121], v[58:59]
	ds_read_b64 v[120:121], v133 offset:168
	s_waitcnt vmcnt(5)
	v_fma_f64 v[74:75], -v[76:77], v[122:123], v[74:75]
	s_waitcnt vmcnt(4) lgkmcnt(2)
	v_fma_f64 v[56:57], -v[76:77], v[124:125], v[56:57]
	s_waitcnt vmcnt(3)
	v_fma_f64 v[72:73], -v[76:77], v[126:127], v[72:73]
	s_waitcnt vmcnt(2) lgkmcnt(1)
	v_fma_f64 v[54:55], -v[76:77], v[128:129], v[54:55]
	;; [unrolled: 4-line block ×3, first 2 shown]
.LBB43_76:
	s_or_b64 exec, exec, s[2:3]
	v_cmp_eq_u32_e32 vcc, 15, v134
	s_waitcnt lgkmcnt(0)
	s_barrier
	s_and_saveexec_b64 s[2:3], vcc
	s_cbranch_execz .LBB43_79
; %bb.77:
	s_waitcnt vmcnt(5)
	v_mov_b32_e32 v120, v74
	v_mov_b32_e32 v121, v75
	s_waitcnt vmcnt(4)
	v_mov_b32_e32 v122, v56
	v_mov_b32_e32 v123, v57
	ds_write_b64 v132, v[58:59]
	ds_write2_b64 v133, v[120:121], v[122:123] offset0:16 offset1:17
	s_waitcnt vmcnt(3)
	v_mov_b32_e32 v120, v72
	v_mov_b32_e32 v121, v73
	s_waitcnt vmcnt(2)
	v_mov_b32_e32 v122, v54
	v_mov_b32_e32 v123, v55
	ds_write2_b64 v133, v[120:121], v[122:123] offset0:18 offset1:19
	s_waitcnt vmcnt(1)
	v_mov_b32_e32 v120, v70
	v_mov_b32_e32 v121, v71
	s_waitcnt vmcnt(0)
	ds_write2_b64 v133, v[120:121], v[88:89] offset0:20 offset1:21
	ds_read_b64 v[120:121], v132
	s_waitcnt lgkmcnt(0)
	v_cmp_neq_f64_e32 vcc, 0, v[120:121]
	s_and_b64 exec, exec, vcc
	s_cbranch_execz .LBB43_79
; %bb.78:
	v_div_scale_f64 v[122:123], s[6:7], v[120:121], v[120:121], 1.0
	v_rcp_f64_e32 v[124:125], v[122:123]
	v_div_scale_f64 v[126:127], vcc, 1.0, v[120:121], 1.0
	v_fma_f64 v[128:129], -v[122:123], v[124:125], 1.0
	v_fmac_f64_e32 v[124:125], v[124:125], v[128:129]
	v_fma_f64 v[128:129], -v[122:123], v[124:125], 1.0
	v_fmac_f64_e32 v[124:125], v[124:125], v[128:129]
	v_mul_f64 v[128:129], v[126:127], v[124:125]
	v_fma_f64 v[122:123], -v[122:123], v[128:129], v[126:127]
	v_div_fmas_f64 v[122:123], v[122:123], v[124:125], v[128:129]
	v_div_fixup_f64 v[120:121], v[122:123], v[120:121], 1.0
	ds_write_b64 v132, v[120:121]
.LBB43_79:
	s_or_b64 exec, exec, s[2:3]
	s_waitcnt lgkmcnt(0)
	s_barrier
	ds_read_b64 v[120:121], v132
	v_cmp_lt_u32_e32 vcc, 15, v134
	s_and_saveexec_b64 s[2:3], vcc
	s_cbranch_execz .LBB43_81
; %bb.80:
	ds_read2_b64 v[122:125], v133 offset0:16 offset1:17
	ds_read2_b64 v[126:129], v133 offset0:18 offset1:19
	;; [unrolled: 1-line block ×3, first 2 shown]
	s_waitcnt vmcnt(6) lgkmcnt(3)
	v_mul_f64 v[58:59], v[120:121], v[58:59]
	s_waitcnt vmcnt(5) lgkmcnt(2)
	v_fma_f64 v[74:75], -v[58:59], v[122:123], v[74:75]
	s_waitcnt vmcnt(4)
	v_fma_f64 v[56:57], -v[58:59], v[124:125], v[56:57]
	s_waitcnt vmcnt(3) lgkmcnt(1)
	v_fma_f64 v[72:73], -v[58:59], v[126:127], v[72:73]
	s_waitcnt vmcnt(2)
	v_fma_f64 v[54:55], -v[58:59], v[128:129], v[54:55]
	;; [unrolled: 4-line block ×3, first 2 shown]
.LBB43_81:
	s_or_b64 exec, exec, s[2:3]
	v_cmp_eq_u32_e32 vcc, 16, v134
	s_waitcnt lgkmcnt(0)
	s_barrier
	s_and_saveexec_b64 s[2:3], vcc
	s_cbranch_execz .LBB43_84
; %bb.82:
	s_waitcnt vmcnt(5)
	ds_write_b64 v132, v[74:75]
	s_waitcnt vmcnt(3)
	ds_write2_b64 v133, v[56:57], v[72:73] offset0:17 offset1:18
	s_waitcnt vmcnt(1)
	ds_write2_b64 v133, v[54:55], v[70:71] offset0:19 offset1:20
	s_waitcnt vmcnt(0)
	ds_write_b64 v133, v[88:89] offset:168
	ds_read_b64 v[122:123], v132
	s_waitcnt lgkmcnt(0)
	v_cmp_neq_f64_e32 vcc, 0, v[122:123]
	s_and_b64 exec, exec, vcc
	s_cbranch_execz .LBB43_84
; %bb.83:
	v_div_scale_f64 v[124:125], s[6:7], v[122:123], v[122:123], 1.0
	v_rcp_f64_e32 v[126:127], v[124:125]
	v_div_scale_f64 v[128:129], vcc, 1.0, v[122:123], 1.0
	v_fma_f64 v[130:131], -v[124:125], v[126:127], 1.0
	v_fmac_f64_e32 v[126:127], v[126:127], v[130:131]
	v_fma_f64 v[130:131], -v[124:125], v[126:127], 1.0
	v_fmac_f64_e32 v[126:127], v[126:127], v[130:131]
	v_mul_f64 v[130:131], v[128:129], v[126:127]
	v_fma_f64 v[124:125], -v[124:125], v[130:131], v[128:129]
	v_div_fmas_f64 v[124:125], v[124:125], v[126:127], v[130:131]
	v_div_fixup_f64 v[122:123], v[124:125], v[122:123], 1.0
	ds_write_b64 v132, v[122:123]
.LBB43_84:
	s_or_b64 exec, exec, s[2:3]
	s_waitcnt lgkmcnt(0)
	s_barrier
	ds_read_b64 v[122:123], v132
	v_cmp_lt_u32_e32 vcc, 16, v134
	s_and_saveexec_b64 s[2:3], vcc
	s_cbranch_execz .LBB43_86
; %bb.85:
	ds_read2_b64 v[124:127], v133 offset0:17 offset1:18
	ds_read2_b64 v[128:131], v133 offset0:19 offset1:20
	ds_read_b64 v[136:137], v133 offset:168
	s_waitcnt vmcnt(5) lgkmcnt(3)
	v_mul_f64 v[74:75], v[122:123], v[74:75]
	s_waitcnt vmcnt(4) lgkmcnt(2)
	v_fma_f64 v[56:57], -v[74:75], v[124:125], v[56:57]
	s_waitcnt vmcnt(3)
	v_fma_f64 v[72:73], -v[74:75], v[126:127], v[72:73]
	s_waitcnt vmcnt(2) lgkmcnt(1)
	v_fma_f64 v[54:55], -v[74:75], v[128:129], v[54:55]
	s_waitcnt vmcnt(1)
	v_fma_f64 v[70:71], -v[74:75], v[130:131], v[70:71]
	s_waitcnt vmcnt(0) lgkmcnt(0)
	v_fma_f64 v[88:89], -v[74:75], v[136:137], v[88:89]
.LBB43_86:
	s_or_b64 exec, exec, s[2:3]
	v_cmp_eq_u32_e32 vcc, 17, v134
	s_waitcnt lgkmcnt(0)
	s_barrier
	s_and_saveexec_b64 s[2:3], vcc
	s_cbranch_execz .LBB43_89
; %bb.87:
	s_waitcnt vmcnt(3)
	v_mov_b32_e32 v124, v72
	v_mov_b32_e32 v125, v73
	s_waitcnt vmcnt(2)
	v_mov_b32_e32 v126, v54
	v_mov_b32_e32 v127, v55
	ds_write_b64 v132, v[56:57]
	ds_write2_b64 v133, v[124:125], v[126:127] offset0:18 offset1:19
	s_waitcnt vmcnt(1)
	v_mov_b32_e32 v124, v70
	v_mov_b32_e32 v125, v71
	s_waitcnt vmcnt(0)
	ds_write2_b64 v133, v[124:125], v[88:89] offset0:20 offset1:21
	ds_read_b64 v[124:125], v132
	s_waitcnt lgkmcnt(0)
	v_cmp_neq_f64_e32 vcc, 0, v[124:125]
	s_and_b64 exec, exec, vcc
	s_cbranch_execz .LBB43_89
; %bb.88:
	v_div_scale_f64 v[126:127], s[6:7], v[124:125], v[124:125], 1.0
	v_rcp_f64_e32 v[128:129], v[126:127]
	v_div_scale_f64 v[130:131], vcc, 1.0, v[124:125], 1.0
	v_fma_f64 v[136:137], -v[126:127], v[128:129], 1.0
	v_fmac_f64_e32 v[128:129], v[128:129], v[136:137]
	v_fma_f64 v[136:137], -v[126:127], v[128:129], 1.0
	v_fmac_f64_e32 v[128:129], v[128:129], v[136:137]
	v_mul_f64 v[136:137], v[130:131], v[128:129]
	v_fma_f64 v[126:127], -v[126:127], v[136:137], v[130:131]
	v_div_fmas_f64 v[126:127], v[126:127], v[128:129], v[136:137]
	v_div_fixup_f64 v[124:125], v[126:127], v[124:125], 1.0
	ds_write_b64 v132, v[124:125]
.LBB43_89:
	s_or_b64 exec, exec, s[2:3]
	s_waitcnt lgkmcnt(0)
	s_barrier
	ds_read_b64 v[124:125], v132
	v_cmp_lt_u32_e32 vcc, 17, v134
	s_and_saveexec_b64 s[2:3], vcc
	s_cbranch_execz .LBB43_91
; %bb.90:
	ds_read2_b64 v[126:129], v133 offset0:18 offset1:19
	ds_read2_b64 v[136:139], v133 offset0:20 offset1:21
	s_waitcnt vmcnt(4) lgkmcnt(2)
	v_mul_f64 v[56:57], v[124:125], v[56:57]
	s_waitcnt vmcnt(3) lgkmcnt(1)
	v_fma_f64 v[72:73], -v[56:57], v[126:127], v[72:73]
	s_waitcnt vmcnt(2)
	v_fma_f64 v[54:55], -v[56:57], v[128:129], v[54:55]
	s_waitcnt vmcnt(1) lgkmcnt(0)
	v_fma_f64 v[70:71], -v[56:57], v[136:137], v[70:71]
	s_waitcnt vmcnt(0)
	v_fma_f64 v[88:89], -v[56:57], v[138:139], v[88:89]
.LBB43_91:
	s_or_b64 exec, exec, s[2:3]
	v_cmp_eq_u32_e32 vcc, 18, v134
	s_waitcnt lgkmcnt(0)
	s_barrier
	s_and_saveexec_b64 s[2:3], vcc
	s_cbranch_execz .LBB43_94
; %bb.92:
	s_waitcnt vmcnt(3)
	ds_write_b64 v132, v[72:73]
	s_waitcnt vmcnt(1)
	ds_write2_b64 v133, v[54:55], v[70:71] offset0:19 offset1:20
	s_waitcnt vmcnt(0)
	ds_write_b64 v133, v[88:89] offset:168
	ds_read_b64 v[126:127], v132
	s_waitcnt lgkmcnt(0)
	v_cmp_neq_f64_e32 vcc, 0, v[126:127]
	s_and_b64 exec, exec, vcc
	s_cbranch_execz .LBB43_94
; %bb.93:
	v_div_scale_f64 v[128:129], s[6:7], v[126:127], v[126:127], 1.0
	v_rcp_f64_e32 v[130:131], v[128:129]
	v_div_scale_f64 v[136:137], vcc, 1.0, v[126:127], 1.0
	v_fma_f64 v[138:139], -v[128:129], v[130:131], 1.0
	v_fmac_f64_e32 v[130:131], v[130:131], v[138:139]
	v_fma_f64 v[138:139], -v[128:129], v[130:131], 1.0
	v_fmac_f64_e32 v[130:131], v[130:131], v[138:139]
	v_mul_f64 v[138:139], v[136:137], v[130:131]
	v_fma_f64 v[128:129], -v[128:129], v[138:139], v[136:137]
	v_div_fmas_f64 v[128:129], v[128:129], v[130:131], v[138:139]
	v_div_fixup_f64 v[126:127], v[128:129], v[126:127], 1.0
	ds_write_b64 v132, v[126:127]
.LBB43_94:
	s_or_b64 exec, exec, s[2:3]
	s_waitcnt lgkmcnt(0)
	s_barrier
	ds_read_b64 v[126:127], v132
	v_cmp_lt_u32_e32 vcc, 18, v134
	s_and_saveexec_b64 s[2:3], vcc
	s_cbranch_execz .LBB43_96
; %bb.95:
	ds_read2_b64 v[128:131], v133 offset0:19 offset1:20
	ds_read_b64 v[136:137], v133 offset:168
	s_waitcnt vmcnt(3) lgkmcnt(2)
	v_mul_f64 v[72:73], v[126:127], v[72:73]
	s_waitcnt vmcnt(2) lgkmcnt(1)
	v_fma_f64 v[54:55], -v[72:73], v[128:129], v[54:55]
	s_waitcnt vmcnt(1)
	v_fma_f64 v[70:71], -v[72:73], v[130:131], v[70:71]
	s_waitcnt vmcnt(0) lgkmcnt(0)
	v_fma_f64 v[88:89], -v[72:73], v[136:137], v[88:89]
.LBB43_96:
	s_or_b64 exec, exec, s[2:3]
	v_cmp_eq_u32_e32 vcc, 19, v134
	s_waitcnt lgkmcnt(0)
	s_barrier
	s_and_saveexec_b64 s[2:3], vcc
	s_cbranch_execz .LBB43_99
; %bb.97:
	s_waitcnt vmcnt(1)
	v_mov_b32_e32 v128, v70
	v_mov_b32_e32 v129, v71
	ds_write_b64 v132, v[54:55]
	s_waitcnt vmcnt(0)
	ds_write2_b64 v133, v[128:129], v[88:89] offset0:20 offset1:21
	ds_read_b64 v[128:129], v132
	s_waitcnt lgkmcnt(0)
	v_cmp_neq_f64_e32 vcc, 0, v[128:129]
	s_and_b64 exec, exec, vcc
	s_cbranch_execz .LBB43_99
; %bb.98:
	v_div_scale_f64 v[130:131], s[6:7], v[128:129], v[128:129], 1.0
	v_rcp_f64_e32 v[136:137], v[130:131]
	v_div_scale_f64 v[138:139], vcc, 1.0, v[128:129], 1.0
	v_fma_f64 v[140:141], -v[130:131], v[136:137], 1.0
	v_fmac_f64_e32 v[136:137], v[136:137], v[140:141]
	v_fma_f64 v[140:141], -v[130:131], v[136:137], 1.0
	v_fmac_f64_e32 v[136:137], v[136:137], v[140:141]
	v_mul_f64 v[140:141], v[138:139], v[136:137]
	v_fma_f64 v[130:131], -v[130:131], v[140:141], v[138:139]
	v_div_fmas_f64 v[130:131], v[130:131], v[136:137], v[140:141]
	v_div_fixup_f64 v[128:129], v[130:131], v[128:129], 1.0
	ds_write_b64 v132, v[128:129]
.LBB43_99:
	s_or_b64 exec, exec, s[2:3]
	s_waitcnt lgkmcnt(0)
	s_barrier
	ds_read_b64 v[128:129], v132
	v_cmp_lt_u32_e32 vcc, 19, v134
	s_and_saveexec_b64 s[2:3], vcc
	s_cbranch_execz .LBB43_101
; %bb.100:
	ds_read2_b64 v[136:139], v133 offset0:20 offset1:21
	s_waitcnt vmcnt(2) lgkmcnt(1)
	v_mul_f64 v[54:55], v[128:129], v[54:55]
	s_waitcnt vmcnt(1) lgkmcnt(0)
	v_fma_f64 v[70:71], -v[54:55], v[136:137], v[70:71]
	s_waitcnt vmcnt(0)
	v_fma_f64 v[88:89], -v[54:55], v[138:139], v[88:89]
.LBB43_101:
	s_or_b64 exec, exec, s[2:3]
	v_cmp_eq_u32_e32 vcc, 20, v134
	s_waitcnt lgkmcnt(0)
	s_barrier
	s_and_saveexec_b64 s[2:3], vcc
	s_cbranch_execz .LBB43_104
; %bb.102:
	s_waitcnt vmcnt(1)
	ds_write_b64 v132, v[70:71]
	s_waitcnt vmcnt(0)
	ds_write_b64 v133, v[88:89] offset:168
	ds_read_b64 v[130:131], v132
	s_waitcnt lgkmcnt(0)
	v_cmp_neq_f64_e32 vcc, 0, v[130:131]
	s_and_b64 exec, exec, vcc
	s_cbranch_execz .LBB43_104
; %bb.103:
	v_div_scale_f64 v[136:137], s[6:7], v[130:131], v[130:131], 1.0
	v_rcp_f64_e32 v[138:139], v[136:137]
	v_div_scale_f64 v[140:141], vcc, 1.0, v[130:131], 1.0
	v_fma_f64 v[142:143], -v[136:137], v[138:139], 1.0
	v_fmac_f64_e32 v[138:139], v[138:139], v[142:143]
	v_fma_f64 v[142:143], -v[136:137], v[138:139], 1.0
	v_fmac_f64_e32 v[138:139], v[138:139], v[142:143]
	v_mul_f64 v[142:143], v[140:141], v[138:139]
	v_fma_f64 v[136:137], -v[136:137], v[142:143], v[140:141]
	v_div_fmas_f64 v[136:137], v[136:137], v[138:139], v[142:143]
	v_div_fixup_f64 v[130:131], v[136:137], v[130:131], 1.0
	ds_write_b64 v132, v[130:131]
.LBB43_104:
	s_or_b64 exec, exec, s[2:3]
	s_waitcnt lgkmcnt(0)
	s_barrier
	ds_read_b64 v[130:131], v132
	v_cmp_lt_u32_e32 vcc, 20, v134
	s_and_saveexec_b64 s[2:3], vcc
	s_cbranch_execz .LBB43_106
; %bb.105:
	ds_read_b64 v[136:137], v133 offset:168
	s_waitcnt vmcnt(1) lgkmcnt(1)
	v_mul_f64 v[70:71], v[130:131], v[70:71]
	s_waitcnt vmcnt(0) lgkmcnt(0)
	v_fma_f64 v[88:89], -v[70:71], v[136:137], v[88:89]
.LBB43_106:
	s_or_b64 exec, exec, s[2:3]
	v_cmp_eq_u32_e32 vcc, 21, v134
	s_waitcnt lgkmcnt(0)
	s_barrier
	s_and_saveexec_b64 s[2:3], vcc
	s_cbranch_execz .LBB43_109
; %bb.107:
	s_waitcnt vmcnt(0)
	v_cmp_neq_f64_e32 vcc, 0, v[88:89]
	ds_write_b64 v132, v[88:89]
	s_and_b64 exec, exec, vcc
	s_cbranch_execz .LBB43_109
; %bb.108:
	v_div_scale_f64 v[136:137], s[6:7], v[88:89], v[88:89], 1.0
	v_rcp_f64_e32 v[138:139], v[136:137]
	v_div_scale_f64 v[140:141], vcc, 1.0, v[88:89], 1.0
	v_fma_f64 v[142:143], -v[136:137], v[138:139], 1.0
	v_fmac_f64_e32 v[138:139], v[138:139], v[142:143]
	v_fma_f64 v[142:143], -v[136:137], v[138:139], 1.0
	v_fmac_f64_e32 v[138:139], v[138:139], v[142:143]
	v_mul_f64 v[142:143], v[140:141], v[138:139]
	v_fma_f64 v[136:137], -v[136:137], v[142:143], v[140:141]
	v_div_fmas_f64 v[136:137], v[136:137], v[138:139], v[142:143]
	v_div_fixup_f64 v[136:137], v[136:137], v[88:89], 1.0
	ds_write_b64 v132, v[136:137]
.LBB43_109:
	s_or_b64 exec, exec, s[2:3]
	s_waitcnt lgkmcnt(0)
	s_barrier
	ds_read_b64 v[132:133], v132
	s_waitcnt lgkmcnt(0)
	s_barrier
	s_and_saveexec_b64 s[2:3], s[0:1]
	s_cbranch_execz .LBB43_112
; %bb.110:
	s_load_dwordx2 s[4:5], s[4:5], 0x28
	v_cmp_eq_f64_e32 vcc, 0, v[90:91]
	v_cmp_neq_f64_e64 s[0:1], 0, v[92:93]
	v_lshlrev_b64 v[2:3], 2, v[2:3]
	v_cndmask_b32_e64 v90, 0, 1, vcc
	s_or_b64 vcc, s[0:1], vcc
	s_waitcnt lgkmcnt(0)
	v_mov_b32_e32 v91, s5
	v_add_co_u32_e64 v2, s[0:1], s4, v2
	v_addc_co_u32_e64 v3, s[0:1], v91, v3, s[0:1]
	global_load_dword v91, v[2:3], off
	v_cndmask_b32_e32 v90, 2, v90, vcc
	v_cmp_eq_f64_e32 vcc, 0, v[94:95]
	v_cmp_eq_u32_e64 s[0:1], 0, v90
	s_and_b64 s[0:1], vcc, s[0:1]
	v_cndmask_b32_e64 v90, v90, 3, s[0:1]
	v_cmp_eq_f64_e32 vcc, 0, v[96:97]
	v_cmp_eq_u32_e64 s[0:1], 0, v90
	s_and_b64 s[0:1], vcc, s[0:1]
	v_cndmask_b32_e64 v90, v90, 4, s[0:1]
	;; [unrolled: 4-line block ×20, first 2 shown]
	s_waitcnt vmcnt(0)
	v_cmp_eq_u32_e32 vcc, 0, v91
	v_cmp_ne_u32_e64 s[0:1], 0, v90
	s_and_b64 s[0:1], vcc, s[0:1]
	s_and_b64 exec, exec, s[0:1]
	s_cbranch_execz .LBB43_112
; %bb.111:
	v_add_u32_e32 v90, s9, v90
	global_store_dword v[2:3], v90, off
.LBB43_112:
	s_or_b64 exec, exec, s[2:3]
	s_waitcnt vmcnt(0)
	v_mul_f64 v[2:3], v[132:133], v[88:89]
	v_cmp_lt_u32_e32 vcc, 21, v134
	v_cndmask_b32_e32 v3, v89, v3, vcc
	v_cndmask_b32_e32 v2, v88, v2, vcc
	global_store_dwordx2 v[0:1], v[24:25], off
	global_store_dwordx2 v[20:21], v[28:29], off
	;; [unrolled: 1-line block ×22, first 2 shown]
.LBB43_113:
	s_endpgm
	.section	.rodata,"a",@progbits
	.p2align	6, 0x0
	.amdhsa_kernel _ZN9rocsolver6v33100L23getf2_npvt_small_kernelILi22EdiiPKPdEEvT1_T3_lS5_lPT2_S5_S5_
		.amdhsa_group_segment_fixed_size 0
		.amdhsa_private_segment_fixed_size 0
		.amdhsa_kernarg_size 312
		.amdhsa_user_sgpr_count 6
		.amdhsa_user_sgpr_private_segment_buffer 1
		.amdhsa_user_sgpr_dispatch_ptr 0
		.amdhsa_user_sgpr_queue_ptr 0
		.amdhsa_user_sgpr_kernarg_segment_ptr 1
		.amdhsa_user_sgpr_dispatch_id 0
		.amdhsa_user_sgpr_flat_scratch_init 0
		.amdhsa_user_sgpr_kernarg_preload_length 0
		.amdhsa_user_sgpr_kernarg_preload_offset 0
		.amdhsa_user_sgpr_private_segment_size 0
		.amdhsa_uses_dynamic_stack 0
		.amdhsa_system_sgpr_private_segment_wavefront_offset 0
		.amdhsa_system_sgpr_workgroup_id_x 1
		.amdhsa_system_sgpr_workgroup_id_y 1
		.amdhsa_system_sgpr_workgroup_id_z 0
		.amdhsa_system_sgpr_workgroup_info 0
		.amdhsa_system_vgpr_workitem_id 1
		.amdhsa_next_free_vgpr 144
		.amdhsa_next_free_sgpr 16
		.amdhsa_accum_offset 144
		.amdhsa_reserve_vcc 1
		.amdhsa_reserve_flat_scratch 0
		.amdhsa_float_round_mode_32 0
		.amdhsa_float_round_mode_16_64 0
		.amdhsa_float_denorm_mode_32 3
		.amdhsa_float_denorm_mode_16_64 3
		.amdhsa_dx10_clamp 1
		.amdhsa_ieee_mode 1
		.amdhsa_fp16_overflow 0
		.amdhsa_tg_split 0
		.amdhsa_exception_fp_ieee_invalid_op 0
		.amdhsa_exception_fp_denorm_src 0
		.amdhsa_exception_fp_ieee_div_zero 0
		.amdhsa_exception_fp_ieee_overflow 0
		.amdhsa_exception_fp_ieee_underflow 0
		.amdhsa_exception_fp_ieee_inexact 0
		.amdhsa_exception_int_div_zero 0
	.end_amdhsa_kernel
	.section	.text._ZN9rocsolver6v33100L23getf2_npvt_small_kernelILi22EdiiPKPdEEvT1_T3_lS5_lPT2_S5_S5_,"axG",@progbits,_ZN9rocsolver6v33100L23getf2_npvt_small_kernelILi22EdiiPKPdEEvT1_T3_lS5_lPT2_S5_S5_,comdat
.Lfunc_end43:
	.size	_ZN9rocsolver6v33100L23getf2_npvt_small_kernelILi22EdiiPKPdEEvT1_T3_lS5_lPT2_S5_S5_, .Lfunc_end43-_ZN9rocsolver6v33100L23getf2_npvt_small_kernelILi22EdiiPKPdEEvT1_T3_lS5_lPT2_S5_S5_
                                        ; -- End function
	.section	.AMDGPU.csdata,"",@progbits
; Kernel info:
; codeLenInByte = 11936
; NumSgprs: 20
; NumVgprs: 144
; NumAgprs: 0
; TotalNumVgprs: 144
; ScratchSize: 0
; MemoryBound: 0
; FloatMode: 240
; IeeeMode: 1
; LDSByteSize: 0 bytes/workgroup (compile time only)
; SGPRBlocks: 2
; VGPRBlocks: 17
; NumSGPRsForWavesPerEU: 20
; NumVGPRsForWavesPerEU: 144
; AccumOffset: 144
; Occupancy: 3
; WaveLimiterHint : 1
; COMPUTE_PGM_RSRC2:SCRATCH_EN: 0
; COMPUTE_PGM_RSRC2:USER_SGPR: 6
; COMPUTE_PGM_RSRC2:TRAP_HANDLER: 0
; COMPUTE_PGM_RSRC2:TGID_X_EN: 1
; COMPUTE_PGM_RSRC2:TGID_Y_EN: 1
; COMPUTE_PGM_RSRC2:TGID_Z_EN: 0
; COMPUTE_PGM_RSRC2:TIDIG_COMP_CNT: 1
; COMPUTE_PGM_RSRC3_GFX90A:ACCUM_OFFSET: 35
; COMPUTE_PGM_RSRC3_GFX90A:TG_SPLIT: 0
	.section	.text._ZN9rocsolver6v33100L18getf2_small_kernelILi23EdiiPKPdEEvT1_T3_lS5_lPS5_llPT2_S5_S5_S7_l,"axG",@progbits,_ZN9rocsolver6v33100L18getf2_small_kernelILi23EdiiPKPdEEvT1_T3_lS5_lPS5_llPT2_S5_S5_S7_l,comdat
	.globl	_ZN9rocsolver6v33100L18getf2_small_kernelILi23EdiiPKPdEEvT1_T3_lS5_lPS5_llPT2_S5_S5_S7_l ; -- Begin function _ZN9rocsolver6v33100L18getf2_small_kernelILi23EdiiPKPdEEvT1_T3_lS5_lPS5_llPT2_S5_S5_S7_l
	.p2align	8
	.type	_ZN9rocsolver6v33100L18getf2_small_kernelILi23EdiiPKPdEEvT1_T3_lS5_lPS5_llPT2_S5_S5_S7_l,@function
_ZN9rocsolver6v33100L18getf2_small_kernelILi23EdiiPKPdEEvT1_T3_lS5_lPS5_llPT2_S5_S5_S7_l: ; @_ZN9rocsolver6v33100L18getf2_small_kernelILi23EdiiPKPdEEvT1_T3_lS5_lPS5_llPT2_S5_S5_S7_l
; %bb.0:
	s_load_dword s0, s[4:5], 0x6c
	s_load_dwordx2 s[12:13], s[4:5], 0x48
	v_bfe_u32 v50, v0, 10, 10
	s_waitcnt lgkmcnt(0)
	s_lshr_b32 s0, s0, 16
	s_mul_i32 s7, s7, s0
	v_add_u32_e32 v2, s7, v50
	v_cmp_gt_i32_e32 vcc, s12, v2
	s_and_saveexec_b64 s[0:1], vcc
	s_cbranch_execz .LBB44_388
; %bb.1:
	s_load_dwordx4 s[0:3], s[4:5], 0x8
	s_load_dwordx4 s[8:11], s[4:5], 0x50
	v_ashrrev_i32_e32 v3, 31, v2
	v_lshlrev_b64 v[4:5], 3, v[2:3]
	v_pk_mov_b32 v[46:47], 0, 0
	s_waitcnt lgkmcnt(0)
	v_mov_b32_e32 v1, s1
	v_add_co_u32_e32 v4, vcc, s0, v4
	v_addc_co_u32_e32 v5, vcc, v1, v5, vcc
	global_load_dwordx2 v[4:5], v[4:5], off
	s_cmp_eq_u64 s[8:9], 0
	s_cselect_b64 s[6:7], -1, 0
	s_and_b64 vcc, exec, s[6:7]
	s_cbranch_vccnz .LBB44_3
; %bb.2:
	v_mul_lo_u32 v1, v3, s10
	v_mul_lo_u32 v8, v2, s11
	v_mad_u64_u32 v[6:7], s[0:1], v2, s10, 0
	v_add3_u32 v7, v7, v8, v1
	v_lshlrev_b64 v[6:7], 2, v[6:7]
	v_mov_b32_e32 v1, s9
	v_add_co_u32_e32 v46, vcc, s8, v6
	v_addc_co_u32_e32 v47, vcc, v1, v7, vcc
.LBB44_3:
	s_load_dword s8, s[4:5], 0x18
	s_load_dword s12, s[4:5], 0x0
	s_lshl_b64 s[0:1], s[2:3], 3
	v_mov_b32_e32 v1, s1
	s_waitcnt vmcnt(0)
	v_add_co_u32_e32 v56, vcc, s0, v4
	v_and_b32_e32 v58, 0x3ff, v0
	v_addc_co_u32_e32 v57, vcc, v5, v1, vcc
	v_lshlrev_b32_e32 v51, 3, v58
	v_add_co_u32_e32 v4, vcc, v56, v51
	s_waitcnt lgkmcnt(0)
	s_ashr_i32 s9, s8, 31
	v_addc_co_u32_e32 v5, vcc, 0, v57, vcc
	s_lshl_b64 s[10:11], s[8:9], 3
	v_mov_b32_e32 v0, s11
	v_add_co_u32_e32 v8, vcc, s10, v4
	s_add_i32 s9, s8, s8
	v_addc_co_u32_e32 v9, vcc, v5, v0, vcc
	v_add_u32_e32 v0, s9, v58
	v_ashrrev_i32_e32 v1, 31, v0
	v_lshlrev_b64 v[6:7], 3, v[0:1]
	v_add_u32_e32 v14, s8, v0
	v_add_co_u32_e32 v10, vcc, v56, v6
	v_ashrrev_i32_e32 v15, 31, v14
	v_addc_co_u32_e32 v11, vcc, v57, v7, vcc
	v_lshlrev_b64 v[0:1], 3, v[14:15]
	v_add_co_u32_e32 v16, vcc, v56, v0
	v_addc_co_u32_e32 v17, vcc, v57, v1, vcc
	global_load_dwordx2 v[18:19], v[4:5], off
	global_load_dwordx2 v[12:13], v[8:9], off
	global_load_dwordx2 v[6:7], v[10:11], off
	global_load_dwordx2 v[0:1], v[16:17], off
	v_add_u32_e32 v4, s8, v14
	v_ashrrev_i32_e32 v5, 31, v4
	v_lshlrev_b64 v[8:9], 3, v[4:5]
	v_add_u32_e32 v4, s8, v4
	v_add_co_u32_e32 v8, vcc, v56, v8
	v_ashrrev_i32_e32 v5, 31, v4
	v_addc_co_u32_e32 v9, vcc, v57, v9, vcc
	v_lshlrev_b64 v[10:11], 3, v[4:5]
	v_add_u32_e32 v4, s8, v4
	v_add_co_u32_e32 v14, vcc, v56, v10
	v_ashrrev_i32_e32 v5, 31, v4
	v_addc_co_u32_e32 v15, vcc, v57, v11, vcc
	v_lshlrev_b64 v[10:11], 3, v[4:5]
	v_add_u32_e32 v22, s8, v4
	v_add_co_u32_e32 v16, vcc, v56, v10
	v_ashrrev_i32_e32 v23, 31, v22
	v_addc_co_u32_e32 v17, vcc, v57, v11, vcc
	v_lshlrev_b64 v[4:5], 3, v[22:23]
	v_add_co_u32_e32 v24, vcc, v56, v4
	v_addc_co_u32_e32 v25, vcc, v57, v5, vcc
	global_load_dwordx2 v[28:29], v[8:9], off
	global_load_dwordx2 v[20:21], v[14:15], off
	global_load_dwordx2 v[10:11], v[16:17], off
	global_load_dwordx2 v[4:5], v[24:25], off
	v_add_u32_e32 v8, s8, v22
	v_ashrrev_i32_e32 v9, 31, v8
	v_lshlrev_b64 v[14:15], 3, v[8:9]
	v_add_u32_e32 v8, s8, v8
	v_add_co_u32_e32 v14, vcc, v56, v14
	v_ashrrev_i32_e32 v9, 31, v8
	v_addc_co_u32_e32 v15, vcc, v57, v15, vcc
	v_lshlrev_b64 v[16:17], 3, v[8:9]
	v_add_u32_e32 v8, s8, v8
	v_add_co_u32_e32 v22, vcc, v56, v16
	v_ashrrev_i32_e32 v9, 31, v8
	v_addc_co_u32_e32 v23, vcc, v57, v17, vcc
	;; [unrolled: 24-line block ×5, first 2 shown]
	v_lshlrev_b64 v[36:37], 3, v[36:37]
	v_add_co_u32_e32 v60, vcc, v56, v36
	v_addc_co_u32_e32 v61, vcc, v57, v37, vcc
	global_load_dwordx2 v[42:43], v[52:53], off
	global_load_dwordx2 v[36:37], v[54:55], off
	;; [unrolled: 1-line block ×3, first 2 shown]
	s_max_i32 s0, s12, 23
	v_mul_lo_u32 v53, s0, v50
	v_lshl_add_u32 v54, v53, 3, 0
	v_add_u32_e32 v50, v54, v51
	s_waitcnt vmcnt(22)
	ds_write_b64 v50, v[18:19]
	s_waitcnt lgkmcnt(0)
	s_barrier
	ds_read_b64 v[50:51], v54
	v_mov_b32_e32 v52, 0
	s_cmp_lt_i32 s12, 2
	v_lshlrev_b32_e32 v59, 3, v53
	s_cbranch_scc1 .LBB44_6
; %bb.4:
	v_add3_u32 v53, v59, 0, 8
	s_mov_b32 s0, 1
	v_mov_b32_e32 v52, 0
.LBB44_5:                               ; =>This Inner Loop Header: Depth=1
	ds_read_b64 v[60:61], v53
	v_mov_b32_e32 v55, s0
	s_add_i32 s0, s0, 1
	v_add_u32_e32 v53, 8, v53
	s_cmp_eq_u32 s12, s0
	s_waitcnt lgkmcnt(0)
	v_cmp_lt_f64_e64 vcc, |v[50:51]|, |v[60:61]|
	v_cndmask_b32_e32 v51, v51, v61, vcc
	v_cndmask_b32_e32 v50, v50, v60, vcc
	v_cndmask_b32_e32 v52, v52, v55, vcc
	s_cbranch_scc0 .LBB44_5
.LBB44_6:
	v_cmp_ne_u32_e32 vcc, v58, v52
                                        ; implicit-def: $vgpr55
	s_and_saveexec_b64 s[0:1], vcc
	s_xor_b64 s[0:1], exec, s[0:1]
	s_cbranch_execz .LBB44_12
; %bb.7:
	v_cmp_eq_u32_e32 vcc, 0, v58
	s_and_saveexec_b64 s[2:3], vcc
	s_cbranch_execz .LBB44_11
; %bb.8:
	v_cmp_ne_u32_e32 vcc, 0, v52
	s_xor_b64 s[14:15], s[6:7], -1
	s_and_b64 s[16:17], s[14:15], vcc
	s_and_saveexec_b64 s[14:15], s[16:17]
	s_cbranch_execz .LBB44_10
; %bb.9:
	v_ashrrev_i32_e32 v53, 31, v52
	v_lshlrev_b64 v[60:61], 2, v[52:53]
	v_add_co_u32_e32 v60, vcc, v46, v60
	v_addc_co_u32_e32 v61, vcc, v47, v61, vcc
	flat_load_dword v53, v[60:61]
	flat_load_dword v55, v[46:47]
	s_waitcnt vmcnt(0) lgkmcnt(0)
	flat_store_dword v[46:47], v53
	flat_store_dword v[60:61], v55
.LBB44_10:
	s_or_b64 exec, exec, s[14:15]
	v_mov_b32_e32 v58, v52
.LBB44_11:
	s_or_b64 exec, exec, s[2:3]
	v_mov_b32_e32 v55, v58
                                        ; implicit-def: $vgpr58
.LBB44_12:
	s_or_saveexec_b64 s[0:1], s[0:1]
	v_mov_b32_e32 v53, v55
	s_xor_b64 exec, exec, s[0:1]
	s_cbranch_execz .LBB44_14
; %bb.13:
	v_mov_b32_e32 v55, 0
	v_mov_b32_e32 v53, v58
	s_waitcnt vmcnt(0)
	ds_write2_b64 v54, v[12:13], v[6:7] offset0:1 offset1:2
	ds_write2_b64 v54, v[0:1], v[28:29] offset0:3 offset1:4
	;; [unrolled: 1-line block ×11, first 2 shown]
.LBB44_14:
	s_or_b64 exec, exec, s[0:1]
	s_waitcnt lgkmcnt(0)
	v_cmp_eq_f64_e64 s[0:1], 0, v[50:51]
	v_cmp_lt_i32_e32 vcc, 0, v55
	s_barrier
	s_and_saveexec_b64 s[2:3], vcc
	s_cbranch_execz .LBB44_16
; %bb.15:
	v_div_scale_f64 v[60:61], s[14:15], v[50:51], v[50:51], 1.0
	v_rcp_f64_e32 v[62:63], v[60:61]
	v_div_scale_f64 v[64:65], vcc, 1.0, v[50:51], 1.0
	ds_read2_b64 v[68:71], v54 offset0:5 offset1:6
	v_fma_f64 v[66:67], -v[60:61], v[62:63], 1.0
	v_fmac_f64_e32 v[62:63], v[62:63], v[66:67]
	v_fma_f64 v[66:67], -v[60:61], v[62:63], 1.0
	v_fmac_f64_e32 v[62:63], v[62:63], v[66:67]
	v_mul_f64 v[66:67], v[64:65], v[62:63]
	v_fma_f64 v[60:61], -v[60:61], v[66:67], v[64:65]
	v_div_fmas_f64 v[60:61], v[60:61], v[62:63], v[66:67]
	v_div_fixup_f64 v[64:65], v[60:61], v[50:51], 1.0
	ds_read2_b64 v[60:63], v54 offset0:1 offset1:2
	v_cndmask_b32_e64 v51, v65, v51, s[0:1]
	v_cndmask_b32_e64 v50, v64, v50, s[0:1]
	ds_read2_b64 v[64:67], v54 offset0:3 offset1:4
	v_mul_f64 v[18:19], v[50:51], v[18:19]
	s_waitcnt vmcnt(0) lgkmcnt(0)
	v_fma_f64 v[12:13], -v[18:19], v[60:61], v[12:13]
	v_fma_f64 v[6:7], -v[18:19], v[62:63], v[6:7]
	ds_read2_b64 v[60:63], v54 offset0:7 offset1:8
	v_fma_f64 v[0:1], -v[18:19], v[64:65], v[0:1]
	v_fma_f64 v[28:29], -v[18:19], v[66:67], v[28:29]
	ds_read2_b64 v[64:67], v54 offset0:9 offset1:10
	;; [unrolled: 3-line block ×3, first 2 shown]
	s_waitcnt lgkmcnt(2)
	v_fma_f64 v[4:5], -v[18:19], v[60:61], v[4:5]
	v_fma_f64 v[34:35], -v[18:19], v[62:63], v[34:35]
	s_waitcnt lgkmcnt(1)
	v_fma_f64 v[26:27], -v[18:19], v[64:65], v[26:27]
	ds_read2_b64 v[60:63], v54 offset0:13 offset1:14
	v_fma_f64 v[16:17], -v[18:19], v[66:67], v[16:17]
	ds_read2_b64 v[64:67], v54 offset0:15 offset1:16
	s_waitcnt lgkmcnt(2)
	v_fma_f64 v[8:9], -v[18:19], v[68:69], v[8:9]
	v_fma_f64 v[40:41], -v[18:19], v[70:71], v[40:41]
	s_waitcnt lgkmcnt(1)
	v_fma_f64 v[32:33], -v[18:19], v[60:61], v[32:33]
	v_fma_f64 v[24:25], -v[18:19], v[62:63], v[24:25]
	ds_read2_b64 v[60:63], v54 offset0:17 offset1:18
	ds_read2_b64 v[68:71], v54 offset0:19 offset1:20
	s_waitcnt lgkmcnt(2)
	v_fma_f64 v[14:15], -v[18:19], v[64:65], v[14:15]
	v_fma_f64 v[44:45], -v[18:19], v[66:67], v[44:45]
	ds_read2_b64 v[64:67], v54 offset0:21 offset1:22
	s_waitcnt lgkmcnt(2)
	v_fma_f64 v[38:39], -v[18:19], v[60:61], v[38:39]
	v_fma_f64 v[30:31], -v[18:19], v[62:63], v[30:31]
	s_waitcnt lgkmcnt(1)
	v_fma_f64 v[22:23], -v[18:19], v[68:69], v[22:23]
	v_fma_f64 v[42:43], -v[18:19], v[70:71], v[42:43]
	;; [unrolled: 3-line block ×3, first 2 shown]
.LBB44_16:
	s_or_b64 exec, exec, s[2:3]
	v_lshl_add_u32 v50, v55, 3, v54
	s_barrier
	s_waitcnt vmcnt(0)
	ds_write_b64 v50, v[12:13]
	s_waitcnt lgkmcnt(0)
	s_barrier
	ds_read_b64 v[50:51], v54 offset:8
	s_cmp_lt_i32 s12, 3
	v_mov_b32_e32 v52, 1
	s_cbranch_scc1 .LBB44_19
; %bb.17:
	v_add3_u32 v58, v59, 0, 16
	s_mov_b32 s2, 2
	v_mov_b32_e32 v52, 1
.LBB44_18:                              ; =>This Inner Loop Header: Depth=1
	ds_read_b64 v[60:61], v58
	v_mov_b32_e32 v62, s2
	s_add_i32 s2, s2, 1
	v_add_u32_e32 v58, 8, v58
	s_cmp_lg_u32 s12, s2
	s_waitcnt lgkmcnt(0)
	v_cmp_lt_f64_e64 vcc, |v[50:51]|, |v[60:61]|
	v_cndmask_b32_e32 v51, v51, v61, vcc
	v_cndmask_b32_e32 v50, v50, v60, vcc
	;; [unrolled: 1-line block ×3, first 2 shown]
	s_cbranch_scc1 .LBB44_18
.LBB44_19:
	v_cmp_ne_u32_e32 vcc, v55, v52
	s_and_saveexec_b64 s[2:3], vcc
	s_xor_b64 s[2:3], exec, s[2:3]
	s_cbranch_execz .LBB44_25
; %bb.20:
	v_cmp_eq_u32_e32 vcc, 1, v55
	s_and_saveexec_b64 s[14:15], vcc
	s_cbranch_execz .LBB44_24
; %bb.21:
	v_cmp_ne_u32_e32 vcc, 1, v52
	s_xor_b64 s[16:17], s[6:7], -1
	s_and_b64 s[18:19], s[16:17], vcc
	s_and_saveexec_b64 s[16:17], s[18:19]
	s_cbranch_execz .LBB44_23
; %bb.22:
	v_ashrrev_i32_e32 v53, 31, v52
	v_lshlrev_b64 v[60:61], 2, v[52:53]
	v_add_co_u32_e32 v60, vcc, v46, v60
	v_addc_co_u32_e32 v61, vcc, v47, v61, vcc
	flat_load_dword v53, v[60:61]
	flat_load_dword v55, v[46:47] offset:4
	s_waitcnt vmcnt(0) lgkmcnt(0)
	flat_store_dword v[46:47], v53 offset:4
	flat_store_dword v[60:61], v55
.LBB44_23:
	s_or_b64 exec, exec, s[16:17]
	v_mov_b32_e32 v53, v52
	v_mov_b32_e32 v55, v52
.LBB44_24:
	s_or_b64 exec, exec, s[14:15]
.LBB44_25:
	s_andn2_saveexec_b64 s[2:3], s[2:3]
	s_cbranch_execz .LBB44_27
; %bb.26:
	v_mov_b32_e32 v60, v6
	v_mov_b32_e32 v61, v7
	v_mov_b32_e32 v62, v0
	v_mov_b32_e32 v63, v1
	ds_write2_b64 v54, v[60:61], v[62:63] offset0:2 offset1:3
	v_mov_b32_e32 v60, v28
	v_mov_b32_e32 v61, v29
	v_mov_b32_e32 v62, v20
	v_mov_b32_e32 v63, v21
	ds_write2_b64 v54, v[60:61], v[62:63] offset0:4 offset1:5
	;; [unrolled: 5-line block ×9, first 2 shown]
	v_mov_b32_e32 v60, v42
	v_mov_b32_e32 v61, v43
	;; [unrolled: 1-line block ×5, first 2 shown]
	ds_write2_b64 v54, v[60:61], v[62:63] offset0:20 offset1:21
	ds_write_b64 v54, v[48:49] offset:176
.LBB44_27:
	s_or_b64 exec, exec, s[2:3]
	s_waitcnt lgkmcnt(0)
	v_cmp_neq_f64_e64 s[2:3], 0, v[50:51]
	v_cmp_lt_i32_e32 vcc, 1, v55
	s_barrier
	s_and_saveexec_b64 s[14:15], vcc
	s_cbranch_execz .LBB44_29
; %bb.28:
	v_div_scale_f64 v[60:61], s[16:17], v[50:51], v[50:51], 1.0
	v_rcp_f64_e32 v[62:63], v[60:61]
	v_div_scale_f64 v[64:65], vcc, 1.0, v[50:51], 1.0
	ds_read2_b64 v[68:71], v54 offset0:6 offset1:7
	v_fma_f64 v[66:67], -v[60:61], v[62:63], 1.0
	v_fmac_f64_e32 v[62:63], v[62:63], v[66:67]
	v_fma_f64 v[66:67], -v[60:61], v[62:63], 1.0
	v_fmac_f64_e32 v[62:63], v[62:63], v[66:67]
	v_mul_f64 v[66:67], v[64:65], v[62:63]
	v_fma_f64 v[60:61], -v[60:61], v[66:67], v[64:65]
	v_div_fmas_f64 v[60:61], v[60:61], v[62:63], v[66:67]
	v_div_fixup_f64 v[64:65], v[60:61], v[50:51], 1.0
	ds_read2_b64 v[60:63], v54 offset0:2 offset1:3
	v_cndmask_b32_e64 v51, v51, v65, s[2:3]
	v_cndmask_b32_e64 v50, v50, v64, s[2:3]
	ds_read2_b64 v[64:67], v54 offset0:4 offset1:5
	v_mul_f64 v[12:13], v[50:51], v[12:13]
	s_waitcnt lgkmcnt(0)
	v_fma_f64 v[6:7], -v[12:13], v[60:61], v[6:7]
	v_fma_f64 v[0:1], -v[12:13], v[62:63], v[0:1]
	ds_read2_b64 v[60:63], v54 offset0:8 offset1:9
	v_fma_f64 v[28:29], -v[12:13], v[64:65], v[28:29]
	v_fma_f64 v[20:21], -v[12:13], v[66:67], v[20:21]
	;; [unrolled: 1-line block ×3, first 2 shown]
	ds_read2_b64 v[64:67], v54 offset0:10 offset1:11
	v_fma_f64 v[4:5], -v[12:13], v[70:71], v[4:5]
	ds_read2_b64 v[68:71], v54 offset0:12 offset1:13
	s_waitcnt lgkmcnt(0)
	v_fma_f64 v[34:35], -v[12:13], v[60:61], v[34:35]
	v_fma_f64 v[26:27], -v[12:13], v[62:63], v[26:27]
	ds_read2_b64 v[60:63], v54 offset0:14 offset1:15
	v_fma_f64 v[16:17], -v[12:13], v[64:65], v[16:17]
	v_fma_f64 v[8:9], -v[12:13], v[66:67], v[8:9]
	ds_read2_b64 v[64:67], v54 offset0:16 offset1:17
	v_fma_f64 v[40:41], -v[12:13], v[68:69], v[40:41]
	v_fma_f64 v[32:33], -v[12:13], v[70:71], v[32:33]
	s_waitcnt lgkmcnt(0)
	v_fma_f64 v[24:25], -v[12:13], v[60:61], v[24:25]
	v_fma_f64 v[14:15], -v[12:13], v[62:63], v[14:15]
	ds_read2_b64 v[60:63], v54 offset0:18 offset1:19
	ds_read2_b64 v[68:71], v54 offset0:20 offset1:21
	ds_read_b64 v[50:51], v54 offset:176
	v_fma_f64 v[44:45], -v[12:13], v[64:65], v[44:45]
	v_fma_f64 v[38:39], -v[12:13], v[66:67], v[38:39]
	s_waitcnt lgkmcnt(0)
	v_fma_f64 v[30:31], -v[12:13], v[60:61], v[30:31]
	v_fma_f64 v[22:23], -v[12:13], v[62:63], v[22:23]
	;; [unrolled: 1-line block ×5, first 2 shown]
.LBB44_29:
	s_or_b64 exec, exec, s[14:15]
	v_lshl_add_u32 v50, v55, 3, v54
	s_barrier
	ds_write_b64 v50, v[6:7]
	s_waitcnt lgkmcnt(0)
	s_barrier
	ds_read_b64 v[50:51], v54 offset:16
	s_mov_b32 s14, 3
	s_cmp_lt_i32 s12, 4
	v_mov_b32_e32 v52, 2
	s_cbranch_scc1 .LBB44_32
; %bb.30:
	v_add3_u32 v58, v59, 0, 24
	v_mov_b32_e32 v52, 2
.LBB44_31:                              ; =>This Inner Loop Header: Depth=1
	ds_read_b64 v[60:61], v58
	v_mov_b32_e32 v62, s14
	s_add_i32 s14, s14, 1
	v_add_u32_e32 v58, 8, v58
	s_cmp_lg_u32 s12, s14
	s_waitcnt lgkmcnt(0)
	v_cmp_lt_f64_e64 vcc, |v[50:51]|, |v[60:61]|
	v_cndmask_b32_e32 v51, v51, v61, vcc
	v_cndmask_b32_e32 v50, v50, v60, vcc
	;; [unrolled: 1-line block ×3, first 2 shown]
	s_cbranch_scc1 .LBB44_31
.LBB44_32:
	v_cndmask_b32_e64 v58, 2, 1, s[0:1]
	v_cndmask_b32_e64 v60, 0, 1, s[0:1]
	;; [unrolled: 1-line block ×3, first 2 shown]
	s_waitcnt lgkmcnt(0)
	v_cmp_eq_f64_e32 vcc, 0, v[50:51]
	s_and_saveexec_b64 s[0:1], vcc
	s_xor_b64 s[0:1], exec, s[0:1]
; %bb.33:
	v_cmp_ne_u32_e32 vcc, 0, v58
	v_cndmask_b32_e32 v58, 3, v58, vcc
; %bb.34:
	s_andn2_saveexec_b64 s[0:1], s[0:1]
; %bb.35:
	v_div_scale_f64 v[60:61], s[2:3], v[50:51], v[50:51], 1.0
	v_rcp_f64_e32 v[62:63], v[60:61]
	v_div_scale_f64 v[64:65], vcc, 1.0, v[50:51], 1.0
	v_fma_f64 v[66:67], -v[60:61], v[62:63], 1.0
	v_fmac_f64_e32 v[62:63], v[62:63], v[66:67]
	v_fma_f64 v[66:67], -v[60:61], v[62:63], 1.0
	v_fmac_f64_e32 v[62:63], v[62:63], v[66:67]
	v_mul_f64 v[66:67], v[64:65], v[62:63]
	v_fma_f64 v[60:61], -v[60:61], v[66:67], v[64:65]
	v_div_fmas_f64 v[60:61], v[60:61], v[62:63], v[66:67]
	v_div_fixup_f64 v[50:51], v[60:61], v[50:51], 1.0
; %bb.36:
	s_or_b64 exec, exec, s[0:1]
	v_cmp_ne_u32_e32 vcc, v55, v52
	s_and_saveexec_b64 s[0:1], vcc
	s_xor_b64 s[0:1], exec, s[0:1]
	s_cbranch_execz .LBB44_42
; %bb.37:
	v_cmp_eq_u32_e32 vcc, 2, v55
	s_and_saveexec_b64 s[2:3], vcc
	s_cbranch_execz .LBB44_41
; %bb.38:
	v_cmp_ne_u32_e32 vcc, 2, v52
	s_xor_b64 s[14:15], s[6:7], -1
	s_and_b64 s[16:17], s[14:15], vcc
	s_and_saveexec_b64 s[14:15], s[16:17]
	s_cbranch_execz .LBB44_40
; %bb.39:
	v_ashrrev_i32_e32 v53, 31, v52
	v_lshlrev_b64 v[60:61], 2, v[52:53]
	v_add_co_u32_e32 v60, vcc, v46, v60
	v_addc_co_u32_e32 v61, vcc, v47, v61, vcc
	flat_load_dword v53, v[60:61]
	flat_load_dword v55, v[46:47] offset:8
	s_waitcnt vmcnt(0) lgkmcnt(0)
	flat_store_dword v[46:47], v53 offset:8
	flat_store_dword v[60:61], v55
.LBB44_40:
	s_or_b64 exec, exec, s[14:15]
	v_mov_b32_e32 v53, v52
	v_mov_b32_e32 v55, v52
.LBB44_41:
	s_or_b64 exec, exec, s[2:3]
.LBB44_42:
	s_andn2_saveexec_b64 s[0:1], s[0:1]
	s_cbranch_execz .LBB44_44
; %bb.43:
	v_mov_b32_e32 v55, 2
	ds_write2_b64 v54, v[0:1], v[28:29] offset0:3 offset1:4
	ds_write2_b64 v54, v[20:21], v[10:11] offset0:5 offset1:6
	;; [unrolled: 1-line block ×10, first 2 shown]
.LBB44_44:
	s_or_b64 exec, exec, s[0:1]
	v_cmp_lt_i32_e32 vcc, 2, v55
	s_waitcnt lgkmcnt(0)
	s_barrier
	s_and_saveexec_b64 s[0:1], vcc
	s_cbranch_execz .LBB44_46
; %bb.45:
	ds_read2_b64 v[60:63], v54 offset0:3 offset1:4
	ds_read2_b64 v[64:67], v54 offset0:5 offset1:6
	v_mul_f64 v[6:7], v[50:51], v[6:7]
	ds_read2_b64 v[68:71], v54 offset0:7 offset1:8
	s_waitcnt lgkmcnt(0)
	v_fma_f64 v[0:1], -v[6:7], v[60:61], v[0:1]
	v_fma_f64 v[28:29], -v[6:7], v[62:63], v[28:29]
	ds_read2_b64 v[60:63], v54 offset0:9 offset1:10
	v_fma_f64 v[20:21], -v[6:7], v[64:65], v[20:21]
	v_fma_f64 v[10:11], -v[6:7], v[66:67], v[10:11]
	;; [unrolled: 1-line block ×3, first 2 shown]
	ds_read2_b64 v[64:67], v54 offset0:11 offset1:12
	v_fma_f64 v[34:35], -v[6:7], v[70:71], v[34:35]
	ds_read2_b64 v[68:71], v54 offset0:13 offset1:14
	s_waitcnt lgkmcnt(0)
	v_fma_f64 v[26:27], -v[6:7], v[60:61], v[26:27]
	v_fma_f64 v[16:17], -v[6:7], v[62:63], v[16:17]
	ds_read2_b64 v[60:63], v54 offset0:15 offset1:16
	v_fma_f64 v[8:9], -v[6:7], v[64:65], v[8:9]
	v_fma_f64 v[40:41], -v[6:7], v[66:67], v[40:41]
	ds_read2_b64 v[64:67], v54 offset0:17 offset1:18
	v_fma_f64 v[32:33], -v[6:7], v[68:69], v[32:33]
	v_fma_f64 v[24:25], -v[6:7], v[70:71], v[24:25]
	s_waitcnt lgkmcnt(0)
	v_fma_f64 v[14:15], -v[6:7], v[60:61], v[14:15]
	ds_read2_b64 v[68:71], v54 offset0:19 offset1:20
	v_fma_f64 v[44:45], -v[6:7], v[62:63], v[44:45]
	ds_read2_b64 v[60:63], v54 offset0:21 offset1:22
	v_fma_f64 v[38:39], -v[6:7], v[64:65], v[38:39]
	v_fma_f64 v[30:31], -v[6:7], v[66:67], v[30:31]
	s_waitcnt lgkmcnt(0)
	v_fma_f64 v[22:23], -v[6:7], v[68:69], v[22:23]
	v_fma_f64 v[42:43], -v[6:7], v[70:71], v[42:43]
	;; [unrolled: 1-line block ×4, first 2 shown]
.LBB44_46:
	s_or_b64 exec, exec, s[0:1]
	v_lshl_add_u32 v50, v55, 3, v54
	s_barrier
	ds_write_b64 v50, v[0:1]
	s_waitcnt lgkmcnt(0)
	s_barrier
	ds_read_b64 v[50:51], v54 offset:24
	s_cmp_lt_i32 s12, 5
	v_mov_b32_e32 v52, 3
	s_cbranch_scc1 .LBB44_49
; %bb.47:
	v_add3_u32 v60, v59, 0, 32
	s_mov_b32 s0, 4
	v_mov_b32_e32 v52, 3
.LBB44_48:                              ; =>This Inner Loop Header: Depth=1
	ds_read_b64 v[62:63], v60
	v_mov_b32_e32 v61, s0
	s_add_i32 s0, s0, 1
	v_add_u32_e32 v60, 8, v60
	s_cmp_lg_u32 s12, s0
	s_waitcnt lgkmcnt(0)
	v_cmp_lt_f64_e64 vcc, |v[50:51]|, |v[62:63]|
	v_cndmask_b32_e32 v51, v51, v63, vcc
	v_cndmask_b32_e32 v50, v50, v62, vcc
	;; [unrolled: 1-line block ×3, first 2 shown]
	s_cbranch_scc1 .LBB44_48
.LBB44_49:
	s_waitcnt lgkmcnt(0)
	v_cmp_eq_f64_e32 vcc, 0, v[50:51]
	s_and_saveexec_b64 s[0:1], vcc
	s_xor_b64 s[0:1], exec, s[0:1]
; %bb.50:
	v_cmp_ne_u32_e32 vcc, 0, v58
	v_cndmask_b32_e32 v58, 4, v58, vcc
; %bb.51:
	s_andn2_saveexec_b64 s[0:1], s[0:1]
; %bb.52:
	v_div_scale_f64 v[60:61], s[2:3], v[50:51], v[50:51], 1.0
	v_rcp_f64_e32 v[62:63], v[60:61]
	v_div_scale_f64 v[64:65], vcc, 1.0, v[50:51], 1.0
	v_fma_f64 v[66:67], -v[60:61], v[62:63], 1.0
	v_fmac_f64_e32 v[62:63], v[62:63], v[66:67]
	v_fma_f64 v[66:67], -v[60:61], v[62:63], 1.0
	v_fmac_f64_e32 v[62:63], v[62:63], v[66:67]
	v_mul_f64 v[66:67], v[64:65], v[62:63]
	v_fma_f64 v[60:61], -v[60:61], v[66:67], v[64:65]
	v_div_fmas_f64 v[60:61], v[60:61], v[62:63], v[66:67]
	v_div_fixup_f64 v[50:51], v[60:61], v[50:51], 1.0
; %bb.53:
	s_or_b64 exec, exec, s[0:1]
	v_cmp_ne_u32_e32 vcc, v55, v52
	s_and_saveexec_b64 s[0:1], vcc
	s_xor_b64 s[0:1], exec, s[0:1]
	s_cbranch_execz .LBB44_59
; %bb.54:
	v_cmp_eq_u32_e32 vcc, 3, v55
	s_and_saveexec_b64 s[2:3], vcc
	s_cbranch_execz .LBB44_58
; %bb.55:
	v_cmp_ne_u32_e32 vcc, 3, v52
	s_xor_b64 s[14:15], s[6:7], -1
	s_and_b64 s[16:17], s[14:15], vcc
	s_and_saveexec_b64 s[14:15], s[16:17]
	s_cbranch_execz .LBB44_57
; %bb.56:
	v_ashrrev_i32_e32 v53, 31, v52
	v_lshlrev_b64 v[60:61], 2, v[52:53]
	v_add_co_u32_e32 v60, vcc, v46, v60
	v_addc_co_u32_e32 v61, vcc, v47, v61, vcc
	flat_load_dword v53, v[60:61]
	flat_load_dword v55, v[46:47] offset:12
	s_waitcnt vmcnt(0) lgkmcnt(0)
	flat_store_dword v[46:47], v53 offset:12
	flat_store_dword v[60:61], v55
.LBB44_57:
	s_or_b64 exec, exec, s[14:15]
	v_mov_b32_e32 v53, v52
	v_mov_b32_e32 v55, v52
.LBB44_58:
	s_or_b64 exec, exec, s[2:3]
.LBB44_59:
	s_andn2_saveexec_b64 s[0:1], s[0:1]
	s_cbranch_execz .LBB44_61
; %bb.60:
	v_mov_b32_e32 v60, v28
	v_mov_b32_e32 v61, v29
	v_mov_b32_e32 v62, v20
	v_mov_b32_e32 v63, v21
	ds_write2_b64 v54, v[60:61], v[62:63] offset0:4 offset1:5
	v_mov_b32_e32 v60, v10
	v_mov_b32_e32 v61, v11
	v_mov_b32_e32 v62, v4
	v_mov_b32_e32 v63, v5
	ds_write2_b64 v54, v[60:61], v[62:63] offset0:6 offset1:7
	;; [unrolled: 5-line block ×8, first 2 shown]
	v_mov_b32_e32 v60, v42
	v_mov_b32_e32 v61, v43
	;; [unrolled: 1-line block ×5, first 2 shown]
	ds_write2_b64 v54, v[60:61], v[62:63] offset0:20 offset1:21
	ds_write_b64 v54, v[48:49] offset:176
.LBB44_61:
	s_or_b64 exec, exec, s[0:1]
	v_cmp_lt_i32_e32 vcc, 3, v55
	s_waitcnt lgkmcnt(0)
	s_barrier
	s_and_saveexec_b64 s[0:1], vcc
	s_cbranch_execz .LBB44_63
; %bb.62:
	ds_read2_b64 v[60:63], v54 offset0:4 offset1:5
	ds_read2_b64 v[64:67], v54 offset0:6 offset1:7
	;; [unrolled: 1-line block ×3, first 2 shown]
	v_mul_f64 v[0:1], v[50:51], v[0:1]
	ds_read_b64 v[50:51], v54 offset:176
	s_waitcnt lgkmcnt(0)
	v_fma_f64 v[28:29], -v[0:1], v[60:61], v[28:29]
	v_fma_f64 v[20:21], -v[0:1], v[62:63], v[20:21]
	ds_read2_b64 v[60:63], v54 offset0:10 offset1:11
	v_fma_f64 v[10:11], -v[0:1], v[64:65], v[10:11]
	v_fma_f64 v[4:5], -v[0:1], v[66:67], v[4:5]
	;; [unrolled: 1-line block ×3, first 2 shown]
	ds_read2_b64 v[64:67], v54 offset0:12 offset1:13
	v_fma_f64 v[26:27], -v[0:1], v[70:71], v[26:27]
	ds_read2_b64 v[68:71], v54 offset0:14 offset1:15
	s_waitcnt lgkmcnt(0)
	v_fma_f64 v[16:17], -v[0:1], v[60:61], v[16:17]
	v_fma_f64 v[8:9], -v[0:1], v[62:63], v[8:9]
	;; [unrolled: 1-line block ×3, first 2 shown]
	ds_read2_b64 v[60:63], v54 offset0:16 offset1:17
	v_fma_f64 v[32:33], -v[0:1], v[66:67], v[32:33]
	ds_read2_b64 v[64:67], v54 offset0:18 offset1:19
	v_fma_f64 v[24:25], -v[0:1], v[68:69], v[24:25]
	v_fma_f64 v[14:15], -v[0:1], v[70:71], v[14:15]
	ds_read2_b64 v[68:71], v54 offset0:20 offset1:21
	s_waitcnt lgkmcnt(0)
	v_fma_f64 v[44:45], -v[0:1], v[60:61], v[44:45]
	v_fma_f64 v[38:39], -v[0:1], v[62:63], v[38:39]
	;; [unrolled: 1-line block ×7, first 2 shown]
.LBB44_63:
	s_or_b64 exec, exec, s[0:1]
	v_lshl_add_u32 v50, v55, 3, v54
	s_barrier
	ds_write_b64 v50, v[28:29]
	s_waitcnt lgkmcnt(0)
	s_barrier
	ds_read_b64 v[50:51], v54 offset:32
	s_cmp_lt_i32 s12, 6
	v_mov_b32_e32 v52, 4
	s_cbranch_scc1 .LBB44_66
; %bb.64:
	v_add3_u32 v60, v59, 0, 40
	s_mov_b32 s0, 5
	v_mov_b32_e32 v52, 4
.LBB44_65:                              ; =>This Inner Loop Header: Depth=1
	ds_read_b64 v[62:63], v60
	v_mov_b32_e32 v61, s0
	s_add_i32 s0, s0, 1
	v_add_u32_e32 v60, 8, v60
	s_cmp_lg_u32 s12, s0
	s_waitcnt lgkmcnt(0)
	v_cmp_lt_f64_e64 vcc, |v[50:51]|, |v[62:63]|
	v_cndmask_b32_e32 v51, v51, v63, vcc
	v_cndmask_b32_e32 v50, v50, v62, vcc
	;; [unrolled: 1-line block ×3, first 2 shown]
	s_cbranch_scc1 .LBB44_65
.LBB44_66:
	s_waitcnt lgkmcnt(0)
	v_cmp_eq_f64_e32 vcc, 0, v[50:51]
	s_and_saveexec_b64 s[0:1], vcc
	s_xor_b64 s[0:1], exec, s[0:1]
; %bb.67:
	v_cmp_ne_u32_e32 vcc, 0, v58
	v_cndmask_b32_e32 v58, 5, v58, vcc
; %bb.68:
	s_andn2_saveexec_b64 s[0:1], s[0:1]
; %bb.69:
	v_div_scale_f64 v[60:61], s[2:3], v[50:51], v[50:51], 1.0
	v_rcp_f64_e32 v[62:63], v[60:61]
	v_div_scale_f64 v[64:65], vcc, 1.0, v[50:51], 1.0
	v_fma_f64 v[66:67], -v[60:61], v[62:63], 1.0
	v_fmac_f64_e32 v[62:63], v[62:63], v[66:67]
	v_fma_f64 v[66:67], -v[60:61], v[62:63], 1.0
	v_fmac_f64_e32 v[62:63], v[62:63], v[66:67]
	v_mul_f64 v[66:67], v[64:65], v[62:63]
	v_fma_f64 v[60:61], -v[60:61], v[66:67], v[64:65]
	v_div_fmas_f64 v[60:61], v[60:61], v[62:63], v[66:67]
	v_div_fixup_f64 v[50:51], v[60:61], v[50:51], 1.0
; %bb.70:
	s_or_b64 exec, exec, s[0:1]
	v_cmp_ne_u32_e32 vcc, v55, v52
	s_and_saveexec_b64 s[0:1], vcc
	s_xor_b64 s[0:1], exec, s[0:1]
	s_cbranch_execz .LBB44_76
; %bb.71:
	v_cmp_eq_u32_e32 vcc, 4, v55
	s_and_saveexec_b64 s[2:3], vcc
	s_cbranch_execz .LBB44_75
; %bb.72:
	v_cmp_ne_u32_e32 vcc, 4, v52
	s_xor_b64 s[14:15], s[6:7], -1
	s_and_b64 s[16:17], s[14:15], vcc
	s_and_saveexec_b64 s[14:15], s[16:17]
	s_cbranch_execz .LBB44_74
; %bb.73:
	v_ashrrev_i32_e32 v53, 31, v52
	v_lshlrev_b64 v[60:61], 2, v[52:53]
	v_add_co_u32_e32 v60, vcc, v46, v60
	v_addc_co_u32_e32 v61, vcc, v47, v61, vcc
	flat_load_dword v53, v[60:61]
	flat_load_dword v55, v[46:47] offset:16
	s_waitcnt vmcnt(0) lgkmcnt(0)
	flat_store_dword v[46:47], v53 offset:16
	flat_store_dword v[60:61], v55
.LBB44_74:
	s_or_b64 exec, exec, s[14:15]
	v_mov_b32_e32 v53, v52
	v_mov_b32_e32 v55, v52
.LBB44_75:
	s_or_b64 exec, exec, s[2:3]
.LBB44_76:
	s_andn2_saveexec_b64 s[0:1], s[0:1]
	s_cbranch_execz .LBB44_78
; %bb.77:
	v_mov_b32_e32 v55, 4
	ds_write2_b64 v54, v[20:21], v[10:11] offset0:5 offset1:6
	ds_write2_b64 v54, v[4:5], v[34:35] offset0:7 offset1:8
	;; [unrolled: 1-line block ×9, first 2 shown]
.LBB44_78:
	s_or_b64 exec, exec, s[0:1]
	v_cmp_lt_i32_e32 vcc, 4, v55
	s_waitcnt lgkmcnt(0)
	s_barrier
	s_and_saveexec_b64 s[0:1], vcc
	s_cbranch_execz .LBB44_80
; %bb.79:
	ds_read2_b64 v[60:63], v54 offset0:5 offset1:6
	ds_read2_b64 v[64:67], v54 offset0:7 offset1:8
	;; [unrolled: 1-line block ×3, first 2 shown]
	v_mul_f64 v[28:29], v[50:51], v[28:29]
	s_waitcnt lgkmcnt(0)
	v_fma_f64 v[20:21], -v[28:29], v[60:61], v[20:21]
	v_fma_f64 v[10:11], -v[28:29], v[62:63], v[10:11]
	ds_read2_b64 v[60:63], v54 offset0:11 offset1:12
	v_fma_f64 v[4:5], -v[28:29], v[64:65], v[4:5]
	v_fma_f64 v[34:35], -v[28:29], v[66:67], v[34:35]
	;; [unrolled: 1-line block ×3, first 2 shown]
	ds_read2_b64 v[64:67], v54 offset0:13 offset1:14
	v_fma_f64 v[16:17], -v[28:29], v[70:71], v[16:17]
	ds_read2_b64 v[68:71], v54 offset0:15 offset1:16
	s_waitcnt lgkmcnt(0)
	v_fma_f64 v[8:9], -v[28:29], v[60:61], v[8:9]
	v_fma_f64 v[40:41], -v[28:29], v[62:63], v[40:41]
	;; [unrolled: 1-line block ×4, first 2 shown]
	ds_read2_b64 v[60:63], v54 offset0:17 offset1:18
	ds_read2_b64 v[64:67], v54 offset0:19 offset1:20
	v_fma_f64 v[14:15], -v[28:29], v[68:69], v[14:15]
	v_fma_f64 v[44:45], -v[28:29], v[70:71], v[44:45]
	ds_read2_b64 v[68:71], v54 offset0:21 offset1:22
	s_waitcnt lgkmcnt(0)
	v_fma_f64 v[38:39], -v[28:29], v[60:61], v[38:39]
	v_fma_f64 v[30:31], -v[28:29], v[62:63], v[30:31]
	v_fma_f64 v[22:23], -v[28:29], v[64:65], v[22:23]
	v_fma_f64 v[42:43], -v[28:29], v[66:67], v[42:43]
	v_fma_f64 v[36:37], -v[28:29], v[68:69], v[36:37]
	v_fma_f64 v[48:49], -v[28:29], v[70:71], v[48:49]
.LBB44_80:
	s_or_b64 exec, exec, s[0:1]
	v_lshl_add_u32 v50, v55, 3, v54
	s_barrier
	ds_write_b64 v50, v[20:21]
	s_waitcnt lgkmcnt(0)
	s_barrier
	ds_read_b64 v[50:51], v54 offset:40
	s_cmp_lt_i32 s12, 7
	v_mov_b32_e32 v52, 5
	s_cbranch_scc1 .LBB44_83
; %bb.81:
	v_add3_u32 v60, v59, 0, 48
	s_mov_b32 s0, 6
	v_mov_b32_e32 v52, 5
.LBB44_82:                              ; =>This Inner Loop Header: Depth=1
	ds_read_b64 v[62:63], v60
	v_mov_b32_e32 v61, s0
	s_add_i32 s0, s0, 1
	v_add_u32_e32 v60, 8, v60
	s_cmp_lg_u32 s12, s0
	s_waitcnt lgkmcnt(0)
	v_cmp_lt_f64_e64 vcc, |v[50:51]|, |v[62:63]|
	v_cndmask_b32_e32 v51, v51, v63, vcc
	v_cndmask_b32_e32 v50, v50, v62, vcc
	;; [unrolled: 1-line block ×3, first 2 shown]
	s_cbranch_scc1 .LBB44_82
.LBB44_83:
	s_waitcnt lgkmcnt(0)
	v_cmp_eq_f64_e32 vcc, 0, v[50:51]
	s_and_saveexec_b64 s[0:1], vcc
	s_xor_b64 s[0:1], exec, s[0:1]
; %bb.84:
	v_cmp_ne_u32_e32 vcc, 0, v58
	v_cndmask_b32_e32 v58, 6, v58, vcc
; %bb.85:
	s_andn2_saveexec_b64 s[0:1], s[0:1]
; %bb.86:
	v_div_scale_f64 v[60:61], s[2:3], v[50:51], v[50:51], 1.0
	v_rcp_f64_e32 v[62:63], v[60:61]
	v_div_scale_f64 v[64:65], vcc, 1.0, v[50:51], 1.0
	v_fma_f64 v[66:67], -v[60:61], v[62:63], 1.0
	v_fmac_f64_e32 v[62:63], v[62:63], v[66:67]
	v_fma_f64 v[66:67], -v[60:61], v[62:63], 1.0
	v_fmac_f64_e32 v[62:63], v[62:63], v[66:67]
	v_mul_f64 v[66:67], v[64:65], v[62:63]
	v_fma_f64 v[60:61], -v[60:61], v[66:67], v[64:65]
	v_div_fmas_f64 v[60:61], v[60:61], v[62:63], v[66:67]
	v_div_fixup_f64 v[50:51], v[60:61], v[50:51], 1.0
; %bb.87:
	s_or_b64 exec, exec, s[0:1]
	v_cmp_ne_u32_e32 vcc, v55, v52
	s_and_saveexec_b64 s[0:1], vcc
	s_xor_b64 s[0:1], exec, s[0:1]
	s_cbranch_execz .LBB44_93
; %bb.88:
	v_cmp_eq_u32_e32 vcc, 5, v55
	s_and_saveexec_b64 s[2:3], vcc
	s_cbranch_execz .LBB44_92
; %bb.89:
	v_cmp_ne_u32_e32 vcc, 5, v52
	s_xor_b64 s[14:15], s[6:7], -1
	s_and_b64 s[16:17], s[14:15], vcc
	s_and_saveexec_b64 s[14:15], s[16:17]
	s_cbranch_execz .LBB44_91
; %bb.90:
	v_ashrrev_i32_e32 v53, 31, v52
	v_lshlrev_b64 v[60:61], 2, v[52:53]
	v_add_co_u32_e32 v60, vcc, v46, v60
	v_addc_co_u32_e32 v61, vcc, v47, v61, vcc
	flat_load_dword v53, v[60:61]
	flat_load_dword v55, v[46:47] offset:20
	s_waitcnt vmcnt(0) lgkmcnt(0)
	flat_store_dword v[46:47], v53 offset:20
	flat_store_dword v[60:61], v55
.LBB44_91:
	s_or_b64 exec, exec, s[14:15]
	v_mov_b32_e32 v53, v52
	v_mov_b32_e32 v55, v52
.LBB44_92:
	s_or_b64 exec, exec, s[2:3]
.LBB44_93:
	s_andn2_saveexec_b64 s[0:1], s[0:1]
	s_cbranch_execz .LBB44_95
; %bb.94:
	v_mov_b32_e32 v60, v10
	v_mov_b32_e32 v61, v11
	v_mov_b32_e32 v62, v4
	v_mov_b32_e32 v63, v5
	ds_write2_b64 v54, v[60:61], v[62:63] offset0:6 offset1:7
	v_mov_b32_e32 v60, v34
	v_mov_b32_e32 v61, v35
	v_mov_b32_e32 v62, v26
	v_mov_b32_e32 v63, v27
	ds_write2_b64 v54, v[60:61], v[62:63] offset0:8 offset1:9
	;; [unrolled: 5-line block ×7, first 2 shown]
	v_mov_b32_e32 v60, v42
	v_mov_b32_e32 v61, v43
	v_mov_b32_e32 v62, v36
	v_mov_b32_e32 v63, v37
	v_mov_b32_e32 v55, 5
	ds_write2_b64 v54, v[60:61], v[62:63] offset0:20 offset1:21
	ds_write_b64 v54, v[48:49] offset:176
.LBB44_95:
	s_or_b64 exec, exec, s[0:1]
	v_cmp_lt_i32_e32 vcc, 5, v55
	s_waitcnt lgkmcnt(0)
	s_barrier
	s_and_saveexec_b64 s[0:1], vcc
	s_cbranch_execz .LBB44_97
; %bb.96:
	ds_read2_b64 v[60:63], v54 offset0:6 offset1:7
	ds_read2_b64 v[64:67], v54 offset0:8 offset1:9
	v_mul_f64 v[20:21], v[50:51], v[20:21]
	ds_read2_b64 v[68:71], v54 offset0:10 offset1:11
	ds_read_b64 v[50:51], v54 offset:176
	s_waitcnt lgkmcnt(0)
	v_fma_f64 v[10:11], -v[20:21], v[60:61], v[10:11]
	v_fma_f64 v[4:5], -v[20:21], v[62:63], v[4:5]
	ds_read2_b64 v[60:63], v54 offset0:12 offset1:13
	v_fma_f64 v[34:35], -v[20:21], v[64:65], v[34:35]
	v_fma_f64 v[26:27], -v[20:21], v[66:67], v[26:27]
	ds_read2_b64 v[64:67], v54 offset0:14 offset1:15
	;; [unrolled: 3-line block ×3, first 2 shown]
	s_waitcnt lgkmcnt(0)
	v_fma_f64 v[40:41], -v[20:21], v[60:61], v[40:41]
	v_fma_f64 v[32:33], -v[20:21], v[62:63], v[32:33]
	;; [unrolled: 1-line block ×4, first 2 shown]
	ds_read2_b64 v[60:63], v54 offset0:18 offset1:19
	ds_read2_b64 v[64:67], v54 offset0:20 offset1:21
	v_fma_f64 v[44:45], -v[20:21], v[68:69], v[44:45]
	v_fma_f64 v[38:39], -v[20:21], v[70:71], v[38:39]
	;; [unrolled: 1-line block ×3, first 2 shown]
	s_waitcnt lgkmcnt(0)
	v_fma_f64 v[30:31], -v[20:21], v[60:61], v[30:31]
	v_fma_f64 v[22:23], -v[20:21], v[62:63], v[22:23]
	;; [unrolled: 1-line block ×4, first 2 shown]
.LBB44_97:
	s_or_b64 exec, exec, s[0:1]
	v_lshl_add_u32 v50, v55, 3, v54
	s_barrier
	ds_write_b64 v50, v[10:11]
	s_waitcnt lgkmcnt(0)
	s_barrier
	ds_read_b64 v[50:51], v54 offset:48
	s_cmp_lt_i32 s12, 8
	v_mov_b32_e32 v52, 6
	s_cbranch_scc1 .LBB44_100
; %bb.98:
	v_add3_u32 v60, v59, 0, 56
	s_mov_b32 s0, 7
	v_mov_b32_e32 v52, 6
.LBB44_99:                              ; =>This Inner Loop Header: Depth=1
	ds_read_b64 v[62:63], v60
	v_mov_b32_e32 v61, s0
	s_add_i32 s0, s0, 1
	v_add_u32_e32 v60, 8, v60
	s_cmp_lg_u32 s12, s0
	s_waitcnt lgkmcnt(0)
	v_cmp_lt_f64_e64 vcc, |v[50:51]|, |v[62:63]|
	v_cndmask_b32_e32 v51, v51, v63, vcc
	v_cndmask_b32_e32 v50, v50, v62, vcc
	;; [unrolled: 1-line block ×3, first 2 shown]
	s_cbranch_scc1 .LBB44_99
.LBB44_100:
	s_waitcnt lgkmcnt(0)
	v_cmp_eq_f64_e32 vcc, 0, v[50:51]
	s_and_saveexec_b64 s[0:1], vcc
	s_xor_b64 s[0:1], exec, s[0:1]
; %bb.101:
	v_cmp_ne_u32_e32 vcc, 0, v58
	v_cndmask_b32_e32 v58, 7, v58, vcc
; %bb.102:
	s_andn2_saveexec_b64 s[0:1], s[0:1]
; %bb.103:
	v_div_scale_f64 v[60:61], s[2:3], v[50:51], v[50:51], 1.0
	v_rcp_f64_e32 v[62:63], v[60:61]
	v_div_scale_f64 v[64:65], vcc, 1.0, v[50:51], 1.0
	v_fma_f64 v[66:67], -v[60:61], v[62:63], 1.0
	v_fmac_f64_e32 v[62:63], v[62:63], v[66:67]
	v_fma_f64 v[66:67], -v[60:61], v[62:63], 1.0
	v_fmac_f64_e32 v[62:63], v[62:63], v[66:67]
	v_mul_f64 v[66:67], v[64:65], v[62:63]
	v_fma_f64 v[60:61], -v[60:61], v[66:67], v[64:65]
	v_div_fmas_f64 v[60:61], v[60:61], v[62:63], v[66:67]
	v_div_fixup_f64 v[50:51], v[60:61], v[50:51], 1.0
; %bb.104:
	s_or_b64 exec, exec, s[0:1]
	v_cmp_ne_u32_e32 vcc, v55, v52
	s_and_saveexec_b64 s[0:1], vcc
	s_xor_b64 s[0:1], exec, s[0:1]
	s_cbranch_execz .LBB44_110
; %bb.105:
	v_cmp_eq_u32_e32 vcc, 6, v55
	s_and_saveexec_b64 s[2:3], vcc
	s_cbranch_execz .LBB44_109
; %bb.106:
	v_cmp_ne_u32_e32 vcc, 6, v52
	s_xor_b64 s[14:15], s[6:7], -1
	s_and_b64 s[16:17], s[14:15], vcc
	s_and_saveexec_b64 s[14:15], s[16:17]
	s_cbranch_execz .LBB44_108
; %bb.107:
	v_ashrrev_i32_e32 v53, 31, v52
	v_lshlrev_b64 v[60:61], 2, v[52:53]
	v_add_co_u32_e32 v60, vcc, v46, v60
	v_addc_co_u32_e32 v61, vcc, v47, v61, vcc
	flat_load_dword v53, v[60:61]
	flat_load_dword v55, v[46:47] offset:24
	s_waitcnt vmcnt(0) lgkmcnt(0)
	flat_store_dword v[46:47], v53 offset:24
	flat_store_dword v[60:61], v55
.LBB44_108:
	s_or_b64 exec, exec, s[14:15]
	v_mov_b32_e32 v53, v52
	v_mov_b32_e32 v55, v52
.LBB44_109:
	s_or_b64 exec, exec, s[2:3]
.LBB44_110:
	s_andn2_saveexec_b64 s[0:1], s[0:1]
	s_cbranch_execz .LBB44_112
; %bb.111:
	v_mov_b32_e32 v55, 6
	ds_write2_b64 v54, v[4:5], v[34:35] offset0:7 offset1:8
	ds_write2_b64 v54, v[26:27], v[16:17] offset0:9 offset1:10
	;; [unrolled: 1-line block ×8, first 2 shown]
.LBB44_112:
	s_or_b64 exec, exec, s[0:1]
	v_cmp_lt_i32_e32 vcc, 6, v55
	s_waitcnt lgkmcnt(0)
	s_barrier
	s_and_saveexec_b64 s[0:1], vcc
	s_cbranch_execz .LBB44_114
; %bb.113:
	ds_read2_b64 v[60:63], v54 offset0:7 offset1:8
	ds_read2_b64 v[64:67], v54 offset0:9 offset1:10
	v_mul_f64 v[10:11], v[50:51], v[10:11]
	ds_read2_b64 v[68:71], v54 offset0:11 offset1:12
	s_waitcnt lgkmcnt(0)
	v_fma_f64 v[4:5], -v[10:11], v[60:61], v[4:5]
	v_fma_f64 v[34:35], -v[10:11], v[62:63], v[34:35]
	ds_read2_b64 v[60:63], v54 offset0:13 offset1:14
	v_fma_f64 v[26:27], -v[10:11], v[64:65], v[26:27]
	v_fma_f64 v[16:17], -v[10:11], v[66:67], v[16:17]
	ds_read2_b64 v[64:67], v54 offset0:15 offset1:16
	v_fma_f64 v[8:9], -v[10:11], v[68:69], v[8:9]
	v_fma_f64 v[40:41], -v[10:11], v[70:71], v[40:41]
	s_waitcnt lgkmcnt(0)
	v_fma_f64 v[32:33], -v[10:11], v[60:61], v[32:33]
	v_fma_f64 v[24:25], -v[10:11], v[62:63], v[24:25]
	ds_read2_b64 v[60:63], v54 offset0:17 offset1:18
	v_fma_f64 v[14:15], -v[10:11], v[64:65], v[14:15]
	ds_read2_b64 v[68:71], v54 offset0:19 offset1:20
	;; [unrolled: 2-line block ×3, first 2 shown]
	s_waitcnt lgkmcnt(0)
	v_fma_f64 v[38:39], -v[10:11], v[60:61], v[38:39]
	v_fma_f64 v[30:31], -v[10:11], v[62:63], v[30:31]
	;; [unrolled: 1-line block ×6, first 2 shown]
.LBB44_114:
	s_or_b64 exec, exec, s[0:1]
	v_lshl_add_u32 v50, v55, 3, v54
	s_barrier
	ds_write_b64 v50, v[4:5]
	s_waitcnt lgkmcnt(0)
	s_barrier
	ds_read_b64 v[50:51], v54 offset:56
	s_cmp_lt_i32 s12, 9
	v_mov_b32_e32 v52, 7
	s_cbranch_scc1 .LBB44_117
; %bb.115:
	v_add3_u32 v59, v59, 0, 64
	s_mov_b32 s0, 8
	v_mov_b32_e32 v52, 7
.LBB44_116:                             ; =>This Inner Loop Header: Depth=1
	ds_read_b64 v[60:61], v59
	v_mov_b32_e32 v62, s0
	s_add_i32 s0, s0, 1
	v_add_u32_e32 v59, 8, v59
	s_cmp_lg_u32 s12, s0
	s_waitcnt lgkmcnt(0)
	v_cmp_lt_f64_e64 vcc, |v[50:51]|, |v[60:61]|
	v_cndmask_b32_e32 v51, v51, v61, vcc
	v_cndmask_b32_e32 v50, v50, v60, vcc
	;; [unrolled: 1-line block ×3, first 2 shown]
	s_cbranch_scc1 .LBB44_116
.LBB44_117:
	s_waitcnt lgkmcnt(0)
	v_cmp_eq_f64_e32 vcc, 0, v[50:51]
	s_and_saveexec_b64 s[0:1], vcc
	s_xor_b64 s[0:1], exec, s[0:1]
; %bb.118:
	v_cmp_ne_u32_e32 vcc, 0, v58
	v_cndmask_b32_e32 v58, 8, v58, vcc
; %bb.119:
	s_andn2_saveexec_b64 s[0:1], s[0:1]
; %bb.120:
	v_div_scale_f64 v[60:61], s[2:3], v[50:51], v[50:51], 1.0
	v_rcp_f64_e32 v[62:63], v[60:61]
	v_div_scale_f64 v[64:65], vcc, 1.0, v[50:51], 1.0
	v_fma_f64 v[66:67], -v[60:61], v[62:63], 1.0
	v_fmac_f64_e32 v[62:63], v[62:63], v[66:67]
	v_fma_f64 v[66:67], -v[60:61], v[62:63], 1.0
	v_fmac_f64_e32 v[62:63], v[62:63], v[66:67]
	v_mul_f64 v[66:67], v[64:65], v[62:63]
	v_fma_f64 v[60:61], -v[60:61], v[66:67], v[64:65]
	v_div_fmas_f64 v[60:61], v[60:61], v[62:63], v[66:67]
	v_div_fixup_f64 v[50:51], v[60:61], v[50:51], 1.0
; %bb.121:
	s_or_b64 exec, exec, s[0:1]
	v_cmp_ne_u32_e32 vcc, v55, v52
	s_and_saveexec_b64 s[0:1], vcc
	s_xor_b64 s[0:1], exec, s[0:1]
	s_cbranch_execz .LBB44_127
; %bb.122:
	v_cmp_eq_u32_e32 vcc, 7, v55
	s_and_saveexec_b64 s[2:3], vcc
	s_cbranch_execz .LBB44_126
; %bb.123:
	v_cmp_ne_u32_e32 vcc, 7, v52
	s_xor_b64 s[14:15], s[6:7], -1
	s_and_b64 s[16:17], s[14:15], vcc
	s_and_saveexec_b64 s[14:15], s[16:17]
	s_cbranch_execz .LBB44_125
; %bb.124:
	v_ashrrev_i32_e32 v53, 31, v52
	v_lshlrev_b64 v[60:61], 2, v[52:53]
	v_add_co_u32_e32 v60, vcc, v46, v60
	v_addc_co_u32_e32 v61, vcc, v47, v61, vcc
	flat_load_dword v53, v[60:61]
	flat_load_dword v55, v[46:47] offset:28
	s_waitcnt vmcnt(0) lgkmcnt(0)
	flat_store_dword v[46:47], v53 offset:28
	flat_store_dword v[60:61], v55
.LBB44_125:
	s_or_b64 exec, exec, s[14:15]
	v_mov_b32_e32 v53, v52
	v_mov_b32_e32 v55, v52
.LBB44_126:
	s_or_b64 exec, exec, s[2:3]
.LBB44_127:
	s_andn2_saveexec_b64 s[0:1], s[0:1]
	s_cbranch_execz .LBB44_129
; %bb.128:
	v_mov_b32_e32 v60, v34
	v_mov_b32_e32 v61, v35
	v_mov_b32_e32 v62, v26
	v_mov_b32_e32 v63, v27
	ds_write2_b64 v54, v[60:61], v[62:63] offset0:8 offset1:9
	v_mov_b32_e32 v60, v16
	v_mov_b32_e32 v61, v17
	v_mov_b32_e32 v62, v8
	v_mov_b32_e32 v63, v9
	ds_write2_b64 v54, v[60:61], v[62:63] offset0:10 offset1:11
	;; [unrolled: 5-line block ×6, first 2 shown]
	v_mov_b32_e32 v60, v42
	v_mov_b32_e32 v61, v43
	;; [unrolled: 1-line block ×5, first 2 shown]
	ds_write2_b64 v54, v[60:61], v[62:63] offset0:20 offset1:21
	ds_write_b64 v54, v[48:49] offset:176
.LBB44_129:
	s_or_b64 exec, exec, s[0:1]
	v_cmp_lt_i32_e32 vcc, 7, v55
	s_waitcnt lgkmcnt(0)
	s_barrier
	s_and_saveexec_b64 s[0:1], vcc
	s_cbranch_execz .LBB44_131
; %bb.130:
	ds_read2_b64 v[60:63], v54 offset0:8 offset1:9
	ds_read2_b64 v[64:67], v54 offset0:10 offset1:11
	v_mul_f64 v[4:5], v[50:51], v[4:5]
	ds_read2_b64 v[68:71], v54 offset0:12 offset1:13
	ds_read_b64 v[50:51], v54 offset:176
	s_waitcnt lgkmcnt(0)
	v_fma_f64 v[34:35], -v[4:5], v[60:61], v[34:35]
	v_fma_f64 v[26:27], -v[4:5], v[62:63], v[26:27]
	ds_read2_b64 v[60:63], v54 offset0:14 offset1:15
	v_fma_f64 v[16:17], -v[4:5], v[64:65], v[16:17]
	v_fma_f64 v[8:9], -v[4:5], v[66:67], v[8:9]
	;; [unrolled: 1-line block ×3, first 2 shown]
	ds_read2_b64 v[64:67], v54 offset0:16 offset1:17
	v_fma_f64 v[32:33], -v[4:5], v[70:71], v[32:33]
	s_waitcnt lgkmcnt(0)
	v_fma_f64 v[24:25], -v[4:5], v[60:61], v[24:25]
	v_fma_f64 v[14:15], -v[4:5], v[62:63], v[14:15]
	ds_read2_b64 v[60:63], v54 offset0:18 offset1:19
	ds_read2_b64 v[68:71], v54 offset0:20 offset1:21
	v_fma_f64 v[44:45], -v[4:5], v[64:65], v[44:45]
	v_fma_f64 v[38:39], -v[4:5], v[66:67], v[38:39]
	;; [unrolled: 1-line block ×3, first 2 shown]
	s_waitcnt lgkmcnt(0)
	v_fma_f64 v[30:31], -v[4:5], v[60:61], v[30:31]
	v_fma_f64 v[22:23], -v[4:5], v[62:63], v[22:23]
	;; [unrolled: 1-line block ×4, first 2 shown]
.LBB44_131:
	s_or_b64 exec, exec, s[0:1]
	v_lshl_add_u32 v50, v55, 3, v54
	s_barrier
	ds_write_b64 v50, v[34:35]
	s_waitcnt lgkmcnt(0)
	s_barrier
	ds_read_b64 v[50:51], v54 offset:64
	s_cmp_lt_i32 s12, 10
	v_mov_b32_e32 v52, 8
	s_cbranch_scc1 .LBB44_134
; %bb.132:
	v_add_u32_e32 v59, 0x48, v54
	s_mov_b32 s0, 9
	v_mov_b32_e32 v52, 8
.LBB44_133:                             ; =>This Inner Loop Header: Depth=1
	ds_read_b64 v[60:61], v59
	v_mov_b32_e32 v62, s0
	s_add_i32 s0, s0, 1
	v_add_u32_e32 v59, 8, v59
	s_cmp_lg_u32 s12, s0
	s_waitcnt lgkmcnt(0)
	v_cmp_lt_f64_e64 vcc, |v[50:51]|, |v[60:61]|
	v_cndmask_b32_e32 v51, v51, v61, vcc
	v_cndmask_b32_e32 v50, v50, v60, vcc
	;; [unrolled: 1-line block ×3, first 2 shown]
	s_cbranch_scc1 .LBB44_133
.LBB44_134:
	s_waitcnt lgkmcnt(0)
	v_cmp_eq_f64_e32 vcc, 0, v[50:51]
	s_and_saveexec_b64 s[0:1], vcc
	s_xor_b64 s[0:1], exec, s[0:1]
; %bb.135:
	v_cmp_ne_u32_e32 vcc, 0, v58
	v_cndmask_b32_e32 v58, 9, v58, vcc
; %bb.136:
	s_andn2_saveexec_b64 s[0:1], s[0:1]
; %bb.137:
	v_div_scale_f64 v[60:61], s[2:3], v[50:51], v[50:51], 1.0
	v_rcp_f64_e32 v[62:63], v[60:61]
	v_div_scale_f64 v[64:65], vcc, 1.0, v[50:51], 1.0
	v_fma_f64 v[66:67], -v[60:61], v[62:63], 1.0
	v_fmac_f64_e32 v[62:63], v[62:63], v[66:67]
	v_fma_f64 v[66:67], -v[60:61], v[62:63], 1.0
	v_fmac_f64_e32 v[62:63], v[62:63], v[66:67]
	v_mul_f64 v[66:67], v[64:65], v[62:63]
	v_fma_f64 v[60:61], -v[60:61], v[66:67], v[64:65]
	v_div_fmas_f64 v[60:61], v[60:61], v[62:63], v[66:67]
	v_div_fixup_f64 v[50:51], v[60:61], v[50:51], 1.0
; %bb.138:
	s_or_b64 exec, exec, s[0:1]
	v_cmp_ne_u32_e32 vcc, v55, v52
	s_and_saveexec_b64 s[0:1], vcc
	s_xor_b64 s[0:1], exec, s[0:1]
	s_cbranch_execz .LBB44_144
; %bb.139:
	v_cmp_eq_u32_e32 vcc, 8, v55
	s_and_saveexec_b64 s[2:3], vcc
	s_cbranch_execz .LBB44_143
; %bb.140:
	v_cmp_ne_u32_e32 vcc, 8, v52
	s_xor_b64 s[14:15], s[6:7], -1
	s_and_b64 s[16:17], s[14:15], vcc
	s_and_saveexec_b64 s[14:15], s[16:17]
	s_cbranch_execz .LBB44_142
; %bb.141:
	v_ashrrev_i32_e32 v53, 31, v52
	v_lshlrev_b64 v[60:61], 2, v[52:53]
	v_add_co_u32_e32 v60, vcc, v46, v60
	v_addc_co_u32_e32 v61, vcc, v47, v61, vcc
	flat_load_dword v53, v[60:61]
	flat_load_dword v55, v[46:47] offset:32
	s_waitcnt vmcnt(0) lgkmcnt(0)
	flat_store_dword v[46:47], v53 offset:32
	flat_store_dword v[60:61], v55
.LBB44_142:
	s_or_b64 exec, exec, s[14:15]
	v_mov_b32_e32 v53, v52
	v_mov_b32_e32 v55, v52
.LBB44_143:
	s_or_b64 exec, exec, s[2:3]
.LBB44_144:
	s_andn2_saveexec_b64 s[0:1], s[0:1]
	s_cbranch_execz .LBB44_146
; %bb.145:
	v_mov_b32_e32 v55, 8
	ds_write2_b64 v54, v[26:27], v[16:17] offset0:9 offset1:10
	ds_write2_b64 v54, v[8:9], v[40:41] offset0:11 offset1:12
	;; [unrolled: 1-line block ×7, first 2 shown]
.LBB44_146:
	s_or_b64 exec, exec, s[0:1]
	v_cmp_lt_i32_e32 vcc, 8, v55
	s_waitcnt lgkmcnt(0)
	s_barrier
	s_and_saveexec_b64 s[0:1], vcc
	s_cbranch_execz .LBB44_148
; %bb.147:
	ds_read2_b64 v[60:63], v54 offset0:9 offset1:10
	ds_read2_b64 v[64:67], v54 offset0:11 offset1:12
	v_mul_f64 v[34:35], v[50:51], v[34:35]
	ds_read2_b64 v[68:71], v54 offset0:13 offset1:14
	s_waitcnt lgkmcnt(0)
	v_fma_f64 v[26:27], -v[34:35], v[60:61], v[26:27]
	v_fma_f64 v[16:17], -v[34:35], v[62:63], v[16:17]
	ds_read2_b64 v[60:63], v54 offset0:15 offset1:16
	v_fma_f64 v[8:9], -v[34:35], v[64:65], v[8:9]
	v_fma_f64 v[40:41], -v[34:35], v[66:67], v[40:41]
	;; [unrolled: 1-line block ×4, first 2 shown]
	ds_read2_b64 v[64:67], v54 offset0:17 offset1:18
	ds_read2_b64 v[68:71], v54 offset0:19 offset1:20
	s_waitcnt lgkmcnt(0)
	v_fma_f64 v[14:15], -v[34:35], v[60:61], v[14:15]
	v_fma_f64 v[44:45], -v[34:35], v[62:63], v[44:45]
	ds_read2_b64 v[60:63], v54 offset0:21 offset1:22
	v_fma_f64 v[38:39], -v[34:35], v[64:65], v[38:39]
	v_fma_f64 v[30:31], -v[34:35], v[66:67], v[30:31]
	;; [unrolled: 1-line block ×4, first 2 shown]
	s_waitcnt lgkmcnt(0)
	v_fma_f64 v[36:37], -v[34:35], v[60:61], v[36:37]
	v_fma_f64 v[48:49], -v[34:35], v[62:63], v[48:49]
.LBB44_148:
	s_or_b64 exec, exec, s[0:1]
	v_lshl_add_u32 v50, v55, 3, v54
	s_barrier
	ds_write_b64 v50, v[26:27]
	s_waitcnt lgkmcnt(0)
	s_barrier
	ds_read_b64 v[50:51], v54 offset:72
	s_cmp_lt_i32 s12, 11
	v_mov_b32_e32 v52, 9
	s_cbranch_scc1 .LBB44_151
; %bb.149:
	v_add_u32_e32 v59, 0x50, v54
	s_mov_b32 s0, 10
	v_mov_b32_e32 v52, 9
.LBB44_150:                             ; =>This Inner Loop Header: Depth=1
	ds_read_b64 v[60:61], v59
	v_mov_b32_e32 v62, s0
	s_add_i32 s0, s0, 1
	v_add_u32_e32 v59, 8, v59
	s_cmp_lg_u32 s12, s0
	s_waitcnt lgkmcnt(0)
	v_cmp_lt_f64_e64 vcc, |v[50:51]|, |v[60:61]|
	v_cndmask_b32_e32 v51, v51, v61, vcc
	v_cndmask_b32_e32 v50, v50, v60, vcc
	v_cndmask_b32_e32 v52, v52, v62, vcc
	s_cbranch_scc1 .LBB44_150
.LBB44_151:
	s_waitcnt lgkmcnt(0)
	v_cmp_eq_f64_e32 vcc, 0, v[50:51]
	s_and_saveexec_b64 s[0:1], vcc
	s_xor_b64 s[0:1], exec, s[0:1]
; %bb.152:
	v_cmp_ne_u32_e32 vcc, 0, v58
	v_cndmask_b32_e32 v58, 10, v58, vcc
; %bb.153:
	s_andn2_saveexec_b64 s[0:1], s[0:1]
; %bb.154:
	v_div_scale_f64 v[60:61], s[2:3], v[50:51], v[50:51], 1.0
	v_rcp_f64_e32 v[62:63], v[60:61]
	v_div_scale_f64 v[64:65], vcc, 1.0, v[50:51], 1.0
	v_fma_f64 v[66:67], -v[60:61], v[62:63], 1.0
	v_fmac_f64_e32 v[62:63], v[62:63], v[66:67]
	v_fma_f64 v[66:67], -v[60:61], v[62:63], 1.0
	v_fmac_f64_e32 v[62:63], v[62:63], v[66:67]
	v_mul_f64 v[66:67], v[64:65], v[62:63]
	v_fma_f64 v[60:61], -v[60:61], v[66:67], v[64:65]
	v_div_fmas_f64 v[60:61], v[60:61], v[62:63], v[66:67]
	v_div_fixup_f64 v[50:51], v[60:61], v[50:51], 1.0
; %bb.155:
	s_or_b64 exec, exec, s[0:1]
	v_cmp_ne_u32_e32 vcc, v55, v52
	s_and_saveexec_b64 s[0:1], vcc
	s_xor_b64 s[0:1], exec, s[0:1]
	s_cbranch_execz .LBB44_161
; %bb.156:
	v_cmp_eq_u32_e32 vcc, 9, v55
	s_and_saveexec_b64 s[2:3], vcc
	s_cbranch_execz .LBB44_160
; %bb.157:
	v_cmp_ne_u32_e32 vcc, 9, v52
	s_xor_b64 s[14:15], s[6:7], -1
	s_and_b64 s[16:17], s[14:15], vcc
	s_and_saveexec_b64 s[14:15], s[16:17]
	s_cbranch_execz .LBB44_159
; %bb.158:
	v_ashrrev_i32_e32 v53, 31, v52
	v_lshlrev_b64 v[60:61], 2, v[52:53]
	v_add_co_u32_e32 v60, vcc, v46, v60
	v_addc_co_u32_e32 v61, vcc, v47, v61, vcc
	flat_load_dword v53, v[60:61]
	flat_load_dword v55, v[46:47] offset:36
	s_waitcnt vmcnt(0) lgkmcnt(0)
	flat_store_dword v[46:47], v53 offset:36
	flat_store_dword v[60:61], v55
.LBB44_159:
	s_or_b64 exec, exec, s[14:15]
	v_mov_b32_e32 v53, v52
	v_mov_b32_e32 v55, v52
.LBB44_160:
	s_or_b64 exec, exec, s[2:3]
.LBB44_161:
	s_andn2_saveexec_b64 s[0:1], s[0:1]
	s_cbranch_execz .LBB44_163
; %bb.162:
	v_mov_b32_e32 v60, v16
	v_mov_b32_e32 v61, v17
	v_mov_b32_e32 v62, v8
	v_mov_b32_e32 v63, v9
	ds_write2_b64 v54, v[60:61], v[62:63] offset0:10 offset1:11
	v_mov_b32_e32 v60, v40
	v_mov_b32_e32 v61, v41
	v_mov_b32_e32 v62, v32
	v_mov_b32_e32 v63, v33
	ds_write2_b64 v54, v[60:61], v[62:63] offset0:12 offset1:13
	;; [unrolled: 5-line block ×5, first 2 shown]
	v_mov_b32_e32 v60, v42
	v_mov_b32_e32 v61, v43
	;; [unrolled: 1-line block ×5, first 2 shown]
	ds_write2_b64 v54, v[60:61], v[62:63] offset0:20 offset1:21
	ds_write_b64 v54, v[48:49] offset:176
.LBB44_163:
	s_or_b64 exec, exec, s[0:1]
	v_cmp_lt_i32_e32 vcc, 9, v55
	s_waitcnt lgkmcnt(0)
	s_barrier
	s_and_saveexec_b64 s[0:1], vcc
	s_cbranch_execz .LBB44_165
; %bb.164:
	ds_read2_b64 v[60:63], v54 offset0:10 offset1:11
	ds_read2_b64 v[64:67], v54 offset0:12 offset1:13
	;; [unrolled: 1-line block ×3, first 2 shown]
	v_mul_f64 v[26:27], v[50:51], v[26:27]
	ds_read_b64 v[50:51], v54 offset:176
	s_waitcnt lgkmcnt(0)
	v_fma_f64 v[16:17], -v[26:27], v[60:61], v[16:17]
	v_fma_f64 v[8:9], -v[26:27], v[62:63], v[8:9]
	ds_read2_b64 v[60:63], v54 offset0:16 offset1:17
	v_fma_f64 v[40:41], -v[26:27], v[64:65], v[40:41]
	v_fma_f64 v[32:33], -v[26:27], v[66:67], v[32:33]
	v_fma_f64 v[24:25], -v[26:27], v[68:69], v[24:25]
	v_fma_f64 v[14:15], -v[26:27], v[70:71], v[14:15]
	ds_read2_b64 v[64:67], v54 offset0:18 offset1:19
	ds_read2_b64 v[68:71], v54 offset0:20 offset1:21
	s_waitcnt lgkmcnt(0)
	v_fma_f64 v[44:45], -v[26:27], v[60:61], v[44:45]
	v_fma_f64 v[38:39], -v[26:27], v[62:63], v[38:39]
	;; [unrolled: 1-line block ×7, first 2 shown]
.LBB44_165:
	s_or_b64 exec, exec, s[0:1]
	v_lshl_add_u32 v50, v55, 3, v54
	s_barrier
	ds_write_b64 v50, v[16:17]
	s_waitcnt lgkmcnt(0)
	s_barrier
	ds_read_b64 v[50:51], v54 offset:80
	s_cmp_lt_i32 s12, 12
	v_mov_b32_e32 v52, 10
	s_cbranch_scc1 .LBB44_168
; %bb.166:
	v_add_u32_e32 v59, 0x58, v54
	s_mov_b32 s0, 11
	v_mov_b32_e32 v52, 10
.LBB44_167:                             ; =>This Inner Loop Header: Depth=1
	ds_read_b64 v[60:61], v59
	v_mov_b32_e32 v62, s0
	s_add_i32 s0, s0, 1
	v_add_u32_e32 v59, 8, v59
	s_cmp_lg_u32 s12, s0
	s_waitcnt lgkmcnt(0)
	v_cmp_lt_f64_e64 vcc, |v[50:51]|, |v[60:61]|
	v_cndmask_b32_e32 v51, v51, v61, vcc
	v_cndmask_b32_e32 v50, v50, v60, vcc
	;; [unrolled: 1-line block ×3, first 2 shown]
	s_cbranch_scc1 .LBB44_167
.LBB44_168:
	s_waitcnt lgkmcnt(0)
	v_cmp_eq_f64_e32 vcc, 0, v[50:51]
	s_and_saveexec_b64 s[0:1], vcc
	s_xor_b64 s[0:1], exec, s[0:1]
; %bb.169:
	v_cmp_ne_u32_e32 vcc, 0, v58
	v_cndmask_b32_e32 v58, 11, v58, vcc
; %bb.170:
	s_andn2_saveexec_b64 s[0:1], s[0:1]
; %bb.171:
	v_div_scale_f64 v[60:61], s[2:3], v[50:51], v[50:51], 1.0
	v_rcp_f64_e32 v[62:63], v[60:61]
	v_div_scale_f64 v[64:65], vcc, 1.0, v[50:51], 1.0
	v_fma_f64 v[66:67], -v[60:61], v[62:63], 1.0
	v_fmac_f64_e32 v[62:63], v[62:63], v[66:67]
	v_fma_f64 v[66:67], -v[60:61], v[62:63], 1.0
	v_fmac_f64_e32 v[62:63], v[62:63], v[66:67]
	v_mul_f64 v[66:67], v[64:65], v[62:63]
	v_fma_f64 v[60:61], -v[60:61], v[66:67], v[64:65]
	v_div_fmas_f64 v[60:61], v[60:61], v[62:63], v[66:67]
	v_div_fixup_f64 v[50:51], v[60:61], v[50:51], 1.0
; %bb.172:
	s_or_b64 exec, exec, s[0:1]
	v_cmp_ne_u32_e32 vcc, v55, v52
	s_and_saveexec_b64 s[0:1], vcc
	s_xor_b64 s[0:1], exec, s[0:1]
	s_cbranch_execz .LBB44_178
; %bb.173:
	v_cmp_eq_u32_e32 vcc, 10, v55
	s_and_saveexec_b64 s[2:3], vcc
	s_cbranch_execz .LBB44_177
; %bb.174:
	v_cmp_ne_u32_e32 vcc, 10, v52
	s_xor_b64 s[14:15], s[6:7], -1
	s_and_b64 s[16:17], s[14:15], vcc
	s_and_saveexec_b64 s[14:15], s[16:17]
	s_cbranch_execz .LBB44_176
; %bb.175:
	v_ashrrev_i32_e32 v53, 31, v52
	v_lshlrev_b64 v[60:61], 2, v[52:53]
	v_add_co_u32_e32 v60, vcc, v46, v60
	v_addc_co_u32_e32 v61, vcc, v47, v61, vcc
	flat_load_dword v53, v[60:61]
	flat_load_dword v55, v[46:47] offset:40
	s_waitcnt vmcnt(0) lgkmcnt(0)
	flat_store_dword v[46:47], v53 offset:40
	flat_store_dword v[60:61], v55
.LBB44_176:
	s_or_b64 exec, exec, s[14:15]
	v_mov_b32_e32 v53, v52
	v_mov_b32_e32 v55, v52
.LBB44_177:
	s_or_b64 exec, exec, s[2:3]
.LBB44_178:
	s_andn2_saveexec_b64 s[0:1], s[0:1]
	s_cbranch_execz .LBB44_180
; %bb.179:
	v_mov_b32_e32 v55, 10
	ds_write2_b64 v54, v[8:9], v[40:41] offset0:11 offset1:12
	ds_write2_b64 v54, v[32:33], v[24:25] offset0:13 offset1:14
	;; [unrolled: 1-line block ×6, first 2 shown]
.LBB44_180:
	s_or_b64 exec, exec, s[0:1]
	v_cmp_lt_i32_e32 vcc, 10, v55
	s_waitcnt lgkmcnt(0)
	s_barrier
	s_and_saveexec_b64 s[0:1], vcc
	s_cbranch_execz .LBB44_182
; %bb.181:
	ds_read2_b64 v[60:63], v54 offset0:11 offset1:12
	ds_read2_b64 v[64:67], v54 offset0:13 offset1:14
	;; [unrolled: 1-line block ×3, first 2 shown]
	v_mul_f64 v[16:17], v[50:51], v[16:17]
	s_waitcnt lgkmcnt(0)
	v_fma_f64 v[8:9], -v[16:17], v[60:61], v[8:9]
	v_fma_f64 v[40:41], -v[16:17], v[62:63], v[40:41]
	ds_read2_b64 v[60:63], v54 offset0:17 offset1:18
	v_fma_f64 v[32:33], -v[16:17], v[64:65], v[32:33]
	v_fma_f64 v[24:25], -v[16:17], v[66:67], v[24:25]
	;; [unrolled: 1-line block ×3, first 2 shown]
	ds_read2_b64 v[64:67], v54 offset0:19 offset1:20
	v_fma_f64 v[44:45], -v[16:17], v[70:71], v[44:45]
	ds_read2_b64 v[68:71], v54 offset0:21 offset1:22
	s_waitcnt lgkmcnt(0)
	v_fma_f64 v[38:39], -v[16:17], v[60:61], v[38:39]
	v_fma_f64 v[30:31], -v[16:17], v[62:63], v[30:31]
	;; [unrolled: 1-line block ×6, first 2 shown]
.LBB44_182:
	s_or_b64 exec, exec, s[0:1]
	v_lshl_add_u32 v50, v55, 3, v54
	s_barrier
	ds_write_b64 v50, v[8:9]
	s_waitcnt lgkmcnt(0)
	s_barrier
	ds_read_b64 v[50:51], v54 offset:88
	s_cmp_lt_i32 s12, 13
	v_mov_b32_e32 v52, 11
	s_cbranch_scc1 .LBB44_185
; %bb.183:
	v_add_u32_e32 v59, 0x60, v54
	s_mov_b32 s0, 12
	v_mov_b32_e32 v52, 11
.LBB44_184:                             ; =>This Inner Loop Header: Depth=1
	ds_read_b64 v[60:61], v59
	v_mov_b32_e32 v62, s0
	s_add_i32 s0, s0, 1
	v_add_u32_e32 v59, 8, v59
	s_cmp_lg_u32 s12, s0
	s_waitcnt lgkmcnt(0)
	v_cmp_lt_f64_e64 vcc, |v[50:51]|, |v[60:61]|
	v_cndmask_b32_e32 v51, v51, v61, vcc
	v_cndmask_b32_e32 v50, v50, v60, vcc
	v_cndmask_b32_e32 v52, v52, v62, vcc
	s_cbranch_scc1 .LBB44_184
.LBB44_185:
	s_waitcnt lgkmcnt(0)
	v_cmp_eq_f64_e32 vcc, 0, v[50:51]
	s_and_saveexec_b64 s[0:1], vcc
	s_xor_b64 s[0:1], exec, s[0:1]
; %bb.186:
	v_cmp_ne_u32_e32 vcc, 0, v58
	v_cndmask_b32_e32 v58, 12, v58, vcc
; %bb.187:
	s_andn2_saveexec_b64 s[0:1], s[0:1]
; %bb.188:
	v_div_scale_f64 v[60:61], s[2:3], v[50:51], v[50:51], 1.0
	v_rcp_f64_e32 v[62:63], v[60:61]
	v_div_scale_f64 v[64:65], vcc, 1.0, v[50:51], 1.0
	v_fma_f64 v[66:67], -v[60:61], v[62:63], 1.0
	v_fmac_f64_e32 v[62:63], v[62:63], v[66:67]
	v_fma_f64 v[66:67], -v[60:61], v[62:63], 1.0
	v_fmac_f64_e32 v[62:63], v[62:63], v[66:67]
	v_mul_f64 v[66:67], v[64:65], v[62:63]
	v_fma_f64 v[60:61], -v[60:61], v[66:67], v[64:65]
	v_div_fmas_f64 v[60:61], v[60:61], v[62:63], v[66:67]
	v_div_fixup_f64 v[50:51], v[60:61], v[50:51], 1.0
; %bb.189:
	s_or_b64 exec, exec, s[0:1]
	v_cmp_ne_u32_e32 vcc, v55, v52
	s_and_saveexec_b64 s[0:1], vcc
	s_xor_b64 s[0:1], exec, s[0:1]
	s_cbranch_execz .LBB44_195
; %bb.190:
	v_cmp_eq_u32_e32 vcc, 11, v55
	s_and_saveexec_b64 s[2:3], vcc
	s_cbranch_execz .LBB44_194
; %bb.191:
	v_cmp_ne_u32_e32 vcc, 11, v52
	s_xor_b64 s[14:15], s[6:7], -1
	s_and_b64 s[16:17], s[14:15], vcc
	s_and_saveexec_b64 s[14:15], s[16:17]
	s_cbranch_execz .LBB44_193
; %bb.192:
	v_ashrrev_i32_e32 v53, 31, v52
	v_lshlrev_b64 v[60:61], 2, v[52:53]
	v_add_co_u32_e32 v60, vcc, v46, v60
	v_addc_co_u32_e32 v61, vcc, v47, v61, vcc
	flat_load_dword v53, v[60:61]
	flat_load_dword v55, v[46:47] offset:44
	s_waitcnt vmcnt(0) lgkmcnt(0)
	flat_store_dword v[46:47], v53 offset:44
	flat_store_dword v[60:61], v55
.LBB44_193:
	s_or_b64 exec, exec, s[14:15]
	v_mov_b32_e32 v53, v52
	v_mov_b32_e32 v55, v52
.LBB44_194:
	s_or_b64 exec, exec, s[2:3]
.LBB44_195:
	s_andn2_saveexec_b64 s[0:1], s[0:1]
	s_cbranch_execz .LBB44_197
; %bb.196:
	v_mov_b32_e32 v60, v40
	v_mov_b32_e32 v61, v41
	v_mov_b32_e32 v62, v32
	v_mov_b32_e32 v63, v33
	ds_write2_b64 v54, v[60:61], v[62:63] offset0:12 offset1:13
	v_mov_b32_e32 v60, v24
	v_mov_b32_e32 v61, v25
	v_mov_b32_e32 v62, v14
	v_mov_b32_e32 v63, v15
	ds_write2_b64 v54, v[60:61], v[62:63] offset0:14 offset1:15
	;; [unrolled: 5-line block ×4, first 2 shown]
	v_mov_b32_e32 v60, v42
	v_mov_b32_e32 v61, v43
	;; [unrolled: 1-line block ×5, first 2 shown]
	ds_write2_b64 v54, v[60:61], v[62:63] offset0:20 offset1:21
	ds_write_b64 v54, v[48:49] offset:176
.LBB44_197:
	s_or_b64 exec, exec, s[0:1]
	v_cmp_lt_i32_e32 vcc, 11, v55
	s_waitcnt lgkmcnt(0)
	s_barrier
	s_and_saveexec_b64 s[0:1], vcc
	s_cbranch_execz .LBB44_199
; %bb.198:
	ds_read2_b64 v[60:63], v54 offset0:12 offset1:13
	ds_read2_b64 v[64:67], v54 offset0:14 offset1:15
	v_mul_f64 v[8:9], v[50:51], v[8:9]
	ds_read2_b64 v[68:71], v54 offset0:16 offset1:17
	ds_read_b64 v[50:51], v54 offset:176
	s_waitcnt lgkmcnt(0)
	v_fma_f64 v[40:41], -v[8:9], v[60:61], v[40:41]
	v_fma_f64 v[32:33], -v[8:9], v[62:63], v[32:33]
	ds_read2_b64 v[60:63], v54 offset0:18 offset1:19
	v_fma_f64 v[24:25], -v[8:9], v[64:65], v[24:25]
	v_fma_f64 v[14:15], -v[8:9], v[66:67], v[14:15]
	ds_read2_b64 v[64:67], v54 offset0:20 offset1:21
	v_fma_f64 v[44:45], -v[8:9], v[68:69], v[44:45]
	v_fma_f64 v[38:39], -v[8:9], v[70:71], v[38:39]
	s_waitcnt lgkmcnt(0)
	v_fma_f64 v[30:31], -v[8:9], v[60:61], v[30:31]
	v_fma_f64 v[22:23], -v[8:9], v[62:63], v[22:23]
	;; [unrolled: 1-line block ×5, first 2 shown]
.LBB44_199:
	s_or_b64 exec, exec, s[0:1]
	v_lshl_add_u32 v50, v55, 3, v54
	s_barrier
	ds_write_b64 v50, v[40:41]
	s_waitcnt lgkmcnt(0)
	s_barrier
	ds_read_b64 v[50:51], v54 offset:96
	s_cmp_lt_i32 s12, 14
	v_mov_b32_e32 v52, 12
	s_cbranch_scc1 .LBB44_202
; %bb.200:
	v_add_u32_e32 v59, 0x68, v54
	s_mov_b32 s0, 13
	v_mov_b32_e32 v52, 12
.LBB44_201:                             ; =>This Inner Loop Header: Depth=1
	ds_read_b64 v[60:61], v59
	v_mov_b32_e32 v62, s0
	s_add_i32 s0, s0, 1
	v_add_u32_e32 v59, 8, v59
	s_cmp_lg_u32 s12, s0
	s_waitcnt lgkmcnt(0)
	v_cmp_lt_f64_e64 vcc, |v[50:51]|, |v[60:61]|
	v_cndmask_b32_e32 v51, v51, v61, vcc
	v_cndmask_b32_e32 v50, v50, v60, vcc
	;; [unrolled: 1-line block ×3, first 2 shown]
	s_cbranch_scc1 .LBB44_201
.LBB44_202:
	s_waitcnt lgkmcnt(0)
	v_cmp_eq_f64_e32 vcc, 0, v[50:51]
	s_and_saveexec_b64 s[0:1], vcc
	s_xor_b64 s[0:1], exec, s[0:1]
; %bb.203:
	v_cmp_ne_u32_e32 vcc, 0, v58
	v_cndmask_b32_e32 v58, 13, v58, vcc
; %bb.204:
	s_andn2_saveexec_b64 s[0:1], s[0:1]
; %bb.205:
	v_div_scale_f64 v[60:61], s[2:3], v[50:51], v[50:51], 1.0
	v_rcp_f64_e32 v[62:63], v[60:61]
	v_div_scale_f64 v[64:65], vcc, 1.0, v[50:51], 1.0
	v_fma_f64 v[66:67], -v[60:61], v[62:63], 1.0
	v_fmac_f64_e32 v[62:63], v[62:63], v[66:67]
	v_fma_f64 v[66:67], -v[60:61], v[62:63], 1.0
	v_fmac_f64_e32 v[62:63], v[62:63], v[66:67]
	v_mul_f64 v[66:67], v[64:65], v[62:63]
	v_fma_f64 v[60:61], -v[60:61], v[66:67], v[64:65]
	v_div_fmas_f64 v[60:61], v[60:61], v[62:63], v[66:67]
	v_div_fixup_f64 v[50:51], v[60:61], v[50:51], 1.0
; %bb.206:
	s_or_b64 exec, exec, s[0:1]
	v_cmp_ne_u32_e32 vcc, v55, v52
	s_and_saveexec_b64 s[0:1], vcc
	s_xor_b64 s[0:1], exec, s[0:1]
	s_cbranch_execz .LBB44_212
; %bb.207:
	v_cmp_eq_u32_e32 vcc, 12, v55
	s_and_saveexec_b64 s[2:3], vcc
	s_cbranch_execz .LBB44_211
; %bb.208:
	v_cmp_ne_u32_e32 vcc, 12, v52
	s_xor_b64 s[14:15], s[6:7], -1
	s_and_b64 s[16:17], s[14:15], vcc
	s_and_saveexec_b64 s[14:15], s[16:17]
	s_cbranch_execz .LBB44_210
; %bb.209:
	v_ashrrev_i32_e32 v53, 31, v52
	v_lshlrev_b64 v[60:61], 2, v[52:53]
	v_add_co_u32_e32 v60, vcc, v46, v60
	v_addc_co_u32_e32 v61, vcc, v47, v61, vcc
	flat_load_dword v53, v[60:61]
	flat_load_dword v55, v[46:47] offset:48
	s_waitcnt vmcnt(0) lgkmcnt(0)
	flat_store_dword v[46:47], v53 offset:48
	flat_store_dword v[60:61], v55
.LBB44_210:
	s_or_b64 exec, exec, s[14:15]
	v_mov_b32_e32 v53, v52
	v_mov_b32_e32 v55, v52
.LBB44_211:
	s_or_b64 exec, exec, s[2:3]
.LBB44_212:
	s_andn2_saveexec_b64 s[0:1], s[0:1]
	s_cbranch_execz .LBB44_214
; %bb.213:
	v_mov_b32_e32 v55, 12
	ds_write2_b64 v54, v[32:33], v[24:25] offset0:13 offset1:14
	ds_write2_b64 v54, v[14:15], v[44:45] offset0:15 offset1:16
	;; [unrolled: 1-line block ×5, first 2 shown]
.LBB44_214:
	s_or_b64 exec, exec, s[0:1]
	v_cmp_lt_i32_e32 vcc, 12, v55
	s_waitcnt lgkmcnt(0)
	s_barrier
	s_and_saveexec_b64 s[0:1], vcc
	s_cbranch_execz .LBB44_216
; %bb.215:
	ds_read2_b64 v[60:63], v54 offset0:13 offset1:14
	ds_read2_b64 v[64:67], v54 offset0:15 offset1:16
	v_mul_f64 v[40:41], v[50:51], v[40:41]
	ds_read2_b64 v[68:71], v54 offset0:19 offset1:20
	s_waitcnt lgkmcnt(0)
	v_fma_f64 v[32:33], -v[40:41], v[60:61], v[32:33]
	v_fma_f64 v[24:25], -v[40:41], v[62:63], v[24:25]
	ds_read2_b64 v[60:63], v54 offset0:17 offset1:18
	v_fma_f64 v[14:15], -v[40:41], v[64:65], v[14:15]
	v_fma_f64 v[44:45], -v[40:41], v[66:67], v[44:45]
	ds_read2_b64 v[64:67], v54 offset0:21 offset1:22
	v_fma_f64 v[22:23], -v[40:41], v[68:69], v[22:23]
	s_waitcnt lgkmcnt(0)
	v_fma_f64 v[38:39], -v[40:41], v[60:61], v[38:39]
	v_fma_f64 v[30:31], -v[40:41], v[62:63], v[30:31]
	;; [unrolled: 1-line block ×5, first 2 shown]
.LBB44_216:
	s_or_b64 exec, exec, s[0:1]
	v_lshl_add_u32 v50, v55, 3, v54
	s_barrier
	ds_write_b64 v50, v[32:33]
	s_waitcnt lgkmcnt(0)
	s_barrier
	ds_read_b64 v[50:51], v54 offset:104
	s_cmp_lt_i32 s12, 15
	v_mov_b32_e32 v52, 13
	s_cbranch_scc1 .LBB44_219
; %bb.217:
	v_add_u32_e32 v59, 0x70, v54
	s_mov_b32 s0, 14
	v_mov_b32_e32 v52, 13
.LBB44_218:                             ; =>This Inner Loop Header: Depth=1
	ds_read_b64 v[60:61], v59
	v_mov_b32_e32 v62, s0
	s_add_i32 s0, s0, 1
	v_add_u32_e32 v59, 8, v59
	s_cmp_lg_u32 s12, s0
	s_waitcnt lgkmcnt(0)
	v_cmp_lt_f64_e64 vcc, |v[50:51]|, |v[60:61]|
	v_cndmask_b32_e32 v51, v51, v61, vcc
	v_cndmask_b32_e32 v50, v50, v60, vcc
	;; [unrolled: 1-line block ×3, first 2 shown]
	s_cbranch_scc1 .LBB44_218
.LBB44_219:
	s_waitcnt lgkmcnt(0)
	v_cmp_eq_f64_e32 vcc, 0, v[50:51]
	s_and_saveexec_b64 s[0:1], vcc
	s_xor_b64 s[0:1], exec, s[0:1]
; %bb.220:
	v_cmp_ne_u32_e32 vcc, 0, v58
	v_cndmask_b32_e32 v58, 14, v58, vcc
; %bb.221:
	s_andn2_saveexec_b64 s[0:1], s[0:1]
; %bb.222:
	v_div_scale_f64 v[60:61], s[2:3], v[50:51], v[50:51], 1.0
	v_rcp_f64_e32 v[62:63], v[60:61]
	v_div_scale_f64 v[64:65], vcc, 1.0, v[50:51], 1.0
	v_fma_f64 v[66:67], -v[60:61], v[62:63], 1.0
	v_fmac_f64_e32 v[62:63], v[62:63], v[66:67]
	v_fma_f64 v[66:67], -v[60:61], v[62:63], 1.0
	v_fmac_f64_e32 v[62:63], v[62:63], v[66:67]
	v_mul_f64 v[66:67], v[64:65], v[62:63]
	v_fma_f64 v[60:61], -v[60:61], v[66:67], v[64:65]
	v_div_fmas_f64 v[60:61], v[60:61], v[62:63], v[66:67]
	v_div_fixup_f64 v[50:51], v[60:61], v[50:51], 1.0
; %bb.223:
	s_or_b64 exec, exec, s[0:1]
	v_cmp_ne_u32_e32 vcc, v55, v52
	s_and_saveexec_b64 s[0:1], vcc
	s_xor_b64 s[0:1], exec, s[0:1]
	s_cbranch_execz .LBB44_229
; %bb.224:
	v_cmp_eq_u32_e32 vcc, 13, v55
	s_and_saveexec_b64 s[2:3], vcc
	s_cbranch_execz .LBB44_228
; %bb.225:
	v_cmp_ne_u32_e32 vcc, 13, v52
	s_xor_b64 s[14:15], s[6:7], -1
	s_and_b64 s[16:17], s[14:15], vcc
	s_and_saveexec_b64 s[14:15], s[16:17]
	s_cbranch_execz .LBB44_227
; %bb.226:
	v_ashrrev_i32_e32 v53, 31, v52
	v_lshlrev_b64 v[60:61], 2, v[52:53]
	v_add_co_u32_e32 v60, vcc, v46, v60
	v_addc_co_u32_e32 v61, vcc, v47, v61, vcc
	flat_load_dword v53, v[60:61]
	flat_load_dword v55, v[46:47] offset:52
	s_waitcnt vmcnt(0) lgkmcnt(0)
	flat_store_dword v[46:47], v53 offset:52
	flat_store_dword v[60:61], v55
.LBB44_227:
	s_or_b64 exec, exec, s[14:15]
	v_mov_b32_e32 v53, v52
	v_mov_b32_e32 v55, v52
.LBB44_228:
	s_or_b64 exec, exec, s[2:3]
.LBB44_229:
	s_andn2_saveexec_b64 s[0:1], s[0:1]
	s_cbranch_execz .LBB44_231
; %bb.230:
	v_mov_b32_e32 v60, v24
	v_mov_b32_e32 v61, v25
	v_mov_b32_e32 v62, v14
	v_mov_b32_e32 v63, v15
	ds_write2_b64 v54, v[60:61], v[62:63] offset0:14 offset1:15
	v_mov_b32_e32 v60, v44
	v_mov_b32_e32 v61, v45
	v_mov_b32_e32 v62, v38
	v_mov_b32_e32 v63, v39
	ds_write2_b64 v54, v[60:61], v[62:63] offset0:16 offset1:17
	;; [unrolled: 5-line block ×3, first 2 shown]
	v_mov_b32_e32 v60, v42
	v_mov_b32_e32 v61, v43
	;; [unrolled: 1-line block ×5, first 2 shown]
	ds_write2_b64 v54, v[60:61], v[62:63] offset0:20 offset1:21
	ds_write_b64 v54, v[48:49] offset:176
.LBB44_231:
	s_or_b64 exec, exec, s[0:1]
	v_cmp_lt_i32_e32 vcc, 13, v55
	s_waitcnt lgkmcnt(0)
	s_barrier
	s_and_saveexec_b64 s[0:1], vcc
	s_cbranch_execz .LBB44_233
; %bb.232:
	ds_read2_b64 v[60:63], v54 offset0:14 offset1:15
	ds_read2_b64 v[64:67], v54 offset0:16 offset1:17
	v_mul_f64 v[32:33], v[50:51], v[32:33]
	ds_read_b64 v[50:51], v54 offset:176
	ds_read2_b64 v[68:71], v54 offset0:20 offset1:21
	s_waitcnt lgkmcnt(0)
	v_fma_f64 v[24:25], -v[32:33], v[60:61], v[24:25]
	v_fma_f64 v[14:15], -v[32:33], v[62:63], v[14:15]
	ds_read2_b64 v[60:63], v54 offset0:18 offset1:19
	v_fma_f64 v[44:45], -v[32:33], v[64:65], v[44:45]
	v_fma_f64 v[38:39], -v[32:33], v[66:67], v[38:39]
	;; [unrolled: 1-line block ×4, first 2 shown]
	s_waitcnt lgkmcnt(0)
	v_fma_f64 v[30:31], -v[32:33], v[60:61], v[30:31]
	v_fma_f64 v[22:23], -v[32:33], v[62:63], v[22:23]
	;; [unrolled: 1-line block ×3, first 2 shown]
.LBB44_233:
	s_or_b64 exec, exec, s[0:1]
	v_lshl_add_u32 v50, v55, 3, v54
	s_barrier
	ds_write_b64 v50, v[24:25]
	s_waitcnt lgkmcnt(0)
	s_barrier
	ds_read_b64 v[50:51], v54 offset:112
	s_cmp_lt_i32 s12, 16
	v_mov_b32_e32 v52, 14
	s_cbranch_scc1 .LBB44_236
; %bb.234:
	v_add_u32_e32 v59, 0x78, v54
	s_mov_b32 s0, 15
	v_mov_b32_e32 v52, 14
.LBB44_235:                             ; =>This Inner Loop Header: Depth=1
	ds_read_b64 v[60:61], v59
	v_mov_b32_e32 v62, s0
	s_add_i32 s0, s0, 1
	v_add_u32_e32 v59, 8, v59
	s_cmp_lg_u32 s12, s0
	s_waitcnt lgkmcnt(0)
	v_cmp_lt_f64_e64 vcc, |v[50:51]|, |v[60:61]|
	v_cndmask_b32_e32 v51, v51, v61, vcc
	v_cndmask_b32_e32 v50, v50, v60, vcc
	;; [unrolled: 1-line block ×3, first 2 shown]
	s_cbranch_scc1 .LBB44_235
.LBB44_236:
	s_waitcnt lgkmcnt(0)
	v_cmp_eq_f64_e32 vcc, 0, v[50:51]
	s_and_saveexec_b64 s[0:1], vcc
	s_xor_b64 s[0:1], exec, s[0:1]
; %bb.237:
	v_cmp_ne_u32_e32 vcc, 0, v58
	v_cndmask_b32_e32 v58, 15, v58, vcc
; %bb.238:
	s_andn2_saveexec_b64 s[0:1], s[0:1]
; %bb.239:
	v_div_scale_f64 v[60:61], s[2:3], v[50:51], v[50:51], 1.0
	v_rcp_f64_e32 v[62:63], v[60:61]
	v_div_scale_f64 v[64:65], vcc, 1.0, v[50:51], 1.0
	v_fma_f64 v[66:67], -v[60:61], v[62:63], 1.0
	v_fmac_f64_e32 v[62:63], v[62:63], v[66:67]
	v_fma_f64 v[66:67], -v[60:61], v[62:63], 1.0
	v_fmac_f64_e32 v[62:63], v[62:63], v[66:67]
	v_mul_f64 v[66:67], v[64:65], v[62:63]
	v_fma_f64 v[60:61], -v[60:61], v[66:67], v[64:65]
	v_div_fmas_f64 v[60:61], v[60:61], v[62:63], v[66:67]
	v_div_fixup_f64 v[50:51], v[60:61], v[50:51], 1.0
; %bb.240:
	s_or_b64 exec, exec, s[0:1]
	v_cmp_ne_u32_e32 vcc, v55, v52
	s_and_saveexec_b64 s[0:1], vcc
	s_xor_b64 s[0:1], exec, s[0:1]
	s_cbranch_execz .LBB44_246
; %bb.241:
	v_cmp_eq_u32_e32 vcc, 14, v55
	s_and_saveexec_b64 s[2:3], vcc
	s_cbranch_execz .LBB44_245
; %bb.242:
	v_cmp_ne_u32_e32 vcc, 14, v52
	s_xor_b64 s[14:15], s[6:7], -1
	s_and_b64 s[16:17], s[14:15], vcc
	s_and_saveexec_b64 s[14:15], s[16:17]
	s_cbranch_execz .LBB44_244
; %bb.243:
	v_ashrrev_i32_e32 v53, 31, v52
	v_lshlrev_b64 v[60:61], 2, v[52:53]
	v_add_co_u32_e32 v60, vcc, v46, v60
	v_addc_co_u32_e32 v61, vcc, v47, v61, vcc
	flat_load_dword v53, v[60:61]
	flat_load_dword v55, v[46:47] offset:56
	s_waitcnt vmcnt(0) lgkmcnt(0)
	flat_store_dword v[46:47], v53 offset:56
	flat_store_dword v[60:61], v55
.LBB44_244:
	s_or_b64 exec, exec, s[14:15]
	v_mov_b32_e32 v53, v52
	v_mov_b32_e32 v55, v52
.LBB44_245:
	s_or_b64 exec, exec, s[2:3]
.LBB44_246:
	s_andn2_saveexec_b64 s[0:1], s[0:1]
	s_cbranch_execz .LBB44_248
; %bb.247:
	v_mov_b32_e32 v55, 14
	ds_write2_b64 v54, v[14:15], v[44:45] offset0:15 offset1:16
	ds_write2_b64 v54, v[38:39], v[30:31] offset0:17 offset1:18
	;; [unrolled: 1-line block ×4, first 2 shown]
.LBB44_248:
	s_or_b64 exec, exec, s[0:1]
	v_cmp_lt_i32_e32 vcc, 14, v55
	s_waitcnt lgkmcnt(0)
	s_barrier
	s_and_saveexec_b64 s[0:1], vcc
	s_cbranch_execz .LBB44_250
; %bb.249:
	ds_read2_b64 v[60:63], v54 offset0:15 offset1:16
	ds_read2_b64 v[64:67], v54 offset0:17 offset1:18
	v_mul_f64 v[24:25], v[50:51], v[24:25]
	ds_read2_b64 v[68:71], v54 offset0:19 offset1:20
	s_waitcnt lgkmcnt(0)
	v_fma_f64 v[14:15], -v[24:25], v[60:61], v[14:15]
	v_fma_f64 v[44:45], -v[24:25], v[62:63], v[44:45]
	ds_read2_b64 v[60:63], v54 offset0:21 offset1:22
	v_fma_f64 v[38:39], -v[24:25], v[64:65], v[38:39]
	v_fma_f64 v[30:31], -v[24:25], v[66:67], v[30:31]
	;; [unrolled: 1-line block ×4, first 2 shown]
	s_waitcnt lgkmcnt(0)
	v_fma_f64 v[36:37], -v[24:25], v[60:61], v[36:37]
	v_fma_f64 v[48:49], -v[24:25], v[62:63], v[48:49]
.LBB44_250:
	s_or_b64 exec, exec, s[0:1]
	v_lshl_add_u32 v50, v55, 3, v54
	s_barrier
	ds_write_b64 v50, v[14:15]
	s_waitcnt lgkmcnt(0)
	s_barrier
	ds_read_b64 v[50:51], v54 offset:120
	s_cmp_lt_i32 s12, 17
	v_mov_b32_e32 v52, 15
	s_cbranch_scc1 .LBB44_253
; %bb.251:
	v_add_u32_e32 v59, 0x80, v54
	s_mov_b32 s0, 16
	v_mov_b32_e32 v52, 15
.LBB44_252:                             ; =>This Inner Loop Header: Depth=1
	ds_read_b64 v[60:61], v59
	v_mov_b32_e32 v62, s0
	s_add_i32 s0, s0, 1
	v_add_u32_e32 v59, 8, v59
	s_cmp_lg_u32 s12, s0
	s_waitcnt lgkmcnt(0)
	v_cmp_lt_f64_e64 vcc, |v[50:51]|, |v[60:61]|
	v_cndmask_b32_e32 v51, v51, v61, vcc
	v_cndmask_b32_e32 v50, v50, v60, vcc
	;; [unrolled: 1-line block ×3, first 2 shown]
	s_cbranch_scc1 .LBB44_252
.LBB44_253:
	s_waitcnt lgkmcnt(0)
	v_cmp_eq_f64_e32 vcc, 0, v[50:51]
	s_and_saveexec_b64 s[0:1], vcc
	s_xor_b64 s[0:1], exec, s[0:1]
; %bb.254:
	v_cmp_ne_u32_e32 vcc, 0, v58
	v_cndmask_b32_e32 v58, 16, v58, vcc
; %bb.255:
	s_andn2_saveexec_b64 s[0:1], s[0:1]
; %bb.256:
	v_div_scale_f64 v[60:61], s[2:3], v[50:51], v[50:51], 1.0
	v_rcp_f64_e32 v[62:63], v[60:61]
	v_div_scale_f64 v[64:65], vcc, 1.0, v[50:51], 1.0
	v_fma_f64 v[66:67], -v[60:61], v[62:63], 1.0
	v_fmac_f64_e32 v[62:63], v[62:63], v[66:67]
	v_fma_f64 v[66:67], -v[60:61], v[62:63], 1.0
	v_fmac_f64_e32 v[62:63], v[62:63], v[66:67]
	v_mul_f64 v[66:67], v[64:65], v[62:63]
	v_fma_f64 v[60:61], -v[60:61], v[66:67], v[64:65]
	v_div_fmas_f64 v[60:61], v[60:61], v[62:63], v[66:67]
	v_div_fixup_f64 v[50:51], v[60:61], v[50:51], 1.0
; %bb.257:
	s_or_b64 exec, exec, s[0:1]
	v_cmp_ne_u32_e32 vcc, v55, v52
	s_and_saveexec_b64 s[0:1], vcc
	s_xor_b64 s[0:1], exec, s[0:1]
	s_cbranch_execz .LBB44_263
; %bb.258:
	v_cmp_eq_u32_e32 vcc, 15, v55
	s_and_saveexec_b64 s[2:3], vcc
	s_cbranch_execz .LBB44_262
; %bb.259:
	v_cmp_ne_u32_e32 vcc, 15, v52
	s_xor_b64 s[14:15], s[6:7], -1
	s_and_b64 s[16:17], s[14:15], vcc
	s_and_saveexec_b64 s[14:15], s[16:17]
	s_cbranch_execz .LBB44_261
; %bb.260:
	v_ashrrev_i32_e32 v53, 31, v52
	v_lshlrev_b64 v[60:61], 2, v[52:53]
	v_add_co_u32_e32 v60, vcc, v46, v60
	v_addc_co_u32_e32 v61, vcc, v47, v61, vcc
	flat_load_dword v53, v[60:61]
	flat_load_dword v55, v[46:47] offset:60
	s_waitcnt vmcnt(0) lgkmcnt(0)
	flat_store_dword v[46:47], v53 offset:60
	flat_store_dword v[60:61], v55
.LBB44_261:
	s_or_b64 exec, exec, s[14:15]
	v_mov_b32_e32 v53, v52
	v_mov_b32_e32 v55, v52
.LBB44_262:
	s_or_b64 exec, exec, s[2:3]
.LBB44_263:
	s_andn2_saveexec_b64 s[0:1], s[0:1]
	s_cbranch_execz .LBB44_265
; %bb.264:
	v_mov_b32_e32 v60, v44
	v_mov_b32_e32 v61, v45
	;; [unrolled: 1-line block ×4, first 2 shown]
	ds_write2_b64 v54, v[60:61], v[62:63] offset0:16 offset1:17
	v_mov_b32_e32 v60, v30
	v_mov_b32_e32 v61, v31
	;; [unrolled: 1-line block ×4, first 2 shown]
	ds_write2_b64 v54, v[60:61], v[62:63] offset0:18 offset1:19
	v_mov_b32_e32 v60, v42
	v_mov_b32_e32 v61, v43
	;; [unrolled: 1-line block ×5, first 2 shown]
	ds_write2_b64 v54, v[60:61], v[62:63] offset0:20 offset1:21
	ds_write_b64 v54, v[48:49] offset:176
.LBB44_265:
	s_or_b64 exec, exec, s[0:1]
	v_cmp_lt_i32_e32 vcc, 15, v55
	s_waitcnt lgkmcnt(0)
	s_barrier
	s_and_saveexec_b64 s[0:1], vcc
	s_cbranch_execz .LBB44_267
; %bb.266:
	ds_read2_b64 v[60:63], v54 offset0:16 offset1:17
	ds_read2_b64 v[64:67], v54 offset0:18 offset1:19
	v_mul_f64 v[14:15], v[50:51], v[14:15]
	ds_read2_b64 v[68:71], v54 offset0:20 offset1:21
	ds_read_b64 v[50:51], v54 offset:176
	s_waitcnt lgkmcnt(0)
	v_fma_f64 v[44:45], -v[14:15], v[60:61], v[44:45]
	v_fma_f64 v[38:39], -v[14:15], v[62:63], v[38:39]
	;; [unrolled: 1-line block ×7, first 2 shown]
.LBB44_267:
	s_or_b64 exec, exec, s[0:1]
	v_lshl_add_u32 v50, v55, 3, v54
	s_barrier
	ds_write_b64 v50, v[44:45]
	s_waitcnt lgkmcnt(0)
	s_barrier
	ds_read_b64 v[50:51], v54 offset:128
	s_cmp_lt_i32 s12, 18
	v_mov_b32_e32 v52, 16
	s_cbranch_scc1 .LBB44_270
; %bb.268:
	v_add_u32_e32 v59, 0x88, v54
	s_mov_b32 s0, 17
	v_mov_b32_e32 v52, 16
.LBB44_269:                             ; =>This Inner Loop Header: Depth=1
	ds_read_b64 v[60:61], v59
	v_mov_b32_e32 v62, s0
	s_add_i32 s0, s0, 1
	v_add_u32_e32 v59, 8, v59
	s_cmp_lg_u32 s12, s0
	s_waitcnt lgkmcnt(0)
	v_cmp_lt_f64_e64 vcc, |v[50:51]|, |v[60:61]|
	v_cndmask_b32_e32 v51, v51, v61, vcc
	v_cndmask_b32_e32 v50, v50, v60, vcc
	;; [unrolled: 1-line block ×3, first 2 shown]
	s_cbranch_scc1 .LBB44_269
.LBB44_270:
	s_waitcnt lgkmcnt(0)
	v_cmp_eq_f64_e32 vcc, 0, v[50:51]
	s_and_saveexec_b64 s[0:1], vcc
	s_xor_b64 s[0:1], exec, s[0:1]
; %bb.271:
	v_cmp_ne_u32_e32 vcc, 0, v58
	v_cndmask_b32_e32 v58, 17, v58, vcc
; %bb.272:
	s_andn2_saveexec_b64 s[0:1], s[0:1]
; %bb.273:
	v_div_scale_f64 v[60:61], s[2:3], v[50:51], v[50:51], 1.0
	v_rcp_f64_e32 v[62:63], v[60:61]
	v_div_scale_f64 v[64:65], vcc, 1.0, v[50:51], 1.0
	v_fma_f64 v[66:67], -v[60:61], v[62:63], 1.0
	v_fmac_f64_e32 v[62:63], v[62:63], v[66:67]
	v_fma_f64 v[66:67], -v[60:61], v[62:63], 1.0
	v_fmac_f64_e32 v[62:63], v[62:63], v[66:67]
	v_mul_f64 v[66:67], v[64:65], v[62:63]
	v_fma_f64 v[60:61], -v[60:61], v[66:67], v[64:65]
	v_div_fmas_f64 v[60:61], v[60:61], v[62:63], v[66:67]
	v_div_fixup_f64 v[50:51], v[60:61], v[50:51], 1.0
; %bb.274:
	s_or_b64 exec, exec, s[0:1]
	v_cmp_ne_u32_e32 vcc, v55, v52
	s_and_saveexec_b64 s[0:1], vcc
	s_xor_b64 s[0:1], exec, s[0:1]
	s_cbranch_execz .LBB44_280
; %bb.275:
	v_cmp_eq_u32_e32 vcc, 16, v55
	s_and_saveexec_b64 s[2:3], vcc
	s_cbranch_execz .LBB44_279
; %bb.276:
	v_cmp_ne_u32_e32 vcc, 16, v52
	s_xor_b64 s[14:15], s[6:7], -1
	s_and_b64 s[16:17], s[14:15], vcc
	s_and_saveexec_b64 s[14:15], s[16:17]
	s_cbranch_execz .LBB44_278
; %bb.277:
	v_ashrrev_i32_e32 v53, 31, v52
	v_lshlrev_b64 v[60:61], 2, v[52:53]
	v_add_co_u32_e32 v60, vcc, v46, v60
	v_addc_co_u32_e32 v61, vcc, v47, v61, vcc
	flat_load_dword v53, v[60:61]
	flat_load_dword v55, v[46:47] offset:64
	s_waitcnt vmcnt(0) lgkmcnt(0)
	flat_store_dword v[46:47], v53 offset:64
	flat_store_dword v[60:61], v55
.LBB44_278:
	s_or_b64 exec, exec, s[14:15]
	v_mov_b32_e32 v53, v52
	v_mov_b32_e32 v55, v52
.LBB44_279:
	s_or_b64 exec, exec, s[2:3]
.LBB44_280:
	s_andn2_saveexec_b64 s[0:1], s[0:1]
	s_cbranch_execz .LBB44_282
; %bb.281:
	v_mov_b32_e32 v55, 16
	ds_write2_b64 v54, v[38:39], v[30:31] offset0:17 offset1:18
	ds_write2_b64 v54, v[22:23], v[42:43] offset0:19 offset1:20
	;; [unrolled: 1-line block ×3, first 2 shown]
.LBB44_282:
	s_or_b64 exec, exec, s[0:1]
	v_cmp_lt_i32_e32 vcc, 16, v55
	s_waitcnt lgkmcnt(0)
	s_barrier
	s_and_saveexec_b64 s[0:1], vcc
	s_cbranch_execz .LBB44_284
; %bb.283:
	ds_read2_b64 v[60:63], v54 offset0:17 offset1:18
	ds_read2_b64 v[64:67], v54 offset0:19 offset1:20
	;; [unrolled: 1-line block ×3, first 2 shown]
	v_mul_f64 v[44:45], v[50:51], v[44:45]
	s_waitcnt lgkmcnt(0)
	v_fma_f64 v[38:39], -v[44:45], v[60:61], v[38:39]
	v_fma_f64 v[30:31], -v[44:45], v[62:63], v[30:31]
	;; [unrolled: 1-line block ×6, first 2 shown]
.LBB44_284:
	s_or_b64 exec, exec, s[0:1]
	v_lshl_add_u32 v50, v55, 3, v54
	s_barrier
	ds_write_b64 v50, v[38:39]
	s_waitcnt lgkmcnt(0)
	s_barrier
	ds_read_b64 v[50:51], v54 offset:136
	s_cmp_lt_i32 s12, 19
	v_mov_b32_e32 v52, 17
	s_cbranch_scc1 .LBB44_287
; %bb.285:
	v_add_u32_e32 v59, 0x90, v54
	s_mov_b32 s0, 18
	v_mov_b32_e32 v52, 17
.LBB44_286:                             ; =>This Inner Loop Header: Depth=1
	ds_read_b64 v[60:61], v59
	v_mov_b32_e32 v62, s0
	s_add_i32 s0, s0, 1
	v_add_u32_e32 v59, 8, v59
	s_cmp_lg_u32 s12, s0
	s_waitcnt lgkmcnt(0)
	v_cmp_lt_f64_e64 vcc, |v[50:51]|, |v[60:61]|
	v_cndmask_b32_e32 v51, v51, v61, vcc
	v_cndmask_b32_e32 v50, v50, v60, vcc
	;; [unrolled: 1-line block ×3, first 2 shown]
	s_cbranch_scc1 .LBB44_286
.LBB44_287:
	s_waitcnt lgkmcnt(0)
	v_cmp_eq_f64_e32 vcc, 0, v[50:51]
	s_and_saveexec_b64 s[0:1], vcc
	s_xor_b64 s[0:1], exec, s[0:1]
; %bb.288:
	v_cmp_ne_u32_e32 vcc, 0, v58
	v_cndmask_b32_e32 v58, 18, v58, vcc
; %bb.289:
	s_andn2_saveexec_b64 s[0:1], s[0:1]
; %bb.290:
	v_div_scale_f64 v[60:61], s[2:3], v[50:51], v[50:51], 1.0
	v_rcp_f64_e32 v[62:63], v[60:61]
	v_div_scale_f64 v[64:65], vcc, 1.0, v[50:51], 1.0
	v_fma_f64 v[66:67], -v[60:61], v[62:63], 1.0
	v_fmac_f64_e32 v[62:63], v[62:63], v[66:67]
	v_fma_f64 v[66:67], -v[60:61], v[62:63], 1.0
	v_fmac_f64_e32 v[62:63], v[62:63], v[66:67]
	v_mul_f64 v[66:67], v[64:65], v[62:63]
	v_fma_f64 v[60:61], -v[60:61], v[66:67], v[64:65]
	v_div_fmas_f64 v[60:61], v[60:61], v[62:63], v[66:67]
	v_div_fixup_f64 v[50:51], v[60:61], v[50:51], 1.0
; %bb.291:
	s_or_b64 exec, exec, s[0:1]
	v_cmp_ne_u32_e32 vcc, v55, v52
	s_and_saveexec_b64 s[0:1], vcc
	s_xor_b64 s[0:1], exec, s[0:1]
	s_cbranch_execz .LBB44_297
; %bb.292:
	v_cmp_eq_u32_e32 vcc, 17, v55
	s_and_saveexec_b64 s[2:3], vcc
	s_cbranch_execz .LBB44_296
; %bb.293:
	v_cmp_ne_u32_e32 vcc, 17, v52
	s_xor_b64 s[14:15], s[6:7], -1
	s_and_b64 s[16:17], s[14:15], vcc
	s_and_saveexec_b64 s[14:15], s[16:17]
	s_cbranch_execz .LBB44_295
; %bb.294:
	v_ashrrev_i32_e32 v53, 31, v52
	v_lshlrev_b64 v[60:61], 2, v[52:53]
	v_add_co_u32_e32 v60, vcc, v46, v60
	v_addc_co_u32_e32 v61, vcc, v47, v61, vcc
	flat_load_dword v53, v[60:61]
	flat_load_dword v55, v[46:47] offset:68
	s_waitcnt vmcnt(0) lgkmcnt(0)
	flat_store_dword v[46:47], v53 offset:68
	flat_store_dword v[60:61], v55
.LBB44_295:
	s_or_b64 exec, exec, s[14:15]
	v_mov_b32_e32 v53, v52
	v_mov_b32_e32 v55, v52
.LBB44_296:
	s_or_b64 exec, exec, s[2:3]
.LBB44_297:
	s_andn2_saveexec_b64 s[0:1], s[0:1]
	s_cbranch_execz .LBB44_299
; %bb.298:
	v_mov_b32_e32 v60, v30
	v_mov_b32_e32 v61, v31
	;; [unrolled: 1-line block ×4, first 2 shown]
	ds_write2_b64 v54, v[60:61], v[62:63] offset0:18 offset1:19
	v_mov_b32_e32 v60, v42
	v_mov_b32_e32 v61, v43
	;; [unrolled: 1-line block ×5, first 2 shown]
	ds_write2_b64 v54, v[60:61], v[62:63] offset0:20 offset1:21
	ds_write_b64 v54, v[48:49] offset:176
.LBB44_299:
	s_or_b64 exec, exec, s[0:1]
	v_cmp_lt_i32_e32 vcc, 17, v55
	s_waitcnt lgkmcnt(0)
	s_barrier
	s_and_saveexec_b64 s[0:1], vcc
	s_cbranch_execz .LBB44_301
; %bb.300:
	ds_read2_b64 v[60:63], v54 offset0:18 offset1:19
	ds_read2_b64 v[64:67], v54 offset0:20 offset1:21
	v_mul_f64 v[38:39], v[50:51], v[38:39]
	ds_read_b64 v[50:51], v54 offset:176
	s_waitcnt lgkmcnt(0)
	v_fma_f64 v[30:31], -v[38:39], v[60:61], v[30:31]
	v_fma_f64 v[22:23], -v[38:39], v[62:63], v[22:23]
	;; [unrolled: 1-line block ×5, first 2 shown]
.LBB44_301:
	s_or_b64 exec, exec, s[0:1]
	v_lshl_add_u32 v50, v55, 3, v54
	s_barrier
	ds_write_b64 v50, v[30:31]
	s_waitcnt lgkmcnt(0)
	s_barrier
	ds_read_b64 v[50:51], v54 offset:144
	s_cmp_lt_i32 s12, 20
	v_mov_b32_e32 v52, 18
	s_cbranch_scc1 .LBB44_304
; %bb.302:
	v_add_u32_e32 v59, 0x98, v54
	s_mov_b32 s0, 19
	v_mov_b32_e32 v52, 18
.LBB44_303:                             ; =>This Inner Loop Header: Depth=1
	ds_read_b64 v[60:61], v59
	v_mov_b32_e32 v62, s0
	s_add_i32 s0, s0, 1
	v_add_u32_e32 v59, 8, v59
	s_cmp_lg_u32 s12, s0
	s_waitcnt lgkmcnt(0)
	v_cmp_lt_f64_e64 vcc, |v[50:51]|, |v[60:61]|
	v_cndmask_b32_e32 v51, v51, v61, vcc
	v_cndmask_b32_e32 v50, v50, v60, vcc
	;; [unrolled: 1-line block ×3, first 2 shown]
	s_cbranch_scc1 .LBB44_303
.LBB44_304:
	s_waitcnt lgkmcnt(0)
	v_cmp_eq_f64_e32 vcc, 0, v[50:51]
	s_and_saveexec_b64 s[0:1], vcc
	s_xor_b64 s[0:1], exec, s[0:1]
; %bb.305:
	v_cmp_ne_u32_e32 vcc, 0, v58
	v_cndmask_b32_e32 v58, 19, v58, vcc
; %bb.306:
	s_andn2_saveexec_b64 s[0:1], s[0:1]
; %bb.307:
	v_div_scale_f64 v[60:61], s[2:3], v[50:51], v[50:51], 1.0
	v_rcp_f64_e32 v[62:63], v[60:61]
	v_div_scale_f64 v[64:65], vcc, 1.0, v[50:51], 1.0
	v_fma_f64 v[66:67], -v[60:61], v[62:63], 1.0
	v_fmac_f64_e32 v[62:63], v[62:63], v[66:67]
	v_fma_f64 v[66:67], -v[60:61], v[62:63], 1.0
	v_fmac_f64_e32 v[62:63], v[62:63], v[66:67]
	v_mul_f64 v[66:67], v[64:65], v[62:63]
	v_fma_f64 v[60:61], -v[60:61], v[66:67], v[64:65]
	v_div_fmas_f64 v[60:61], v[60:61], v[62:63], v[66:67]
	v_div_fixup_f64 v[50:51], v[60:61], v[50:51], 1.0
; %bb.308:
	s_or_b64 exec, exec, s[0:1]
	v_cmp_ne_u32_e32 vcc, v55, v52
	s_and_saveexec_b64 s[0:1], vcc
	s_xor_b64 s[0:1], exec, s[0:1]
	s_cbranch_execz .LBB44_314
; %bb.309:
	v_cmp_eq_u32_e32 vcc, 18, v55
	s_and_saveexec_b64 s[2:3], vcc
	s_cbranch_execz .LBB44_313
; %bb.310:
	v_cmp_ne_u32_e32 vcc, 18, v52
	s_xor_b64 s[14:15], s[6:7], -1
	s_and_b64 s[16:17], s[14:15], vcc
	s_and_saveexec_b64 s[14:15], s[16:17]
	s_cbranch_execz .LBB44_312
; %bb.311:
	v_ashrrev_i32_e32 v53, 31, v52
	v_lshlrev_b64 v[60:61], 2, v[52:53]
	v_add_co_u32_e32 v60, vcc, v46, v60
	v_addc_co_u32_e32 v61, vcc, v47, v61, vcc
	flat_load_dword v53, v[60:61]
	flat_load_dword v55, v[46:47] offset:72
	s_waitcnt vmcnt(0) lgkmcnt(0)
	flat_store_dword v[46:47], v53 offset:72
	flat_store_dword v[60:61], v55
.LBB44_312:
	s_or_b64 exec, exec, s[14:15]
	v_mov_b32_e32 v53, v52
	v_mov_b32_e32 v55, v52
.LBB44_313:
	s_or_b64 exec, exec, s[2:3]
.LBB44_314:
	s_andn2_saveexec_b64 s[0:1], s[0:1]
	s_cbranch_execz .LBB44_316
; %bb.315:
	v_mov_b32_e32 v55, 18
	ds_write2_b64 v54, v[22:23], v[42:43] offset0:19 offset1:20
	ds_write2_b64 v54, v[36:37], v[48:49] offset0:21 offset1:22
.LBB44_316:
	s_or_b64 exec, exec, s[0:1]
	v_cmp_lt_i32_e32 vcc, 18, v55
	s_waitcnt lgkmcnt(0)
	s_barrier
	s_and_saveexec_b64 s[0:1], vcc
	s_cbranch_execz .LBB44_318
; %bb.317:
	ds_read2_b64 v[60:63], v54 offset0:19 offset1:20
	ds_read2_b64 v[64:67], v54 offset0:21 offset1:22
	v_mul_f64 v[30:31], v[50:51], v[30:31]
	s_waitcnt lgkmcnt(0)
	v_fma_f64 v[22:23], -v[30:31], v[60:61], v[22:23]
	v_fma_f64 v[42:43], -v[30:31], v[62:63], v[42:43]
	;; [unrolled: 1-line block ×4, first 2 shown]
.LBB44_318:
	s_or_b64 exec, exec, s[0:1]
	v_lshl_add_u32 v50, v55, 3, v54
	s_barrier
	ds_write_b64 v50, v[22:23]
	s_waitcnt lgkmcnt(0)
	s_barrier
	ds_read_b64 v[50:51], v54 offset:152
	s_cmp_lt_i32 s12, 21
	v_mov_b32_e32 v52, 19
	s_cbranch_scc1 .LBB44_321
; %bb.319:
	v_add_u32_e32 v59, 0xa0, v54
	s_mov_b32 s0, 20
	v_mov_b32_e32 v52, 19
.LBB44_320:                             ; =>This Inner Loop Header: Depth=1
	ds_read_b64 v[60:61], v59
	v_mov_b32_e32 v62, s0
	s_add_i32 s0, s0, 1
	v_add_u32_e32 v59, 8, v59
	s_cmp_lg_u32 s12, s0
	s_waitcnt lgkmcnt(0)
	v_cmp_lt_f64_e64 vcc, |v[50:51]|, |v[60:61]|
	v_cndmask_b32_e32 v51, v51, v61, vcc
	v_cndmask_b32_e32 v50, v50, v60, vcc
	;; [unrolled: 1-line block ×3, first 2 shown]
	s_cbranch_scc1 .LBB44_320
.LBB44_321:
	s_waitcnt lgkmcnt(0)
	v_cmp_eq_f64_e32 vcc, 0, v[50:51]
	s_and_saveexec_b64 s[0:1], vcc
	s_xor_b64 s[0:1], exec, s[0:1]
; %bb.322:
	v_cmp_ne_u32_e32 vcc, 0, v58
	v_cndmask_b32_e32 v58, 20, v58, vcc
; %bb.323:
	s_andn2_saveexec_b64 s[0:1], s[0:1]
; %bb.324:
	v_div_scale_f64 v[60:61], s[2:3], v[50:51], v[50:51], 1.0
	v_rcp_f64_e32 v[62:63], v[60:61]
	v_div_scale_f64 v[64:65], vcc, 1.0, v[50:51], 1.0
	v_fma_f64 v[66:67], -v[60:61], v[62:63], 1.0
	v_fmac_f64_e32 v[62:63], v[62:63], v[66:67]
	v_fma_f64 v[66:67], -v[60:61], v[62:63], 1.0
	v_fmac_f64_e32 v[62:63], v[62:63], v[66:67]
	v_mul_f64 v[66:67], v[64:65], v[62:63]
	v_fma_f64 v[60:61], -v[60:61], v[66:67], v[64:65]
	v_div_fmas_f64 v[60:61], v[60:61], v[62:63], v[66:67]
	v_div_fixup_f64 v[50:51], v[60:61], v[50:51], 1.0
; %bb.325:
	s_or_b64 exec, exec, s[0:1]
	v_cmp_ne_u32_e32 vcc, v55, v52
	s_and_saveexec_b64 s[0:1], vcc
	s_xor_b64 s[0:1], exec, s[0:1]
	s_cbranch_execz .LBB44_331
; %bb.326:
	v_cmp_eq_u32_e32 vcc, 19, v55
	s_and_saveexec_b64 s[2:3], vcc
	s_cbranch_execz .LBB44_330
; %bb.327:
	v_cmp_ne_u32_e32 vcc, 19, v52
	s_xor_b64 s[14:15], s[6:7], -1
	s_and_b64 s[16:17], s[14:15], vcc
	s_and_saveexec_b64 s[14:15], s[16:17]
	s_cbranch_execz .LBB44_329
; %bb.328:
	v_ashrrev_i32_e32 v53, 31, v52
	v_lshlrev_b64 v[60:61], 2, v[52:53]
	v_add_co_u32_e32 v60, vcc, v46, v60
	v_addc_co_u32_e32 v61, vcc, v47, v61, vcc
	flat_load_dword v53, v[60:61]
	flat_load_dword v55, v[46:47] offset:76
	s_waitcnt vmcnt(0) lgkmcnt(0)
	flat_store_dword v[46:47], v53 offset:76
	flat_store_dword v[60:61], v55
.LBB44_329:
	s_or_b64 exec, exec, s[14:15]
	v_mov_b32_e32 v53, v52
	v_mov_b32_e32 v55, v52
.LBB44_330:
	s_or_b64 exec, exec, s[2:3]
.LBB44_331:
	s_andn2_saveexec_b64 s[0:1], s[0:1]
	s_cbranch_execz .LBB44_333
; %bb.332:
	v_mov_b32_e32 v60, v42
	v_mov_b32_e32 v61, v43
	;; [unrolled: 1-line block ×5, first 2 shown]
	ds_write2_b64 v54, v[60:61], v[62:63] offset0:20 offset1:21
	ds_write_b64 v54, v[48:49] offset:176
.LBB44_333:
	s_or_b64 exec, exec, s[0:1]
	v_cmp_lt_i32_e32 vcc, 19, v55
	s_waitcnt lgkmcnt(0)
	s_barrier
	s_and_saveexec_b64 s[0:1], vcc
	s_cbranch_execz .LBB44_335
; %bb.334:
	ds_read2_b64 v[60:63], v54 offset0:20 offset1:21
	ds_read_b64 v[64:65], v54 offset:176
	v_mul_f64 v[22:23], v[50:51], v[22:23]
	s_waitcnt lgkmcnt(0)
	v_fma_f64 v[42:43], -v[22:23], v[60:61], v[42:43]
	v_fma_f64 v[36:37], -v[22:23], v[62:63], v[36:37]
	v_fma_f64 v[48:49], -v[22:23], v[64:65], v[48:49]
.LBB44_335:
	s_or_b64 exec, exec, s[0:1]
	v_lshl_add_u32 v50, v55, 3, v54
	s_barrier
	ds_write_b64 v50, v[42:43]
	s_waitcnt lgkmcnt(0)
	s_barrier
	ds_read_b64 v[50:51], v54 offset:160
	s_cmp_lt_i32 s12, 22
	v_mov_b32_e32 v52, 20
	s_cbranch_scc1 .LBB44_338
; %bb.336:
	v_add_u32_e32 v59, 0xa8, v54
	s_mov_b32 s0, 21
	v_mov_b32_e32 v52, 20
.LBB44_337:                             ; =>This Inner Loop Header: Depth=1
	ds_read_b64 v[60:61], v59
	v_mov_b32_e32 v62, s0
	s_add_i32 s0, s0, 1
	v_add_u32_e32 v59, 8, v59
	s_cmp_lg_u32 s12, s0
	s_waitcnt lgkmcnt(0)
	v_cmp_lt_f64_e64 vcc, |v[50:51]|, |v[60:61]|
	v_cndmask_b32_e32 v51, v51, v61, vcc
	v_cndmask_b32_e32 v50, v50, v60, vcc
	;; [unrolled: 1-line block ×3, first 2 shown]
	s_cbranch_scc1 .LBB44_337
.LBB44_338:
	s_waitcnt lgkmcnt(0)
	v_cmp_eq_f64_e32 vcc, 0, v[50:51]
	s_and_saveexec_b64 s[0:1], vcc
	s_xor_b64 s[0:1], exec, s[0:1]
; %bb.339:
	v_cmp_ne_u32_e32 vcc, 0, v58
	v_cndmask_b32_e32 v58, 21, v58, vcc
; %bb.340:
	s_andn2_saveexec_b64 s[0:1], s[0:1]
; %bb.341:
	v_div_scale_f64 v[60:61], s[2:3], v[50:51], v[50:51], 1.0
	v_rcp_f64_e32 v[62:63], v[60:61]
	v_div_scale_f64 v[64:65], vcc, 1.0, v[50:51], 1.0
	v_fma_f64 v[66:67], -v[60:61], v[62:63], 1.0
	v_fmac_f64_e32 v[62:63], v[62:63], v[66:67]
	v_fma_f64 v[66:67], -v[60:61], v[62:63], 1.0
	v_fmac_f64_e32 v[62:63], v[62:63], v[66:67]
	v_mul_f64 v[66:67], v[64:65], v[62:63]
	v_fma_f64 v[60:61], -v[60:61], v[66:67], v[64:65]
	v_div_fmas_f64 v[60:61], v[60:61], v[62:63], v[66:67]
	v_div_fixup_f64 v[50:51], v[60:61], v[50:51], 1.0
; %bb.342:
	s_or_b64 exec, exec, s[0:1]
	v_cmp_ne_u32_e32 vcc, v55, v52
	s_and_saveexec_b64 s[0:1], vcc
	s_xor_b64 s[0:1], exec, s[0:1]
	s_cbranch_execz .LBB44_348
; %bb.343:
	v_cmp_eq_u32_e32 vcc, 20, v55
	s_and_saveexec_b64 s[2:3], vcc
	s_cbranch_execz .LBB44_347
; %bb.344:
	v_cmp_ne_u32_e32 vcc, 20, v52
	s_xor_b64 s[14:15], s[6:7], -1
	s_and_b64 s[16:17], s[14:15], vcc
	s_and_saveexec_b64 s[14:15], s[16:17]
	s_cbranch_execz .LBB44_346
; %bb.345:
	v_ashrrev_i32_e32 v53, 31, v52
	v_lshlrev_b64 v[60:61], 2, v[52:53]
	v_add_co_u32_e32 v60, vcc, v46, v60
	v_addc_co_u32_e32 v61, vcc, v47, v61, vcc
	flat_load_dword v53, v[60:61]
	flat_load_dword v55, v[46:47] offset:80
	s_waitcnt vmcnt(0) lgkmcnt(0)
	flat_store_dword v[46:47], v53 offset:80
	flat_store_dword v[60:61], v55
.LBB44_346:
	s_or_b64 exec, exec, s[14:15]
	v_mov_b32_e32 v53, v52
	v_mov_b32_e32 v55, v52
.LBB44_347:
	s_or_b64 exec, exec, s[2:3]
.LBB44_348:
	s_andn2_saveexec_b64 s[0:1], s[0:1]
	s_cbranch_execz .LBB44_350
; %bb.349:
	v_mov_b32_e32 v55, 20
	ds_write2_b64 v54, v[36:37], v[48:49] offset0:21 offset1:22
.LBB44_350:
	s_or_b64 exec, exec, s[0:1]
	v_cmp_lt_i32_e32 vcc, 20, v55
	s_waitcnt lgkmcnt(0)
	s_barrier
	s_and_saveexec_b64 s[0:1], vcc
	s_cbranch_execz .LBB44_352
; %bb.351:
	ds_read2_b64 v[60:63], v54 offset0:21 offset1:22
	v_mul_f64 v[42:43], v[50:51], v[42:43]
	s_waitcnt lgkmcnt(0)
	v_fma_f64 v[36:37], -v[42:43], v[60:61], v[36:37]
	v_fma_f64 v[48:49], -v[42:43], v[62:63], v[48:49]
.LBB44_352:
	s_or_b64 exec, exec, s[0:1]
	v_lshl_add_u32 v50, v55, 3, v54
	s_barrier
	ds_write_b64 v50, v[36:37]
	s_waitcnt lgkmcnt(0)
	s_barrier
	ds_read_b64 v[50:51], v54 offset:168
	s_cmp_lt_i32 s12, 23
	v_mov_b32_e32 v52, 21
	s_cbranch_scc1 .LBB44_355
; %bb.353:
	v_add_u32_e32 v59, 0xb0, v54
	s_mov_b32 s0, 22
	v_mov_b32_e32 v52, 21
.LBB44_354:                             ; =>This Inner Loop Header: Depth=1
	ds_read_b64 v[60:61], v59
	v_mov_b32_e32 v62, s0
	s_add_i32 s0, s0, 1
	v_add_u32_e32 v59, 8, v59
	s_cmp_lg_u32 s12, s0
	s_waitcnt lgkmcnt(0)
	v_cmp_lt_f64_e64 vcc, |v[50:51]|, |v[60:61]|
	v_cndmask_b32_e32 v51, v51, v61, vcc
	v_cndmask_b32_e32 v50, v50, v60, vcc
	;; [unrolled: 1-line block ×3, first 2 shown]
	s_cbranch_scc1 .LBB44_354
.LBB44_355:
	s_waitcnt lgkmcnt(0)
	v_cmp_eq_f64_e32 vcc, 0, v[50:51]
	s_and_saveexec_b64 s[0:1], vcc
	s_xor_b64 s[0:1], exec, s[0:1]
; %bb.356:
	v_cmp_ne_u32_e32 vcc, 0, v58
	v_cndmask_b32_e32 v58, 22, v58, vcc
; %bb.357:
	s_andn2_saveexec_b64 s[0:1], s[0:1]
; %bb.358:
	v_div_scale_f64 v[60:61], s[2:3], v[50:51], v[50:51], 1.0
	v_rcp_f64_e32 v[62:63], v[60:61]
	v_div_scale_f64 v[64:65], vcc, 1.0, v[50:51], 1.0
	v_fma_f64 v[66:67], -v[60:61], v[62:63], 1.0
	v_fmac_f64_e32 v[62:63], v[62:63], v[66:67]
	v_fma_f64 v[66:67], -v[60:61], v[62:63], 1.0
	v_fmac_f64_e32 v[62:63], v[62:63], v[66:67]
	v_mul_f64 v[66:67], v[64:65], v[62:63]
	v_fma_f64 v[60:61], -v[60:61], v[66:67], v[64:65]
	v_div_fmas_f64 v[60:61], v[60:61], v[62:63], v[66:67]
	v_div_fixup_f64 v[50:51], v[60:61], v[50:51], 1.0
; %bb.359:
	s_or_b64 exec, exec, s[0:1]
	v_cmp_ne_u32_e32 vcc, v55, v52
	s_and_saveexec_b64 s[0:1], vcc
	s_xor_b64 s[0:1], exec, s[0:1]
	s_cbranch_execz .LBB44_365
; %bb.360:
	v_cmp_eq_u32_e32 vcc, 21, v55
	s_and_saveexec_b64 s[2:3], vcc
	s_cbranch_execz .LBB44_364
; %bb.361:
	v_cmp_ne_u32_e32 vcc, 21, v52
	s_xor_b64 s[14:15], s[6:7], -1
	s_and_b64 s[16:17], s[14:15], vcc
	s_and_saveexec_b64 s[14:15], s[16:17]
	s_cbranch_execz .LBB44_363
; %bb.362:
	v_ashrrev_i32_e32 v53, 31, v52
	v_lshlrev_b64 v[60:61], 2, v[52:53]
	v_add_co_u32_e32 v60, vcc, v46, v60
	v_addc_co_u32_e32 v61, vcc, v47, v61, vcc
	flat_load_dword v53, v[60:61]
	flat_load_dword v55, v[46:47] offset:84
	s_waitcnt vmcnt(0) lgkmcnt(0)
	flat_store_dword v[46:47], v53 offset:84
	flat_store_dword v[60:61], v55
.LBB44_363:
	s_or_b64 exec, exec, s[14:15]
	v_mov_b32_e32 v53, v52
	v_mov_b32_e32 v55, v52
.LBB44_364:
	s_or_b64 exec, exec, s[2:3]
.LBB44_365:
	s_andn2_saveexec_b64 s[0:1], s[0:1]
	s_cbranch_execz .LBB44_367
; %bb.366:
	v_mov_b32_e32 v55, 21
	ds_write_b64 v54, v[48:49] offset:176
.LBB44_367:
	s_or_b64 exec, exec, s[0:1]
	v_cmp_lt_i32_e32 vcc, 21, v55
	s_waitcnt lgkmcnt(0)
	s_barrier
	s_and_saveexec_b64 s[0:1], vcc
	s_cbranch_execz .LBB44_369
; %bb.368:
	ds_read_b64 v[60:61], v54 offset:176
	v_mul_f64 v[36:37], v[50:51], v[36:37]
	s_waitcnt lgkmcnt(0)
	v_fma_f64 v[48:49], -v[36:37], v[60:61], v[48:49]
.LBB44_369:
	s_or_b64 exec, exec, s[0:1]
	v_lshl_add_u32 v50, v55, 3, v54
	s_barrier
	ds_write_b64 v50, v[48:49]
	s_waitcnt lgkmcnt(0)
	s_barrier
	ds_read_b64 v[50:51], v54 offset:176
	s_cmp_lt_i32 s12, 24
	v_mov_b32_e32 v52, 22
	s_cbranch_scc1 .LBB44_372
; %bb.370:
	v_add_u32_e32 v54, 0xb8, v54
	s_mov_b32 s0, 23
	v_mov_b32_e32 v52, 22
.LBB44_371:                             ; =>This Inner Loop Header: Depth=1
	ds_read_b64 v[60:61], v54
	v_mov_b32_e32 v59, s0
	s_add_i32 s0, s0, 1
	v_add_u32_e32 v54, 8, v54
	s_cmp_lg_u32 s12, s0
	s_waitcnt lgkmcnt(0)
	v_cmp_lt_f64_e64 vcc, |v[50:51]|, |v[60:61]|
	v_cndmask_b32_e32 v51, v51, v61, vcc
	v_cndmask_b32_e32 v50, v50, v60, vcc
	v_cndmask_b32_e32 v52, v52, v59, vcc
	s_cbranch_scc1 .LBB44_371
.LBB44_372:
	s_waitcnt lgkmcnt(0)
	v_cmp_eq_f64_e32 vcc, 0, v[50:51]
	s_and_saveexec_b64 s[0:1], vcc
	s_xor_b64 s[0:1], exec, s[0:1]
; %bb.373:
	v_cmp_ne_u32_e32 vcc, 0, v58
	v_cndmask_b32_e32 v58, 23, v58, vcc
; %bb.374:
	s_andn2_saveexec_b64 s[0:1], s[0:1]
; %bb.375:
	v_div_scale_f64 v[60:61], s[2:3], v[50:51], v[50:51], 1.0
	v_rcp_f64_e32 v[62:63], v[60:61]
	v_div_scale_f64 v[64:65], vcc, 1.0, v[50:51], 1.0
	v_fma_f64 v[66:67], -v[60:61], v[62:63], 1.0
	v_fmac_f64_e32 v[62:63], v[62:63], v[66:67]
	v_fma_f64 v[66:67], -v[60:61], v[62:63], 1.0
	v_fmac_f64_e32 v[62:63], v[62:63], v[66:67]
	v_mul_f64 v[66:67], v[64:65], v[62:63]
	v_fma_f64 v[60:61], -v[60:61], v[66:67], v[64:65]
	v_div_fmas_f64 v[60:61], v[60:61], v[62:63], v[66:67]
	v_div_fixup_f64 v[50:51], v[60:61], v[50:51], 1.0
; %bb.376:
	s_or_b64 exec, exec, s[0:1]
	v_cmp_ne_u32_e32 vcc, v55, v52
	v_mov_b32_e32 v54, 22
	s_and_saveexec_b64 s[0:1], vcc
	s_cbranch_execz .LBB44_382
; %bb.377:
	v_cmp_eq_u32_e32 vcc, 22, v55
	s_and_saveexec_b64 s[2:3], vcc
	s_cbranch_execz .LBB44_381
; %bb.378:
	v_cmp_ne_u32_e32 vcc, 22, v52
	s_xor_b64 s[6:7], s[6:7], -1
	s_and_b64 s[14:15], s[6:7], vcc
	s_and_saveexec_b64 s[6:7], s[14:15]
	s_cbranch_execz .LBB44_380
; %bb.379:
	v_ashrrev_i32_e32 v53, 31, v52
	v_lshlrev_b64 v[54:55], 2, v[52:53]
	v_add_co_u32_e32 v54, vcc, v46, v54
	v_addc_co_u32_e32 v55, vcc, v47, v55, vcc
	flat_load_dword v53, v[54:55]
	flat_load_dword v59, v[46:47] offset:88
	s_waitcnt vmcnt(0) lgkmcnt(0)
	flat_store_dword v[46:47], v53 offset:88
	flat_store_dword v[54:55], v59
.LBB44_380:
	s_or_b64 exec, exec, s[6:7]
	v_mov_b32_e32 v53, v52
	v_mov_b32_e32 v55, v52
.LBB44_381:
	s_or_b64 exec, exec, s[2:3]
	v_mov_b32_e32 v54, v55
.LBB44_382:
	s_or_b64 exec, exec, s[0:1]
	s_load_dwordx8 s[0:7], s[4:5], 0x28
	v_cmp_gt_i32_e32 vcc, 23, v54
	v_ashrrev_i32_e32 v55, 31, v54
	s_waitcnt lgkmcnt(0)
	s_barrier
	s_barrier
	s_and_saveexec_b64 s[14:15], vcc
	s_cbranch_execz .LBB44_384
; %bb.383:
	v_mul_lo_u32 v52, v3, s4
	v_mul_lo_u32 v59, v2, s5
	v_mad_u64_u32 v[46:47], s[4:5], v2, s4, 0
	s_lshl_b64 s[2:3], s[2:3], 2
	v_add3_u32 v47, v47, v59, v52
	s_add_u32 s0, s2, s0
	v_lshlrev_b64 v[46:47], 2, v[46:47]
	s_addc_u32 s1, s3, s1
	v_mov_b32_e32 v52, s1
	v_add_co_u32_e32 v59, vcc, s0, v46
	v_addc_co_u32_e32 v52, vcc, v52, v47, vcc
	v_lshlrev_b64 v[46:47], 2, v[54:55]
	v_add_co_u32_e32 v46, vcc, v59, v46
	v_addc_co_u32_e32 v47, vcc, v52, v47, vcc
	v_add3_u32 v52, v53, s13, 1
	global_store_dword v[46:47], v52, off
.LBB44_384:
	s_or_b64 exec, exec, s[14:15]
	v_cmp_eq_u32_e32 vcc, 0, v54
	s_and_saveexec_b64 s[2:3], vcc
	s_cbranch_execz .LBB44_387
; %bb.385:
	v_lshlrev_b64 v[2:3], 2, v[2:3]
	v_mov_b32_e32 v46, s7
	v_add_co_u32_e32 v2, vcc, s6, v2
	v_addc_co_u32_e32 v3, vcc, v46, v3, vcc
	global_load_dword v46, v[2:3], off
	v_cmp_lt_i32_e64 s[0:1], 0, v58
	s_waitcnt vmcnt(0)
	v_cmp_eq_u32_e32 vcc, 0, v46
	s_and_b64 s[0:1], vcc, s[0:1]
	s_and_b64 exec, exec, s[0:1]
	s_cbranch_execz .LBB44_387
; %bb.386:
	v_add_u32_e32 v46, s13, v58
	global_store_dword v[2:3], v46, off
.LBB44_387:
	s_or_b64 exec, exec, s[2:3]
	v_mul_f64 v[2:3], v[50:51], v[48:49]
	v_cmp_lt_i32_e32 vcc, 22, v54
	v_lshlrev_b64 v[46:47], 3, v[54:55]
	v_cndmask_b32_e32 v3, v49, v3, vcc
	v_cndmask_b32_e32 v2, v48, v2, vcc
	v_add_co_u32_e32 v46, vcc, v56, v46
	v_addc_co_u32_e32 v47, vcc, v57, v47, vcc
	global_store_dwordx2 v[46:47], v[18:19], off
	v_mov_b32_e32 v19, s11
	v_add_co_u32_e32 v18, vcc, s10, v46
	v_addc_co_u32_e32 v19, vcc, v47, v19, vcc
	global_store_dwordx2 v[18:19], v[12:13], off
	v_add_u32_e32 v12, s9, v54
	v_ashrrev_i32_e32 v13, 31, v12
	v_lshlrev_b64 v[18:19], 3, v[12:13]
	v_add_co_u32_e32 v18, vcc, v56, v18
	v_addc_co_u32_e32 v19, vcc, v57, v19, vcc
	global_store_dwordx2 v[18:19], v[6:7], off
	v_add_u32_e32 v6, s8, v12
	v_ashrrev_i32_e32 v7, 31, v6
	v_lshlrev_b64 v[12:13], 3, v[6:7]
	;; [unrolled: 6-line block ×3, first 2 shown]
	v_add_co_u32_e32 v6, vcc, v56, v6
	v_add_u32_e32 v0, s8, v0
	v_addc_co_u32_e32 v7, vcc, v57, v7, vcc
	v_ashrrev_i32_e32 v1, 31, v0
	global_store_dwordx2 v[6:7], v[28:29], off
	v_lshlrev_b64 v[6:7], 3, v[0:1]
	v_add_co_u32_e32 v6, vcc, v56, v6
	v_add_u32_e32 v0, s8, v0
	v_addc_co_u32_e32 v7, vcc, v57, v7, vcc
	v_ashrrev_i32_e32 v1, 31, v0
	global_store_dwordx2 v[6:7], v[20:21], off
	v_lshlrev_b64 v[6:7], 3, v[0:1]
	v_add_co_u32_e32 v6, vcc, v56, v6
	v_add_u32_e32 v0, s8, v0
	v_addc_co_u32_e32 v7, vcc, v57, v7, vcc
	v_ashrrev_i32_e32 v1, 31, v0
	global_store_dwordx2 v[6:7], v[10:11], off
	v_lshlrev_b64 v[6:7], 3, v[0:1]
	v_add_co_u32_e32 v6, vcc, v56, v6
	v_add_u32_e32 v0, s8, v0
	v_addc_co_u32_e32 v7, vcc, v57, v7, vcc
	v_ashrrev_i32_e32 v1, 31, v0
	global_store_dwordx2 v[6:7], v[4:5], off
	v_lshlrev_b64 v[4:5], 3, v[0:1]
	v_add_co_u32_e32 v4, vcc, v56, v4
	v_add_u32_e32 v0, s8, v0
	v_addc_co_u32_e32 v5, vcc, v57, v5, vcc
	v_ashrrev_i32_e32 v1, 31, v0
	global_store_dwordx2 v[4:5], v[34:35], off
	v_lshlrev_b64 v[4:5], 3, v[0:1]
	v_add_co_u32_e32 v4, vcc, v56, v4
	v_add_u32_e32 v0, s8, v0
	v_addc_co_u32_e32 v5, vcc, v57, v5, vcc
	v_ashrrev_i32_e32 v1, 31, v0
	global_store_dwordx2 v[4:5], v[26:27], off
	v_lshlrev_b64 v[4:5], 3, v[0:1]
	v_add_co_u32_e32 v4, vcc, v56, v4
	v_add_u32_e32 v0, s8, v0
	v_addc_co_u32_e32 v5, vcc, v57, v5, vcc
	v_ashrrev_i32_e32 v1, 31, v0
	global_store_dwordx2 v[4:5], v[16:17], off
	v_lshlrev_b64 v[4:5], 3, v[0:1]
	v_add_co_u32_e32 v4, vcc, v56, v4
	v_add_u32_e32 v0, s8, v0
	v_addc_co_u32_e32 v5, vcc, v57, v5, vcc
	v_ashrrev_i32_e32 v1, 31, v0
	global_store_dwordx2 v[4:5], v[8:9], off
	v_lshlrev_b64 v[4:5], 3, v[0:1]
	v_add_co_u32_e32 v4, vcc, v56, v4
	v_add_u32_e32 v0, s8, v0
	v_addc_co_u32_e32 v5, vcc, v57, v5, vcc
	v_ashrrev_i32_e32 v1, 31, v0
	global_store_dwordx2 v[4:5], v[40:41], off
	v_lshlrev_b64 v[4:5], 3, v[0:1]
	v_add_co_u32_e32 v4, vcc, v56, v4
	v_add_u32_e32 v0, s8, v0
	v_addc_co_u32_e32 v5, vcc, v57, v5, vcc
	v_ashrrev_i32_e32 v1, 31, v0
	global_store_dwordx2 v[4:5], v[32:33], off
	v_lshlrev_b64 v[4:5], 3, v[0:1]
	v_add_co_u32_e32 v4, vcc, v56, v4
	v_add_u32_e32 v0, s8, v0
	v_addc_co_u32_e32 v5, vcc, v57, v5, vcc
	v_ashrrev_i32_e32 v1, 31, v0
	global_store_dwordx2 v[4:5], v[24:25], off
	v_lshlrev_b64 v[4:5], 3, v[0:1]
	v_add_co_u32_e32 v4, vcc, v56, v4
	v_add_u32_e32 v0, s8, v0
	v_addc_co_u32_e32 v5, vcc, v57, v5, vcc
	v_ashrrev_i32_e32 v1, 31, v0
	global_store_dwordx2 v[4:5], v[14:15], off
	v_lshlrev_b64 v[4:5], 3, v[0:1]
	v_add_co_u32_e32 v4, vcc, v56, v4
	v_add_u32_e32 v0, s8, v0
	v_addc_co_u32_e32 v5, vcc, v57, v5, vcc
	v_ashrrev_i32_e32 v1, 31, v0
	global_store_dwordx2 v[4:5], v[44:45], off
	v_lshlrev_b64 v[4:5], 3, v[0:1]
	v_add_co_u32_e32 v4, vcc, v56, v4
	v_add_u32_e32 v0, s8, v0
	v_addc_co_u32_e32 v5, vcc, v57, v5, vcc
	v_ashrrev_i32_e32 v1, 31, v0
	global_store_dwordx2 v[4:5], v[38:39], off
	v_lshlrev_b64 v[4:5], 3, v[0:1]
	v_add_co_u32_e32 v4, vcc, v56, v4
	v_add_u32_e32 v0, s8, v0
	v_addc_co_u32_e32 v5, vcc, v57, v5, vcc
	v_ashrrev_i32_e32 v1, 31, v0
	global_store_dwordx2 v[4:5], v[30:31], off
	v_lshlrev_b64 v[4:5], 3, v[0:1]
	v_add_co_u32_e32 v4, vcc, v56, v4
	v_add_u32_e32 v0, s8, v0
	v_addc_co_u32_e32 v5, vcc, v57, v5, vcc
	v_ashrrev_i32_e32 v1, 31, v0
	global_store_dwordx2 v[4:5], v[22:23], off
	v_lshlrev_b64 v[4:5], 3, v[0:1]
	v_add_co_u32_e32 v4, vcc, v56, v4
	v_add_u32_e32 v0, s8, v0
	v_addc_co_u32_e32 v5, vcc, v57, v5, vcc
	v_ashrrev_i32_e32 v1, 31, v0
	global_store_dwordx2 v[4:5], v[42:43], off
	v_lshlrev_b64 v[4:5], 3, v[0:1]
	v_add_u32_e32 v0, s8, v0
	v_add_co_u32_e32 v4, vcc, v56, v4
	v_ashrrev_i32_e32 v1, 31, v0
	v_addc_co_u32_e32 v5, vcc, v57, v5, vcc
	v_lshlrev_b64 v[0:1], 3, v[0:1]
	v_add_co_u32_e32 v0, vcc, v56, v0
	v_addc_co_u32_e32 v1, vcc, v57, v1, vcc
	global_store_dwordx2 v[4:5], v[36:37], off
	global_store_dwordx2 v[0:1], v[2:3], off
.LBB44_388:
	s_endpgm
	.section	.rodata,"a",@progbits
	.p2align	6, 0x0
	.amdhsa_kernel _ZN9rocsolver6v33100L18getf2_small_kernelILi23EdiiPKPdEEvT1_T3_lS5_lPS5_llPT2_S5_S5_S7_l
		.amdhsa_group_segment_fixed_size 0
		.amdhsa_private_segment_fixed_size 0
		.amdhsa_kernarg_size 352
		.amdhsa_user_sgpr_count 6
		.amdhsa_user_sgpr_private_segment_buffer 1
		.amdhsa_user_sgpr_dispatch_ptr 0
		.amdhsa_user_sgpr_queue_ptr 0
		.amdhsa_user_sgpr_kernarg_segment_ptr 1
		.amdhsa_user_sgpr_dispatch_id 0
		.amdhsa_user_sgpr_flat_scratch_init 0
		.amdhsa_user_sgpr_kernarg_preload_length 0
		.amdhsa_user_sgpr_kernarg_preload_offset 0
		.amdhsa_user_sgpr_private_segment_size 0
		.amdhsa_uses_dynamic_stack 0
		.amdhsa_system_sgpr_private_segment_wavefront_offset 0
		.amdhsa_system_sgpr_workgroup_id_x 1
		.amdhsa_system_sgpr_workgroup_id_y 1
		.amdhsa_system_sgpr_workgroup_id_z 0
		.amdhsa_system_sgpr_workgroup_info 0
		.amdhsa_system_vgpr_workitem_id 1
		.amdhsa_next_free_vgpr 72
		.amdhsa_next_free_sgpr 20
		.amdhsa_accum_offset 72
		.amdhsa_reserve_vcc 1
		.amdhsa_reserve_flat_scratch 0
		.amdhsa_float_round_mode_32 0
		.amdhsa_float_round_mode_16_64 0
		.amdhsa_float_denorm_mode_32 3
		.amdhsa_float_denorm_mode_16_64 3
		.amdhsa_dx10_clamp 1
		.amdhsa_ieee_mode 1
		.amdhsa_fp16_overflow 0
		.amdhsa_tg_split 0
		.amdhsa_exception_fp_ieee_invalid_op 0
		.amdhsa_exception_fp_denorm_src 0
		.amdhsa_exception_fp_ieee_div_zero 0
		.amdhsa_exception_fp_ieee_overflow 0
		.amdhsa_exception_fp_ieee_underflow 0
		.amdhsa_exception_fp_ieee_inexact 0
		.amdhsa_exception_int_div_zero 0
	.end_amdhsa_kernel
	.section	.text._ZN9rocsolver6v33100L18getf2_small_kernelILi23EdiiPKPdEEvT1_T3_lS5_lPS5_llPT2_S5_S5_S7_l,"axG",@progbits,_ZN9rocsolver6v33100L18getf2_small_kernelILi23EdiiPKPdEEvT1_T3_lS5_lPS5_llPT2_S5_S5_S7_l,comdat
.Lfunc_end44:
	.size	_ZN9rocsolver6v33100L18getf2_small_kernelILi23EdiiPKPdEEvT1_T3_lS5_lPS5_llPT2_S5_S5_S7_l, .Lfunc_end44-_ZN9rocsolver6v33100L18getf2_small_kernelILi23EdiiPKPdEEvT1_T3_lS5_lPS5_llPT2_S5_S5_S7_l
                                        ; -- End function
	.section	.AMDGPU.csdata,"",@progbits
; Kernel info:
; codeLenInByte = 16168
; NumSgprs: 24
; NumVgprs: 72
; NumAgprs: 0
; TotalNumVgprs: 72
; ScratchSize: 0
; MemoryBound: 0
; FloatMode: 240
; IeeeMode: 1
; LDSByteSize: 0 bytes/workgroup (compile time only)
; SGPRBlocks: 2
; VGPRBlocks: 8
; NumSGPRsForWavesPerEU: 24
; NumVGPRsForWavesPerEU: 72
; AccumOffset: 72
; Occupancy: 7
; WaveLimiterHint : 1
; COMPUTE_PGM_RSRC2:SCRATCH_EN: 0
; COMPUTE_PGM_RSRC2:USER_SGPR: 6
; COMPUTE_PGM_RSRC2:TRAP_HANDLER: 0
; COMPUTE_PGM_RSRC2:TGID_X_EN: 1
; COMPUTE_PGM_RSRC2:TGID_Y_EN: 1
; COMPUTE_PGM_RSRC2:TGID_Z_EN: 0
; COMPUTE_PGM_RSRC2:TIDIG_COMP_CNT: 1
; COMPUTE_PGM_RSRC3_GFX90A:ACCUM_OFFSET: 17
; COMPUTE_PGM_RSRC3_GFX90A:TG_SPLIT: 0
	.section	.text._ZN9rocsolver6v33100L23getf2_npvt_small_kernelILi23EdiiPKPdEEvT1_T3_lS5_lPT2_S5_S5_,"axG",@progbits,_ZN9rocsolver6v33100L23getf2_npvt_small_kernelILi23EdiiPKPdEEvT1_T3_lS5_lPT2_S5_S5_,comdat
	.globl	_ZN9rocsolver6v33100L23getf2_npvt_small_kernelILi23EdiiPKPdEEvT1_T3_lS5_lPT2_S5_S5_ ; -- Begin function _ZN9rocsolver6v33100L23getf2_npvt_small_kernelILi23EdiiPKPdEEvT1_T3_lS5_lPT2_S5_S5_
	.p2align	8
	.type	_ZN9rocsolver6v33100L23getf2_npvt_small_kernelILi23EdiiPKPdEEvT1_T3_lS5_lPT2_S5_S5_,@function
_ZN9rocsolver6v33100L23getf2_npvt_small_kernelILi23EdiiPKPdEEvT1_T3_lS5_lPT2_S5_S5_: ; @_ZN9rocsolver6v33100L23getf2_npvt_small_kernelILi23EdiiPKPdEEvT1_T3_lS5_lPT2_S5_S5_
; %bb.0:
	s_load_dword s0, s[4:5], 0x44
	s_load_dwordx2 s[8:9], s[4:5], 0x30
	v_bfe_u32 v94, v0, 10, 10
	s_waitcnt lgkmcnt(0)
	s_lshr_b32 s10, s0, 16
	s_mul_i32 s7, s7, s10
	v_add_u32_e32 v2, s7, v94
	v_cmp_gt_i32_e32 vcc, s8, v2
	s_and_saveexec_b64 s[0:1], vcc
	s_cbranch_execz .LBB45_118
; %bb.1:
	s_load_dwordx4 s[12:15], s[4:5], 0x8
	s_load_dword s0, s[4:5], 0x18
	v_ashrrev_i32_e32 v3, 31, v2
	v_lshlrev_b64 v[4:5], 3, v[2:3]
	v_and_b32_e32 v140, 0x3ff, v0
	s_waitcnt lgkmcnt(0)
	v_mov_b32_e32 v1, s13
	v_add_co_u32_e32 v4, vcc, s12, v4
	v_addc_co_u32_e32 v5, vcc, v1, v5, vcc
	global_load_dwordx2 v[4:5], v[4:5], off
	s_add_i32 s8, s0, s0
	v_add_u32_e32 v0, s8, v140
	v_ashrrev_i32_e32 v1, 31, v0
	v_add_u32_e32 v6, s0, v0
	v_lshlrev_b64 v[8:9], 3, v[0:1]
	v_add_u32_e32 v0, s0, v6
	v_ashrrev_i32_e32 v1, 31, v0
	v_add_u32_e32 v10, s0, v0
	v_lshlrev_b64 v[12:13], 3, v[0:1]
	v_add_u32_e32 v0, s0, v10
	s_lshl_b64 s[6:7], s[14:15], 3
	v_ashrrev_i32_e32 v1, 31, v0
	v_add_u32_e32 v14, s0, v0
	v_mov_b32_e32 v23, s7
	v_lshlrev_b64 v[16:17], 3, v[0:1]
	v_add_u32_e32 v0, s0, v14
	v_lshlrev_b32_e32 v22, 3, v140
	v_ashrrev_i32_e32 v1, 31, v0
	v_add_u32_e32 v18, s0, v0
	v_lshlrev_b64 v[20:21], 3, v[0:1]
	v_ashrrev_i32_e32 v7, 31, v6
	v_lshlrev_b64 v[6:7], 3, v[6:7]
	v_ashrrev_i32_e32 v11, 31, v10
	;; [unrolled: 2-line block ×4, first 2 shown]
	v_add_u32_e32 v24, s0, v18
	v_lshlrev_b64 v[18:19], 3, v[18:19]
	s_ashr_i32 s1, s0, 31
	s_lshl_b64 s[2:3], s[0:1], 3
	v_mov_b32_e32 v28, s3
	v_ashrrev_i32_e32 v25, 31, v24
	v_lshlrev_b64 v[26:27], 3, v[24:25]
	s_mulk_i32 s10, 0xb8
	s_add_i32 s1, s10, 0
	v_lshl_add_u32 v138, v94, 3, s1
	s_waitcnt vmcnt(0)
	v_add_co_u32_e32 v48, vcc, s6, v4
	v_addc_co_u32_e32 v49, vcc, v5, v23, vcc
	v_add_co_u32_e32 v0, vcc, v48, v22
	v_addc_co_u32_e32 v1, vcc, 0, v49, vcc
	;; [unrolled: 2-line block ×11, first 2 shown]
	v_add_co_u32_e32 v20, vcc, v48, v26
	v_add_u32_e32 v26, s0, v24
	v_addc_co_u32_e32 v21, vcc, v49, v27, vcc
	v_ashrrev_i32_e32 v27, 31, v26
	v_lshlrev_b64 v[24:25], 3, v[26:27]
	v_add_u32_e32 v28, s0, v26
	v_add_co_u32_e32 v24, vcc, v48, v24
	v_ashrrev_i32_e32 v29, 31, v28
	v_addc_co_u32_e32 v25, vcc, v49, v25, vcc
	v_lshlrev_b64 v[26:27], 3, v[28:29]
	v_add_u32_e32 v30, s0, v28
	v_add_co_u32_e32 v26, vcc, v48, v26
	v_ashrrev_i32_e32 v31, 31, v30
	v_addc_co_u32_e32 v27, vcc, v49, v27, vcc
	v_lshlrev_b64 v[28:29], 3, v[30:31]
	v_add_u32_e32 v32, s0, v30
	v_add_co_u32_e32 v28, vcc, v48, v28
	v_ashrrev_i32_e32 v33, 31, v32
	v_addc_co_u32_e32 v29, vcc, v49, v29, vcc
	v_lshlrev_b64 v[30:31], 3, v[32:33]
	v_add_u32_e32 v34, s0, v32
	v_add_co_u32_e32 v30, vcc, v48, v30
	v_ashrrev_i32_e32 v35, 31, v34
	v_addc_co_u32_e32 v31, vcc, v49, v31, vcc
	v_lshlrev_b64 v[32:33], 3, v[34:35]
	v_add_u32_e32 v36, s0, v34
	v_add_co_u32_e32 v32, vcc, v48, v32
	v_ashrrev_i32_e32 v37, 31, v36
	v_addc_co_u32_e32 v33, vcc, v49, v33, vcc
	v_lshlrev_b64 v[34:35], 3, v[36:37]
	v_add_u32_e32 v38, s0, v36
	v_add_co_u32_e32 v34, vcc, v48, v34
	v_ashrrev_i32_e32 v39, 31, v38
	v_addc_co_u32_e32 v35, vcc, v49, v35, vcc
	v_lshlrev_b64 v[36:37], 3, v[38:39]
	v_add_u32_e32 v40, s0, v38
	v_add_co_u32_e32 v36, vcc, v48, v36
	v_ashrrev_i32_e32 v41, 31, v40
	v_addc_co_u32_e32 v37, vcc, v49, v37, vcc
	v_lshlrev_b64 v[38:39], 3, v[40:41]
	v_add_u32_e32 v42, s0, v40
	v_add_co_u32_e32 v38, vcc, v48, v38
	v_ashrrev_i32_e32 v43, 31, v42
	v_addc_co_u32_e32 v39, vcc, v49, v39, vcc
	v_lshlrev_b64 v[40:41], 3, v[42:43]
	v_add_u32_e32 v44, s0, v42
	v_add_co_u32_e32 v40, vcc, v48, v40
	v_ashrrev_i32_e32 v45, 31, v44
	v_addc_co_u32_e32 v41, vcc, v49, v41, vcc
	v_lshlrev_b64 v[42:43], 3, v[44:45]
	v_add_u32_e32 v46, s0, v44
	v_add_co_u32_e32 v42, vcc, v48, v42
	v_ashrrev_i32_e32 v47, 31, v46
	v_addc_co_u32_e32 v43, vcc, v49, v43, vcc
	v_lshlrev_b64 v[44:45], 3, v[46:47]
	v_add_u32_e32 v46, s0, v46
	v_add_co_u32_e32 v44, vcc, v48, v44
	v_ashrrev_i32_e32 v47, 31, v46
	v_addc_co_u32_e32 v45, vcc, v49, v45, vcc
	v_lshlrev_b64 v[46:47], 3, v[46:47]
	v_add_co_u32_e32 v46, vcc, v48, v46
	v_addc_co_u32_e32 v47, vcc, v49, v47, vcc
	global_load_dwordx2 v[48:49], v[0:1], off
	global_load_dwordx2 v[52:53], v[22:23], off
	;; [unrolled: 1-line block ×23, first 2 shown]
	s_movk_i32 s0, 0xb8
	v_mad_u32_u24 v139, v94, s0, 0
	v_cmp_ne_u32_e64 s[2:3], 0, v140
	v_cmp_eq_u32_e64 s[0:1], 0, v140
	s_and_saveexec_b64 s[6:7], s[0:1]
	s_cbranch_execz .LBB45_4
; %bb.2:
	s_waitcnt vmcnt(22)
	ds_write_b64 v138, v[48:49]
	s_waitcnt vmcnt(20)
	ds_write2_b64 v139, v[52:53], v[54:55] offset0:1 offset1:2
	s_waitcnt vmcnt(18)
	ds_write2_b64 v139, v[50:51], v[90:91] offset0:3 offset1:4
	;; [unrolled: 2-line block ×11, first 2 shown]
	ds_read_b64 v[94:95], v138
	s_waitcnt lgkmcnt(0)
	v_cmp_neq_f64_e32 vcc, 0, v[94:95]
	s_and_b64 exec, exec, vcc
	s_cbranch_execz .LBB45_4
; %bb.3:
	v_div_scale_f64 v[96:97], s[10:11], v[94:95], v[94:95], 1.0
	v_rcp_f64_e32 v[98:99], v[96:97]
	v_div_scale_f64 v[100:101], vcc, 1.0, v[94:95], 1.0
	v_fma_f64 v[102:103], -v[96:97], v[98:99], 1.0
	v_fmac_f64_e32 v[98:99], v[98:99], v[102:103]
	v_fma_f64 v[102:103], -v[96:97], v[98:99], 1.0
	v_fmac_f64_e32 v[98:99], v[98:99], v[102:103]
	v_mul_f64 v[102:103], v[100:101], v[98:99]
	v_fma_f64 v[96:97], -v[96:97], v[102:103], v[100:101]
	v_div_fmas_f64 v[96:97], v[96:97], v[98:99], v[102:103]
	v_div_fixup_f64 v[94:95], v[96:97], v[94:95], 1.0
	ds_write_b64 v138, v[94:95]
.LBB45_4:
	s_or_b64 exec, exec, s[6:7]
	s_waitcnt lgkmcnt(0)
	s_barrier
	ds_read_b64 v[94:95], v138
	s_and_saveexec_b64 s[6:7], s[2:3]
	s_cbranch_execz .LBB45_6
; %bb.5:
	ds_read2_b64 v[96:99], v139 offset0:1 offset1:2
	ds_read2_b64 v[100:103], v139 offset0:3 offset1:4
	s_waitcnt vmcnt(22) lgkmcnt(2)
	v_mul_f64 v[48:49], v[94:95], v[48:49]
	ds_read2_b64 v[104:107], v139 offset0:5 offset1:6
	s_waitcnt vmcnt(21) lgkmcnt(2)
	v_fma_f64 v[52:53], -v[48:49], v[96:97], v[52:53]
	s_waitcnt vmcnt(20)
	v_fma_f64 v[54:55], -v[48:49], v[98:99], v[54:55]
	ds_read2_b64 v[96:99], v139 offset0:7 offset1:8
	s_waitcnt vmcnt(19) lgkmcnt(2)
	v_fma_f64 v[50:51], -v[48:49], v[100:101], v[50:51]
	s_waitcnt vmcnt(18)
	v_fma_f64 v[90:91], -v[48:49], v[102:103], v[90:91]
	;; [unrolled: 5-line block ×4, first 2 shown]
	s_waitcnt vmcnt(13) lgkmcnt(1)
	v_fma_f64 v[68:69], -v[48:49], v[100:101], v[68:69]
	ds_read2_b64 v[96:99], v139 offset0:13 offset1:14
	s_waitcnt vmcnt(12)
	v_fma_f64 v[84:85], -v[48:49], v[102:103], v[84:85]
	ds_read2_b64 v[100:103], v139 offset0:15 offset1:16
	s_waitcnt vmcnt(11) lgkmcnt(2)
	v_fma_f64 v[66:67], -v[48:49], v[104:105], v[66:67]
	s_waitcnt vmcnt(10)
	v_fma_f64 v[82:83], -v[48:49], v[106:107], v[82:83]
	s_waitcnt vmcnt(9) lgkmcnt(1)
	v_fma_f64 v[64:65], -v[48:49], v[96:97], v[64:65]
	s_waitcnt vmcnt(8)
	v_fma_f64 v[80:81], -v[48:49], v[98:99], v[80:81]
	ds_read2_b64 v[96:99], v139 offset0:17 offset1:18
	ds_read2_b64 v[104:107], v139 offset0:19 offset1:20
	s_waitcnt vmcnt(7) lgkmcnt(2)
	v_fma_f64 v[62:63], -v[48:49], v[100:101], v[62:63]
	s_waitcnt vmcnt(6)
	v_fma_f64 v[78:79], -v[48:49], v[102:103], v[78:79]
	ds_read2_b64 v[100:103], v139 offset0:21 offset1:22
	s_waitcnt vmcnt(5) lgkmcnt(2)
	v_fma_f64 v[60:61], -v[48:49], v[96:97], v[60:61]
	s_waitcnt vmcnt(4)
	v_fma_f64 v[76:77], -v[48:49], v[98:99], v[76:77]
	s_waitcnt vmcnt(3) lgkmcnt(1)
	v_fma_f64 v[58:59], -v[48:49], v[104:105], v[58:59]
	s_waitcnt vmcnt(2)
	v_fma_f64 v[74:75], -v[48:49], v[106:107], v[74:75]
	;; [unrolled: 4-line block ×3, first 2 shown]
.LBB45_6:
	s_or_b64 exec, exec, s[6:7]
	v_cmp_eq_u32_e32 vcc, 1, v140
	s_waitcnt lgkmcnt(0)
	s_barrier
	s_and_saveexec_b64 s[2:3], vcc
	s_cbranch_execz .LBB45_9
; %bb.7:
	s_waitcnt vmcnt(20)
	v_mov_b32_e32 v96, v54
	v_mov_b32_e32 v97, v55
	s_waitcnt vmcnt(19)
	v_mov_b32_e32 v98, v50
	v_mov_b32_e32 v99, v51
	ds_write_b64 v138, v[52:53]
	ds_write2_b64 v139, v[96:97], v[98:99] offset0:2 offset1:3
	s_waitcnt vmcnt(18)
	v_mov_b32_e32 v96, v90
	v_mov_b32_e32 v97, v91
	s_waitcnt vmcnt(17)
	v_mov_b32_e32 v98, v72
	v_mov_b32_e32 v99, v73
	ds_write2_b64 v139, v[96:97], v[98:99] offset0:4 offset1:5
	s_waitcnt vmcnt(16)
	v_mov_b32_e32 v96, v88
	v_mov_b32_e32 v97, v89
	s_waitcnt vmcnt(15)
	v_mov_b32_e32 v98, v70
	v_mov_b32_e32 v99, v71
	;; [unrolled: 7-line block ×9, first 2 shown]
	ds_write2_b64 v139, v[96:97], v[98:99] offset0:20 offset1:21
	s_waitcnt vmcnt(0)
	ds_write_b64 v139, v[92:93] offset:176
	ds_read_b64 v[96:97], v138
	s_waitcnt lgkmcnt(0)
	v_cmp_neq_f64_e32 vcc, 0, v[96:97]
	s_and_b64 exec, exec, vcc
	s_cbranch_execz .LBB45_9
; %bb.8:
	v_div_scale_f64 v[98:99], s[6:7], v[96:97], v[96:97], 1.0
	v_rcp_f64_e32 v[100:101], v[98:99]
	v_div_scale_f64 v[102:103], vcc, 1.0, v[96:97], 1.0
	v_fma_f64 v[104:105], -v[98:99], v[100:101], 1.0
	v_fmac_f64_e32 v[100:101], v[100:101], v[104:105]
	v_fma_f64 v[104:105], -v[98:99], v[100:101], 1.0
	v_fmac_f64_e32 v[100:101], v[100:101], v[104:105]
	v_mul_f64 v[104:105], v[102:103], v[100:101]
	v_fma_f64 v[98:99], -v[98:99], v[104:105], v[102:103]
	v_div_fmas_f64 v[98:99], v[98:99], v[100:101], v[104:105]
	v_div_fixup_f64 v[96:97], v[98:99], v[96:97], 1.0
	ds_write_b64 v138, v[96:97]
.LBB45_9:
	s_or_b64 exec, exec, s[2:3]
	s_waitcnt lgkmcnt(0)
	s_barrier
	ds_read_b64 v[96:97], v138
	v_cmp_lt_u32_e32 vcc, 1, v140
	s_and_saveexec_b64 s[2:3], vcc
	s_cbranch_execz .LBB45_11
; %bb.10:
	ds_read2_b64 v[98:101], v139 offset0:2 offset1:3
	ds_read2_b64 v[102:105], v139 offset0:4 offset1:5
	s_waitcnt vmcnt(21) lgkmcnt(2)
	v_mul_f64 v[52:53], v[96:97], v[52:53]
	ds_read2_b64 v[106:109], v139 offset0:6 offset1:7
	s_waitcnt vmcnt(20) lgkmcnt(2)
	v_fma_f64 v[54:55], -v[52:53], v[98:99], v[54:55]
	s_waitcnt vmcnt(19)
	v_fma_f64 v[50:51], -v[52:53], v[100:101], v[50:51]
	ds_read2_b64 v[98:101], v139 offset0:8 offset1:9
	s_waitcnt vmcnt(18) lgkmcnt(2)
	v_fma_f64 v[90:91], -v[52:53], v[102:103], v[90:91]
	s_waitcnt vmcnt(17)
	v_fma_f64 v[72:73], -v[52:53], v[104:105], v[72:73]
	;; [unrolled: 5-line block ×4, first 2 shown]
	s_waitcnt vmcnt(12) lgkmcnt(1)
	v_fma_f64 v[84:85], -v[52:53], v[102:103], v[84:85]
	ds_read2_b64 v[98:101], v139 offset0:14 offset1:15
	s_waitcnt vmcnt(11)
	v_fma_f64 v[66:67], -v[52:53], v[104:105], v[66:67]
	ds_read2_b64 v[102:105], v139 offset0:16 offset1:17
	s_waitcnt vmcnt(10) lgkmcnt(2)
	v_fma_f64 v[82:83], -v[52:53], v[106:107], v[82:83]
	s_waitcnt vmcnt(9)
	v_fma_f64 v[64:65], -v[52:53], v[108:109], v[64:65]
	s_waitcnt vmcnt(8) lgkmcnt(1)
	v_fma_f64 v[80:81], -v[52:53], v[98:99], v[80:81]
	s_waitcnt vmcnt(7)
	v_fma_f64 v[62:63], -v[52:53], v[100:101], v[62:63]
	ds_read2_b64 v[98:101], v139 offset0:18 offset1:19
	ds_read2_b64 v[106:109], v139 offset0:20 offset1:21
	s_waitcnt vmcnt(6) lgkmcnt(2)
	v_fma_f64 v[78:79], -v[52:53], v[102:103], v[78:79]
	ds_read_b64 v[102:103], v139 offset:176
	s_waitcnt vmcnt(5)
	v_fma_f64 v[60:61], -v[52:53], v[104:105], v[60:61]
	s_waitcnt vmcnt(4) lgkmcnt(2)
	v_fma_f64 v[76:77], -v[52:53], v[98:99], v[76:77]
	s_waitcnt vmcnt(3)
	v_fma_f64 v[58:59], -v[52:53], v[100:101], v[58:59]
	s_waitcnt vmcnt(2) lgkmcnt(1)
	v_fma_f64 v[74:75], -v[52:53], v[106:107], v[74:75]
	;; [unrolled: 4-line block ×3, first 2 shown]
.LBB45_11:
	s_or_b64 exec, exec, s[2:3]
	v_cmp_eq_u32_e32 vcc, 2, v140
	s_waitcnt lgkmcnt(0)
	s_barrier
	s_and_saveexec_b64 s[2:3], vcc
	s_cbranch_execz .LBB45_14
; %bb.12:
	s_waitcnt vmcnt(20)
	ds_write_b64 v138, v[54:55]
	s_waitcnt vmcnt(18)
	ds_write2_b64 v139, v[50:51], v[90:91] offset0:3 offset1:4
	s_waitcnt vmcnt(16)
	ds_write2_b64 v139, v[72:73], v[88:89] offset0:5 offset1:6
	;; [unrolled: 2-line block ×10, first 2 shown]
	ds_read_b64 v[98:99], v138
	s_waitcnt lgkmcnt(0)
	v_cmp_neq_f64_e32 vcc, 0, v[98:99]
	s_and_b64 exec, exec, vcc
	s_cbranch_execz .LBB45_14
; %bb.13:
	v_div_scale_f64 v[100:101], s[6:7], v[98:99], v[98:99], 1.0
	v_rcp_f64_e32 v[102:103], v[100:101]
	v_div_scale_f64 v[104:105], vcc, 1.0, v[98:99], 1.0
	v_fma_f64 v[106:107], -v[100:101], v[102:103], 1.0
	v_fmac_f64_e32 v[102:103], v[102:103], v[106:107]
	v_fma_f64 v[106:107], -v[100:101], v[102:103], 1.0
	v_fmac_f64_e32 v[102:103], v[102:103], v[106:107]
	v_mul_f64 v[106:107], v[104:105], v[102:103]
	v_fma_f64 v[100:101], -v[100:101], v[106:107], v[104:105]
	v_div_fmas_f64 v[100:101], v[100:101], v[102:103], v[106:107]
	v_div_fixup_f64 v[98:99], v[100:101], v[98:99], 1.0
	ds_write_b64 v138, v[98:99]
.LBB45_14:
	s_or_b64 exec, exec, s[2:3]
	s_waitcnt lgkmcnt(0)
	s_barrier
	ds_read_b64 v[98:99], v138
	v_cmp_lt_u32_e32 vcc, 2, v140
	s_and_saveexec_b64 s[2:3], vcc
	s_cbranch_execz .LBB45_16
; %bb.15:
	ds_read2_b64 v[100:103], v139 offset0:3 offset1:4
	ds_read2_b64 v[104:107], v139 offset0:5 offset1:6
	s_waitcnt vmcnt(20) lgkmcnt(2)
	v_mul_f64 v[54:55], v[98:99], v[54:55]
	ds_read2_b64 v[108:111], v139 offset0:7 offset1:8
	s_waitcnt vmcnt(19) lgkmcnt(2)
	v_fma_f64 v[50:51], -v[54:55], v[100:101], v[50:51]
	s_waitcnt vmcnt(18)
	v_fma_f64 v[90:91], -v[54:55], v[102:103], v[90:91]
	ds_read2_b64 v[100:103], v139 offset0:9 offset1:10
	s_waitcnt vmcnt(17) lgkmcnt(2)
	v_fma_f64 v[72:73], -v[54:55], v[104:105], v[72:73]
	s_waitcnt vmcnt(16)
	v_fma_f64 v[88:89], -v[54:55], v[106:107], v[88:89]
	s_waitcnt vmcnt(15) lgkmcnt(1)
	v_fma_f64 v[70:71], -v[54:55], v[108:109], v[70:71]
	ds_read2_b64 v[104:107], v139 offset0:11 offset1:12
	s_waitcnt vmcnt(14)
	v_fma_f64 v[86:87], -v[54:55], v[110:111], v[86:87]
	ds_read2_b64 v[108:111], v139 offset0:13 offset1:14
	s_waitcnt vmcnt(13) lgkmcnt(2)
	v_fma_f64 v[68:69], -v[54:55], v[100:101], v[68:69]
	s_waitcnt vmcnt(12)
	v_fma_f64 v[84:85], -v[54:55], v[102:103], v[84:85]
	ds_read2_b64 v[100:103], v139 offset0:15 offset1:16
	s_waitcnt vmcnt(11) lgkmcnt(2)
	v_fma_f64 v[66:67], -v[54:55], v[104:105], v[66:67]
	;; [unrolled: 5-line block ×3, first 2 shown]
	s_waitcnt vmcnt(8)
	v_fma_f64 v[80:81], -v[54:55], v[110:111], v[80:81]
	s_waitcnt vmcnt(7) lgkmcnt(1)
	v_fma_f64 v[62:63], -v[54:55], v[100:101], v[62:63]
	ds_read2_b64 v[108:111], v139 offset0:19 offset1:20
	s_waitcnt vmcnt(6)
	v_fma_f64 v[78:79], -v[54:55], v[102:103], v[78:79]
	ds_read2_b64 v[100:103], v139 offset0:21 offset1:22
	s_waitcnt vmcnt(5) lgkmcnt(2)
	v_fma_f64 v[60:61], -v[54:55], v[104:105], v[60:61]
	s_waitcnt vmcnt(4)
	v_fma_f64 v[76:77], -v[54:55], v[106:107], v[76:77]
	s_waitcnt vmcnt(3) lgkmcnt(1)
	v_fma_f64 v[58:59], -v[54:55], v[108:109], v[58:59]
	s_waitcnt vmcnt(2)
	v_fma_f64 v[74:75], -v[54:55], v[110:111], v[74:75]
	;; [unrolled: 4-line block ×3, first 2 shown]
.LBB45_16:
	s_or_b64 exec, exec, s[2:3]
	v_cmp_eq_u32_e32 vcc, 3, v140
	s_waitcnt lgkmcnt(0)
	s_barrier
	s_and_saveexec_b64 s[2:3], vcc
	s_cbranch_execz .LBB45_19
; %bb.17:
	s_waitcnt vmcnt(18)
	v_mov_b32_e32 v100, v90
	v_mov_b32_e32 v101, v91
	s_waitcnt vmcnt(17)
	v_mov_b32_e32 v102, v72
	v_mov_b32_e32 v103, v73
	ds_write_b64 v138, v[50:51]
	ds_write2_b64 v139, v[100:101], v[102:103] offset0:4 offset1:5
	s_waitcnt vmcnt(16)
	v_mov_b32_e32 v100, v88
	v_mov_b32_e32 v101, v89
	s_waitcnt vmcnt(15)
	v_mov_b32_e32 v102, v70
	v_mov_b32_e32 v103, v71
	ds_write2_b64 v139, v[100:101], v[102:103] offset0:6 offset1:7
	s_waitcnt vmcnt(14)
	v_mov_b32_e32 v100, v86
	v_mov_b32_e32 v101, v87
	s_waitcnt vmcnt(13)
	v_mov_b32_e32 v102, v68
	v_mov_b32_e32 v103, v69
	ds_write2_b64 v139, v[100:101], v[102:103] offset0:8 offset1:9
	s_waitcnt vmcnt(12)
	v_mov_b32_e32 v100, v84
	v_mov_b32_e32 v101, v85
	s_waitcnt vmcnt(11)
	v_mov_b32_e32 v102, v66
	v_mov_b32_e32 v103, v67
	ds_write2_b64 v139, v[100:101], v[102:103] offset0:10 offset1:11
	s_waitcnt vmcnt(10)
	v_mov_b32_e32 v100, v82
	v_mov_b32_e32 v101, v83
	s_waitcnt vmcnt(9)
	v_mov_b32_e32 v102, v64
	v_mov_b32_e32 v103, v65
	ds_write2_b64 v139, v[100:101], v[102:103] offset0:12 offset1:13
	s_waitcnt vmcnt(8)
	v_mov_b32_e32 v100, v80
	v_mov_b32_e32 v101, v81
	s_waitcnt vmcnt(7)
	v_mov_b32_e32 v102, v62
	v_mov_b32_e32 v103, v63
	ds_write2_b64 v139, v[100:101], v[102:103] offset0:14 offset1:15
	s_waitcnt vmcnt(6)
	v_mov_b32_e32 v100, v78
	v_mov_b32_e32 v101, v79
	s_waitcnt vmcnt(5)
	v_mov_b32_e32 v102, v60
	v_mov_b32_e32 v103, v61
	ds_write2_b64 v139, v[100:101], v[102:103] offset0:16 offset1:17
	s_waitcnt vmcnt(4)
	v_mov_b32_e32 v100, v76
	v_mov_b32_e32 v101, v77
	s_waitcnt vmcnt(3)
	v_mov_b32_e32 v102, v58
	v_mov_b32_e32 v103, v59
	ds_write2_b64 v139, v[100:101], v[102:103] offset0:18 offset1:19
	s_waitcnt vmcnt(2)
	v_mov_b32_e32 v100, v74
	v_mov_b32_e32 v101, v75
	s_waitcnt vmcnt(1)
	v_mov_b32_e32 v102, v56
	v_mov_b32_e32 v103, v57
	ds_write2_b64 v139, v[100:101], v[102:103] offset0:20 offset1:21
	s_waitcnt vmcnt(0)
	ds_write_b64 v139, v[92:93] offset:176
	ds_read_b64 v[100:101], v138
	s_waitcnt lgkmcnt(0)
	v_cmp_neq_f64_e32 vcc, 0, v[100:101]
	s_and_b64 exec, exec, vcc
	s_cbranch_execz .LBB45_19
; %bb.18:
	v_div_scale_f64 v[102:103], s[6:7], v[100:101], v[100:101], 1.0
	v_rcp_f64_e32 v[104:105], v[102:103]
	v_div_scale_f64 v[106:107], vcc, 1.0, v[100:101], 1.0
	v_fma_f64 v[108:109], -v[102:103], v[104:105], 1.0
	v_fmac_f64_e32 v[104:105], v[104:105], v[108:109]
	v_fma_f64 v[108:109], -v[102:103], v[104:105], 1.0
	v_fmac_f64_e32 v[104:105], v[104:105], v[108:109]
	v_mul_f64 v[108:109], v[106:107], v[104:105]
	v_fma_f64 v[102:103], -v[102:103], v[108:109], v[106:107]
	v_div_fmas_f64 v[102:103], v[102:103], v[104:105], v[108:109]
	v_div_fixup_f64 v[100:101], v[102:103], v[100:101], 1.0
	ds_write_b64 v138, v[100:101]
.LBB45_19:
	s_or_b64 exec, exec, s[2:3]
	s_waitcnt lgkmcnt(0)
	s_barrier
	ds_read_b64 v[100:101], v138
	v_cmp_lt_u32_e32 vcc, 3, v140
	s_and_saveexec_b64 s[2:3], vcc
	s_cbranch_execz .LBB45_21
; %bb.20:
	ds_read2_b64 v[102:105], v139 offset0:4 offset1:5
	ds_read2_b64 v[106:109], v139 offset0:6 offset1:7
	s_waitcnt vmcnt(19) lgkmcnt(2)
	v_mul_f64 v[50:51], v[100:101], v[50:51]
	ds_read2_b64 v[110:113], v139 offset0:8 offset1:9
	s_waitcnt vmcnt(18) lgkmcnt(2)
	v_fma_f64 v[90:91], -v[50:51], v[102:103], v[90:91]
	s_waitcnt vmcnt(17)
	v_fma_f64 v[72:73], -v[50:51], v[104:105], v[72:73]
	ds_read2_b64 v[102:105], v139 offset0:10 offset1:11
	s_waitcnt vmcnt(16) lgkmcnt(2)
	v_fma_f64 v[88:89], -v[50:51], v[106:107], v[88:89]
	s_waitcnt vmcnt(15)
	v_fma_f64 v[70:71], -v[50:51], v[108:109], v[70:71]
	s_waitcnt vmcnt(14) lgkmcnt(1)
	v_fma_f64 v[86:87], -v[50:51], v[110:111], v[86:87]
	ds_read2_b64 v[106:109], v139 offset0:12 offset1:13
	s_waitcnt vmcnt(13)
	v_fma_f64 v[68:69], -v[50:51], v[112:113], v[68:69]
	ds_read2_b64 v[110:113], v139 offset0:14 offset1:15
	s_waitcnt vmcnt(12) lgkmcnt(2)
	v_fma_f64 v[84:85], -v[50:51], v[102:103], v[84:85]
	s_waitcnt vmcnt(11)
	v_fma_f64 v[66:67], -v[50:51], v[104:105], v[66:67]
	ds_read2_b64 v[102:105], v139 offset0:16 offset1:17
	s_waitcnt vmcnt(10) lgkmcnt(2)
	v_fma_f64 v[82:83], -v[50:51], v[106:107], v[82:83]
	;; [unrolled: 5-line block ×3, first 2 shown]
	s_waitcnt vmcnt(7)
	v_fma_f64 v[62:63], -v[50:51], v[112:113], v[62:63]
	s_waitcnt vmcnt(6) lgkmcnt(1)
	v_fma_f64 v[78:79], -v[50:51], v[102:103], v[78:79]
	ds_read2_b64 v[110:113], v139 offset0:20 offset1:21
	ds_read_b64 v[102:103], v139 offset:176
	s_waitcnt vmcnt(5)
	v_fma_f64 v[60:61], -v[50:51], v[104:105], v[60:61]
	s_waitcnt vmcnt(4) lgkmcnt(2)
	v_fma_f64 v[76:77], -v[50:51], v[106:107], v[76:77]
	s_waitcnt vmcnt(3)
	v_fma_f64 v[58:59], -v[50:51], v[108:109], v[58:59]
	s_waitcnt vmcnt(2) lgkmcnt(1)
	v_fma_f64 v[74:75], -v[50:51], v[110:111], v[74:75]
	;; [unrolled: 4-line block ×3, first 2 shown]
.LBB45_21:
	s_or_b64 exec, exec, s[2:3]
	v_cmp_eq_u32_e32 vcc, 4, v140
	s_waitcnt lgkmcnt(0)
	s_barrier
	s_and_saveexec_b64 s[2:3], vcc
	s_cbranch_execz .LBB45_24
; %bb.22:
	s_waitcnt vmcnt(18)
	ds_write_b64 v138, v[90:91]
	s_waitcnt vmcnt(16)
	ds_write2_b64 v139, v[72:73], v[88:89] offset0:5 offset1:6
	s_waitcnt vmcnt(14)
	ds_write2_b64 v139, v[70:71], v[86:87] offset0:7 offset1:8
	;; [unrolled: 2-line block ×9, first 2 shown]
	ds_read_b64 v[102:103], v138
	s_waitcnt lgkmcnt(0)
	v_cmp_neq_f64_e32 vcc, 0, v[102:103]
	s_and_b64 exec, exec, vcc
	s_cbranch_execz .LBB45_24
; %bb.23:
	v_div_scale_f64 v[104:105], s[6:7], v[102:103], v[102:103], 1.0
	v_rcp_f64_e32 v[106:107], v[104:105]
	v_div_scale_f64 v[108:109], vcc, 1.0, v[102:103], 1.0
	v_fma_f64 v[110:111], -v[104:105], v[106:107], 1.0
	v_fmac_f64_e32 v[106:107], v[106:107], v[110:111]
	v_fma_f64 v[110:111], -v[104:105], v[106:107], 1.0
	v_fmac_f64_e32 v[106:107], v[106:107], v[110:111]
	v_mul_f64 v[110:111], v[108:109], v[106:107]
	v_fma_f64 v[104:105], -v[104:105], v[110:111], v[108:109]
	v_div_fmas_f64 v[104:105], v[104:105], v[106:107], v[110:111]
	v_div_fixup_f64 v[102:103], v[104:105], v[102:103], 1.0
	ds_write_b64 v138, v[102:103]
.LBB45_24:
	s_or_b64 exec, exec, s[2:3]
	s_waitcnt lgkmcnt(0)
	s_barrier
	ds_read_b64 v[102:103], v138
	v_cmp_lt_u32_e32 vcc, 4, v140
	s_and_saveexec_b64 s[2:3], vcc
	s_cbranch_execz .LBB45_26
; %bb.25:
	ds_read2_b64 v[104:107], v139 offset0:5 offset1:6
	ds_read2_b64 v[108:111], v139 offset0:7 offset1:8
	ds_read2_b64 v[112:115], v139 offset0:9 offset1:10
	s_waitcnt vmcnt(18) lgkmcnt(3)
	v_mul_f64 v[90:91], v[102:103], v[90:91]
	s_waitcnt vmcnt(17) lgkmcnt(2)
	v_fma_f64 v[72:73], -v[90:91], v[104:105], v[72:73]
	s_waitcnt vmcnt(16)
	v_fma_f64 v[88:89], -v[90:91], v[106:107], v[88:89]
	ds_read2_b64 v[104:107], v139 offset0:11 offset1:12
	s_waitcnt vmcnt(15) lgkmcnt(2)
	v_fma_f64 v[70:71], -v[90:91], v[108:109], v[70:71]
	s_waitcnt vmcnt(14)
	v_fma_f64 v[86:87], -v[90:91], v[110:111], v[86:87]
	s_waitcnt vmcnt(13) lgkmcnt(1)
	v_fma_f64 v[68:69], -v[90:91], v[112:113], v[68:69]
	ds_read2_b64 v[108:111], v139 offset0:13 offset1:14
	s_waitcnt vmcnt(12)
	v_fma_f64 v[84:85], -v[90:91], v[114:115], v[84:85]
	ds_read2_b64 v[112:115], v139 offset0:15 offset1:16
	s_waitcnt vmcnt(11) lgkmcnt(2)
	v_fma_f64 v[66:67], -v[90:91], v[104:105], v[66:67]
	s_waitcnt vmcnt(10)
	v_fma_f64 v[82:83], -v[90:91], v[106:107], v[82:83]
	s_waitcnt vmcnt(9) lgkmcnt(1)
	v_fma_f64 v[64:65], -v[90:91], v[108:109], v[64:65]
	s_waitcnt vmcnt(8)
	v_fma_f64 v[80:81], -v[90:91], v[110:111], v[80:81]
	ds_read2_b64 v[104:107], v139 offset0:17 offset1:18
	ds_read2_b64 v[108:111], v139 offset0:19 offset1:20
	s_waitcnt vmcnt(7) lgkmcnt(2)
	v_fma_f64 v[62:63], -v[90:91], v[112:113], v[62:63]
	s_waitcnt vmcnt(6)
	v_fma_f64 v[78:79], -v[90:91], v[114:115], v[78:79]
	ds_read2_b64 v[112:115], v139 offset0:21 offset1:22
	s_waitcnt vmcnt(5) lgkmcnt(2)
	v_fma_f64 v[60:61], -v[90:91], v[104:105], v[60:61]
	s_waitcnt vmcnt(4)
	v_fma_f64 v[76:77], -v[90:91], v[106:107], v[76:77]
	s_waitcnt vmcnt(3) lgkmcnt(1)
	v_fma_f64 v[58:59], -v[90:91], v[108:109], v[58:59]
	s_waitcnt vmcnt(2)
	v_fma_f64 v[74:75], -v[90:91], v[110:111], v[74:75]
	;; [unrolled: 4-line block ×3, first 2 shown]
.LBB45_26:
	s_or_b64 exec, exec, s[2:3]
	v_cmp_eq_u32_e32 vcc, 5, v140
	s_waitcnt lgkmcnt(0)
	s_barrier
	s_and_saveexec_b64 s[2:3], vcc
	s_cbranch_execz .LBB45_29
; %bb.27:
	s_waitcnt vmcnt(16)
	v_mov_b32_e32 v104, v88
	v_mov_b32_e32 v105, v89
	s_waitcnt vmcnt(15)
	v_mov_b32_e32 v106, v70
	v_mov_b32_e32 v107, v71
	ds_write_b64 v138, v[72:73]
	ds_write2_b64 v139, v[104:105], v[106:107] offset0:6 offset1:7
	s_waitcnt vmcnt(14)
	v_mov_b32_e32 v104, v86
	v_mov_b32_e32 v105, v87
	s_waitcnt vmcnt(13)
	v_mov_b32_e32 v106, v68
	v_mov_b32_e32 v107, v69
	ds_write2_b64 v139, v[104:105], v[106:107] offset0:8 offset1:9
	s_waitcnt vmcnt(12)
	v_mov_b32_e32 v104, v84
	v_mov_b32_e32 v105, v85
	s_waitcnt vmcnt(11)
	v_mov_b32_e32 v106, v66
	v_mov_b32_e32 v107, v67
	;; [unrolled: 7-line block ×7, first 2 shown]
	ds_write2_b64 v139, v[104:105], v[106:107] offset0:20 offset1:21
	s_waitcnt vmcnt(0)
	ds_write_b64 v139, v[92:93] offset:176
	ds_read_b64 v[104:105], v138
	s_waitcnt lgkmcnt(0)
	v_cmp_neq_f64_e32 vcc, 0, v[104:105]
	s_and_b64 exec, exec, vcc
	s_cbranch_execz .LBB45_29
; %bb.28:
	v_div_scale_f64 v[106:107], s[6:7], v[104:105], v[104:105], 1.0
	v_rcp_f64_e32 v[108:109], v[106:107]
	v_div_scale_f64 v[110:111], vcc, 1.0, v[104:105], 1.0
	v_fma_f64 v[112:113], -v[106:107], v[108:109], 1.0
	v_fmac_f64_e32 v[108:109], v[108:109], v[112:113]
	v_fma_f64 v[112:113], -v[106:107], v[108:109], 1.0
	v_fmac_f64_e32 v[108:109], v[108:109], v[112:113]
	v_mul_f64 v[112:113], v[110:111], v[108:109]
	v_fma_f64 v[106:107], -v[106:107], v[112:113], v[110:111]
	v_div_fmas_f64 v[106:107], v[106:107], v[108:109], v[112:113]
	v_div_fixup_f64 v[104:105], v[106:107], v[104:105], 1.0
	ds_write_b64 v138, v[104:105]
.LBB45_29:
	s_or_b64 exec, exec, s[2:3]
	s_waitcnt lgkmcnt(0)
	s_barrier
	ds_read_b64 v[104:105], v138
	v_cmp_lt_u32_e32 vcc, 5, v140
	s_and_saveexec_b64 s[2:3], vcc
	s_cbranch_execz .LBB45_31
; %bb.30:
	ds_read2_b64 v[106:109], v139 offset0:6 offset1:7
	ds_read2_b64 v[110:113], v139 offset0:8 offset1:9
	;; [unrolled: 1-line block ×3, first 2 shown]
	s_waitcnt vmcnt(17) lgkmcnt(3)
	v_mul_f64 v[72:73], v[104:105], v[72:73]
	s_waitcnt vmcnt(16) lgkmcnt(2)
	v_fma_f64 v[88:89], -v[72:73], v[106:107], v[88:89]
	s_waitcnt vmcnt(15)
	v_fma_f64 v[70:71], -v[72:73], v[108:109], v[70:71]
	ds_read2_b64 v[106:109], v139 offset0:12 offset1:13
	s_waitcnt vmcnt(14) lgkmcnt(2)
	v_fma_f64 v[86:87], -v[72:73], v[110:111], v[86:87]
	s_waitcnt vmcnt(13)
	v_fma_f64 v[68:69], -v[72:73], v[112:113], v[68:69]
	s_waitcnt vmcnt(12) lgkmcnt(1)
	v_fma_f64 v[84:85], -v[72:73], v[114:115], v[84:85]
	ds_read2_b64 v[110:113], v139 offset0:14 offset1:15
	s_waitcnt vmcnt(11)
	v_fma_f64 v[66:67], -v[72:73], v[116:117], v[66:67]
	ds_read2_b64 v[114:117], v139 offset0:16 offset1:17
	s_waitcnt vmcnt(10) lgkmcnt(2)
	v_fma_f64 v[82:83], -v[72:73], v[106:107], v[82:83]
	s_waitcnt vmcnt(9)
	v_fma_f64 v[64:65], -v[72:73], v[108:109], v[64:65]
	s_waitcnt vmcnt(8) lgkmcnt(1)
	v_fma_f64 v[80:81], -v[72:73], v[110:111], v[80:81]
	s_waitcnt vmcnt(7)
	v_fma_f64 v[62:63], -v[72:73], v[112:113], v[62:63]
	ds_read2_b64 v[106:109], v139 offset0:18 offset1:19
	ds_read2_b64 v[110:113], v139 offset0:20 offset1:21
	s_waitcnt vmcnt(6) lgkmcnt(2)
	v_fma_f64 v[78:79], -v[72:73], v[114:115], v[78:79]
	ds_read_b64 v[114:115], v139 offset:176
	s_waitcnt vmcnt(5)
	v_fma_f64 v[60:61], -v[72:73], v[116:117], v[60:61]
	s_waitcnt vmcnt(4) lgkmcnt(2)
	v_fma_f64 v[76:77], -v[72:73], v[106:107], v[76:77]
	s_waitcnt vmcnt(3)
	v_fma_f64 v[58:59], -v[72:73], v[108:109], v[58:59]
	s_waitcnt vmcnt(2) lgkmcnt(1)
	v_fma_f64 v[74:75], -v[72:73], v[110:111], v[74:75]
	;; [unrolled: 4-line block ×3, first 2 shown]
.LBB45_31:
	s_or_b64 exec, exec, s[2:3]
	v_cmp_eq_u32_e32 vcc, 6, v140
	s_waitcnt lgkmcnt(0)
	s_barrier
	s_and_saveexec_b64 s[2:3], vcc
	s_cbranch_execz .LBB45_34
; %bb.32:
	s_waitcnt vmcnt(16)
	ds_write_b64 v138, v[88:89]
	s_waitcnt vmcnt(14)
	ds_write2_b64 v139, v[70:71], v[86:87] offset0:7 offset1:8
	s_waitcnt vmcnt(12)
	ds_write2_b64 v139, v[68:69], v[84:85] offset0:9 offset1:10
	;; [unrolled: 2-line block ×8, first 2 shown]
	ds_read_b64 v[106:107], v138
	s_waitcnt lgkmcnt(0)
	v_cmp_neq_f64_e32 vcc, 0, v[106:107]
	s_and_b64 exec, exec, vcc
	s_cbranch_execz .LBB45_34
; %bb.33:
	v_div_scale_f64 v[108:109], s[6:7], v[106:107], v[106:107], 1.0
	v_rcp_f64_e32 v[110:111], v[108:109]
	v_div_scale_f64 v[112:113], vcc, 1.0, v[106:107], 1.0
	v_fma_f64 v[114:115], -v[108:109], v[110:111], 1.0
	v_fmac_f64_e32 v[110:111], v[110:111], v[114:115]
	v_fma_f64 v[114:115], -v[108:109], v[110:111], 1.0
	v_fmac_f64_e32 v[110:111], v[110:111], v[114:115]
	v_mul_f64 v[114:115], v[112:113], v[110:111]
	v_fma_f64 v[108:109], -v[108:109], v[114:115], v[112:113]
	v_div_fmas_f64 v[108:109], v[108:109], v[110:111], v[114:115]
	v_div_fixup_f64 v[106:107], v[108:109], v[106:107], 1.0
	ds_write_b64 v138, v[106:107]
.LBB45_34:
	s_or_b64 exec, exec, s[2:3]
	s_waitcnt lgkmcnt(0)
	s_barrier
	ds_read_b64 v[106:107], v138
	v_cmp_lt_u32_e32 vcc, 6, v140
	s_and_saveexec_b64 s[2:3], vcc
	s_cbranch_execz .LBB45_36
; %bb.35:
	ds_read2_b64 v[108:111], v139 offset0:7 offset1:8
	ds_read2_b64 v[112:115], v139 offset0:9 offset1:10
	s_waitcnt vmcnt(16) lgkmcnt(2)
	v_mul_f64 v[88:89], v[106:107], v[88:89]
	ds_read2_b64 v[116:119], v139 offset0:11 offset1:12
	s_waitcnt vmcnt(15) lgkmcnt(2)
	v_fma_f64 v[70:71], -v[88:89], v[108:109], v[70:71]
	s_waitcnt vmcnt(14)
	v_fma_f64 v[86:87], -v[88:89], v[110:111], v[86:87]
	ds_read2_b64 v[108:111], v139 offset0:13 offset1:14
	s_waitcnt vmcnt(13) lgkmcnt(2)
	v_fma_f64 v[68:69], -v[88:89], v[112:113], v[68:69]
	s_waitcnt vmcnt(12)
	v_fma_f64 v[84:85], -v[88:89], v[114:115], v[84:85]
	;; [unrolled: 5-line block ×3, first 2 shown]
	s_waitcnt vmcnt(9) lgkmcnt(1)
	v_fma_f64 v[64:65], -v[88:89], v[108:109], v[64:65]
	s_waitcnt vmcnt(8)
	v_fma_f64 v[80:81], -v[88:89], v[110:111], v[80:81]
	ds_read2_b64 v[108:111], v139 offset0:17 offset1:18
	s_waitcnt vmcnt(7) lgkmcnt(1)
	v_fma_f64 v[62:63], -v[88:89], v[112:113], v[62:63]
	ds_read2_b64 v[116:119], v139 offset0:19 offset1:20
	s_waitcnt vmcnt(6)
	v_fma_f64 v[78:79], -v[88:89], v[114:115], v[78:79]
	ds_read2_b64 v[112:115], v139 offset0:21 offset1:22
	s_waitcnt vmcnt(5) lgkmcnt(2)
	v_fma_f64 v[60:61], -v[88:89], v[108:109], v[60:61]
	s_waitcnt vmcnt(4)
	v_fma_f64 v[76:77], -v[88:89], v[110:111], v[76:77]
	s_waitcnt vmcnt(3) lgkmcnt(1)
	v_fma_f64 v[58:59], -v[88:89], v[116:117], v[58:59]
	s_waitcnt vmcnt(2)
	v_fma_f64 v[74:75], -v[88:89], v[118:119], v[74:75]
	;; [unrolled: 4-line block ×3, first 2 shown]
.LBB45_36:
	s_or_b64 exec, exec, s[2:3]
	v_cmp_eq_u32_e32 vcc, 7, v140
	s_waitcnt lgkmcnt(0)
	s_barrier
	s_and_saveexec_b64 s[2:3], vcc
	s_cbranch_execz .LBB45_39
; %bb.37:
	s_waitcnt vmcnt(14)
	v_mov_b32_e32 v108, v86
	v_mov_b32_e32 v109, v87
	s_waitcnt vmcnt(13)
	v_mov_b32_e32 v110, v68
	v_mov_b32_e32 v111, v69
	ds_write_b64 v138, v[70:71]
	ds_write2_b64 v139, v[108:109], v[110:111] offset0:8 offset1:9
	s_waitcnt vmcnt(12)
	v_mov_b32_e32 v108, v84
	v_mov_b32_e32 v109, v85
	s_waitcnt vmcnt(11)
	v_mov_b32_e32 v110, v66
	v_mov_b32_e32 v111, v67
	ds_write2_b64 v139, v[108:109], v[110:111] offset0:10 offset1:11
	s_waitcnt vmcnt(10)
	v_mov_b32_e32 v108, v82
	v_mov_b32_e32 v109, v83
	s_waitcnt vmcnt(9)
	v_mov_b32_e32 v110, v64
	v_mov_b32_e32 v111, v65
	;; [unrolled: 7-line block ×6, first 2 shown]
	ds_write2_b64 v139, v[108:109], v[110:111] offset0:20 offset1:21
	s_waitcnt vmcnt(0)
	ds_write_b64 v139, v[92:93] offset:176
	ds_read_b64 v[108:109], v138
	s_waitcnt lgkmcnt(0)
	v_cmp_neq_f64_e32 vcc, 0, v[108:109]
	s_and_b64 exec, exec, vcc
	s_cbranch_execz .LBB45_39
; %bb.38:
	v_div_scale_f64 v[110:111], s[6:7], v[108:109], v[108:109], 1.0
	v_rcp_f64_e32 v[112:113], v[110:111]
	v_div_scale_f64 v[114:115], vcc, 1.0, v[108:109], 1.0
	v_fma_f64 v[116:117], -v[110:111], v[112:113], 1.0
	v_fmac_f64_e32 v[112:113], v[112:113], v[116:117]
	v_fma_f64 v[116:117], -v[110:111], v[112:113], 1.0
	v_fmac_f64_e32 v[112:113], v[112:113], v[116:117]
	v_mul_f64 v[116:117], v[114:115], v[112:113]
	v_fma_f64 v[110:111], -v[110:111], v[116:117], v[114:115]
	v_div_fmas_f64 v[110:111], v[110:111], v[112:113], v[116:117]
	v_div_fixup_f64 v[108:109], v[110:111], v[108:109], 1.0
	ds_write_b64 v138, v[108:109]
.LBB45_39:
	s_or_b64 exec, exec, s[2:3]
	s_waitcnt lgkmcnt(0)
	s_barrier
	ds_read_b64 v[108:109], v138
	v_cmp_lt_u32_e32 vcc, 7, v140
	s_and_saveexec_b64 s[2:3], vcc
	s_cbranch_execz .LBB45_41
; %bb.40:
	ds_read2_b64 v[110:113], v139 offset0:8 offset1:9
	ds_read2_b64 v[114:117], v139 offset0:10 offset1:11
	s_waitcnt vmcnt(15) lgkmcnt(2)
	v_mul_f64 v[70:71], v[108:109], v[70:71]
	ds_read2_b64 v[118:121], v139 offset0:12 offset1:13
	s_waitcnt vmcnt(14) lgkmcnt(2)
	v_fma_f64 v[86:87], -v[70:71], v[110:111], v[86:87]
	s_waitcnt vmcnt(13)
	v_fma_f64 v[68:69], -v[70:71], v[112:113], v[68:69]
	ds_read2_b64 v[110:113], v139 offset0:14 offset1:15
	s_waitcnt vmcnt(12) lgkmcnt(2)
	v_fma_f64 v[84:85], -v[70:71], v[114:115], v[84:85]
	s_waitcnt vmcnt(11)
	v_fma_f64 v[66:67], -v[70:71], v[116:117], v[66:67]
	;; [unrolled: 5-line block ×3, first 2 shown]
	s_waitcnt vmcnt(8) lgkmcnt(1)
	v_fma_f64 v[80:81], -v[70:71], v[110:111], v[80:81]
	s_waitcnt vmcnt(7)
	v_fma_f64 v[62:63], -v[70:71], v[112:113], v[62:63]
	ds_read2_b64 v[110:113], v139 offset0:18 offset1:19
	s_waitcnt vmcnt(6) lgkmcnt(1)
	v_fma_f64 v[78:79], -v[70:71], v[114:115], v[78:79]
	ds_read2_b64 v[118:121], v139 offset0:20 offset1:21
	ds_read_b64 v[114:115], v139 offset:176
	s_waitcnt vmcnt(5)
	v_fma_f64 v[60:61], -v[70:71], v[116:117], v[60:61]
	s_waitcnt vmcnt(4) lgkmcnt(2)
	v_fma_f64 v[76:77], -v[70:71], v[110:111], v[76:77]
	s_waitcnt vmcnt(3)
	v_fma_f64 v[58:59], -v[70:71], v[112:113], v[58:59]
	s_waitcnt vmcnt(2) lgkmcnt(1)
	v_fma_f64 v[74:75], -v[70:71], v[118:119], v[74:75]
	;; [unrolled: 4-line block ×3, first 2 shown]
.LBB45_41:
	s_or_b64 exec, exec, s[2:3]
	v_cmp_eq_u32_e32 vcc, 8, v140
	s_waitcnt lgkmcnt(0)
	s_barrier
	s_and_saveexec_b64 s[2:3], vcc
	s_cbranch_execz .LBB45_44
; %bb.42:
	s_waitcnt vmcnt(14)
	ds_write_b64 v138, v[86:87]
	s_waitcnt vmcnt(12)
	ds_write2_b64 v139, v[68:69], v[84:85] offset0:9 offset1:10
	s_waitcnt vmcnt(10)
	ds_write2_b64 v139, v[66:67], v[82:83] offset0:11 offset1:12
	s_waitcnt vmcnt(8)
	ds_write2_b64 v139, v[64:65], v[80:81] offset0:13 offset1:14
	s_waitcnt vmcnt(6)
	ds_write2_b64 v139, v[62:63], v[78:79] offset0:15 offset1:16
	s_waitcnt vmcnt(4)
	ds_write2_b64 v139, v[60:61], v[76:77] offset0:17 offset1:18
	s_waitcnt vmcnt(2)
	ds_write2_b64 v139, v[58:59], v[74:75] offset0:19 offset1:20
	s_waitcnt vmcnt(0)
	ds_write2_b64 v139, v[56:57], v[92:93] offset0:21 offset1:22
	ds_read_b64 v[110:111], v138
	s_waitcnt lgkmcnt(0)
	v_cmp_neq_f64_e32 vcc, 0, v[110:111]
	s_and_b64 exec, exec, vcc
	s_cbranch_execz .LBB45_44
; %bb.43:
	v_div_scale_f64 v[112:113], s[6:7], v[110:111], v[110:111], 1.0
	v_rcp_f64_e32 v[114:115], v[112:113]
	v_div_scale_f64 v[116:117], vcc, 1.0, v[110:111], 1.0
	v_fma_f64 v[118:119], -v[112:113], v[114:115], 1.0
	v_fmac_f64_e32 v[114:115], v[114:115], v[118:119]
	v_fma_f64 v[118:119], -v[112:113], v[114:115], 1.0
	v_fmac_f64_e32 v[114:115], v[114:115], v[118:119]
	v_mul_f64 v[118:119], v[116:117], v[114:115]
	v_fma_f64 v[112:113], -v[112:113], v[118:119], v[116:117]
	v_div_fmas_f64 v[112:113], v[112:113], v[114:115], v[118:119]
	v_div_fixup_f64 v[110:111], v[112:113], v[110:111], 1.0
	ds_write_b64 v138, v[110:111]
.LBB45_44:
	s_or_b64 exec, exec, s[2:3]
	s_waitcnt lgkmcnt(0)
	s_barrier
	ds_read_b64 v[110:111], v138
	v_cmp_lt_u32_e32 vcc, 8, v140
	s_and_saveexec_b64 s[2:3], vcc
	s_cbranch_execz .LBB45_46
; %bb.45:
	ds_read2_b64 v[112:115], v139 offset0:9 offset1:10
	ds_read2_b64 v[116:119], v139 offset0:11 offset1:12
	s_waitcnt vmcnt(14) lgkmcnt(2)
	v_mul_f64 v[86:87], v[110:111], v[86:87]
	ds_read2_b64 v[120:123], v139 offset0:13 offset1:14
	s_waitcnt vmcnt(13) lgkmcnt(2)
	v_fma_f64 v[68:69], -v[86:87], v[112:113], v[68:69]
	s_waitcnt vmcnt(12)
	v_fma_f64 v[84:85], -v[86:87], v[114:115], v[84:85]
	ds_read2_b64 v[112:115], v139 offset0:15 offset1:16
	s_waitcnt vmcnt(11) lgkmcnt(2)
	v_fma_f64 v[66:67], -v[86:87], v[116:117], v[66:67]
	s_waitcnt vmcnt(10)
	v_fma_f64 v[82:83], -v[86:87], v[118:119], v[82:83]
	s_waitcnt vmcnt(9) lgkmcnt(1)
	v_fma_f64 v[64:65], -v[86:87], v[120:121], v[64:65]
	s_waitcnt vmcnt(8)
	v_fma_f64 v[80:81], -v[86:87], v[122:123], v[80:81]
	ds_read2_b64 v[116:119], v139 offset0:17 offset1:18
	ds_read2_b64 v[120:123], v139 offset0:19 offset1:20
	s_waitcnt vmcnt(7) lgkmcnt(2)
	v_fma_f64 v[62:63], -v[86:87], v[112:113], v[62:63]
	s_waitcnt vmcnt(6)
	v_fma_f64 v[78:79], -v[86:87], v[114:115], v[78:79]
	ds_read2_b64 v[112:115], v139 offset0:21 offset1:22
	s_waitcnt vmcnt(5) lgkmcnt(2)
	v_fma_f64 v[60:61], -v[86:87], v[116:117], v[60:61]
	s_waitcnt vmcnt(4)
	v_fma_f64 v[76:77], -v[86:87], v[118:119], v[76:77]
	s_waitcnt vmcnt(3) lgkmcnt(1)
	v_fma_f64 v[58:59], -v[86:87], v[120:121], v[58:59]
	s_waitcnt vmcnt(2)
	v_fma_f64 v[74:75], -v[86:87], v[122:123], v[74:75]
	;; [unrolled: 4-line block ×3, first 2 shown]
.LBB45_46:
	s_or_b64 exec, exec, s[2:3]
	v_cmp_eq_u32_e32 vcc, 9, v140
	s_waitcnt lgkmcnt(0)
	s_barrier
	s_and_saveexec_b64 s[2:3], vcc
	s_cbranch_execz .LBB45_49
; %bb.47:
	s_waitcnt vmcnt(12)
	v_mov_b32_e32 v112, v84
	v_mov_b32_e32 v113, v85
	s_waitcnt vmcnt(11)
	v_mov_b32_e32 v114, v66
	v_mov_b32_e32 v115, v67
	ds_write_b64 v138, v[68:69]
	ds_write2_b64 v139, v[112:113], v[114:115] offset0:10 offset1:11
	s_waitcnt vmcnt(10)
	v_mov_b32_e32 v112, v82
	v_mov_b32_e32 v113, v83
	s_waitcnt vmcnt(9)
	v_mov_b32_e32 v114, v64
	v_mov_b32_e32 v115, v65
	ds_write2_b64 v139, v[112:113], v[114:115] offset0:12 offset1:13
	s_waitcnt vmcnt(8)
	v_mov_b32_e32 v112, v80
	v_mov_b32_e32 v113, v81
	s_waitcnt vmcnt(7)
	v_mov_b32_e32 v114, v62
	v_mov_b32_e32 v115, v63
	;; [unrolled: 7-line block ×5, first 2 shown]
	ds_write2_b64 v139, v[112:113], v[114:115] offset0:20 offset1:21
	s_waitcnt vmcnt(0)
	ds_write_b64 v139, v[92:93] offset:176
	ds_read_b64 v[112:113], v138
	s_waitcnt lgkmcnt(0)
	v_cmp_neq_f64_e32 vcc, 0, v[112:113]
	s_and_b64 exec, exec, vcc
	s_cbranch_execz .LBB45_49
; %bb.48:
	v_div_scale_f64 v[114:115], s[6:7], v[112:113], v[112:113], 1.0
	v_rcp_f64_e32 v[116:117], v[114:115]
	v_div_scale_f64 v[118:119], vcc, 1.0, v[112:113], 1.0
	v_fma_f64 v[120:121], -v[114:115], v[116:117], 1.0
	v_fmac_f64_e32 v[116:117], v[116:117], v[120:121]
	v_fma_f64 v[120:121], -v[114:115], v[116:117], 1.0
	v_fmac_f64_e32 v[116:117], v[116:117], v[120:121]
	v_mul_f64 v[120:121], v[118:119], v[116:117]
	v_fma_f64 v[114:115], -v[114:115], v[120:121], v[118:119]
	v_div_fmas_f64 v[114:115], v[114:115], v[116:117], v[120:121]
	v_div_fixup_f64 v[112:113], v[114:115], v[112:113], 1.0
	ds_write_b64 v138, v[112:113]
.LBB45_49:
	s_or_b64 exec, exec, s[2:3]
	s_waitcnt lgkmcnt(0)
	s_barrier
	ds_read_b64 v[112:113], v138
	v_cmp_lt_u32_e32 vcc, 9, v140
	s_and_saveexec_b64 s[2:3], vcc
	s_cbranch_execz .LBB45_51
; %bb.50:
	ds_read2_b64 v[114:117], v139 offset0:10 offset1:11
	ds_read2_b64 v[118:121], v139 offset0:12 offset1:13
	s_waitcnt vmcnt(13) lgkmcnt(2)
	v_mul_f64 v[68:69], v[112:113], v[68:69]
	ds_read2_b64 v[122:125], v139 offset0:14 offset1:15
	s_waitcnt vmcnt(12) lgkmcnt(2)
	v_fma_f64 v[84:85], -v[68:69], v[114:115], v[84:85]
	s_waitcnt vmcnt(11)
	v_fma_f64 v[66:67], -v[68:69], v[116:117], v[66:67]
	ds_read2_b64 v[114:117], v139 offset0:16 offset1:17
	s_waitcnt vmcnt(10) lgkmcnt(2)
	v_fma_f64 v[82:83], -v[68:69], v[118:119], v[82:83]
	s_waitcnt vmcnt(9)
	v_fma_f64 v[64:65], -v[68:69], v[120:121], v[64:65]
	s_waitcnt vmcnt(8) lgkmcnt(1)
	v_fma_f64 v[80:81], -v[68:69], v[122:123], v[80:81]
	s_waitcnt vmcnt(7)
	v_fma_f64 v[62:63], -v[68:69], v[124:125], v[62:63]
	ds_read2_b64 v[118:121], v139 offset0:18 offset1:19
	ds_read2_b64 v[122:125], v139 offset0:20 offset1:21
	s_waitcnt vmcnt(6) lgkmcnt(2)
	v_fma_f64 v[78:79], -v[68:69], v[114:115], v[78:79]
	ds_read_b64 v[114:115], v139 offset:176
	s_waitcnt vmcnt(5)
	v_fma_f64 v[60:61], -v[68:69], v[116:117], v[60:61]
	s_waitcnt vmcnt(4) lgkmcnt(2)
	v_fma_f64 v[76:77], -v[68:69], v[118:119], v[76:77]
	s_waitcnt vmcnt(3)
	v_fma_f64 v[58:59], -v[68:69], v[120:121], v[58:59]
	s_waitcnt vmcnt(2) lgkmcnt(1)
	v_fma_f64 v[74:75], -v[68:69], v[122:123], v[74:75]
	;; [unrolled: 4-line block ×3, first 2 shown]
.LBB45_51:
	s_or_b64 exec, exec, s[2:3]
	v_cmp_eq_u32_e32 vcc, 10, v140
	s_waitcnt lgkmcnt(0)
	s_barrier
	s_and_saveexec_b64 s[2:3], vcc
	s_cbranch_execz .LBB45_54
; %bb.52:
	s_waitcnt vmcnt(12)
	ds_write_b64 v138, v[84:85]
	s_waitcnt vmcnt(10)
	ds_write2_b64 v139, v[66:67], v[82:83] offset0:11 offset1:12
	s_waitcnt vmcnt(8)
	ds_write2_b64 v139, v[64:65], v[80:81] offset0:13 offset1:14
	;; [unrolled: 2-line block ×6, first 2 shown]
	ds_read_b64 v[114:115], v138
	s_waitcnt lgkmcnt(0)
	v_cmp_neq_f64_e32 vcc, 0, v[114:115]
	s_and_b64 exec, exec, vcc
	s_cbranch_execz .LBB45_54
; %bb.53:
	v_div_scale_f64 v[116:117], s[6:7], v[114:115], v[114:115], 1.0
	v_rcp_f64_e32 v[118:119], v[116:117]
	v_div_scale_f64 v[120:121], vcc, 1.0, v[114:115], 1.0
	v_fma_f64 v[122:123], -v[116:117], v[118:119], 1.0
	v_fmac_f64_e32 v[118:119], v[118:119], v[122:123]
	v_fma_f64 v[122:123], -v[116:117], v[118:119], 1.0
	v_fmac_f64_e32 v[118:119], v[118:119], v[122:123]
	v_mul_f64 v[122:123], v[120:121], v[118:119]
	v_fma_f64 v[116:117], -v[116:117], v[122:123], v[120:121]
	v_div_fmas_f64 v[116:117], v[116:117], v[118:119], v[122:123]
	v_div_fixup_f64 v[114:115], v[116:117], v[114:115], 1.0
	ds_write_b64 v138, v[114:115]
.LBB45_54:
	s_or_b64 exec, exec, s[2:3]
	s_waitcnt lgkmcnt(0)
	s_barrier
	ds_read_b64 v[114:115], v138
	v_cmp_lt_u32_e32 vcc, 10, v140
	s_and_saveexec_b64 s[2:3], vcc
	s_cbranch_execz .LBB45_56
; %bb.55:
	ds_read2_b64 v[116:119], v139 offset0:11 offset1:12
	ds_read2_b64 v[120:123], v139 offset0:13 offset1:14
	;; [unrolled: 1-line block ×3, first 2 shown]
	s_waitcnt vmcnt(12) lgkmcnt(3)
	v_mul_f64 v[84:85], v[114:115], v[84:85]
	s_waitcnt vmcnt(11) lgkmcnt(2)
	v_fma_f64 v[66:67], -v[84:85], v[116:117], v[66:67]
	s_waitcnt vmcnt(10)
	v_fma_f64 v[82:83], -v[84:85], v[118:119], v[82:83]
	ds_read2_b64 v[116:119], v139 offset0:17 offset1:18
	s_waitcnt vmcnt(9) lgkmcnt(2)
	v_fma_f64 v[64:65], -v[84:85], v[120:121], v[64:65]
	s_waitcnt vmcnt(8)
	v_fma_f64 v[80:81], -v[84:85], v[122:123], v[80:81]
	s_waitcnt vmcnt(7) lgkmcnt(1)
	v_fma_f64 v[62:63], -v[84:85], v[124:125], v[62:63]
	ds_read2_b64 v[120:123], v139 offset0:19 offset1:20
	s_waitcnt vmcnt(6)
	v_fma_f64 v[78:79], -v[84:85], v[126:127], v[78:79]
	ds_read2_b64 v[124:127], v139 offset0:21 offset1:22
	s_waitcnt vmcnt(5) lgkmcnt(2)
	v_fma_f64 v[60:61], -v[84:85], v[116:117], v[60:61]
	s_waitcnt vmcnt(4)
	v_fma_f64 v[76:77], -v[84:85], v[118:119], v[76:77]
	s_waitcnt vmcnt(3) lgkmcnt(1)
	v_fma_f64 v[58:59], -v[84:85], v[120:121], v[58:59]
	s_waitcnt vmcnt(2)
	v_fma_f64 v[74:75], -v[84:85], v[122:123], v[74:75]
	;; [unrolled: 4-line block ×3, first 2 shown]
.LBB45_56:
	s_or_b64 exec, exec, s[2:3]
	v_cmp_eq_u32_e32 vcc, 11, v140
	s_waitcnt lgkmcnt(0)
	s_barrier
	s_and_saveexec_b64 s[2:3], vcc
	s_cbranch_execz .LBB45_59
; %bb.57:
	s_waitcnt vmcnt(10)
	v_mov_b32_e32 v116, v82
	v_mov_b32_e32 v117, v83
	s_waitcnt vmcnt(9)
	v_mov_b32_e32 v118, v64
	v_mov_b32_e32 v119, v65
	ds_write_b64 v138, v[66:67]
	ds_write2_b64 v139, v[116:117], v[118:119] offset0:12 offset1:13
	s_waitcnt vmcnt(8)
	v_mov_b32_e32 v116, v80
	v_mov_b32_e32 v117, v81
	s_waitcnt vmcnt(7)
	v_mov_b32_e32 v118, v62
	v_mov_b32_e32 v119, v63
	ds_write2_b64 v139, v[116:117], v[118:119] offset0:14 offset1:15
	s_waitcnt vmcnt(6)
	v_mov_b32_e32 v116, v78
	v_mov_b32_e32 v117, v79
	s_waitcnt vmcnt(5)
	v_mov_b32_e32 v118, v60
	v_mov_b32_e32 v119, v61
	ds_write2_b64 v139, v[116:117], v[118:119] offset0:16 offset1:17
	s_waitcnt vmcnt(4)
	v_mov_b32_e32 v116, v76
	v_mov_b32_e32 v117, v77
	s_waitcnt vmcnt(3)
	v_mov_b32_e32 v118, v58
	v_mov_b32_e32 v119, v59
	ds_write2_b64 v139, v[116:117], v[118:119] offset0:18 offset1:19
	s_waitcnt vmcnt(2)
	v_mov_b32_e32 v116, v74
	v_mov_b32_e32 v117, v75
	s_waitcnt vmcnt(1)
	v_mov_b32_e32 v118, v56
	v_mov_b32_e32 v119, v57
	ds_write2_b64 v139, v[116:117], v[118:119] offset0:20 offset1:21
	s_waitcnt vmcnt(0)
	ds_write_b64 v139, v[92:93] offset:176
	ds_read_b64 v[116:117], v138
	s_waitcnt lgkmcnt(0)
	v_cmp_neq_f64_e32 vcc, 0, v[116:117]
	s_and_b64 exec, exec, vcc
	s_cbranch_execz .LBB45_59
; %bb.58:
	v_div_scale_f64 v[118:119], s[6:7], v[116:117], v[116:117], 1.0
	v_rcp_f64_e32 v[120:121], v[118:119]
	v_div_scale_f64 v[122:123], vcc, 1.0, v[116:117], 1.0
	v_fma_f64 v[124:125], -v[118:119], v[120:121], 1.0
	v_fmac_f64_e32 v[120:121], v[120:121], v[124:125]
	v_fma_f64 v[124:125], -v[118:119], v[120:121], 1.0
	v_fmac_f64_e32 v[120:121], v[120:121], v[124:125]
	v_mul_f64 v[124:125], v[122:123], v[120:121]
	v_fma_f64 v[118:119], -v[118:119], v[124:125], v[122:123]
	v_div_fmas_f64 v[118:119], v[118:119], v[120:121], v[124:125]
	v_div_fixup_f64 v[116:117], v[118:119], v[116:117], 1.0
	ds_write_b64 v138, v[116:117]
.LBB45_59:
	s_or_b64 exec, exec, s[2:3]
	s_waitcnt lgkmcnt(0)
	s_barrier
	ds_read_b64 v[116:117], v138
	v_cmp_lt_u32_e32 vcc, 11, v140
	s_and_saveexec_b64 s[2:3], vcc
	s_cbranch_execz .LBB45_61
; %bb.60:
	ds_read2_b64 v[118:121], v139 offset0:12 offset1:13
	ds_read2_b64 v[122:125], v139 offset0:14 offset1:15
	;; [unrolled: 1-line block ×3, first 2 shown]
	s_waitcnt vmcnt(11) lgkmcnt(3)
	v_mul_f64 v[66:67], v[116:117], v[66:67]
	s_waitcnt vmcnt(10) lgkmcnt(2)
	v_fma_f64 v[82:83], -v[66:67], v[118:119], v[82:83]
	s_waitcnt vmcnt(9)
	v_fma_f64 v[64:65], -v[66:67], v[120:121], v[64:65]
	ds_read2_b64 v[118:121], v139 offset0:18 offset1:19
	s_waitcnt vmcnt(8) lgkmcnt(2)
	v_fma_f64 v[80:81], -v[66:67], v[122:123], v[80:81]
	s_waitcnt vmcnt(7)
	v_fma_f64 v[62:63], -v[66:67], v[124:125], v[62:63]
	s_waitcnt vmcnt(6) lgkmcnt(1)
	v_fma_f64 v[78:79], -v[66:67], v[126:127], v[78:79]
	ds_read2_b64 v[122:125], v139 offset0:20 offset1:21
	ds_read_b64 v[126:127], v139 offset:176
	s_waitcnt vmcnt(5)
	v_fma_f64 v[60:61], -v[66:67], v[128:129], v[60:61]
	s_waitcnt vmcnt(4) lgkmcnt(2)
	v_fma_f64 v[76:77], -v[66:67], v[118:119], v[76:77]
	s_waitcnt vmcnt(3)
	v_fma_f64 v[58:59], -v[66:67], v[120:121], v[58:59]
	s_waitcnt vmcnt(2) lgkmcnt(1)
	v_fma_f64 v[74:75], -v[66:67], v[122:123], v[74:75]
	;; [unrolled: 4-line block ×3, first 2 shown]
.LBB45_61:
	s_or_b64 exec, exec, s[2:3]
	v_cmp_eq_u32_e32 vcc, 12, v140
	s_waitcnt lgkmcnt(0)
	s_barrier
	s_and_saveexec_b64 s[2:3], vcc
	s_cbranch_execz .LBB45_64
; %bb.62:
	s_waitcnt vmcnt(10)
	ds_write_b64 v138, v[82:83]
	s_waitcnt vmcnt(8)
	ds_write2_b64 v139, v[64:65], v[80:81] offset0:13 offset1:14
	s_waitcnt vmcnt(6)
	ds_write2_b64 v139, v[62:63], v[78:79] offset0:15 offset1:16
	;; [unrolled: 2-line block ×5, first 2 shown]
	ds_read_b64 v[118:119], v138
	s_waitcnt lgkmcnt(0)
	v_cmp_neq_f64_e32 vcc, 0, v[118:119]
	s_and_b64 exec, exec, vcc
	s_cbranch_execz .LBB45_64
; %bb.63:
	v_div_scale_f64 v[120:121], s[6:7], v[118:119], v[118:119], 1.0
	v_rcp_f64_e32 v[122:123], v[120:121]
	v_div_scale_f64 v[124:125], vcc, 1.0, v[118:119], 1.0
	v_fma_f64 v[126:127], -v[120:121], v[122:123], 1.0
	v_fmac_f64_e32 v[122:123], v[122:123], v[126:127]
	v_fma_f64 v[126:127], -v[120:121], v[122:123], 1.0
	v_fmac_f64_e32 v[122:123], v[122:123], v[126:127]
	v_mul_f64 v[126:127], v[124:125], v[122:123]
	v_fma_f64 v[120:121], -v[120:121], v[126:127], v[124:125]
	v_div_fmas_f64 v[120:121], v[120:121], v[122:123], v[126:127]
	v_div_fixup_f64 v[118:119], v[120:121], v[118:119], 1.0
	ds_write_b64 v138, v[118:119]
.LBB45_64:
	s_or_b64 exec, exec, s[2:3]
	s_waitcnt lgkmcnt(0)
	s_barrier
	ds_read_b64 v[118:119], v138
	v_cmp_lt_u32_e32 vcc, 12, v140
	s_and_saveexec_b64 s[2:3], vcc
	s_cbranch_execz .LBB45_66
; %bb.65:
	ds_read2_b64 v[120:123], v139 offset0:13 offset1:14
	ds_read2_b64 v[124:127], v139 offset0:15 offset1:16
	s_waitcnt vmcnt(10) lgkmcnt(2)
	v_mul_f64 v[82:83], v[118:119], v[82:83]
	ds_read2_b64 v[128:131], v139 offset0:19 offset1:20
	s_waitcnt vmcnt(9) lgkmcnt(2)
	v_fma_f64 v[64:65], -v[82:83], v[120:121], v[64:65]
	s_waitcnt vmcnt(8)
	v_fma_f64 v[80:81], -v[82:83], v[122:123], v[80:81]
	ds_read2_b64 v[120:123], v139 offset0:17 offset1:18
	s_waitcnt vmcnt(7) lgkmcnt(2)
	v_fma_f64 v[62:63], -v[82:83], v[124:125], v[62:63]
	s_waitcnt vmcnt(6)
	v_fma_f64 v[78:79], -v[82:83], v[126:127], v[78:79]
	ds_read2_b64 v[124:127], v139 offset0:21 offset1:22
	s_waitcnt vmcnt(3) lgkmcnt(2)
	v_fma_f64 v[58:59], -v[82:83], v[128:129], v[58:59]
	s_waitcnt lgkmcnt(1)
	v_fma_f64 v[60:61], -v[82:83], v[120:121], v[60:61]
	v_fma_f64 v[76:77], -v[82:83], v[122:123], v[76:77]
	s_waitcnt vmcnt(2)
	v_fma_f64 v[74:75], -v[82:83], v[130:131], v[74:75]
	s_waitcnt vmcnt(1) lgkmcnt(0)
	v_fma_f64 v[56:57], -v[82:83], v[124:125], v[56:57]
	s_waitcnt vmcnt(0)
	v_fma_f64 v[92:93], -v[82:83], v[126:127], v[92:93]
.LBB45_66:
	s_or_b64 exec, exec, s[2:3]
	v_cmp_eq_u32_e32 vcc, 13, v140
	s_waitcnt lgkmcnt(0)
	s_barrier
	s_and_saveexec_b64 s[2:3], vcc
	s_cbranch_execz .LBB45_69
; %bb.67:
	s_waitcnt vmcnt(8)
	v_mov_b32_e32 v120, v80
	v_mov_b32_e32 v121, v81
	s_waitcnt vmcnt(7)
	v_mov_b32_e32 v122, v62
	v_mov_b32_e32 v123, v63
	ds_write_b64 v138, v[64:65]
	ds_write2_b64 v139, v[120:121], v[122:123] offset0:14 offset1:15
	s_waitcnt vmcnt(6)
	v_mov_b32_e32 v120, v78
	v_mov_b32_e32 v121, v79
	s_waitcnt vmcnt(5)
	v_mov_b32_e32 v122, v60
	v_mov_b32_e32 v123, v61
	ds_write2_b64 v139, v[120:121], v[122:123] offset0:16 offset1:17
	s_waitcnt vmcnt(4)
	v_mov_b32_e32 v120, v76
	v_mov_b32_e32 v121, v77
	s_waitcnt vmcnt(3)
	v_mov_b32_e32 v122, v58
	v_mov_b32_e32 v123, v59
	;; [unrolled: 7-line block ×3, first 2 shown]
	ds_write2_b64 v139, v[120:121], v[122:123] offset0:20 offset1:21
	s_waitcnt vmcnt(0)
	ds_write_b64 v139, v[92:93] offset:176
	ds_read_b64 v[120:121], v138
	s_waitcnt lgkmcnt(0)
	v_cmp_neq_f64_e32 vcc, 0, v[120:121]
	s_and_b64 exec, exec, vcc
	s_cbranch_execz .LBB45_69
; %bb.68:
	v_div_scale_f64 v[122:123], s[6:7], v[120:121], v[120:121], 1.0
	v_rcp_f64_e32 v[124:125], v[122:123]
	v_div_scale_f64 v[126:127], vcc, 1.0, v[120:121], 1.0
	v_fma_f64 v[128:129], -v[122:123], v[124:125], 1.0
	v_fmac_f64_e32 v[124:125], v[124:125], v[128:129]
	v_fma_f64 v[128:129], -v[122:123], v[124:125], 1.0
	v_fmac_f64_e32 v[124:125], v[124:125], v[128:129]
	v_mul_f64 v[128:129], v[126:127], v[124:125]
	v_fma_f64 v[122:123], -v[122:123], v[128:129], v[126:127]
	v_div_fmas_f64 v[122:123], v[122:123], v[124:125], v[128:129]
	v_div_fixup_f64 v[120:121], v[122:123], v[120:121], 1.0
	ds_write_b64 v138, v[120:121]
.LBB45_69:
	s_or_b64 exec, exec, s[2:3]
	s_waitcnt lgkmcnt(0)
	s_barrier
	ds_read_b64 v[120:121], v138
	v_cmp_lt_u32_e32 vcc, 13, v140
	s_and_saveexec_b64 s[2:3], vcc
	s_cbranch_execz .LBB45_71
; %bb.70:
	ds_read2_b64 v[122:125], v139 offset0:14 offset1:15
	ds_read2_b64 v[126:129], v139 offset0:16 offset1:17
	s_waitcnt vmcnt(9) lgkmcnt(2)
	v_mul_f64 v[64:65], v[120:121], v[64:65]
	ds_read2_b64 v[130:133], v139 offset0:20 offset1:21
	s_waitcnt vmcnt(8) lgkmcnt(2)
	v_fma_f64 v[80:81], -v[64:65], v[122:123], v[80:81]
	s_waitcnt vmcnt(7)
	v_fma_f64 v[62:63], -v[64:65], v[124:125], v[62:63]
	ds_read2_b64 v[122:125], v139 offset0:18 offset1:19
	s_waitcnt vmcnt(6) lgkmcnt(2)
	v_fma_f64 v[78:79], -v[64:65], v[126:127], v[78:79]
	ds_read_b64 v[126:127], v139 offset:176
	s_waitcnt vmcnt(5)
	v_fma_f64 v[60:61], -v[64:65], v[128:129], v[60:61]
	s_waitcnt vmcnt(2) lgkmcnt(2)
	v_fma_f64 v[74:75], -v[64:65], v[130:131], v[74:75]
	s_waitcnt lgkmcnt(1)
	v_fma_f64 v[76:77], -v[64:65], v[122:123], v[76:77]
	v_fma_f64 v[58:59], -v[64:65], v[124:125], v[58:59]
	s_waitcnt vmcnt(1)
	v_fma_f64 v[56:57], -v[64:65], v[132:133], v[56:57]
	s_waitcnt vmcnt(0) lgkmcnt(0)
	v_fma_f64 v[92:93], -v[64:65], v[126:127], v[92:93]
.LBB45_71:
	s_or_b64 exec, exec, s[2:3]
	v_cmp_eq_u32_e32 vcc, 14, v140
	s_waitcnt lgkmcnt(0)
	s_barrier
	s_and_saveexec_b64 s[2:3], vcc
	s_cbranch_execz .LBB45_74
; %bb.72:
	s_waitcnt vmcnt(8)
	ds_write_b64 v138, v[80:81]
	s_waitcnt vmcnt(6)
	ds_write2_b64 v139, v[62:63], v[78:79] offset0:15 offset1:16
	s_waitcnt vmcnt(4)
	ds_write2_b64 v139, v[60:61], v[76:77] offset0:17 offset1:18
	;; [unrolled: 2-line block ×4, first 2 shown]
	ds_read_b64 v[122:123], v138
	s_waitcnt lgkmcnt(0)
	v_cmp_neq_f64_e32 vcc, 0, v[122:123]
	s_and_b64 exec, exec, vcc
	s_cbranch_execz .LBB45_74
; %bb.73:
	v_div_scale_f64 v[124:125], s[6:7], v[122:123], v[122:123], 1.0
	v_rcp_f64_e32 v[126:127], v[124:125]
	v_div_scale_f64 v[128:129], vcc, 1.0, v[122:123], 1.0
	v_fma_f64 v[130:131], -v[124:125], v[126:127], 1.0
	v_fmac_f64_e32 v[126:127], v[126:127], v[130:131]
	v_fma_f64 v[130:131], -v[124:125], v[126:127], 1.0
	v_fmac_f64_e32 v[126:127], v[126:127], v[130:131]
	v_mul_f64 v[130:131], v[128:129], v[126:127]
	v_fma_f64 v[124:125], -v[124:125], v[130:131], v[128:129]
	v_div_fmas_f64 v[124:125], v[124:125], v[126:127], v[130:131]
	v_div_fixup_f64 v[122:123], v[124:125], v[122:123], 1.0
	ds_write_b64 v138, v[122:123]
.LBB45_74:
	s_or_b64 exec, exec, s[2:3]
	s_waitcnt lgkmcnt(0)
	s_barrier
	ds_read_b64 v[122:123], v138
	v_cmp_lt_u32_e32 vcc, 14, v140
	s_and_saveexec_b64 s[2:3], vcc
	s_cbranch_execz .LBB45_76
; %bb.75:
	ds_read2_b64 v[124:127], v139 offset0:15 offset1:16
	ds_read2_b64 v[128:131], v139 offset0:17 offset1:18
	s_waitcnt vmcnt(8) lgkmcnt(2)
	v_mul_f64 v[80:81], v[122:123], v[80:81]
	ds_read2_b64 v[132:135], v139 offset0:19 offset1:20
	s_waitcnt vmcnt(7) lgkmcnt(2)
	v_fma_f64 v[62:63], -v[80:81], v[124:125], v[62:63]
	s_waitcnt vmcnt(6)
	v_fma_f64 v[78:79], -v[80:81], v[126:127], v[78:79]
	ds_read2_b64 v[124:127], v139 offset0:21 offset1:22
	s_waitcnt vmcnt(5) lgkmcnt(2)
	v_fma_f64 v[60:61], -v[80:81], v[128:129], v[60:61]
	s_waitcnt vmcnt(4)
	v_fma_f64 v[76:77], -v[80:81], v[130:131], v[76:77]
	s_waitcnt vmcnt(3) lgkmcnt(1)
	v_fma_f64 v[58:59], -v[80:81], v[132:133], v[58:59]
	s_waitcnt vmcnt(2)
	v_fma_f64 v[74:75], -v[80:81], v[134:135], v[74:75]
	;; [unrolled: 4-line block ×3, first 2 shown]
.LBB45_76:
	s_or_b64 exec, exec, s[2:3]
	v_cmp_eq_u32_e32 vcc, 15, v140
	s_waitcnt lgkmcnt(0)
	s_barrier
	s_and_saveexec_b64 s[2:3], vcc
	s_cbranch_execz .LBB45_79
; %bb.77:
	s_waitcnt vmcnt(6)
	v_mov_b32_e32 v124, v78
	v_mov_b32_e32 v125, v79
	s_waitcnt vmcnt(5)
	v_mov_b32_e32 v126, v60
	v_mov_b32_e32 v127, v61
	ds_write_b64 v138, v[62:63]
	ds_write2_b64 v139, v[124:125], v[126:127] offset0:16 offset1:17
	s_waitcnt vmcnt(4)
	v_mov_b32_e32 v124, v76
	v_mov_b32_e32 v125, v77
	s_waitcnt vmcnt(3)
	v_mov_b32_e32 v126, v58
	v_mov_b32_e32 v127, v59
	ds_write2_b64 v139, v[124:125], v[126:127] offset0:18 offset1:19
	s_waitcnt vmcnt(2)
	v_mov_b32_e32 v124, v74
	v_mov_b32_e32 v125, v75
	s_waitcnt vmcnt(1)
	v_mov_b32_e32 v126, v56
	v_mov_b32_e32 v127, v57
	ds_write2_b64 v139, v[124:125], v[126:127] offset0:20 offset1:21
	s_waitcnt vmcnt(0)
	ds_write_b64 v139, v[92:93] offset:176
	ds_read_b64 v[124:125], v138
	s_waitcnt lgkmcnt(0)
	v_cmp_neq_f64_e32 vcc, 0, v[124:125]
	s_and_b64 exec, exec, vcc
	s_cbranch_execz .LBB45_79
; %bb.78:
	v_div_scale_f64 v[126:127], s[6:7], v[124:125], v[124:125], 1.0
	v_rcp_f64_e32 v[128:129], v[126:127]
	v_div_scale_f64 v[130:131], vcc, 1.0, v[124:125], 1.0
	v_fma_f64 v[132:133], -v[126:127], v[128:129], 1.0
	v_fmac_f64_e32 v[128:129], v[128:129], v[132:133]
	v_fma_f64 v[132:133], -v[126:127], v[128:129], 1.0
	v_fmac_f64_e32 v[128:129], v[128:129], v[132:133]
	v_mul_f64 v[132:133], v[130:131], v[128:129]
	v_fma_f64 v[126:127], -v[126:127], v[132:133], v[130:131]
	v_div_fmas_f64 v[126:127], v[126:127], v[128:129], v[132:133]
	v_div_fixup_f64 v[124:125], v[126:127], v[124:125], 1.0
	ds_write_b64 v138, v[124:125]
.LBB45_79:
	s_or_b64 exec, exec, s[2:3]
	s_waitcnt lgkmcnt(0)
	s_barrier
	ds_read_b64 v[124:125], v138
	v_cmp_lt_u32_e32 vcc, 15, v140
	s_and_saveexec_b64 s[2:3], vcc
	s_cbranch_execz .LBB45_81
; %bb.80:
	ds_read2_b64 v[126:129], v139 offset0:16 offset1:17
	ds_read2_b64 v[130:133], v139 offset0:18 offset1:19
	s_waitcnt vmcnt(7) lgkmcnt(2)
	v_mul_f64 v[62:63], v[124:125], v[62:63]
	ds_read2_b64 v[134:137], v139 offset0:20 offset1:21
	s_waitcnt vmcnt(6) lgkmcnt(2)
	v_fma_f64 v[78:79], -v[62:63], v[126:127], v[78:79]
	ds_read_b64 v[126:127], v139 offset:176
	s_waitcnt vmcnt(5)
	v_fma_f64 v[60:61], -v[62:63], v[128:129], v[60:61]
	s_waitcnt vmcnt(4) lgkmcnt(2)
	v_fma_f64 v[76:77], -v[62:63], v[130:131], v[76:77]
	s_waitcnt vmcnt(3)
	v_fma_f64 v[58:59], -v[62:63], v[132:133], v[58:59]
	s_waitcnt vmcnt(2) lgkmcnt(1)
	v_fma_f64 v[74:75], -v[62:63], v[134:135], v[74:75]
	;; [unrolled: 4-line block ×3, first 2 shown]
.LBB45_81:
	s_or_b64 exec, exec, s[2:3]
	v_cmp_eq_u32_e32 vcc, 16, v140
	s_waitcnt lgkmcnt(0)
	s_barrier
	s_and_saveexec_b64 s[2:3], vcc
	s_cbranch_execz .LBB45_84
; %bb.82:
	s_waitcnt vmcnt(6)
	ds_write_b64 v138, v[78:79]
	s_waitcnt vmcnt(4)
	ds_write2_b64 v139, v[60:61], v[76:77] offset0:17 offset1:18
	s_waitcnt vmcnt(2)
	ds_write2_b64 v139, v[58:59], v[74:75] offset0:19 offset1:20
	;; [unrolled: 2-line block ×3, first 2 shown]
	ds_read_b64 v[126:127], v138
	s_waitcnt lgkmcnt(0)
	v_cmp_neq_f64_e32 vcc, 0, v[126:127]
	s_and_b64 exec, exec, vcc
	s_cbranch_execz .LBB45_84
; %bb.83:
	v_div_scale_f64 v[128:129], s[6:7], v[126:127], v[126:127], 1.0
	v_rcp_f64_e32 v[130:131], v[128:129]
	v_div_scale_f64 v[132:133], vcc, 1.0, v[126:127], 1.0
	v_fma_f64 v[134:135], -v[128:129], v[130:131], 1.0
	v_fmac_f64_e32 v[130:131], v[130:131], v[134:135]
	v_fma_f64 v[134:135], -v[128:129], v[130:131], 1.0
	v_fmac_f64_e32 v[130:131], v[130:131], v[134:135]
	v_mul_f64 v[134:135], v[132:133], v[130:131]
	v_fma_f64 v[128:129], -v[128:129], v[134:135], v[132:133]
	v_div_fmas_f64 v[128:129], v[128:129], v[130:131], v[134:135]
	v_div_fixup_f64 v[126:127], v[128:129], v[126:127], 1.0
	ds_write_b64 v138, v[126:127]
.LBB45_84:
	s_or_b64 exec, exec, s[2:3]
	s_waitcnt lgkmcnt(0)
	s_barrier
	ds_read_b64 v[126:127], v138
	v_cmp_lt_u32_e32 vcc, 16, v140
	s_and_saveexec_b64 s[2:3], vcc
	s_cbranch_execz .LBB45_86
; %bb.85:
	ds_read2_b64 v[128:131], v139 offset0:17 offset1:18
	ds_read2_b64 v[132:135], v139 offset0:19 offset1:20
	;; [unrolled: 1-line block ×3, first 2 shown]
	s_waitcnt vmcnt(6) lgkmcnt(3)
	v_mul_f64 v[78:79], v[126:127], v[78:79]
	s_waitcnt vmcnt(5) lgkmcnt(2)
	v_fma_f64 v[60:61], -v[78:79], v[128:129], v[60:61]
	s_waitcnt vmcnt(4)
	v_fma_f64 v[76:77], -v[78:79], v[130:131], v[76:77]
	s_waitcnt vmcnt(3) lgkmcnt(1)
	v_fma_f64 v[58:59], -v[78:79], v[132:133], v[58:59]
	s_waitcnt vmcnt(2)
	v_fma_f64 v[74:75], -v[78:79], v[134:135], v[74:75]
	;; [unrolled: 4-line block ×3, first 2 shown]
.LBB45_86:
	s_or_b64 exec, exec, s[2:3]
	v_cmp_eq_u32_e32 vcc, 17, v140
	s_waitcnt lgkmcnt(0)
	s_barrier
	s_and_saveexec_b64 s[2:3], vcc
	s_cbranch_execz .LBB45_89
; %bb.87:
	s_waitcnt vmcnt(4)
	v_mov_b32_e32 v128, v76
	v_mov_b32_e32 v129, v77
	s_waitcnt vmcnt(3)
	v_mov_b32_e32 v130, v58
	v_mov_b32_e32 v131, v59
	ds_write_b64 v138, v[60:61]
	ds_write2_b64 v139, v[128:129], v[130:131] offset0:18 offset1:19
	s_waitcnt vmcnt(2)
	v_mov_b32_e32 v128, v74
	v_mov_b32_e32 v129, v75
	s_waitcnt vmcnt(1)
	v_mov_b32_e32 v130, v56
	v_mov_b32_e32 v131, v57
	ds_write2_b64 v139, v[128:129], v[130:131] offset0:20 offset1:21
	s_waitcnt vmcnt(0)
	ds_write_b64 v139, v[92:93] offset:176
	ds_read_b64 v[128:129], v138
	s_waitcnt lgkmcnt(0)
	v_cmp_neq_f64_e32 vcc, 0, v[128:129]
	s_and_b64 exec, exec, vcc
	s_cbranch_execz .LBB45_89
; %bb.88:
	v_div_scale_f64 v[130:131], s[6:7], v[128:129], v[128:129], 1.0
	v_rcp_f64_e32 v[132:133], v[130:131]
	v_div_scale_f64 v[134:135], vcc, 1.0, v[128:129], 1.0
	v_fma_f64 v[136:137], -v[130:131], v[132:133], 1.0
	v_fmac_f64_e32 v[132:133], v[132:133], v[136:137]
	v_fma_f64 v[136:137], -v[130:131], v[132:133], 1.0
	v_fmac_f64_e32 v[132:133], v[132:133], v[136:137]
	v_mul_f64 v[136:137], v[134:135], v[132:133]
	v_fma_f64 v[130:131], -v[130:131], v[136:137], v[134:135]
	v_div_fmas_f64 v[130:131], v[130:131], v[132:133], v[136:137]
	v_div_fixup_f64 v[128:129], v[130:131], v[128:129], 1.0
	ds_write_b64 v138, v[128:129]
.LBB45_89:
	s_or_b64 exec, exec, s[2:3]
	s_waitcnt lgkmcnt(0)
	s_barrier
	ds_read_b64 v[128:129], v138
	v_cmp_lt_u32_e32 vcc, 17, v140
	s_and_saveexec_b64 s[2:3], vcc
	s_cbranch_execz .LBB45_91
; %bb.90:
	ds_read2_b64 v[130:133], v139 offset0:18 offset1:19
	ds_read2_b64 v[134:137], v139 offset0:20 offset1:21
	ds_read_b64 v[142:143], v139 offset:176
	s_waitcnt vmcnt(5) lgkmcnt(3)
	v_mul_f64 v[60:61], v[128:129], v[60:61]
	s_waitcnt vmcnt(4) lgkmcnt(2)
	v_fma_f64 v[76:77], -v[60:61], v[130:131], v[76:77]
	s_waitcnt vmcnt(3)
	v_fma_f64 v[58:59], -v[60:61], v[132:133], v[58:59]
	s_waitcnt vmcnt(2) lgkmcnt(1)
	v_fma_f64 v[74:75], -v[60:61], v[134:135], v[74:75]
	s_waitcnt vmcnt(1)
	v_fma_f64 v[56:57], -v[60:61], v[136:137], v[56:57]
	s_waitcnt vmcnt(0) lgkmcnt(0)
	v_fma_f64 v[92:93], -v[60:61], v[142:143], v[92:93]
.LBB45_91:
	s_or_b64 exec, exec, s[2:3]
	v_cmp_eq_u32_e32 vcc, 18, v140
	s_waitcnt lgkmcnt(0)
	s_barrier
	s_and_saveexec_b64 s[2:3], vcc
	s_cbranch_execz .LBB45_94
; %bb.92:
	s_waitcnt vmcnt(4)
	ds_write_b64 v138, v[76:77]
	s_waitcnt vmcnt(2)
	ds_write2_b64 v139, v[58:59], v[74:75] offset0:19 offset1:20
	s_waitcnt vmcnt(0)
	ds_write2_b64 v139, v[56:57], v[92:93] offset0:21 offset1:22
	ds_read_b64 v[130:131], v138
	s_waitcnt lgkmcnt(0)
	v_cmp_neq_f64_e32 vcc, 0, v[130:131]
	s_and_b64 exec, exec, vcc
	s_cbranch_execz .LBB45_94
; %bb.93:
	v_div_scale_f64 v[132:133], s[6:7], v[130:131], v[130:131], 1.0
	v_rcp_f64_e32 v[134:135], v[132:133]
	v_div_scale_f64 v[136:137], vcc, 1.0, v[130:131], 1.0
	v_fma_f64 v[142:143], -v[132:133], v[134:135], 1.0
	v_fmac_f64_e32 v[134:135], v[134:135], v[142:143]
	v_fma_f64 v[142:143], -v[132:133], v[134:135], 1.0
	v_fmac_f64_e32 v[134:135], v[134:135], v[142:143]
	v_mul_f64 v[142:143], v[136:137], v[134:135]
	v_fma_f64 v[132:133], -v[132:133], v[142:143], v[136:137]
	v_div_fmas_f64 v[132:133], v[132:133], v[134:135], v[142:143]
	v_div_fixup_f64 v[130:131], v[132:133], v[130:131], 1.0
	ds_write_b64 v138, v[130:131]
.LBB45_94:
	s_or_b64 exec, exec, s[2:3]
	s_waitcnt lgkmcnt(0)
	s_barrier
	ds_read_b64 v[130:131], v138
	v_cmp_lt_u32_e32 vcc, 18, v140
	s_and_saveexec_b64 s[2:3], vcc
	s_cbranch_execz .LBB45_96
; %bb.95:
	ds_read2_b64 v[132:135], v139 offset0:19 offset1:20
	ds_read2_b64 v[142:145], v139 offset0:21 offset1:22
	s_waitcnt vmcnt(4) lgkmcnt(2)
	v_mul_f64 v[76:77], v[130:131], v[76:77]
	s_waitcnt vmcnt(3) lgkmcnt(1)
	v_fma_f64 v[58:59], -v[76:77], v[132:133], v[58:59]
	s_waitcnt vmcnt(2)
	v_fma_f64 v[74:75], -v[76:77], v[134:135], v[74:75]
	s_waitcnt vmcnt(1) lgkmcnt(0)
	v_fma_f64 v[56:57], -v[76:77], v[142:143], v[56:57]
	s_waitcnt vmcnt(0)
	v_fma_f64 v[92:93], -v[76:77], v[144:145], v[92:93]
.LBB45_96:
	s_or_b64 exec, exec, s[2:3]
	v_cmp_eq_u32_e32 vcc, 19, v140
	s_waitcnt lgkmcnt(0)
	s_barrier
	s_and_saveexec_b64 s[2:3], vcc
	s_cbranch_execz .LBB45_99
; %bb.97:
	s_waitcnt vmcnt(2)
	v_mov_b32_e32 v132, v74
	v_mov_b32_e32 v133, v75
	s_waitcnt vmcnt(1)
	v_mov_b32_e32 v134, v56
	v_mov_b32_e32 v135, v57
	ds_write_b64 v138, v[58:59]
	ds_write2_b64 v139, v[132:133], v[134:135] offset0:20 offset1:21
	s_waitcnt vmcnt(0)
	ds_write_b64 v139, v[92:93] offset:176
	ds_read_b64 v[132:133], v138
	s_waitcnt lgkmcnt(0)
	v_cmp_neq_f64_e32 vcc, 0, v[132:133]
	s_and_b64 exec, exec, vcc
	s_cbranch_execz .LBB45_99
; %bb.98:
	v_div_scale_f64 v[134:135], s[6:7], v[132:133], v[132:133], 1.0
	v_rcp_f64_e32 v[136:137], v[134:135]
	v_div_scale_f64 v[142:143], vcc, 1.0, v[132:133], 1.0
	v_fma_f64 v[144:145], -v[134:135], v[136:137], 1.0
	v_fmac_f64_e32 v[136:137], v[136:137], v[144:145]
	v_fma_f64 v[144:145], -v[134:135], v[136:137], 1.0
	v_fmac_f64_e32 v[136:137], v[136:137], v[144:145]
	v_mul_f64 v[144:145], v[142:143], v[136:137]
	v_fma_f64 v[134:135], -v[134:135], v[144:145], v[142:143]
	v_div_fmas_f64 v[134:135], v[134:135], v[136:137], v[144:145]
	v_div_fixup_f64 v[132:133], v[134:135], v[132:133], 1.0
	ds_write_b64 v138, v[132:133]
.LBB45_99:
	s_or_b64 exec, exec, s[2:3]
	s_waitcnt lgkmcnt(0)
	s_barrier
	ds_read_b64 v[132:133], v138
	v_cmp_lt_u32_e32 vcc, 19, v140
	s_and_saveexec_b64 s[2:3], vcc
	s_cbranch_execz .LBB45_101
; %bb.100:
	ds_read2_b64 v[134:137], v139 offset0:20 offset1:21
	ds_read_b64 v[142:143], v139 offset:176
	s_waitcnt vmcnt(3) lgkmcnt(2)
	v_mul_f64 v[58:59], v[132:133], v[58:59]
	s_waitcnt vmcnt(2) lgkmcnt(1)
	v_fma_f64 v[74:75], -v[58:59], v[134:135], v[74:75]
	s_waitcnt vmcnt(1)
	v_fma_f64 v[56:57], -v[58:59], v[136:137], v[56:57]
	s_waitcnt vmcnt(0) lgkmcnt(0)
	v_fma_f64 v[92:93], -v[58:59], v[142:143], v[92:93]
.LBB45_101:
	s_or_b64 exec, exec, s[2:3]
	v_cmp_eq_u32_e32 vcc, 20, v140
	s_waitcnt lgkmcnt(0)
	s_barrier
	s_and_saveexec_b64 s[2:3], vcc
	s_cbranch_execz .LBB45_104
; %bb.102:
	s_waitcnt vmcnt(2)
	ds_write_b64 v138, v[74:75]
	s_waitcnt vmcnt(0)
	ds_write2_b64 v139, v[56:57], v[92:93] offset0:21 offset1:22
	ds_read_b64 v[134:135], v138
	s_waitcnt lgkmcnt(0)
	v_cmp_neq_f64_e32 vcc, 0, v[134:135]
	s_and_b64 exec, exec, vcc
	s_cbranch_execz .LBB45_104
; %bb.103:
	v_div_scale_f64 v[136:137], s[6:7], v[134:135], v[134:135], 1.0
	v_rcp_f64_e32 v[142:143], v[136:137]
	v_div_scale_f64 v[144:145], vcc, 1.0, v[134:135], 1.0
	v_fma_f64 v[146:147], -v[136:137], v[142:143], 1.0
	v_fmac_f64_e32 v[142:143], v[142:143], v[146:147]
	v_fma_f64 v[146:147], -v[136:137], v[142:143], 1.0
	v_fmac_f64_e32 v[142:143], v[142:143], v[146:147]
	v_mul_f64 v[146:147], v[144:145], v[142:143]
	v_fma_f64 v[136:137], -v[136:137], v[146:147], v[144:145]
	v_div_fmas_f64 v[136:137], v[136:137], v[142:143], v[146:147]
	v_div_fixup_f64 v[134:135], v[136:137], v[134:135], 1.0
	ds_write_b64 v138, v[134:135]
.LBB45_104:
	s_or_b64 exec, exec, s[2:3]
	s_waitcnt lgkmcnt(0)
	s_barrier
	ds_read_b64 v[134:135], v138
	v_cmp_lt_u32_e32 vcc, 20, v140
	s_and_saveexec_b64 s[2:3], vcc
	s_cbranch_execz .LBB45_106
; %bb.105:
	ds_read2_b64 v[142:145], v139 offset0:21 offset1:22
	s_waitcnt vmcnt(2) lgkmcnt(1)
	v_mul_f64 v[74:75], v[134:135], v[74:75]
	s_waitcnt vmcnt(1) lgkmcnt(0)
	v_fma_f64 v[56:57], -v[74:75], v[142:143], v[56:57]
	s_waitcnt vmcnt(0)
	v_fma_f64 v[92:93], -v[74:75], v[144:145], v[92:93]
.LBB45_106:
	s_or_b64 exec, exec, s[2:3]
	v_cmp_eq_u32_e32 vcc, 21, v140
	s_waitcnt lgkmcnt(0)
	s_barrier
	s_and_saveexec_b64 s[2:3], vcc
	s_cbranch_execz .LBB45_109
; %bb.107:
	s_waitcnt vmcnt(1)
	ds_write_b64 v138, v[56:57]
	s_waitcnt vmcnt(0)
	ds_write_b64 v139, v[92:93] offset:176
	ds_read_b64 v[136:137], v138
	s_waitcnt lgkmcnt(0)
	v_cmp_neq_f64_e32 vcc, 0, v[136:137]
	s_and_b64 exec, exec, vcc
	s_cbranch_execz .LBB45_109
; %bb.108:
	v_div_scale_f64 v[142:143], s[6:7], v[136:137], v[136:137], 1.0
	v_rcp_f64_e32 v[144:145], v[142:143]
	v_div_scale_f64 v[146:147], vcc, 1.0, v[136:137], 1.0
	v_fma_f64 v[148:149], -v[142:143], v[144:145], 1.0
	v_fmac_f64_e32 v[144:145], v[144:145], v[148:149]
	v_fma_f64 v[148:149], -v[142:143], v[144:145], 1.0
	v_fmac_f64_e32 v[144:145], v[144:145], v[148:149]
	v_mul_f64 v[148:149], v[146:147], v[144:145]
	v_fma_f64 v[142:143], -v[142:143], v[148:149], v[146:147]
	v_div_fmas_f64 v[142:143], v[142:143], v[144:145], v[148:149]
	v_div_fixup_f64 v[136:137], v[142:143], v[136:137], 1.0
	ds_write_b64 v138, v[136:137]
.LBB45_109:
	s_or_b64 exec, exec, s[2:3]
	s_waitcnt lgkmcnt(0)
	s_barrier
	ds_read_b64 v[136:137], v138
	v_cmp_lt_u32_e32 vcc, 21, v140
	s_and_saveexec_b64 s[2:3], vcc
	s_cbranch_execz .LBB45_111
; %bb.110:
	ds_read_b64 v[142:143], v139 offset:176
	s_waitcnt vmcnt(1) lgkmcnt(1)
	v_mul_f64 v[56:57], v[136:137], v[56:57]
	s_waitcnt vmcnt(0) lgkmcnt(0)
	v_fma_f64 v[92:93], -v[56:57], v[142:143], v[92:93]
.LBB45_111:
	s_or_b64 exec, exec, s[2:3]
	v_cmp_eq_u32_e32 vcc, 22, v140
	s_waitcnt lgkmcnt(0)
	s_barrier
	s_and_saveexec_b64 s[2:3], vcc
	s_cbranch_execz .LBB45_114
; %bb.112:
	s_waitcnt vmcnt(0)
	v_cmp_neq_f64_e32 vcc, 0, v[92:93]
	ds_write_b64 v138, v[92:93]
	s_and_b64 exec, exec, vcc
	s_cbranch_execz .LBB45_114
; %bb.113:
	v_div_scale_f64 v[142:143], s[6:7], v[92:93], v[92:93], 1.0
	v_rcp_f64_e32 v[144:145], v[142:143]
	v_div_scale_f64 v[146:147], vcc, 1.0, v[92:93], 1.0
	v_fma_f64 v[148:149], -v[142:143], v[144:145], 1.0
	v_fmac_f64_e32 v[144:145], v[144:145], v[148:149]
	v_fma_f64 v[148:149], -v[142:143], v[144:145], 1.0
	v_fmac_f64_e32 v[144:145], v[144:145], v[148:149]
	v_mul_f64 v[148:149], v[146:147], v[144:145]
	v_fma_f64 v[142:143], -v[142:143], v[148:149], v[146:147]
	v_div_fmas_f64 v[142:143], v[142:143], v[144:145], v[148:149]
	v_div_fixup_f64 v[142:143], v[142:143], v[92:93], 1.0
	ds_write_b64 v138, v[142:143]
.LBB45_114:
	s_or_b64 exec, exec, s[2:3]
	s_waitcnt lgkmcnt(0)
	s_barrier
	ds_read_b64 v[138:139], v138
	s_waitcnt lgkmcnt(0)
	s_barrier
	s_and_saveexec_b64 s[2:3], s[0:1]
	s_cbranch_execz .LBB45_117
; %bb.115:
	v_cmp_eq_f64_e32 vcc, 0, v[94:95]
	v_cmp_neq_f64_e64 s[0:1], 0, v[96:97]
	s_load_dwordx2 s[4:5], s[4:5], 0x28
	v_cndmask_b32_e64 v94, 0, 1, vcc
	s_or_b64 vcc, s[0:1], vcc
	v_cndmask_b32_e32 v94, 2, v94, vcc
	v_cmp_eq_f64_e32 vcc, 0, v[98:99]
	v_cmp_eq_u32_e64 s[0:1], 0, v94
	s_and_b64 s[0:1], vcc, s[0:1]
	v_lshlrev_b64 v[2:3], 2, v[2:3]
	v_cndmask_b32_e64 v94, v94, 3, s[0:1]
	s_waitcnt lgkmcnt(0)
	v_mov_b32_e32 v95, s5
	v_add_co_u32_e64 v2, s[0:1], s4, v2
	v_addc_co_u32_e64 v3, s[0:1], v95, v3, s[0:1]
	global_load_dword v95, v[2:3], off
	v_cmp_eq_f64_e32 vcc, 0, v[100:101]
	v_cmp_eq_u32_e64 s[0:1], 0, v94
	s_and_b64 s[0:1], vcc, s[0:1]
	v_cndmask_b32_e64 v94, v94, 4, s[0:1]
	v_cmp_eq_f64_e32 vcc, 0, v[102:103]
	v_cmp_eq_u32_e64 s[0:1], 0, v94
	s_and_b64 s[0:1], vcc, s[0:1]
	v_cndmask_b32_e64 v94, v94, 5, s[0:1]
	;; [unrolled: 4-line block ×20, first 2 shown]
	s_waitcnt vmcnt(0)
	v_cmp_eq_u32_e32 vcc, 0, v95
	v_cmp_ne_u32_e64 s[0:1], 0, v94
	s_and_b64 s[0:1], vcc, s[0:1]
	s_and_b64 exec, exec, s[0:1]
	s_cbranch_execz .LBB45_117
; %bb.116:
	v_add_u32_e32 v94, s9, v94
	global_store_dword v[2:3], v94, off
.LBB45_117:
	s_or_b64 exec, exec, s[2:3]
	s_waitcnt vmcnt(0)
	v_mul_f64 v[2:3], v[138:139], v[92:93]
	v_cmp_lt_u32_e32 vcc, 22, v140
	v_cndmask_b32_e32 v3, v93, v3, vcc
	v_cndmask_b32_e32 v2, v92, v2, vcc
	global_store_dwordx2 v[0:1], v[48:49], off
	global_store_dwordx2 v[22:23], v[52:53], off
	;; [unrolled: 1-line block ×23, first 2 shown]
.LBB45_118:
	s_endpgm
	.section	.rodata,"a",@progbits
	.p2align	6, 0x0
	.amdhsa_kernel _ZN9rocsolver6v33100L23getf2_npvt_small_kernelILi23EdiiPKPdEEvT1_T3_lS5_lPT2_S5_S5_
		.amdhsa_group_segment_fixed_size 0
		.amdhsa_private_segment_fixed_size 0
		.amdhsa_kernarg_size 312
		.amdhsa_user_sgpr_count 6
		.amdhsa_user_sgpr_private_segment_buffer 1
		.amdhsa_user_sgpr_dispatch_ptr 0
		.amdhsa_user_sgpr_queue_ptr 0
		.amdhsa_user_sgpr_kernarg_segment_ptr 1
		.amdhsa_user_sgpr_dispatch_id 0
		.amdhsa_user_sgpr_flat_scratch_init 0
		.amdhsa_user_sgpr_kernarg_preload_length 0
		.amdhsa_user_sgpr_kernarg_preload_offset 0
		.amdhsa_user_sgpr_private_segment_size 0
		.amdhsa_uses_dynamic_stack 0
		.amdhsa_system_sgpr_private_segment_wavefront_offset 0
		.amdhsa_system_sgpr_workgroup_id_x 1
		.amdhsa_system_sgpr_workgroup_id_y 1
		.amdhsa_system_sgpr_workgroup_id_z 0
		.amdhsa_system_sgpr_workgroup_info 0
		.amdhsa_system_vgpr_workitem_id 1
		.amdhsa_next_free_vgpr 150
		.amdhsa_next_free_sgpr 16
		.amdhsa_accum_offset 152
		.amdhsa_reserve_vcc 1
		.amdhsa_reserve_flat_scratch 0
		.amdhsa_float_round_mode_32 0
		.amdhsa_float_round_mode_16_64 0
		.amdhsa_float_denorm_mode_32 3
		.amdhsa_float_denorm_mode_16_64 3
		.amdhsa_dx10_clamp 1
		.amdhsa_ieee_mode 1
		.amdhsa_fp16_overflow 0
		.amdhsa_tg_split 0
		.amdhsa_exception_fp_ieee_invalid_op 0
		.amdhsa_exception_fp_denorm_src 0
		.amdhsa_exception_fp_ieee_div_zero 0
		.amdhsa_exception_fp_ieee_overflow 0
		.amdhsa_exception_fp_ieee_underflow 0
		.amdhsa_exception_fp_ieee_inexact 0
		.amdhsa_exception_int_div_zero 0
	.end_amdhsa_kernel
	.section	.text._ZN9rocsolver6v33100L23getf2_npvt_small_kernelILi23EdiiPKPdEEvT1_T3_lS5_lPT2_S5_S5_,"axG",@progbits,_ZN9rocsolver6v33100L23getf2_npvt_small_kernelILi23EdiiPKPdEEvT1_T3_lS5_lPT2_S5_S5_,comdat
.Lfunc_end45:
	.size	_ZN9rocsolver6v33100L23getf2_npvt_small_kernelILi23EdiiPKPdEEvT1_T3_lS5_lPT2_S5_S5_, .Lfunc_end45-_ZN9rocsolver6v33100L23getf2_npvt_small_kernelILi23EdiiPKPdEEvT1_T3_lS5_lPT2_S5_S5_
                                        ; -- End function
	.section	.AMDGPU.csdata,"",@progbits
; Kernel info:
; codeLenInByte = 12748
; NumSgprs: 20
; NumVgprs: 150
; NumAgprs: 0
; TotalNumVgprs: 150
; ScratchSize: 0
; MemoryBound: 0
; FloatMode: 240
; IeeeMode: 1
; LDSByteSize: 0 bytes/workgroup (compile time only)
; SGPRBlocks: 2
; VGPRBlocks: 18
; NumSGPRsForWavesPerEU: 20
; NumVGPRsForWavesPerEU: 150
; AccumOffset: 152
; Occupancy: 3
; WaveLimiterHint : 1
; COMPUTE_PGM_RSRC2:SCRATCH_EN: 0
; COMPUTE_PGM_RSRC2:USER_SGPR: 6
; COMPUTE_PGM_RSRC2:TRAP_HANDLER: 0
; COMPUTE_PGM_RSRC2:TGID_X_EN: 1
; COMPUTE_PGM_RSRC2:TGID_Y_EN: 1
; COMPUTE_PGM_RSRC2:TGID_Z_EN: 0
; COMPUTE_PGM_RSRC2:TIDIG_COMP_CNT: 1
; COMPUTE_PGM_RSRC3_GFX90A:ACCUM_OFFSET: 37
; COMPUTE_PGM_RSRC3_GFX90A:TG_SPLIT: 0
	.section	.text._ZN9rocsolver6v33100L18getf2_small_kernelILi24EdiiPKPdEEvT1_T3_lS5_lPS5_llPT2_S5_S5_S7_l,"axG",@progbits,_ZN9rocsolver6v33100L18getf2_small_kernelILi24EdiiPKPdEEvT1_T3_lS5_lPS5_llPT2_S5_S5_S7_l,comdat
	.globl	_ZN9rocsolver6v33100L18getf2_small_kernelILi24EdiiPKPdEEvT1_T3_lS5_lPS5_llPT2_S5_S5_S7_l ; -- Begin function _ZN9rocsolver6v33100L18getf2_small_kernelILi24EdiiPKPdEEvT1_T3_lS5_lPS5_llPT2_S5_S5_S7_l
	.p2align	8
	.type	_ZN9rocsolver6v33100L18getf2_small_kernelILi24EdiiPKPdEEvT1_T3_lS5_lPS5_llPT2_S5_S5_S7_l,@function
_ZN9rocsolver6v33100L18getf2_small_kernelILi24EdiiPKPdEEvT1_T3_lS5_lPS5_llPT2_S5_S5_S7_l: ; @_ZN9rocsolver6v33100L18getf2_small_kernelILi24EdiiPKPdEEvT1_T3_lS5_lPS5_llPT2_S5_S5_S7_l
; %bb.0:
	s_load_dword s0, s[4:5], 0x6c
	s_load_dwordx2 s[12:13], s[4:5], 0x48
	v_bfe_u32 v52, v0, 10, 10
	s_waitcnt lgkmcnt(0)
	s_lshr_b32 s0, s0, 16
	s_mul_i32 s7, s7, s0
	v_add_u32_e32 v2, s7, v52
	v_cmp_gt_i32_e32 vcc, s12, v2
	s_and_saveexec_b64 s[0:1], vcc
	s_cbranch_execz .LBB46_405
; %bb.1:
	s_load_dwordx4 s[0:3], s[4:5], 0x8
	s_load_dwordx4 s[8:11], s[4:5], 0x50
	v_ashrrev_i32_e32 v3, 31, v2
	v_lshlrev_b64 v[4:5], 3, v[2:3]
	v_pk_mov_b32 v[48:49], 0, 0
	s_waitcnt lgkmcnt(0)
	v_mov_b32_e32 v1, s1
	v_add_co_u32_e32 v4, vcc, s0, v4
	v_addc_co_u32_e32 v5, vcc, v1, v5, vcc
	global_load_dwordx2 v[4:5], v[4:5], off
	s_cmp_eq_u64 s[8:9], 0
	s_cselect_b64 s[6:7], -1, 0
	s_and_b64 vcc, exec, s[6:7]
	s_cbranch_vccnz .LBB46_3
; %bb.2:
	v_mul_lo_u32 v1, v3, s10
	v_mul_lo_u32 v8, v2, s11
	v_mad_u64_u32 v[6:7], s[0:1], v2, s10, 0
	v_add3_u32 v7, v7, v8, v1
	v_lshlrev_b64 v[6:7], 2, v[6:7]
	v_mov_b32_e32 v1, s9
	v_add_co_u32_e32 v48, vcc, s8, v6
	v_addc_co_u32_e32 v49, vcc, v1, v7, vcc
.LBB46_3:
	s_load_dword s8, s[4:5], 0x18
	s_load_dword s12, s[4:5], 0x0
	s_lshl_b64 s[0:1], s[2:3], 3
	v_mov_b32_e32 v1, s1
	s_waitcnt vmcnt(0)
	v_add_co_u32_e32 v58, vcc, s0, v4
	v_and_b32_e32 v60, 0x3ff, v0
	v_addc_co_u32_e32 v59, vcc, v5, v1, vcc
	v_lshlrev_b32_e32 v53, 3, v60
	v_add_co_u32_e32 v4, vcc, v58, v53
	s_waitcnt lgkmcnt(0)
	s_ashr_i32 s9, s8, 31
	v_addc_co_u32_e32 v5, vcc, 0, v59, vcc
	s_lshl_b64 s[10:11], s[8:9], 3
	v_mov_b32_e32 v0, s11
	v_add_co_u32_e32 v8, vcc, s10, v4
	s_add_i32 s9, s8, s8
	v_addc_co_u32_e32 v9, vcc, v5, v0, vcc
	v_add_u32_e32 v0, s9, v60
	v_ashrrev_i32_e32 v1, 31, v0
	v_lshlrev_b64 v[6:7], 3, v[0:1]
	v_add_u32_e32 v14, s8, v0
	v_add_co_u32_e32 v10, vcc, v58, v6
	v_ashrrev_i32_e32 v15, 31, v14
	v_addc_co_u32_e32 v11, vcc, v59, v7, vcc
	v_lshlrev_b64 v[0:1], 3, v[14:15]
	v_add_co_u32_e32 v16, vcc, v58, v0
	v_addc_co_u32_e32 v17, vcc, v59, v1, vcc
	global_load_dwordx2 v[18:19], v[4:5], off
	global_load_dwordx2 v[12:13], v[8:9], off
	global_load_dwordx2 v[6:7], v[10:11], off
	global_load_dwordx2 v[0:1], v[16:17], off
	v_add_u32_e32 v4, s8, v14
	v_ashrrev_i32_e32 v5, 31, v4
	v_lshlrev_b64 v[8:9], 3, v[4:5]
	v_add_u32_e32 v4, s8, v4
	v_add_co_u32_e32 v8, vcc, v58, v8
	v_ashrrev_i32_e32 v5, 31, v4
	v_addc_co_u32_e32 v9, vcc, v59, v9, vcc
	v_lshlrev_b64 v[10:11], 3, v[4:5]
	v_add_u32_e32 v4, s8, v4
	v_add_co_u32_e32 v14, vcc, v58, v10
	v_ashrrev_i32_e32 v5, 31, v4
	v_addc_co_u32_e32 v15, vcc, v59, v11, vcc
	v_lshlrev_b64 v[10:11], 3, v[4:5]
	v_add_u32_e32 v22, s8, v4
	v_add_co_u32_e32 v16, vcc, v58, v10
	v_ashrrev_i32_e32 v23, 31, v22
	v_addc_co_u32_e32 v17, vcc, v59, v11, vcc
	v_lshlrev_b64 v[4:5], 3, v[22:23]
	v_add_co_u32_e32 v24, vcc, v58, v4
	v_addc_co_u32_e32 v25, vcc, v59, v5, vcc
	global_load_dwordx2 v[28:29], v[8:9], off
	global_load_dwordx2 v[20:21], v[14:15], off
	global_load_dwordx2 v[10:11], v[16:17], off
	global_load_dwordx2 v[4:5], v[24:25], off
	v_add_u32_e32 v8, s8, v22
	v_ashrrev_i32_e32 v9, 31, v8
	v_lshlrev_b64 v[14:15], 3, v[8:9]
	v_add_u32_e32 v8, s8, v8
	v_add_co_u32_e32 v14, vcc, v58, v14
	v_ashrrev_i32_e32 v9, 31, v8
	v_addc_co_u32_e32 v15, vcc, v59, v15, vcc
	v_lshlrev_b64 v[16:17], 3, v[8:9]
	v_add_u32_e32 v8, s8, v8
	v_add_co_u32_e32 v22, vcc, v58, v16
	v_ashrrev_i32_e32 v9, 31, v8
	v_addc_co_u32_e32 v23, vcc, v59, v17, vcc
	v_lshlrev_b64 v[16:17], 3, v[8:9]
	v_add_u32_e32 v30, s8, v8
	v_add_co_u32_e32 v24, vcc, v58, v16
	v_ashrrev_i32_e32 v31, 31, v30
	v_addc_co_u32_e32 v25, vcc, v59, v17, vcc
	v_lshlrev_b64 v[8:9], 3, v[30:31]
	v_add_co_u32_e32 v32, vcc, v58, v8
	v_addc_co_u32_e32 v33, vcc, v59, v9, vcc
	global_load_dwordx2 v[34:35], v[14:15], off
	global_load_dwordx2 v[26:27], v[22:23], off
	global_load_dwordx2 v[16:17], v[24:25], off
	global_load_dwordx2 v[8:9], v[32:33], off
	v_add_u32_e32 v14, s8, v30
	v_ashrrev_i32_e32 v15, 31, v14
	v_lshlrev_b64 v[22:23], 3, v[14:15]
	v_add_u32_e32 v14, s8, v14
	v_add_co_u32_e32 v22, vcc, v58, v22
	v_ashrrev_i32_e32 v15, 31, v14
	v_addc_co_u32_e32 v23, vcc, v59, v23, vcc
	v_lshlrev_b64 v[24:25], 3, v[14:15]
	v_add_u32_e32 v14, s8, v14
	v_add_co_u32_e32 v30, vcc, v58, v24
	v_ashrrev_i32_e32 v15, 31, v14
	v_addc_co_u32_e32 v31, vcc, v59, v25, vcc
	v_lshlrev_b64 v[24:25], 3, v[14:15]
	v_add_u32_e32 v38, s8, v14
	v_add_co_u32_e32 v36, vcc, v58, v24
	v_ashrrev_i32_e32 v39, 31, v38
	v_addc_co_u32_e32 v37, vcc, v59, v25, vcc
	v_lshlrev_b64 v[14:15], 3, v[38:39]
	v_add_co_u32_e32 v42, vcc, v58, v14
	v_addc_co_u32_e32 v43, vcc, v59, v15, vcc
	global_load_dwordx2 v[40:41], v[22:23], off
	global_load_dwordx2 v[32:33], v[30:31], off
	global_load_dwordx2 v[24:25], v[36:37], off
	global_load_dwordx2 v[14:15], v[42:43], off
	v_add_u32_e32 v22, s8, v38
	v_ashrrev_i32_e32 v23, 31, v22
	v_lshlrev_b64 v[30:31], 3, v[22:23]
	v_add_u32_e32 v22, s8, v22
	v_add_co_u32_e32 v36, vcc, v58, v30
	v_ashrrev_i32_e32 v23, 31, v22
	v_addc_co_u32_e32 v37, vcc, v59, v31, vcc
	v_lshlrev_b64 v[30:31], 3, v[22:23]
	v_add_u32_e32 v22, s8, v22
	v_add_co_u32_e32 v42, vcc, v58, v30
	v_ashrrev_i32_e32 v23, 31, v22
	v_addc_co_u32_e32 v43, vcc, v59, v31, vcc
	v_lshlrev_b64 v[30:31], 3, v[22:23]
	v_add_u32_e32 v50, s8, v22
	v_add_co_u32_e32 v46, vcc, v58, v30
	v_ashrrev_i32_e32 v51, 31, v50
	v_addc_co_u32_e32 v47, vcc, v59, v31, vcc
	v_lshlrev_b64 v[22:23], 3, v[50:51]
	v_add_co_u32_e32 v54, vcc, v58, v22
	v_addc_co_u32_e32 v55, vcc, v59, v23, vcc
	global_load_dwordx2 v[44:45], v[36:37], off
	global_load_dwordx2 v[38:39], v[42:43], off
	global_load_dwordx2 v[30:31], v[46:47], off
	global_load_dwordx2 v[22:23], v[54:55], off
	v_add_u32_e32 v36, s8, v50
	v_ashrrev_i32_e32 v37, 31, v36
	v_lshlrev_b64 v[42:43], 3, v[36:37]
	v_add_u32_e32 v36, s8, v36
	v_add_co_u32_e32 v54, vcc, v58, v42
	v_ashrrev_i32_e32 v37, 31, v36
	v_addc_co_u32_e32 v55, vcc, v59, v43, vcc
	v_lshlrev_b64 v[42:43], 3, v[36:37]
	v_add_u32_e32 v36, s8, v36
	v_add_co_u32_e32 v56, vcc, v58, v42
	v_ashrrev_i32_e32 v37, 31, v36
	v_addc_co_u32_e32 v57, vcc, v59, v43, vcc
	v_lshlrev_b64 v[42:43], 3, v[36:37]
	v_add_u32_e32 v36, s8, v36
	v_add_co_u32_e32 v62, vcc, v58, v42
	v_ashrrev_i32_e32 v37, 31, v36
	v_addc_co_u32_e32 v63, vcc, v59, v43, vcc
	v_lshlrev_b64 v[36:37], 3, v[36:37]
	v_add_co_u32_e32 v64, vcc, v58, v36
	v_addc_co_u32_e32 v65, vcc, v59, v37, vcc
	global_load_dwordx2 v[46:47], v[54:55], off
	global_load_dwordx2 v[42:43], v[56:57], off
	;; [unrolled: 1-line block ×4, first 2 shown]
	s_max_i32 s0, s12, 24
	v_mul_lo_u32 v55, s0, v52
	v_lshl_add_u32 v56, v55, 3, 0
	v_add_u32_e32 v52, v56, v53
	s_waitcnt vmcnt(23)
	ds_write_b64 v52, v[18:19]
	s_waitcnt lgkmcnt(0)
	s_barrier
	ds_read_b64 v[52:53], v56
	v_mov_b32_e32 v54, 0
	s_cmp_lt_i32 s12, 2
	v_lshlrev_b32_e32 v61, 3, v55
	s_cbranch_scc1 .LBB46_6
; %bb.4:
	v_add3_u32 v55, v61, 0, 8
	s_mov_b32 s0, 1
	v_mov_b32_e32 v54, 0
.LBB46_5:                               ; =>This Inner Loop Header: Depth=1
	ds_read_b64 v[62:63], v55
	v_mov_b32_e32 v57, s0
	s_add_i32 s0, s0, 1
	v_add_u32_e32 v55, 8, v55
	s_cmp_eq_u32 s12, s0
	s_waitcnt lgkmcnt(0)
	v_cmp_lt_f64_e64 vcc, |v[52:53]|, |v[62:63]|
	v_cndmask_b32_e32 v53, v53, v63, vcc
	v_cndmask_b32_e32 v52, v52, v62, vcc
	;; [unrolled: 1-line block ×3, first 2 shown]
	s_cbranch_scc0 .LBB46_5
.LBB46_6:
	v_cmp_ne_u32_e32 vcc, v60, v54
                                        ; implicit-def: $vgpr57
	s_and_saveexec_b64 s[0:1], vcc
	s_xor_b64 s[0:1], exec, s[0:1]
	s_cbranch_execz .LBB46_12
; %bb.7:
	v_cmp_eq_u32_e32 vcc, 0, v60
	s_and_saveexec_b64 s[2:3], vcc
	s_cbranch_execz .LBB46_11
; %bb.8:
	v_cmp_ne_u32_e32 vcc, 0, v54
	s_xor_b64 s[14:15], s[6:7], -1
	s_and_b64 s[16:17], s[14:15], vcc
	s_and_saveexec_b64 s[14:15], s[16:17]
	s_cbranch_execz .LBB46_10
; %bb.9:
	v_ashrrev_i32_e32 v55, 31, v54
	v_lshlrev_b64 v[62:63], 2, v[54:55]
	v_add_co_u32_e32 v62, vcc, v48, v62
	v_addc_co_u32_e32 v63, vcc, v49, v63, vcc
	flat_load_dword v55, v[62:63]
	flat_load_dword v57, v[48:49]
	s_waitcnt vmcnt(0) lgkmcnt(0)
	flat_store_dword v[48:49], v55
	flat_store_dword v[62:63], v57
.LBB46_10:
	s_or_b64 exec, exec, s[14:15]
	v_mov_b32_e32 v60, v54
.LBB46_11:
	s_or_b64 exec, exec, s[2:3]
	v_mov_b32_e32 v57, v60
                                        ; implicit-def: $vgpr60
.LBB46_12:
	s_or_saveexec_b64 s[0:1], s[0:1]
	v_mov_b32_e32 v55, v57
	s_xor_b64 exec, exec, s[0:1]
	s_cbranch_execz .LBB46_14
; %bb.13:
	v_mov_b32_e32 v57, 0
	v_mov_b32_e32 v55, v60
	s_waitcnt vmcnt(0)
	ds_write2_b64 v56, v[12:13], v[6:7] offset0:1 offset1:2
	ds_write2_b64 v56, v[0:1], v[28:29] offset0:3 offset1:4
	;; [unrolled: 1-line block ×11, first 2 shown]
	ds_write_b64 v56, v[50:51] offset:184
.LBB46_14:
	s_or_b64 exec, exec, s[0:1]
	s_waitcnt lgkmcnt(0)
	v_cmp_eq_f64_e64 s[0:1], 0, v[52:53]
	v_cmp_lt_i32_e32 vcc, 0, v57
	s_barrier
	s_and_saveexec_b64 s[2:3], vcc
	s_cbranch_execz .LBB46_16
; %bb.15:
	v_div_scale_f64 v[62:63], s[14:15], v[52:53], v[52:53], 1.0
	v_rcp_f64_e32 v[64:65], v[62:63]
	v_div_scale_f64 v[66:67], vcc, 1.0, v[52:53], 1.0
	ds_read2_b64 v[70:73], v56 offset0:5 offset1:6
	v_fma_f64 v[68:69], -v[62:63], v[64:65], 1.0
	v_fmac_f64_e32 v[64:65], v[64:65], v[68:69]
	v_fma_f64 v[68:69], -v[62:63], v[64:65], 1.0
	v_fmac_f64_e32 v[64:65], v[64:65], v[68:69]
	v_mul_f64 v[68:69], v[66:67], v[64:65]
	v_fma_f64 v[62:63], -v[62:63], v[68:69], v[66:67]
	v_div_fmas_f64 v[62:63], v[62:63], v[64:65], v[68:69]
	v_div_fixup_f64 v[66:67], v[62:63], v[52:53], 1.0
	ds_read2_b64 v[62:65], v56 offset0:1 offset1:2
	v_cndmask_b32_e64 v53, v67, v53, s[0:1]
	v_cndmask_b32_e64 v52, v66, v52, s[0:1]
	ds_read2_b64 v[66:69], v56 offset0:3 offset1:4
	v_mul_f64 v[18:19], v[52:53], v[18:19]
	s_waitcnt vmcnt(0) lgkmcnt(0)
	v_fma_f64 v[12:13], -v[18:19], v[62:63], v[12:13]
	v_fma_f64 v[6:7], -v[18:19], v[64:65], v[6:7]
	ds_read2_b64 v[62:65], v56 offset0:7 offset1:8
	v_fma_f64 v[0:1], -v[18:19], v[66:67], v[0:1]
	v_fma_f64 v[28:29], -v[18:19], v[68:69], v[28:29]
	ds_read2_b64 v[66:69], v56 offset0:9 offset1:10
	v_fma_f64 v[20:21], -v[18:19], v[70:71], v[20:21]
	v_fma_f64 v[10:11], -v[18:19], v[72:73], v[10:11]
	ds_read2_b64 v[70:73], v56 offset0:11 offset1:12
	s_waitcnt lgkmcnt(2)
	v_fma_f64 v[4:5], -v[18:19], v[62:63], v[4:5]
	v_fma_f64 v[34:35], -v[18:19], v[64:65], v[34:35]
	s_waitcnt lgkmcnt(1)
	v_fma_f64 v[26:27], -v[18:19], v[66:67], v[26:27]
	ds_read2_b64 v[62:65], v56 offset0:13 offset1:14
	v_fma_f64 v[16:17], -v[18:19], v[68:69], v[16:17]
	ds_read2_b64 v[66:69], v56 offset0:15 offset1:16
	s_waitcnt lgkmcnt(2)
	v_fma_f64 v[8:9], -v[18:19], v[70:71], v[8:9]
	v_fma_f64 v[40:41], -v[18:19], v[72:73], v[40:41]
	s_waitcnt lgkmcnt(1)
	v_fma_f64 v[32:33], -v[18:19], v[62:63], v[32:33]
	ds_read2_b64 v[70:73], v56 offset0:17 offset1:18
	v_fma_f64 v[24:25], -v[18:19], v[64:65], v[24:25]
	ds_read2_b64 v[62:65], v56 offset0:19 offset1:20
	s_waitcnt lgkmcnt(2)
	v_fma_f64 v[14:15], -v[18:19], v[66:67], v[14:15]
	v_fma_f64 v[44:45], -v[18:19], v[68:69], v[44:45]
	ds_read2_b64 v[66:69], v56 offset0:21 offset1:22
	ds_read_b64 v[52:53], v56 offset:184
	s_waitcnt lgkmcnt(3)
	v_fma_f64 v[38:39], -v[18:19], v[70:71], v[38:39]
	v_fma_f64 v[30:31], -v[18:19], v[72:73], v[30:31]
	s_waitcnt lgkmcnt(2)
	v_fma_f64 v[22:23], -v[18:19], v[62:63], v[22:23]
	v_fma_f64 v[46:47], -v[18:19], v[64:65], v[46:47]
	;; [unrolled: 3-line block ×3, first 2 shown]
	s_waitcnt lgkmcnt(0)
	v_fma_f64 v[50:51], -v[18:19], v[52:53], v[50:51]
.LBB46_16:
	s_or_b64 exec, exec, s[2:3]
	v_lshl_add_u32 v52, v57, 3, v56
	s_barrier
	s_waitcnt vmcnt(0)
	ds_write_b64 v52, v[12:13]
	s_waitcnt lgkmcnt(0)
	s_barrier
	ds_read_b64 v[52:53], v56 offset:8
	s_cmp_lt_i32 s12, 3
	v_mov_b32_e32 v54, 1
	s_cbranch_scc1 .LBB46_19
; %bb.17:
	v_add3_u32 v60, v61, 0, 16
	s_mov_b32 s2, 2
	v_mov_b32_e32 v54, 1
.LBB46_18:                              ; =>This Inner Loop Header: Depth=1
	ds_read_b64 v[62:63], v60
	v_mov_b32_e32 v64, s2
	s_add_i32 s2, s2, 1
	v_add_u32_e32 v60, 8, v60
	s_cmp_lg_u32 s12, s2
	s_waitcnt lgkmcnt(0)
	v_cmp_lt_f64_e64 vcc, |v[52:53]|, |v[62:63]|
	v_cndmask_b32_e32 v53, v53, v63, vcc
	v_cndmask_b32_e32 v52, v52, v62, vcc
	;; [unrolled: 1-line block ×3, first 2 shown]
	s_cbranch_scc1 .LBB46_18
.LBB46_19:
	v_cmp_ne_u32_e32 vcc, v57, v54
	s_and_saveexec_b64 s[2:3], vcc
	s_xor_b64 s[2:3], exec, s[2:3]
	s_cbranch_execz .LBB46_25
; %bb.20:
	v_cmp_eq_u32_e32 vcc, 1, v57
	s_and_saveexec_b64 s[14:15], vcc
	s_cbranch_execz .LBB46_24
; %bb.21:
	v_cmp_ne_u32_e32 vcc, 1, v54
	s_xor_b64 s[16:17], s[6:7], -1
	s_and_b64 s[18:19], s[16:17], vcc
	s_and_saveexec_b64 s[16:17], s[18:19]
	s_cbranch_execz .LBB46_23
; %bb.22:
	v_ashrrev_i32_e32 v55, 31, v54
	v_lshlrev_b64 v[62:63], 2, v[54:55]
	v_add_co_u32_e32 v62, vcc, v48, v62
	v_addc_co_u32_e32 v63, vcc, v49, v63, vcc
	flat_load_dword v55, v[62:63]
	flat_load_dword v57, v[48:49] offset:4
	s_waitcnt vmcnt(0) lgkmcnt(0)
	flat_store_dword v[48:49], v55 offset:4
	flat_store_dword v[62:63], v57
.LBB46_23:
	s_or_b64 exec, exec, s[16:17]
	v_mov_b32_e32 v55, v54
	v_mov_b32_e32 v57, v54
.LBB46_24:
	s_or_b64 exec, exec, s[14:15]
.LBB46_25:
	s_andn2_saveexec_b64 s[2:3], s[2:3]
	s_cbranch_execz .LBB46_27
; %bb.26:
	v_mov_b32_e32 v62, v6
	v_mov_b32_e32 v63, v7
	v_mov_b32_e32 v64, v0
	v_mov_b32_e32 v65, v1
	ds_write2_b64 v56, v[62:63], v[64:65] offset0:2 offset1:3
	v_mov_b32_e32 v62, v28
	v_mov_b32_e32 v63, v29
	v_mov_b32_e32 v64, v20
	v_mov_b32_e32 v65, v21
	ds_write2_b64 v56, v[62:63], v[64:65] offset0:4 offset1:5
	;; [unrolled: 5-line block ×10, first 2 shown]
	v_mov_b32_e32 v62, v36
	v_mov_b32_e32 v63, v37
	;; [unrolled: 1-line block ×3, first 2 shown]
	ds_write2_b64 v56, v[62:63], v[50:51] offset0:22 offset1:23
.LBB46_27:
	s_or_b64 exec, exec, s[2:3]
	s_waitcnt lgkmcnt(0)
	v_cmp_neq_f64_e64 s[2:3], 0, v[52:53]
	v_cmp_lt_i32_e32 vcc, 1, v57
	s_barrier
	s_and_saveexec_b64 s[14:15], vcc
	s_cbranch_execz .LBB46_29
; %bb.28:
	v_div_scale_f64 v[62:63], s[16:17], v[52:53], v[52:53], 1.0
	v_rcp_f64_e32 v[64:65], v[62:63]
	v_div_scale_f64 v[66:67], vcc, 1.0, v[52:53], 1.0
	ds_read2_b64 v[70:73], v56 offset0:6 offset1:7
	v_fma_f64 v[68:69], -v[62:63], v[64:65], 1.0
	v_fmac_f64_e32 v[64:65], v[64:65], v[68:69]
	v_fma_f64 v[68:69], -v[62:63], v[64:65], 1.0
	v_fmac_f64_e32 v[64:65], v[64:65], v[68:69]
	v_mul_f64 v[68:69], v[66:67], v[64:65]
	v_fma_f64 v[62:63], -v[62:63], v[68:69], v[66:67]
	v_div_fmas_f64 v[62:63], v[62:63], v[64:65], v[68:69]
	v_div_fixup_f64 v[66:67], v[62:63], v[52:53], 1.0
	ds_read2_b64 v[62:65], v56 offset0:2 offset1:3
	v_cndmask_b32_e64 v53, v53, v67, s[2:3]
	v_cndmask_b32_e64 v52, v52, v66, s[2:3]
	ds_read2_b64 v[66:69], v56 offset0:4 offset1:5
	v_mul_f64 v[12:13], v[52:53], v[12:13]
	s_waitcnt lgkmcnt(0)
	v_fma_f64 v[6:7], -v[12:13], v[62:63], v[6:7]
	v_fma_f64 v[0:1], -v[12:13], v[64:65], v[0:1]
	ds_read2_b64 v[62:65], v56 offset0:8 offset1:9
	v_fma_f64 v[28:29], -v[12:13], v[66:67], v[28:29]
	v_fma_f64 v[20:21], -v[12:13], v[68:69], v[20:21]
	ds_read2_b64 v[66:69], v56 offset0:10 offset1:11
	;; [unrolled: 3-line block ×3, first 2 shown]
	s_waitcnt lgkmcnt(0)
	v_fma_f64 v[34:35], -v[12:13], v[62:63], v[34:35]
	v_fma_f64 v[26:27], -v[12:13], v[64:65], v[26:27]
	v_fma_f64 v[16:17], -v[12:13], v[66:67], v[16:17]
	ds_read2_b64 v[62:65], v56 offset0:14 offset1:15
	v_fma_f64 v[8:9], -v[12:13], v[68:69], v[8:9]
	ds_read2_b64 v[66:69], v56 offset0:16 offset1:17
	v_fma_f64 v[40:41], -v[12:13], v[70:71], v[40:41]
	v_fma_f64 v[32:33], -v[12:13], v[72:73], v[32:33]
	s_waitcnt lgkmcnt(0)
	v_fma_f64 v[24:25], -v[12:13], v[62:63], v[24:25]
	v_fma_f64 v[14:15], -v[12:13], v[64:65], v[14:15]
	ds_read2_b64 v[62:65], v56 offset0:18 offset1:19
	ds_read2_b64 v[70:73], v56 offset0:20 offset1:21
	v_fma_f64 v[44:45], -v[12:13], v[66:67], v[44:45]
	v_fma_f64 v[38:39], -v[12:13], v[68:69], v[38:39]
	ds_read2_b64 v[66:69], v56 offset0:22 offset1:23
	s_waitcnt lgkmcnt(0)
	v_fma_f64 v[30:31], -v[12:13], v[62:63], v[30:31]
	v_fma_f64 v[22:23], -v[12:13], v[64:65], v[22:23]
	;; [unrolled: 1-line block ×6, first 2 shown]
.LBB46_29:
	s_or_b64 exec, exec, s[14:15]
	v_lshl_add_u32 v52, v57, 3, v56
	s_barrier
	ds_write_b64 v52, v[6:7]
	s_waitcnt lgkmcnt(0)
	s_barrier
	ds_read_b64 v[52:53], v56 offset:16
	s_mov_b32 s14, 3
	s_cmp_lt_i32 s12, 4
	v_mov_b32_e32 v54, 2
	s_cbranch_scc1 .LBB46_32
; %bb.30:
	v_add3_u32 v60, v61, 0, 24
	v_mov_b32_e32 v54, 2
.LBB46_31:                              ; =>This Inner Loop Header: Depth=1
	ds_read_b64 v[62:63], v60
	v_mov_b32_e32 v64, s14
	s_add_i32 s14, s14, 1
	v_add_u32_e32 v60, 8, v60
	s_cmp_lg_u32 s12, s14
	s_waitcnt lgkmcnt(0)
	v_cmp_lt_f64_e64 vcc, |v[52:53]|, |v[62:63]|
	v_cndmask_b32_e32 v53, v53, v63, vcc
	v_cndmask_b32_e32 v52, v52, v62, vcc
	v_cndmask_b32_e32 v54, v54, v64, vcc
	s_cbranch_scc1 .LBB46_31
.LBB46_32:
	v_cndmask_b32_e64 v60, 2, 1, s[0:1]
	v_cndmask_b32_e64 v62, 0, 1, s[0:1]
	;; [unrolled: 1-line block ×3, first 2 shown]
	s_waitcnt lgkmcnt(0)
	v_cmp_eq_f64_e32 vcc, 0, v[52:53]
	s_and_saveexec_b64 s[0:1], vcc
	s_xor_b64 s[0:1], exec, s[0:1]
; %bb.33:
	v_cmp_ne_u32_e32 vcc, 0, v60
	v_cndmask_b32_e32 v60, 3, v60, vcc
; %bb.34:
	s_andn2_saveexec_b64 s[0:1], s[0:1]
; %bb.35:
	v_div_scale_f64 v[62:63], s[2:3], v[52:53], v[52:53], 1.0
	v_rcp_f64_e32 v[64:65], v[62:63]
	v_div_scale_f64 v[66:67], vcc, 1.0, v[52:53], 1.0
	v_fma_f64 v[68:69], -v[62:63], v[64:65], 1.0
	v_fmac_f64_e32 v[64:65], v[64:65], v[68:69]
	v_fma_f64 v[68:69], -v[62:63], v[64:65], 1.0
	v_fmac_f64_e32 v[64:65], v[64:65], v[68:69]
	v_mul_f64 v[68:69], v[66:67], v[64:65]
	v_fma_f64 v[62:63], -v[62:63], v[68:69], v[66:67]
	v_div_fmas_f64 v[62:63], v[62:63], v[64:65], v[68:69]
	v_div_fixup_f64 v[52:53], v[62:63], v[52:53], 1.0
; %bb.36:
	s_or_b64 exec, exec, s[0:1]
	v_cmp_ne_u32_e32 vcc, v57, v54
	s_and_saveexec_b64 s[0:1], vcc
	s_xor_b64 s[0:1], exec, s[0:1]
	s_cbranch_execz .LBB46_42
; %bb.37:
	v_cmp_eq_u32_e32 vcc, 2, v57
	s_and_saveexec_b64 s[2:3], vcc
	s_cbranch_execz .LBB46_41
; %bb.38:
	v_cmp_ne_u32_e32 vcc, 2, v54
	s_xor_b64 s[14:15], s[6:7], -1
	s_and_b64 s[16:17], s[14:15], vcc
	s_and_saveexec_b64 s[14:15], s[16:17]
	s_cbranch_execz .LBB46_40
; %bb.39:
	v_ashrrev_i32_e32 v55, 31, v54
	v_lshlrev_b64 v[62:63], 2, v[54:55]
	v_add_co_u32_e32 v62, vcc, v48, v62
	v_addc_co_u32_e32 v63, vcc, v49, v63, vcc
	flat_load_dword v55, v[62:63]
	flat_load_dword v57, v[48:49] offset:8
	s_waitcnt vmcnt(0) lgkmcnt(0)
	flat_store_dword v[48:49], v55 offset:8
	flat_store_dword v[62:63], v57
.LBB46_40:
	s_or_b64 exec, exec, s[14:15]
	v_mov_b32_e32 v55, v54
	v_mov_b32_e32 v57, v54
.LBB46_41:
	s_or_b64 exec, exec, s[2:3]
.LBB46_42:
	s_andn2_saveexec_b64 s[0:1], s[0:1]
	s_cbranch_execz .LBB46_44
; %bb.43:
	v_mov_b32_e32 v57, 2
	ds_write2_b64 v56, v[0:1], v[28:29] offset0:3 offset1:4
	ds_write2_b64 v56, v[20:21], v[10:11] offset0:5 offset1:6
	;; [unrolled: 1-line block ×10, first 2 shown]
	ds_write_b64 v56, v[50:51] offset:184
.LBB46_44:
	s_or_b64 exec, exec, s[0:1]
	v_cmp_lt_i32_e32 vcc, 2, v57
	s_waitcnt lgkmcnt(0)
	s_barrier
	s_and_saveexec_b64 s[0:1], vcc
	s_cbranch_execz .LBB46_46
; %bb.45:
	ds_read2_b64 v[62:65], v56 offset0:3 offset1:4
	ds_read2_b64 v[66:69], v56 offset0:5 offset1:6
	v_mul_f64 v[6:7], v[52:53], v[6:7]
	ds_read2_b64 v[70:73], v56 offset0:7 offset1:8
	ds_read_b64 v[52:53], v56 offset:184
	s_waitcnt lgkmcnt(0)
	v_fma_f64 v[0:1], -v[6:7], v[62:63], v[0:1]
	v_fma_f64 v[28:29], -v[6:7], v[64:65], v[28:29]
	ds_read2_b64 v[62:65], v56 offset0:9 offset1:10
	v_fma_f64 v[20:21], -v[6:7], v[66:67], v[20:21]
	v_fma_f64 v[10:11], -v[6:7], v[68:69], v[10:11]
	;; [unrolled: 1-line block ×3, first 2 shown]
	ds_read2_b64 v[66:69], v56 offset0:11 offset1:12
	v_fma_f64 v[34:35], -v[6:7], v[72:73], v[34:35]
	ds_read2_b64 v[70:73], v56 offset0:13 offset1:14
	s_waitcnt lgkmcnt(0)
	v_fma_f64 v[26:27], -v[6:7], v[62:63], v[26:27]
	v_fma_f64 v[16:17], -v[6:7], v[64:65], v[16:17]
	ds_read2_b64 v[62:65], v56 offset0:15 offset1:16
	v_fma_f64 v[8:9], -v[6:7], v[66:67], v[8:9]
	v_fma_f64 v[40:41], -v[6:7], v[68:69], v[40:41]
	ds_read2_b64 v[66:69], v56 offset0:17 offset1:18
	v_fma_f64 v[32:33], -v[6:7], v[70:71], v[32:33]
	v_fma_f64 v[24:25], -v[6:7], v[72:73], v[24:25]
	s_waitcnt lgkmcnt(0)
	v_fma_f64 v[14:15], -v[6:7], v[62:63], v[14:15]
	v_fma_f64 v[44:45], -v[6:7], v[64:65], v[44:45]
	ds_read2_b64 v[62:65], v56 offset0:19 offset1:20
	ds_read2_b64 v[70:73], v56 offset0:21 offset1:22
	v_fma_f64 v[38:39], -v[6:7], v[66:67], v[38:39]
	v_fma_f64 v[30:31], -v[6:7], v[68:69], v[30:31]
	;; [unrolled: 1-line block ×3, first 2 shown]
	s_waitcnt lgkmcnt(0)
	v_fma_f64 v[22:23], -v[6:7], v[62:63], v[22:23]
	v_fma_f64 v[46:47], -v[6:7], v[64:65], v[46:47]
	;; [unrolled: 1-line block ×4, first 2 shown]
.LBB46_46:
	s_or_b64 exec, exec, s[0:1]
	v_lshl_add_u32 v52, v57, 3, v56
	s_barrier
	ds_write_b64 v52, v[0:1]
	s_waitcnt lgkmcnt(0)
	s_barrier
	ds_read_b64 v[52:53], v56 offset:24
	s_cmp_lt_i32 s12, 5
	v_mov_b32_e32 v54, 3
	s_cbranch_scc1 .LBB46_49
; %bb.47:
	v_add3_u32 v62, v61, 0, 32
	s_mov_b32 s0, 4
	v_mov_b32_e32 v54, 3
.LBB46_48:                              ; =>This Inner Loop Header: Depth=1
	ds_read_b64 v[64:65], v62
	v_mov_b32_e32 v63, s0
	s_add_i32 s0, s0, 1
	v_add_u32_e32 v62, 8, v62
	s_cmp_lg_u32 s12, s0
	s_waitcnt lgkmcnt(0)
	v_cmp_lt_f64_e64 vcc, |v[52:53]|, |v[64:65]|
	v_cndmask_b32_e32 v53, v53, v65, vcc
	v_cndmask_b32_e32 v52, v52, v64, vcc
	;; [unrolled: 1-line block ×3, first 2 shown]
	s_cbranch_scc1 .LBB46_48
.LBB46_49:
	s_waitcnt lgkmcnt(0)
	v_cmp_eq_f64_e32 vcc, 0, v[52:53]
	s_and_saveexec_b64 s[0:1], vcc
	s_xor_b64 s[0:1], exec, s[0:1]
; %bb.50:
	v_cmp_ne_u32_e32 vcc, 0, v60
	v_cndmask_b32_e32 v60, 4, v60, vcc
; %bb.51:
	s_andn2_saveexec_b64 s[0:1], s[0:1]
; %bb.52:
	v_div_scale_f64 v[62:63], s[2:3], v[52:53], v[52:53], 1.0
	v_rcp_f64_e32 v[64:65], v[62:63]
	v_div_scale_f64 v[66:67], vcc, 1.0, v[52:53], 1.0
	v_fma_f64 v[68:69], -v[62:63], v[64:65], 1.0
	v_fmac_f64_e32 v[64:65], v[64:65], v[68:69]
	v_fma_f64 v[68:69], -v[62:63], v[64:65], 1.0
	v_fmac_f64_e32 v[64:65], v[64:65], v[68:69]
	v_mul_f64 v[68:69], v[66:67], v[64:65]
	v_fma_f64 v[62:63], -v[62:63], v[68:69], v[66:67]
	v_div_fmas_f64 v[62:63], v[62:63], v[64:65], v[68:69]
	v_div_fixup_f64 v[52:53], v[62:63], v[52:53], 1.0
; %bb.53:
	s_or_b64 exec, exec, s[0:1]
	v_cmp_ne_u32_e32 vcc, v57, v54
	s_and_saveexec_b64 s[0:1], vcc
	s_xor_b64 s[0:1], exec, s[0:1]
	s_cbranch_execz .LBB46_59
; %bb.54:
	v_cmp_eq_u32_e32 vcc, 3, v57
	s_and_saveexec_b64 s[2:3], vcc
	s_cbranch_execz .LBB46_58
; %bb.55:
	v_cmp_ne_u32_e32 vcc, 3, v54
	s_xor_b64 s[14:15], s[6:7], -1
	s_and_b64 s[16:17], s[14:15], vcc
	s_and_saveexec_b64 s[14:15], s[16:17]
	s_cbranch_execz .LBB46_57
; %bb.56:
	v_ashrrev_i32_e32 v55, 31, v54
	v_lshlrev_b64 v[62:63], 2, v[54:55]
	v_add_co_u32_e32 v62, vcc, v48, v62
	v_addc_co_u32_e32 v63, vcc, v49, v63, vcc
	flat_load_dword v55, v[62:63]
	flat_load_dword v57, v[48:49] offset:12
	s_waitcnt vmcnt(0) lgkmcnt(0)
	flat_store_dword v[48:49], v55 offset:12
	flat_store_dword v[62:63], v57
.LBB46_57:
	s_or_b64 exec, exec, s[14:15]
	v_mov_b32_e32 v55, v54
	v_mov_b32_e32 v57, v54
.LBB46_58:
	s_or_b64 exec, exec, s[2:3]
.LBB46_59:
	s_andn2_saveexec_b64 s[0:1], s[0:1]
	s_cbranch_execz .LBB46_61
; %bb.60:
	v_mov_b32_e32 v62, v28
	v_mov_b32_e32 v63, v29
	v_mov_b32_e32 v64, v20
	v_mov_b32_e32 v65, v21
	ds_write2_b64 v56, v[62:63], v[64:65] offset0:4 offset1:5
	v_mov_b32_e32 v62, v10
	v_mov_b32_e32 v63, v11
	v_mov_b32_e32 v64, v4
	v_mov_b32_e32 v65, v5
	ds_write2_b64 v56, v[62:63], v[64:65] offset0:6 offset1:7
	;; [unrolled: 5-line block ×9, first 2 shown]
	v_mov_b32_e32 v62, v36
	v_mov_b32_e32 v63, v37
	;; [unrolled: 1-line block ×3, first 2 shown]
	ds_write2_b64 v56, v[62:63], v[50:51] offset0:22 offset1:23
.LBB46_61:
	s_or_b64 exec, exec, s[0:1]
	v_cmp_lt_i32_e32 vcc, 3, v57
	s_waitcnt lgkmcnt(0)
	s_barrier
	s_and_saveexec_b64 s[0:1], vcc
	s_cbranch_execz .LBB46_63
; %bb.62:
	ds_read2_b64 v[62:65], v56 offset0:4 offset1:5
	ds_read2_b64 v[66:69], v56 offset0:6 offset1:7
	v_mul_f64 v[0:1], v[52:53], v[0:1]
	ds_read2_b64 v[70:73], v56 offset0:8 offset1:9
	s_waitcnt lgkmcnt(0)
	v_fma_f64 v[28:29], -v[0:1], v[62:63], v[28:29]
	v_fma_f64 v[20:21], -v[0:1], v[64:65], v[20:21]
	ds_read2_b64 v[62:65], v56 offset0:10 offset1:11
	v_fma_f64 v[10:11], -v[0:1], v[66:67], v[10:11]
	v_fma_f64 v[4:5], -v[0:1], v[68:69], v[4:5]
	;; [unrolled: 1-line block ×3, first 2 shown]
	ds_read2_b64 v[66:69], v56 offset0:12 offset1:13
	v_fma_f64 v[26:27], -v[0:1], v[72:73], v[26:27]
	ds_read2_b64 v[70:73], v56 offset0:14 offset1:15
	s_waitcnt lgkmcnt(0)
	v_fma_f64 v[16:17], -v[0:1], v[62:63], v[16:17]
	v_fma_f64 v[8:9], -v[0:1], v[64:65], v[8:9]
	ds_read2_b64 v[62:65], v56 offset0:16 offset1:17
	v_fma_f64 v[40:41], -v[0:1], v[66:67], v[40:41]
	v_fma_f64 v[32:33], -v[0:1], v[68:69], v[32:33]
	ds_read2_b64 v[66:69], v56 offset0:18 offset1:19
	v_fma_f64 v[24:25], -v[0:1], v[70:71], v[24:25]
	v_fma_f64 v[14:15], -v[0:1], v[72:73], v[14:15]
	s_waitcnt lgkmcnt(0)
	v_fma_f64 v[44:45], -v[0:1], v[62:63], v[44:45]
	ds_read2_b64 v[70:73], v56 offset0:20 offset1:21
	v_fma_f64 v[38:39], -v[0:1], v[64:65], v[38:39]
	ds_read2_b64 v[62:65], v56 offset0:22 offset1:23
	v_fma_f64 v[30:31], -v[0:1], v[66:67], v[30:31]
	v_fma_f64 v[22:23], -v[0:1], v[68:69], v[22:23]
	s_waitcnt lgkmcnt(0)
	v_fma_f64 v[46:47], -v[0:1], v[70:71], v[46:47]
	v_fma_f64 v[42:43], -v[0:1], v[72:73], v[42:43]
	;; [unrolled: 1-line block ×4, first 2 shown]
.LBB46_63:
	s_or_b64 exec, exec, s[0:1]
	v_lshl_add_u32 v52, v57, 3, v56
	s_barrier
	ds_write_b64 v52, v[28:29]
	s_waitcnt lgkmcnt(0)
	s_barrier
	ds_read_b64 v[52:53], v56 offset:32
	s_cmp_lt_i32 s12, 6
	v_mov_b32_e32 v54, 4
	s_cbranch_scc1 .LBB46_66
; %bb.64:
	v_add3_u32 v62, v61, 0, 40
	s_mov_b32 s0, 5
	v_mov_b32_e32 v54, 4
.LBB46_65:                              ; =>This Inner Loop Header: Depth=1
	ds_read_b64 v[64:65], v62
	v_mov_b32_e32 v63, s0
	s_add_i32 s0, s0, 1
	v_add_u32_e32 v62, 8, v62
	s_cmp_lg_u32 s12, s0
	s_waitcnt lgkmcnt(0)
	v_cmp_lt_f64_e64 vcc, |v[52:53]|, |v[64:65]|
	v_cndmask_b32_e32 v53, v53, v65, vcc
	v_cndmask_b32_e32 v52, v52, v64, vcc
	;; [unrolled: 1-line block ×3, first 2 shown]
	s_cbranch_scc1 .LBB46_65
.LBB46_66:
	s_waitcnt lgkmcnt(0)
	v_cmp_eq_f64_e32 vcc, 0, v[52:53]
	s_and_saveexec_b64 s[0:1], vcc
	s_xor_b64 s[0:1], exec, s[0:1]
; %bb.67:
	v_cmp_ne_u32_e32 vcc, 0, v60
	v_cndmask_b32_e32 v60, 5, v60, vcc
; %bb.68:
	s_andn2_saveexec_b64 s[0:1], s[0:1]
; %bb.69:
	v_div_scale_f64 v[62:63], s[2:3], v[52:53], v[52:53], 1.0
	v_rcp_f64_e32 v[64:65], v[62:63]
	v_div_scale_f64 v[66:67], vcc, 1.0, v[52:53], 1.0
	v_fma_f64 v[68:69], -v[62:63], v[64:65], 1.0
	v_fmac_f64_e32 v[64:65], v[64:65], v[68:69]
	v_fma_f64 v[68:69], -v[62:63], v[64:65], 1.0
	v_fmac_f64_e32 v[64:65], v[64:65], v[68:69]
	v_mul_f64 v[68:69], v[66:67], v[64:65]
	v_fma_f64 v[62:63], -v[62:63], v[68:69], v[66:67]
	v_div_fmas_f64 v[62:63], v[62:63], v[64:65], v[68:69]
	v_div_fixup_f64 v[52:53], v[62:63], v[52:53], 1.0
; %bb.70:
	s_or_b64 exec, exec, s[0:1]
	v_cmp_ne_u32_e32 vcc, v57, v54
	s_and_saveexec_b64 s[0:1], vcc
	s_xor_b64 s[0:1], exec, s[0:1]
	s_cbranch_execz .LBB46_76
; %bb.71:
	v_cmp_eq_u32_e32 vcc, 4, v57
	s_and_saveexec_b64 s[2:3], vcc
	s_cbranch_execz .LBB46_75
; %bb.72:
	v_cmp_ne_u32_e32 vcc, 4, v54
	s_xor_b64 s[14:15], s[6:7], -1
	s_and_b64 s[16:17], s[14:15], vcc
	s_and_saveexec_b64 s[14:15], s[16:17]
	s_cbranch_execz .LBB46_74
; %bb.73:
	v_ashrrev_i32_e32 v55, 31, v54
	v_lshlrev_b64 v[62:63], 2, v[54:55]
	v_add_co_u32_e32 v62, vcc, v48, v62
	v_addc_co_u32_e32 v63, vcc, v49, v63, vcc
	flat_load_dword v55, v[62:63]
	flat_load_dword v57, v[48:49] offset:16
	s_waitcnt vmcnt(0) lgkmcnt(0)
	flat_store_dword v[48:49], v55 offset:16
	flat_store_dword v[62:63], v57
.LBB46_74:
	s_or_b64 exec, exec, s[14:15]
	v_mov_b32_e32 v55, v54
	v_mov_b32_e32 v57, v54
.LBB46_75:
	s_or_b64 exec, exec, s[2:3]
.LBB46_76:
	s_andn2_saveexec_b64 s[0:1], s[0:1]
	s_cbranch_execz .LBB46_78
; %bb.77:
	v_mov_b32_e32 v57, 4
	ds_write2_b64 v56, v[20:21], v[10:11] offset0:5 offset1:6
	ds_write2_b64 v56, v[4:5], v[34:35] offset0:7 offset1:8
	;; [unrolled: 1-line block ×9, first 2 shown]
	ds_write_b64 v56, v[50:51] offset:184
.LBB46_78:
	s_or_b64 exec, exec, s[0:1]
	v_cmp_lt_i32_e32 vcc, 4, v57
	s_waitcnt lgkmcnt(0)
	s_barrier
	s_and_saveexec_b64 s[0:1], vcc
	s_cbranch_execz .LBB46_80
; %bb.79:
	ds_read2_b64 v[62:65], v56 offset0:5 offset1:6
	ds_read2_b64 v[66:69], v56 offset0:7 offset1:8
	;; [unrolled: 1-line block ×3, first 2 shown]
	v_mul_f64 v[28:29], v[52:53], v[28:29]
	ds_read_b64 v[52:53], v56 offset:184
	s_waitcnt lgkmcnt(0)
	v_fma_f64 v[20:21], -v[28:29], v[62:63], v[20:21]
	v_fma_f64 v[10:11], -v[28:29], v[64:65], v[10:11]
	ds_read2_b64 v[62:65], v56 offset0:11 offset1:12
	v_fma_f64 v[4:5], -v[28:29], v[66:67], v[4:5]
	v_fma_f64 v[34:35], -v[28:29], v[68:69], v[34:35]
	;; [unrolled: 1-line block ×3, first 2 shown]
	ds_read2_b64 v[66:69], v56 offset0:13 offset1:14
	v_fma_f64 v[16:17], -v[28:29], v[72:73], v[16:17]
	ds_read2_b64 v[70:73], v56 offset0:15 offset1:16
	s_waitcnt lgkmcnt(0)
	v_fma_f64 v[8:9], -v[28:29], v[62:63], v[8:9]
	v_fma_f64 v[40:41], -v[28:29], v[64:65], v[40:41]
	v_fma_f64 v[32:33], -v[28:29], v[66:67], v[32:33]
	ds_read2_b64 v[62:65], v56 offset0:17 offset1:18
	v_fma_f64 v[24:25], -v[28:29], v[68:69], v[24:25]
	ds_read2_b64 v[66:69], v56 offset0:19 offset1:20
	v_fma_f64 v[14:15], -v[28:29], v[70:71], v[14:15]
	v_fma_f64 v[44:45], -v[28:29], v[72:73], v[44:45]
	ds_read2_b64 v[70:73], v56 offset0:21 offset1:22
	s_waitcnt lgkmcnt(0)
	v_fma_f64 v[38:39], -v[28:29], v[62:63], v[38:39]
	v_fma_f64 v[30:31], -v[28:29], v[64:65], v[30:31]
	;; [unrolled: 1-line block ×7, first 2 shown]
.LBB46_80:
	s_or_b64 exec, exec, s[0:1]
	v_lshl_add_u32 v52, v57, 3, v56
	s_barrier
	ds_write_b64 v52, v[20:21]
	s_waitcnt lgkmcnt(0)
	s_barrier
	ds_read_b64 v[52:53], v56 offset:40
	s_cmp_lt_i32 s12, 7
	v_mov_b32_e32 v54, 5
	s_cbranch_scc1 .LBB46_83
; %bb.81:
	v_add3_u32 v62, v61, 0, 48
	s_mov_b32 s0, 6
	v_mov_b32_e32 v54, 5
.LBB46_82:                              ; =>This Inner Loop Header: Depth=1
	ds_read_b64 v[64:65], v62
	v_mov_b32_e32 v63, s0
	s_add_i32 s0, s0, 1
	v_add_u32_e32 v62, 8, v62
	s_cmp_lg_u32 s12, s0
	s_waitcnt lgkmcnt(0)
	v_cmp_lt_f64_e64 vcc, |v[52:53]|, |v[64:65]|
	v_cndmask_b32_e32 v53, v53, v65, vcc
	v_cndmask_b32_e32 v52, v52, v64, vcc
	;; [unrolled: 1-line block ×3, first 2 shown]
	s_cbranch_scc1 .LBB46_82
.LBB46_83:
	s_waitcnt lgkmcnt(0)
	v_cmp_eq_f64_e32 vcc, 0, v[52:53]
	s_and_saveexec_b64 s[0:1], vcc
	s_xor_b64 s[0:1], exec, s[0:1]
; %bb.84:
	v_cmp_ne_u32_e32 vcc, 0, v60
	v_cndmask_b32_e32 v60, 6, v60, vcc
; %bb.85:
	s_andn2_saveexec_b64 s[0:1], s[0:1]
; %bb.86:
	v_div_scale_f64 v[62:63], s[2:3], v[52:53], v[52:53], 1.0
	v_rcp_f64_e32 v[64:65], v[62:63]
	v_div_scale_f64 v[66:67], vcc, 1.0, v[52:53], 1.0
	v_fma_f64 v[68:69], -v[62:63], v[64:65], 1.0
	v_fmac_f64_e32 v[64:65], v[64:65], v[68:69]
	v_fma_f64 v[68:69], -v[62:63], v[64:65], 1.0
	v_fmac_f64_e32 v[64:65], v[64:65], v[68:69]
	v_mul_f64 v[68:69], v[66:67], v[64:65]
	v_fma_f64 v[62:63], -v[62:63], v[68:69], v[66:67]
	v_div_fmas_f64 v[62:63], v[62:63], v[64:65], v[68:69]
	v_div_fixup_f64 v[52:53], v[62:63], v[52:53], 1.0
; %bb.87:
	s_or_b64 exec, exec, s[0:1]
	v_cmp_ne_u32_e32 vcc, v57, v54
	s_and_saveexec_b64 s[0:1], vcc
	s_xor_b64 s[0:1], exec, s[0:1]
	s_cbranch_execz .LBB46_93
; %bb.88:
	v_cmp_eq_u32_e32 vcc, 5, v57
	s_and_saveexec_b64 s[2:3], vcc
	s_cbranch_execz .LBB46_92
; %bb.89:
	v_cmp_ne_u32_e32 vcc, 5, v54
	s_xor_b64 s[14:15], s[6:7], -1
	s_and_b64 s[16:17], s[14:15], vcc
	s_and_saveexec_b64 s[14:15], s[16:17]
	s_cbranch_execz .LBB46_91
; %bb.90:
	v_ashrrev_i32_e32 v55, 31, v54
	v_lshlrev_b64 v[62:63], 2, v[54:55]
	v_add_co_u32_e32 v62, vcc, v48, v62
	v_addc_co_u32_e32 v63, vcc, v49, v63, vcc
	flat_load_dword v55, v[62:63]
	flat_load_dword v57, v[48:49] offset:20
	s_waitcnt vmcnt(0) lgkmcnt(0)
	flat_store_dword v[48:49], v55 offset:20
	flat_store_dword v[62:63], v57
.LBB46_91:
	s_or_b64 exec, exec, s[14:15]
	v_mov_b32_e32 v55, v54
	v_mov_b32_e32 v57, v54
.LBB46_92:
	s_or_b64 exec, exec, s[2:3]
.LBB46_93:
	s_andn2_saveexec_b64 s[0:1], s[0:1]
	s_cbranch_execz .LBB46_95
; %bb.94:
	v_mov_b32_e32 v62, v10
	v_mov_b32_e32 v63, v11
	v_mov_b32_e32 v64, v4
	v_mov_b32_e32 v65, v5
	ds_write2_b64 v56, v[62:63], v[64:65] offset0:6 offset1:7
	v_mov_b32_e32 v62, v34
	v_mov_b32_e32 v63, v35
	v_mov_b32_e32 v64, v26
	v_mov_b32_e32 v65, v27
	ds_write2_b64 v56, v[62:63], v[64:65] offset0:8 offset1:9
	;; [unrolled: 5-line block ×8, first 2 shown]
	v_mov_b32_e32 v62, v36
	v_mov_b32_e32 v63, v37
	;; [unrolled: 1-line block ×3, first 2 shown]
	ds_write2_b64 v56, v[62:63], v[50:51] offset0:22 offset1:23
.LBB46_95:
	s_or_b64 exec, exec, s[0:1]
	v_cmp_lt_i32_e32 vcc, 5, v57
	s_waitcnt lgkmcnt(0)
	s_barrier
	s_and_saveexec_b64 s[0:1], vcc
	s_cbranch_execz .LBB46_97
; %bb.96:
	ds_read2_b64 v[62:65], v56 offset0:6 offset1:7
	ds_read2_b64 v[66:69], v56 offset0:8 offset1:9
	;; [unrolled: 1-line block ×3, first 2 shown]
	v_mul_f64 v[20:21], v[52:53], v[20:21]
	s_waitcnt lgkmcnt(0)
	v_fma_f64 v[10:11], -v[20:21], v[62:63], v[10:11]
	v_fma_f64 v[4:5], -v[20:21], v[64:65], v[4:5]
	ds_read2_b64 v[62:65], v56 offset0:12 offset1:13
	v_fma_f64 v[34:35], -v[20:21], v[66:67], v[34:35]
	v_fma_f64 v[26:27], -v[20:21], v[68:69], v[26:27]
	;; [unrolled: 1-line block ×3, first 2 shown]
	ds_read2_b64 v[66:69], v56 offset0:14 offset1:15
	v_fma_f64 v[8:9], -v[20:21], v[72:73], v[8:9]
	ds_read2_b64 v[70:73], v56 offset0:16 offset1:17
	s_waitcnt lgkmcnt(0)
	v_fma_f64 v[40:41], -v[20:21], v[62:63], v[40:41]
	v_fma_f64 v[32:33], -v[20:21], v[64:65], v[32:33]
	;; [unrolled: 1-line block ×4, first 2 shown]
	ds_read2_b64 v[62:65], v56 offset0:18 offset1:19
	ds_read2_b64 v[66:69], v56 offset0:20 offset1:21
	v_fma_f64 v[44:45], -v[20:21], v[70:71], v[44:45]
	v_fma_f64 v[38:39], -v[20:21], v[72:73], v[38:39]
	ds_read2_b64 v[70:73], v56 offset0:22 offset1:23
	s_waitcnt lgkmcnt(0)
	v_fma_f64 v[30:31], -v[20:21], v[62:63], v[30:31]
	v_fma_f64 v[22:23], -v[20:21], v[64:65], v[22:23]
	;; [unrolled: 1-line block ×6, first 2 shown]
.LBB46_97:
	s_or_b64 exec, exec, s[0:1]
	v_lshl_add_u32 v52, v57, 3, v56
	s_barrier
	ds_write_b64 v52, v[10:11]
	s_waitcnt lgkmcnt(0)
	s_barrier
	ds_read_b64 v[52:53], v56 offset:48
	s_cmp_lt_i32 s12, 8
	v_mov_b32_e32 v54, 6
	s_cbranch_scc1 .LBB46_100
; %bb.98:
	v_add3_u32 v62, v61, 0, 56
	s_mov_b32 s0, 7
	v_mov_b32_e32 v54, 6
.LBB46_99:                              ; =>This Inner Loop Header: Depth=1
	ds_read_b64 v[64:65], v62
	v_mov_b32_e32 v63, s0
	s_add_i32 s0, s0, 1
	v_add_u32_e32 v62, 8, v62
	s_cmp_lg_u32 s12, s0
	s_waitcnt lgkmcnt(0)
	v_cmp_lt_f64_e64 vcc, |v[52:53]|, |v[64:65]|
	v_cndmask_b32_e32 v53, v53, v65, vcc
	v_cndmask_b32_e32 v52, v52, v64, vcc
	;; [unrolled: 1-line block ×3, first 2 shown]
	s_cbranch_scc1 .LBB46_99
.LBB46_100:
	s_waitcnt lgkmcnt(0)
	v_cmp_eq_f64_e32 vcc, 0, v[52:53]
	s_and_saveexec_b64 s[0:1], vcc
	s_xor_b64 s[0:1], exec, s[0:1]
; %bb.101:
	v_cmp_ne_u32_e32 vcc, 0, v60
	v_cndmask_b32_e32 v60, 7, v60, vcc
; %bb.102:
	s_andn2_saveexec_b64 s[0:1], s[0:1]
; %bb.103:
	v_div_scale_f64 v[62:63], s[2:3], v[52:53], v[52:53], 1.0
	v_rcp_f64_e32 v[64:65], v[62:63]
	v_div_scale_f64 v[66:67], vcc, 1.0, v[52:53], 1.0
	v_fma_f64 v[68:69], -v[62:63], v[64:65], 1.0
	v_fmac_f64_e32 v[64:65], v[64:65], v[68:69]
	v_fma_f64 v[68:69], -v[62:63], v[64:65], 1.0
	v_fmac_f64_e32 v[64:65], v[64:65], v[68:69]
	v_mul_f64 v[68:69], v[66:67], v[64:65]
	v_fma_f64 v[62:63], -v[62:63], v[68:69], v[66:67]
	v_div_fmas_f64 v[62:63], v[62:63], v[64:65], v[68:69]
	v_div_fixup_f64 v[52:53], v[62:63], v[52:53], 1.0
; %bb.104:
	s_or_b64 exec, exec, s[0:1]
	v_cmp_ne_u32_e32 vcc, v57, v54
	s_and_saveexec_b64 s[0:1], vcc
	s_xor_b64 s[0:1], exec, s[0:1]
	s_cbranch_execz .LBB46_110
; %bb.105:
	v_cmp_eq_u32_e32 vcc, 6, v57
	s_and_saveexec_b64 s[2:3], vcc
	s_cbranch_execz .LBB46_109
; %bb.106:
	v_cmp_ne_u32_e32 vcc, 6, v54
	s_xor_b64 s[14:15], s[6:7], -1
	s_and_b64 s[16:17], s[14:15], vcc
	s_and_saveexec_b64 s[14:15], s[16:17]
	s_cbranch_execz .LBB46_108
; %bb.107:
	v_ashrrev_i32_e32 v55, 31, v54
	v_lshlrev_b64 v[62:63], 2, v[54:55]
	v_add_co_u32_e32 v62, vcc, v48, v62
	v_addc_co_u32_e32 v63, vcc, v49, v63, vcc
	flat_load_dword v55, v[62:63]
	flat_load_dword v57, v[48:49] offset:24
	s_waitcnt vmcnt(0) lgkmcnt(0)
	flat_store_dword v[48:49], v55 offset:24
	flat_store_dword v[62:63], v57
.LBB46_108:
	s_or_b64 exec, exec, s[14:15]
	v_mov_b32_e32 v55, v54
	v_mov_b32_e32 v57, v54
.LBB46_109:
	s_or_b64 exec, exec, s[2:3]
.LBB46_110:
	s_andn2_saveexec_b64 s[0:1], s[0:1]
	s_cbranch_execz .LBB46_112
; %bb.111:
	v_mov_b32_e32 v57, 6
	ds_write2_b64 v56, v[4:5], v[34:35] offset0:7 offset1:8
	ds_write2_b64 v56, v[26:27], v[16:17] offset0:9 offset1:10
	;; [unrolled: 1-line block ×8, first 2 shown]
	ds_write_b64 v56, v[50:51] offset:184
.LBB46_112:
	s_or_b64 exec, exec, s[0:1]
	v_cmp_lt_i32_e32 vcc, 6, v57
	s_waitcnt lgkmcnt(0)
	s_barrier
	s_and_saveexec_b64 s[0:1], vcc
	s_cbranch_execz .LBB46_114
; %bb.113:
	ds_read2_b64 v[62:65], v56 offset0:7 offset1:8
	ds_read2_b64 v[66:69], v56 offset0:9 offset1:10
	v_mul_f64 v[10:11], v[52:53], v[10:11]
	ds_read2_b64 v[70:73], v56 offset0:11 offset1:12
	ds_read_b64 v[52:53], v56 offset:184
	s_waitcnt lgkmcnt(0)
	v_fma_f64 v[4:5], -v[10:11], v[62:63], v[4:5]
	v_fma_f64 v[34:35], -v[10:11], v[64:65], v[34:35]
	ds_read2_b64 v[62:65], v56 offset0:13 offset1:14
	v_fma_f64 v[26:27], -v[10:11], v[66:67], v[26:27]
	v_fma_f64 v[16:17], -v[10:11], v[68:69], v[16:17]
	ds_read2_b64 v[66:69], v56 offset0:15 offset1:16
	;; [unrolled: 3-line block ×3, first 2 shown]
	s_waitcnt lgkmcnt(0)
	v_fma_f64 v[32:33], -v[10:11], v[62:63], v[32:33]
	v_fma_f64 v[24:25], -v[10:11], v[64:65], v[24:25]
	;; [unrolled: 1-line block ×4, first 2 shown]
	ds_read2_b64 v[62:65], v56 offset0:19 offset1:20
	ds_read2_b64 v[66:69], v56 offset0:21 offset1:22
	v_fma_f64 v[38:39], -v[10:11], v[70:71], v[38:39]
	v_fma_f64 v[30:31], -v[10:11], v[72:73], v[30:31]
	;; [unrolled: 1-line block ×3, first 2 shown]
	s_waitcnt lgkmcnt(0)
	v_fma_f64 v[22:23], -v[10:11], v[62:63], v[22:23]
	v_fma_f64 v[46:47], -v[10:11], v[64:65], v[46:47]
	;; [unrolled: 1-line block ×4, first 2 shown]
.LBB46_114:
	s_or_b64 exec, exec, s[0:1]
	v_lshl_add_u32 v52, v57, 3, v56
	s_barrier
	ds_write_b64 v52, v[4:5]
	s_waitcnt lgkmcnt(0)
	s_barrier
	ds_read_b64 v[52:53], v56 offset:56
	s_cmp_lt_i32 s12, 9
	v_mov_b32_e32 v54, 7
	s_cbranch_scc1 .LBB46_117
; %bb.115:
	v_add3_u32 v61, v61, 0, 64
	s_mov_b32 s0, 8
	v_mov_b32_e32 v54, 7
.LBB46_116:                             ; =>This Inner Loop Header: Depth=1
	ds_read_b64 v[62:63], v61
	v_mov_b32_e32 v64, s0
	s_add_i32 s0, s0, 1
	v_add_u32_e32 v61, 8, v61
	s_cmp_lg_u32 s12, s0
	s_waitcnt lgkmcnt(0)
	v_cmp_lt_f64_e64 vcc, |v[52:53]|, |v[62:63]|
	v_cndmask_b32_e32 v53, v53, v63, vcc
	v_cndmask_b32_e32 v52, v52, v62, vcc
	;; [unrolled: 1-line block ×3, first 2 shown]
	s_cbranch_scc1 .LBB46_116
.LBB46_117:
	s_waitcnt lgkmcnt(0)
	v_cmp_eq_f64_e32 vcc, 0, v[52:53]
	s_and_saveexec_b64 s[0:1], vcc
	s_xor_b64 s[0:1], exec, s[0:1]
; %bb.118:
	v_cmp_ne_u32_e32 vcc, 0, v60
	v_cndmask_b32_e32 v60, 8, v60, vcc
; %bb.119:
	s_andn2_saveexec_b64 s[0:1], s[0:1]
; %bb.120:
	v_div_scale_f64 v[62:63], s[2:3], v[52:53], v[52:53], 1.0
	v_rcp_f64_e32 v[64:65], v[62:63]
	v_div_scale_f64 v[66:67], vcc, 1.0, v[52:53], 1.0
	v_fma_f64 v[68:69], -v[62:63], v[64:65], 1.0
	v_fmac_f64_e32 v[64:65], v[64:65], v[68:69]
	v_fma_f64 v[68:69], -v[62:63], v[64:65], 1.0
	v_fmac_f64_e32 v[64:65], v[64:65], v[68:69]
	v_mul_f64 v[68:69], v[66:67], v[64:65]
	v_fma_f64 v[62:63], -v[62:63], v[68:69], v[66:67]
	v_div_fmas_f64 v[62:63], v[62:63], v[64:65], v[68:69]
	v_div_fixup_f64 v[52:53], v[62:63], v[52:53], 1.0
; %bb.121:
	s_or_b64 exec, exec, s[0:1]
	v_cmp_ne_u32_e32 vcc, v57, v54
	s_and_saveexec_b64 s[0:1], vcc
	s_xor_b64 s[0:1], exec, s[0:1]
	s_cbranch_execz .LBB46_127
; %bb.122:
	v_cmp_eq_u32_e32 vcc, 7, v57
	s_and_saveexec_b64 s[2:3], vcc
	s_cbranch_execz .LBB46_126
; %bb.123:
	v_cmp_ne_u32_e32 vcc, 7, v54
	s_xor_b64 s[14:15], s[6:7], -1
	s_and_b64 s[16:17], s[14:15], vcc
	s_and_saveexec_b64 s[14:15], s[16:17]
	s_cbranch_execz .LBB46_125
; %bb.124:
	v_ashrrev_i32_e32 v55, 31, v54
	v_lshlrev_b64 v[62:63], 2, v[54:55]
	v_add_co_u32_e32 v62, vcc, v48, v62
	v_addc_co_u32_e32 v63, vcc, v49, v63, vcc
	flat_load_dword v55, v[62:63]
	flat_load_dword v57, v[48:49] offset:28
	s_waitcnt vmcnt(0) lgkmcnt(0)
	flat_store_dword v[48:49], v55 offset:28
	flat_store_dword v[62:63], v57
.LBB46_125:
	s_or_b64 exec, exec, s[14:15]
	v_mov_b32_e32 v55, v54
	v_mov_b32_e32 v57, v54
.LBB46_126:
	s_or_b64 exec, exec, s[2:3]
.LBB46_127:
	s_andn2_saveexec_b64 s[0:1], s[0:1]
	s_cbranch_execz .LBB46_129
; %bb.128:
	v_mov_b32_e32 v62, v34
	v_mov_b32_e32 v63, v35
	v_mov_b32_e32 v64, v26
	v_mov_b32_e32 v65, v27
	ds_write2_b64 v56, v[62:63], v[64:65] offset0:8 offset1:9
	v_mov_b32_e32 v62, v16
	v_mov_b32_e32 v63, v17
	v_mov_b32_e32 v64, v8
	v_mov_b32_e32 v65, v9
	ds_write2_b64 v56, v[62:63], v[64:65] offset0:10 offset1:11
	;; [unrolled: 5-line block ×7, first 2 shown]
	v_mov_b32_e32 v62, v36
	v_mov_b32_e32 v63, v37
	;; [unrolled: 1-line block ×3, first 2 shown]
	ds_write2_b64 v56, v[62:63], v[50:51] offset0:22 offset1:23
.LBB46_129:
	s_or_b64 exec, exec, s[0:1]
	v_cmp_lt_i32_e32 vcc, 7, v57
	s_waitcnt lgkmcnt(0)
	s_barrier
	s_and_saveexec_b64 s[0:1], vcc
	s_cbranch_execz .LBB46_131
; %bb.130:
	ds_read2_b64 v[62:65], v56 offset0:8 offset1:9
	ds_read2_b64 v[66:69], v56 offset0:10 offset1:11
	v_mul_f64 v[4:5], v[52:53], v[4:5]
	ds_read2_b64 v[70:73], v56 offset0:12 offset1:13
	s_waitcnt lgkmcnt(0)
	v_fma_f64 v[34:35], -v[4:5], v[62:63], v[34:35]
	v_fma_f64 v[26:27], -v[4:5], v[64:65], v[26:27]
	ds_read2_b64 v[62:65], v56 offset0:14 offset1:15
	v_fma_f64 v[16:17], -v[4:5], v[66:67], v[16:17]
	v_fma_f64 v[8:9], -v[4:5], v[68:69], v[8:9]
	ds_read2_b64 v[66:69], v56 offset0:16 offset1:17
	v_fma_f64 v[40:41], -v[4:5], v[70:71], v[40:41]
	v_fma_f64 v[32:33], -v[4:5], v[72:73], v[32:33]
	s_waitcnt lgkmcnt(0)
	v_fma_f64 v[24:25], -v[4:5], v[62:63], v[24:25]
	v_fma_f64 v[14:15], -v[4:5], v[64:65], v[14:15]
	ds_read2_b64 v[62:65], v56 offset0:18 offset1:19
	v_fma_f64 v[44:45], -v[4:5], v[66:67], v[44:45]
	ds_read2_b64 v[70:73], v56 offset0:20 offset1:21
	;; [unrolled: 2-line block ×3, first 2 shown]
	s_waitcnt lgkmcnt(0)
	v_fma_f64 v[30:31], -v[4:5], v[62:63], v[30:31]
	v_fma_f64 v[22:23], -v[4:5], v[64:65], v[22:23]
	;; [unrolled: 1-line block ×6, first 2 shown]
.LBB46_131:
	s_or_b64 exec, exec, s[0:1]
	v_lshl_add_u32 v52, v57, 3, v56
	s_barrier
	ds_write_b64 v52, v[34:35]
	s_waitcnt lgkmcnt(0)
	s_barrier
	ds_read_b64 v[52:53], v56 offset:64
	s_cmp_lt_i32 s12, 10
	v_mov_b32_e32 v54, 8
	s_cbranch_scc1 .LBB46_134
; %bb.132:
	v_add_u32_e32 v61, 0x48, v56
	s_mov_b32 s0, 9
	v_mov_b32_e32 v54, 8
.LBB46_133:                             ; =>This Inner Loop Header: Depth=1
	ds_read_b64 v[62:63], v61
	v_mov_b32_e32 v64, s0
	s_add_i32 s0, s0, 1
	v_add_u32_e32 v61, 8, v61
	s_cmp_lg_u32 s12, s0
	s_waitcnt lgkmcnt(0)
	v_cmp_lt_f64_e64 vcc, |v[52:53]|, |v[62:63]|
	v_cndmask_b32_e32 v53, v53, v63, vcc
	v_cndmask_b32_e32 v52, v52, v62, vcc
	;; [unrolled: 1-line block ×3, first 2 shown]
	s_cbranch_scc1 .LBB46_133
.LBB46_134:
	s_waitcnt lgkmcnt(0)
	v_cmp_eq_f64_e32 vcc, 0, v[52:53]
	s_and_saveexec_b64 s[0:1], vcc
	s_xor_b64 s[0:1], exec, s[0:1]
; %bb.135:
	v_cmp_ne_u32_e32 vcc, 0, v60
	v_cndmask_b32_e32 v60, 9, v60, vcc
; %bb.136:
	s_andn2_saveexec_b64 s[0:1], s[0:1]
; %bb.137:
	v_div_scale_f64 v[62:63], s[2:3], v[52:53], v[52:53], 1.0
	v_rcp_f64_e32 v[64:65], v[62:63]
	v_div_scale_f64 v[66:67], vcc, 1.0, v[52:53], 1.0
	v_fma_f64 v[68:69], -v[62:63], v[64:65], 1.0
	v_fmac_f64_e32 v[64:65], v[64:65], v[68:69]
	v_fma_f64 v[68:69], -v[62:63], v[64:65], 1.0
	v_fmac_f64_e32 v[64:65], v[64:65], v[68:69]
	v_mul_f64 v[68:69], v[66:67], v[64:65]
	v_fma_f64 v[62:63], -v[62:63], v[68:69], v[66:67]
	v_div_fmas_f64 v[62:63], v[62:63], v[64:65], v[68:69]
	v_div_fixup_f64 v[52:53], v[62:63], v[52:53], 1.0
; %bb.138:
	s_or_b64 exec, exec, s[0:1]
	v_cmp_ne_u32_e32 vcc, v57, v54
	s_and_saveexec_b64 s[0:1], vcc
	s_xor_b64 s[0:1], exec, s[0:1]
	s_cbranch_execz .LBB46_144
; %bb.139:
	v_cmp_eq_u32_e32 vcc, 8, v57
	s_and_saveexec_b64 s[2:3], vcc
	s_cbranch_execz .LBB46_143
; %bb.140:
	v_cmp_ne_u32_e32 vcc, 8, v54
	s_xor_b64 s[14:15], s[6:7], -1
	s_and_b64 s[16:17], s[14:15], vcc
	s_and_saveexec_b64 s[14:15], s[16:17]
	s_cbranch_execz .LBB46_142
; %bb.141:
	v_ashrrev_i32_e32 v55, 31, v54
	v_lshlrev_b64 v[62:63], 2, v[54:55]
	v_add_co_u32_e32 v62, vcc, v48, v62
	v_addc_co_u32_e32 v63, vcc, v49, v63, vcc
	flat_load_dword v55, v[62:63]
	flat_load_dword v57, v[48:49] offset:32
	s_waitcnt vmcnt(0) lgkmcnt(0)
	flat_store_dword v[48:49], v55 offset:32
	flat_store_dword v[62:63], v57
.LBB46_142:
	s_or_b64 exec, exec, s[14:15]
	v_mov_b32_e32 v55, v54
	v_mov_b32_e32 v57, v54
.LBB46_143:
	s_or_b64 exec, exec, s[2:3]
.LBB46_144:
	s_andn2_saveexec_b64 s[0:1], s[0:1]
	s_cbranch_execz .LBB46_146
; %bb.145:
	v_mov_b32_e32 v57, 8
	ds_write2_b64 v56, v[26:27], v[16:17] offset0:9 offset1:10
	ds_write2_b64 v56, v[8:9], v[40:41] offset0:11 offset1:12
	;; [unrolled: 1-line block ×7, first 2 shown]
	ds_write_b64 v56, v[50:51] offset:184
.LBB46_146:
	s_or_b64 exec, exec, s[0:1]
	v_cmp_lt_i32_e32 vcc, 8, v57
	s_waitcnt lgkmcnt(0)
	s_barrier
	s_and_saveexec_b64 s[0:1], vcc
	s_cbranch_execz .LBB46_148
; %bb.147:
	ds_read2_b64 v[62:65], v56 offset0:9 offset1:10
	ds_read2_b64 v[66:69], v56 offset0:11 offset1:12
	v_mul_f64 v[34:35], v[52:53], v[34:35]
	ds_read2_b64 v[70:73], v56 offset0:13 offset1:14
	ds_read_b64 v[52:53], v56 offset:184
	s_waitcnt lgkmcnt(0)
	v_fma_f64 v[26:27], -v[34:35], v[62:63], v[26:27]
	v_fma_f64 v[16:17], -v[34:35], v[64:65], v[16:17]
	ds_read2_b64 v[62:65], v56 offset0:15 offset1:16
	v_fma_f64 v[8:9], -v[34:35], v[66:67], v[8:9]
	v_fma_f64 v[40:41], -v[34:35], v[68:69], v[40:41]
	;; [unrolled: 1-line block ×3, first 2 shown]
	ds_read2_b64 v[66:69], v56 offset0:17 offset1:18
	v_fma_f64 v[24:25], -v[34:35], v[72:73], v[24:25]
	s_waitcnt lgkmcnt(0)
	v_fma_f64 v[14:15], -v[34:35], v[62:63], v[14:15]
	v_fma_f64 v[44:45], -v[34:35], v[64:65], v[44:45]
	ds_read2_b64 v[62:65], v56 offset0:19 offset1:20
	ds_read2_b64 v[70:73], v56 offset0:21 offset1:22
	v_fma_f64 v[38:39], -v[34:35], v[66:67], v[38:39]
	v_fma_f64 v[30:31], -v[34:35], v[68:69], v[30:31]
	;; [unrolled: 1-line block ×3, first 2 shown]
	s_waitcnt lgkmcnt(0)
	v_fma_f64 v[22:23], -v[34:35], v[62:63], v[22:23]
	v_fma_f64 v[46:47], -v[34:35], v[64:65], v[46:47]
	v_fma_f64 v[42:43], -v[34:35], v[70:71], v[42:43]
	v_fma_f64 v[36:37], -v[34:35], v[72:73], v[36:37]
.LBB46_148:
	s_or_b64 exec, exec, s[0:1]
	v_lshl_add_u32 v52, v57, 3, v56
	s_barrier
	ds_write_b64 v52, v[26:27]
	s_waitcnt lgkmcnt(0)
	s_barrier
	ds_read_b64 v[52:53], v56 offset:72
	s_cmp_lt_i32 s12, 11
	v_mov_b32_e32 v54, 9
	s_cbranch_scc1 .LBB46_151
; %bb.149:
	v_add_u32_e32 v61, 0x50, v56
	s_mov_b32 s0, 10
	v_mov_b32_e32 v54, 9
.LBB46_150:                             ; =>This Inner Loop Header: Depth=1
	ds_read_b64 v[62:63], v61
	v_mov_b32_e32 v64, s0
	s_add_i32 s0, s0, 1
	v_add_u32_e32 v61, 8, v61
	s_cmp_lg_u32 s12, s0
	s_waitcnt lgkmcnt(0)
	v_cmp_lt_f64_e64 vcc, |v[52:53]|, |v[62:63]|
	v_cndmask_b32_e32 v53, v53, v63, vcc
	v_cndmask_b32_e32 v52, v52, v62, vcc
	;; [unrolled: 1-line block ×3, first 2 shown]
	s_cbranch_scc1 .LBB46_150
.LBB46_151:
	s_waitcnt lgkmcnt(0)
	v_cmp_eq_f64_e32 vcc, 0, v[52:53]
	s_and_saveexec_b64 s[0:1], vcc
	s_xor_b64 s[0:1], exec, s[0:1]
; %bb.152:
	v_cmp_ne_u32_e32 vcc, 0, v60
	v_cndmask_b32_e32 v60, 10, v60, vcc
; %bb.153:
	s_andn2_saveexec_b64 s[0:1], s[0:1]
; %bb.154:
	v_div_scale_f64 v[62:63], s[2:3], v[52:53], v[52:53], 1.0
	v_rcp_f64_e32 v[64:65], v[62:63]
	v_div_scale_f64 v[66:67], vcc, 1.0, v[52:53], 1.0
	v_fma_f64 v[68:69], -v[62:63], v[64:65], 1.0
	v_fmac_f64_e32 v[64:65], v[64:65], v[68:69]
	v_fma_f64 v[68:69], -v[62:63], v[64:65], 1.0
	v_fmac_f64_e32 v[64:65], v[64:65], v[68:69]
	v_mul_f64 v[68:69], v[66:67], v[64:65]
	v_fma_f64 v[62:63], -v[62:63], v[68:69], v[66:67]
	v_div_fmas_f64 v[62:63], v[62:63], v[64:65], v[68:69]
	v_div_fixup_f64 v[52:53], v[62:63], v[52:53], 1.0
; %bb.155:
	s_or_b64 exec, exec, s[0:1]
	v_cmp_ne_u32_e32 vcc, v57, v54
	s_and_saveexec_b64 s[0:1], vcc
	s_xor_b64 s[0:1], exec, s[0:1]
	s_cbranch_execz .LBB46_161
; %bb.156:
	v_cmp_eq_u32_e32 vcc, 9, v57
	s_and_saveexec_b64 s[2:3], vcc
	s_cbranch_execz .LBB46_160
; %bb.157:
	v_cmp_ne_u32_e32 vcc, 9, v54
	s_xor_b64 s[14:15], s[6:7], -1
	s_and_b64 s[16:17], s[14:15], vcc
	s_and_saveexec_b64 s[14:15], s[16:17]
	s_cbranch_execz .LBB46_159
; %bb.158:
	v_ashrrev_i32_e32 v55, 31, v54
	v_lshlrev_b64 v[62:63], 2, v[54:55]
	v_add_co_u32_e32 v62, vcc, v48, v62
	v_addc_co_u32_e32 v63, vcc, v49, v63, vcc
	flat_load_dword v55, v[62:63]
	flat_load_dword v57, v[48:49] offset:36
	s_waitcnt vmcnt(0) lgkmcnt(0)
	flat_store_dword v[48:49], v55 offset:36
	flat_store_dword v[62:63], v57
.LBB46_159:
	s_or_b64 exec, exec, s[14:15]
	v_mov_b32_e32 v55, v54
	v_mov_b32_e32 v57, v54
.LBB46_160:
	s_or_b64 exec, exec, s[2:3]
.LBB46_161:
	s_andn2_saveexec_b64 s[0:1], s[0:1]
	s_cbranch_execz .LBB46_163
; %bb.162:
	v_mov_b32_e32 v62, v16
	v_mov_b32_e32 v63, v17
	v_mov_b32_e32 v64, v8
	v_mov_b32_e32 v65, v9
	ds_write2_b64 v56, v[62:63], v[64:65] offset0:10 offset1:11
	v_mov_b32_e32 v62, v40
	v_mov_b32_e32 v63, v41
	v_mov_b32_e32 v64, v32
	v_mov_b32_e32 v65, v33
	ds_write2_b64 v56, v[62:63], v[64:65] offset0:12 offset1:13
	;; [unrolled: 5-line block ×6, first 2 shown]
	v_mov_b32_e32 v62, v36
	v_mov_b32_e32 v63, v37
	;; [unrolled: 1-line block ×3, first 2 shown]
	ds_write2_b64 v56, v[62:63], v[50:51] offset0:22 offset1:23
.LBB46_163:
	s_or_b64 exec, exec, s[0:1]
	v_cmp_lt_i32_e32 vcc, 9, v57
	s_waitcnt lgkmcnt(0)
	s_barrier
	s_and_saveexec_b64 s[0:1], vcc
	s_cbranch_execz .LBB46_165
; %bb.164:
	ds_read2_b64 v[62:65], v56 offset0:10 offset1:11
	ds_read2_b64 v[66:69], v56 offset0:12 offset1:13
	v_mul_f64 v[26:27], v[52:53], v[26:27]
	ds_read2_b64 v[70:73], v56 offset0:14 offset1:15
	s_waitcnt lgkmcnt(0)
	v_fma_f64 v[16:17], -v[26:27], v[62:63], v[16:17]
	v_fma_f64 v[8:9], -v[26:27], v[64:65], v[8:9]
	ds_read2_b64 v[62:65], v56 offset0:16 offset1:17
	v_fma_f64 v[40:41], -v[26:27], v[66:67], v[40:41]
	v_fma_f64 v[32:33], -v[26:27], v[68:69], v[32:33]
	;; [unrolled: 1-line block ×4, first 2 shown]
	ds_read2_b64 v[66:69], v56 offset0:18 offset1:19
	ds_read2_b64 v[70:73], v56 offset0:20 offset1:21
	s_waitcnt lgkmcnt(0)
	v_fma_f64 v[44:45], -v[26:27], v[62:63], v[44:45]
	v_fma_f64 v[38:39], -v[26:27], v[64:65], v[38:39]
	ds_read2_b64 v[62:65], v56 offset0:22 offset1:23
	v_fma_f64 v[30:31], -v[26:27], v[66:67], v[30:31]
	v_fma_f64 v[22:23], -v[26:27], v[68:69], v[22:23]
	;; [unrolled: 1-line block ×4, first 2 shown]
	s_waitcnt lgkmcnt(0)
	v_fma_f64 v[36:37], -v[26:27], v[62:63], v[36:37]
	v_fma_f64 v[50:51], -v[26:27], v[64:65], v[50:51]
.LBB46_165:
	s_or_b64 exec, exec, s[0:1]
	v_lshl_add_u32 v52, v57, 3, v56
	s_barrier
	ds_write_b64 v52, v[16:17]
	s_waitcnt lgkmcnt(0)
	s_barrier
	ds_read_b64 v[52:53], v56 offset:80
	s_cmp_lt_i32 s12, 12
	v_mov_b32_e32 v54, 10
	s_cbranch_scc1 .LBB46_168
; %bb.166:
	v_add_u32_e32 v61, 0x58, v56
	s_mov_b32 s0, 11
	v_mov_b32_e32 v54, 10
.LBB46_167:                             ; =>This Inner Loop Header: Depth=1
	ds_read_b64 v[62:63], v61
	v_mov_b32_e32 v64, s0
	s_add_i32 s0, s0, 1
	v_add_u32_e32 v61, 8, v61
	s_cmp_lg_u32 s12, s0
	s_waitcnt lgkmcnt(0)
	v_cmp_lt_f64_e64 vcc, |v[52:53]|, |v[62:63]|
	v_cndmask_b32_e32 v53, v53, v63, vcc
	v_cndmask_b32_e32 v52, v52, v62, vcc
	;; [unrolled: 1-line block ×3, first 2 shown]
	s_cbranch_scc1 .LBB46_167
.LBB46_168:
	s_waitcnt lgkmcnt(0)
	v_cmp_eq_f64_e32 vcc, 0, v[52:53]
	s_and_saveexec_b64 s[0:1], vcc
	s_xor_b64 s[0:1], exec, s[0:1]
; %bb.169:
	v_cmp_ne_u32_e32 vcc, 0, v60
	v_cndmask_b32_e32 v60, 11, v60, vcc
; %bb.170:
	s_andn2_saveexec_b64 s[0:1], s[0:1]
; %bb.171:
	v_div_scale_f64 v[62:63], s[2:3], v[52:53], v[52:53], 1.0
	v_rcp_f64_e32 v[64:65], v[62:63]
	v_div_scale_f64 v[66:67], vcc, 1.0, v[52:53], 1.0
	v_fma_f64 v[68:69], -v[62:63], v[64:65], 1.0
	v_fmac_f64_e32 v[64:65], v[64:65], v[68:69]
	v_fma_f64 v[68:69], -v[62:63], v[64:65], 1.0
	v_fmac_f64_e32 v[64:65], v[64:65], v[68:69]
	v_mul_f64 v[68:69], v[66:67], v[64:65]
	v_fma_f64 v[62:63], -v[62:63], v[68:69], v[66:67]
	v_div_fmas_f64 v[62:63], v[62:63], v[64:65], v[68:69]
	v_div_fixup_f64 v[52:53], v[62:63], v[52:53], 1.0
; %bb.172:
	s_or_b64 exec, exec, s[0:1]
	v_cmp_ne_u32_e32 vcc, v57, v54
	s_and_saveexec_b64 s[0:1], vcc
	s_xor_b64 s[0:1], exec, s[0:1]
	s_cbranch_execz .LBB46_178
; %bb.173:
	v_cmp_eq_u32_e32 vcc, 10, v57
	s_and_saveexec_b64 s[2:3], vcc
	s_cbranch_execz .LBB46_177
; %bb.174:
	v_cmp_ne_u32_e32 vcc, 10, v54
	s_xor_b64 s[14:15], s[6:7], -1
	s_and_b64 s[16:17], s[14:15], vcc
	s_and_saveexec_b64 s[14:15], s[16:17]
	s_cbranch_execz .LBB46_176
; %bb.175:
	v_ashrrev_i32_e32 v55, 31, v54
	v_lshlrev_b64 v[62:63], 2, v[54:55]
	v_add_co_u32_e32 v62, vcc, v48, v62
	v_addc_co_u32_e32 v63, vcc, v49, v63, vcc
	flat_load_dword v55, v[62:63]
	flat_load_dword v57, v[48:49] offset:40
	s_waitcnt vmcnt(0) lgkmcnt(0)
	flat_store_dword v[48:49], v55 offset:40
	flat_store_dword v[62:63], v57
.LBB46_176:
	s_or_b64 exec, exec, s[14:15]
	v_mov_b32_e32 v55, v54
	v_mov_b32_e32 v57, v54
.LBB46_177:
	s_or_b64 exec, exec, s[2:3]
.LBB46_178:
	s_andn2_saveexec_b64 s[0:1], s[0:1]
	s_cbranch_execz .LBB46_180
; %bb.179:
	v_mov_b32_e32 v57, 10
	ds_write2_b64 v56, v[8:9], v[40:41] offset0:11 offset1:12
	ds_write2_b64 v56, v[32:33], v[24:25] offset0:13 offset1:14
	;; [unrolled: 1-line block ×6, first 2 shown]
	ds_write_b64 v56, v[50:51] offset:184
.LBB46_180:
	s_or_b64 exec, exec, s[0:1]
	v_cmp_lt_i32_e32 vcc, 10, v57
	s_waitcnt lgkmcnt(0)
	s_barrier
	s_and_saveexec_b64 s[0:1], vcc
	s_cbranch_execz .LBB46_182
; %bb.181:
	ds_read2_b64 v[62:65], v56 offset0:11 offset1:12
	ds_read2_b64 v[66:69], v56 offset0:13 offset1:14
	;; [unrolled: 1-line block ×3, first 2 shown]
	v_mul_f64 v[16:17], v[52:53], v[16:17]
	ds_read_b64 v[52:53], v56 offset:184
	s_waitcnt lgkmcnt(0)
	v_fma_f64 v[8:9], -v[16:17], v[62:63], v[8:9]
	v_fma_f64 v[40:41], -v[16:17], v[64:65], v[40:41]
	ds_read2_b64 v[62:65], v56 offset0:17 offset1:18
	v_fma_f64 v[32:33], -v[16:17], v[66:67], v[32:33]
	v_fma_f64 v[24:25], -v[16:17], v[68:69], v[24:25]
	;; [unrolled: 1-line block ×4, first 2 shown]
	ds_read2_b64 v[66:69], v56 offset0:19 offset1:20
	ds_read2_b64 v[70:73], v56 offset0:21 offset1:22
	s_waitcnt lgkmcnt(0)
	v_fma_f64 v[38:39], -v[16:17], v[62:63], v[38:39]
	v_fma_f64 v[30:31], -v[16:17], v[64:65], v[30:31]
	;; [unrolled: 1-line block ×7, first 2 shown]
.LBB46_182:
	s_or_b64 exec, exec, s[0:1]
	v_lshl_add_u32 v52, v57, 3, v56
	s_barrier
	ds_write_b64 v52, v[8:9]
	s_waitcnt lgkmcnt(0)
	s_barrier
	ds_read_b64 v[52:53], v56 offset:88
	s_cmp_lt_i32 s12, 13
	v_mov_b32_e32 v54, 11
	s_cbranch_scc1 .LBB46_185
; %bb.183:
	v_add_u32_e32 v61, 0x60, v56
	s_mov_b32 s0, 12
	v_mov_b32_e32 v54, 11
.LBB46_184:                             ; =>This Inner Loop Header: Depth=1
	ds_read_b64 v[62:63], v61
	v_mov_b32_e32 v64, s0
	s_add_i32 s0, s0, 1
	v_add_u32_e32 v61, 8, v61
	s_cmp_lg_u32 s12, s0
	s_waitcnt lgkmcnt(0)
	v_cmp_lt_f64_e64 vcc, |v[52:53]|, |v[62:63]|
	v_cndmask_b32_e32 v53, v53, v63, vcc
	v_cndmask_b32_e32 v52, v52, v62, vcc
	;; [unrolled: 1-line block ×3, first 2 shown]
	s_cbranch_scc1 .LBB46_184
.LBB46_185:
	s_waitcnt lgkmcnt(0)
	v_cmp_eq_f64_e32 vcc, 0, v[52:53]
	s_and_saveexec_b64 s[0:1], vcc
	s_xor_b64 s[0:1], exec, s[0:1]
; %bb.186:
	v_cmp_ne_u32_e32 vcc, 0, v60
	v_cndmask_b32_e32 v60, 12, v60, vcc
; %bb.187:
	s_andn2_saveexec_b64 s[0:1], s[0:1]
; %bb.188:
	v_div_scale_f64 v[62:63], s[2:3], v[52:53], v[52:53], 1.0
	v_rcp_f64_e32 v[64:65], v[62:63]
	v_div_scale_f64 v[66:67], vcc, 1.0, v[52:53], 1.0
	v_fma_f64 v[68:69], -v[62:63], v[64:65], 1.0
	v_fmac_f64_e32 v[64:65], v[64:65], v[68:69]
	v_fma_f64 v[68:69], -v[62:63], v[64:65], 1.0
	v_fmac_f64_e32 v[64:65], v[64:65], v[68:69]
	v_mul_f64 v[68:69], v[66:67], v[64:65]
	v_fma_f64 v[62:63], -v[62:63], v[68:69], v[66:67]
	v_div_fmas_f64 v[62:63], v[62:63], v[64:65], v[68:69]
	v_div_fixup_f64 v[52:53], v[62:63], v[52:53], 1.0
; %bb.189:
	s_or_b64 exec, exec, s[0:1]
	v_cmp_ne_u32_e32 vcc, v57, v54
	s_and_saveexec_b64 s[0:1], vcc
	s_xor_b64 s[0:1], exec, s[0:1]
	s_cbranch_execz .LBB46_195
; %bb.190:
	v_cmp_eq_u32_e32 vcc, 11, v57
	s_and_saveexec_b64 s[2:3], vcc
	s_cbranch_execz .LBB46_194
; %bb.191:
	v_cmp_ne_u32_e32 vcc, 11, v54
	s_xor_b64 s[14:15], s[6:7], -1
	s_and_b64 s[16:17], s[14:15], vcc
	s_and_saveexec_b64 s[14:15], s[16:17]
	s_cbranch_execz .LBB46_193
; %bb.192:
	v_ashrrev_i32_e32 v55, 31, v54
	v_lshlrev_b64 v[62:63], 2, v[54:55]
	v_add_co_u32_e32 v62, vcc, v48, v62
	v_addc_co_u32_e32 v63, vcc, v49, v63, vcc
	flat_load_dword v55, v[62:63]
	flat_load_dword v57, v[48:49] offset:44
	s_waitcnt vmcnt(0) lgkmcnt(0)
	flat_store_dword v[48:49], v55 offset:44
	flat_store_dword v[62:63], v57
.LBB46_193:
	s_or_b64 exec, exec, s[14:15]
	v_mov_b32_e32 v55, v54
	v_mov_b32_e32 v57, v54
.LBB46_194:
	s_or_b64 exec, exec, s[2:3]
.LBB46_195:
	s_andn2_saveexec_b64 s[0:1], s[0:1]
	s_cbranch_execz .LBB46_197
; %bb.196:
	v_mov_b32_e32 v62, v40
	v_mov_b32_e32 v63, v41
	v_mov_b32_e32 v64, v32
	v_mov_b32_e32 v65, v33
	ds_write2_b64 v56, v[62:63], v[64:65] offset0:12 offset1:13
	v_mov_b32_e32 v62, v24
	v_mov_b32_e32 v63, v25
	v_mov_b32_e32 v64, v14
	v_mov_b32_e32 v65, v15
	ds_write2_b64 v56, v[62:63], v[64:65] offset0:14 offset1:15
	;; [unrolled: 5-line block ×5, first 2 shown]
	v_mov_b32_e32 v62, v36
	v_mov_b32_e32 v63, v37
	;; [unrolled: 1-line block ×3, first 2 shown]
	ds_write2_b64 v56, v[62:63], v[50:51] offset0:22 offset1:23
.LBB46_197:
	s_or_b64 exec, exec, s[0:1]
	v_cmp_lt_i32_e32 vcc, 11, v57
	s_waitcnt lgkmcnt(0)
	s_barrier
	s_and_saveexec_b64 s[0:1], vcc
	s_cbranch_execz .LBB46_199
; %bb.198:
	ds_read2_b64 v[62:65], v56 offset0:12 offset1:13
	ds_read2_b64 v[66:69], v56 offset0:14 offset1:15
	;; [unrolled: 1-line block ×3, first 2 shown]
	v_mul_f64 v[8:9], v[52:53], v[8:9]
	s_waitcnt lgkmcnt(0)
	v_fma_f64 v[40:41], -v[8:9], v[62:63], v[40:41]
	v_fma_f64 v[32:33], -v[8:9], v[64:65], v[32:33]
	ds_read2_b64 v[62:65], v56 offset0:18 offset1:19
	v_fma_f64 v[24:25], -v[8:9], v[66:67], v[24:25]
	v_fma_f64 v[14:15], -v[8:9], v[68:69], v[14:15]
	;; [unrolled: 1-line block ×3, first 2 shown]
	ds_read2_b64 v[66:69], v56 offset0:20 offset1:21
	v_fma_f64 v[38:39], -v[8:9], v[72:73], v[38:39]
	ds_read2_b64 v[70:73], v56 offset0:22 offset1:23
	s_waitcnt lgkmcnt(0)
	v_fma_f64 v[30:31], -v[8:9], v[62:63], v[30:31]
	v_fma_f64 v[22:23], -v[8:9], v[64:65], v[22:23]
	;; [unrolled: 1-line block ×6, first 2 shown]
.LBB46_199:
	s_or_b64 exec, exec, s[0:1]
	v_lshl_add_u32 v52, v57, 3, v56
	s_barrier
	ds_write_b64 v52, v[40:41]
	s_waitcnt lgkmcnt(0)
	s_barrier
	ds_read_b64 v[52:53], v56 offset:96
	s_cmp_lt_i32 s12, 14
	v_mov_b32_e32 v54, 12
	s_cbranch_scc1 .LBB46_202
; %bb.200:
	v_add_u32_e32 v61, 0x68, v56
	s_mov_b32 s0, 13
	v_mov_b32_e32 v54, 12
.LBB46_201:                             ; =>This Inner Loop Header: Depth=1
	ds_read_b64 v[62:63], v61
	v_mov_b32_e32 v64, s0
	s_add_i32 s0, s0, 1
	v_add_u32_e32 v61, 8, v61
	s_cmp_lg_u32 s12, s0
	s_waitcnt lgkmcnt(0)
	v_cmp_lt_f64_e64 vcc, |v[52:53]|, |v[62:63]|
	v_cndmask_b32_e32 v53, v53, v63, vcc
	v_cndmask_b32_e32 v52, v52, v62, vcc
	;; [unrolled: 1-line block ×3, first 2 shown]
	s_cbranch_scc1 .LBB46_201
.LBB46_202:
	s_waitcnt lgkmcnt(0)
	v_cmp_eq_f64_e32 vcc, 0, v[52:53]
	s_and_saveexec_b64 s[0:1], vcc
	s_xor_b64 s[0:1], exec, s[0:1]
; %bb.203:
	v_cmp_ne_u32_e32 vcc, 0, v60
	v_cndmask_b32_e32 v60, 13, v60, vcc
; %bb.204:
	s_andn2_saveexec_b64 s[0:1], s[0:1]
; %bb.205:
	v_div_scale_f64 v[62:63], s[2:3], v[52:53], v[52:53], 1.0
	v_rcp_f64_e32 v[64:65], v[62:63]
	v_div_scale_f64 v[66:67], vcc, 1.0, v[52:53], 1.0
	v_fma_f64 v[68:69], -v[62:63], v[64:65], 1.0
	v_fmac_f64_e32 v[64:65], v[64:65], v[68:69]
	v_fma_f64 v[68:69], -v[62:63], v[64:65], 1.0
	v_fmac_f64_e32 v[64:65], v[64:65], v[68:69]
	v_mul_f64 v[68:69], v[66:67], v[64:65]
	v_fma_f64 v[62:63], -v[62:63], v[68:69], v[66:67]
	v_div_fmas_f64 v[62:63], v[62:63], v[64:65], v[68:69]
	v_div_fixup_f64 v[52:53], v[62:63], v[52:53], 1.0
; %bb.206:
	s_or_b64 exec, exec, s[0:1]
	v_cmp_ne_u32_e32 vcc, v57, v54
	s_and_saveexec_b64 s[0:1], vcc
	s_xor_b64 s[0:1], exec, s[0:1]
	s_cbranch_execz .LBB46_212
; %bb.207:
	v_cmp_eq_u32_e32 vcc, 12, v57
	s_and_saveexec_b64 s[2:3], vcc
	s_cbranch_execz .LBB46_211
; %bb.208:
	v_cmp_ne_u32_e32 vcc, 12, v54
	s_xor_b64 s[14:15], s[6:7], -1
	s_and_b64 s[16:17], s[14:15], vcc
	s_and_saveexec_b64 s[14:15], s[16:17]
	s_cbranch_execz .LBB46_210
; %bb.209:
	v_ashrrev_i32_e32 v55, 31, v54
	v_lshlrev_b64 v[62:63], 2, v[54:55]
	v_add_co_u32_e32 v62, vcc, v48, v62
	v_addc_co_u32_e32 v63, vcc, v49, v63, vcc
	flat_load_dword v55, v[62:63]
	flat_load_dword v57, v[48:49] offset:48
	s_waitcnt vmcnt(0) lgkmcnt(0)
	flat_store_dword v[48:49], v55 offset:48
	flat_store_dword v[62:63], v57
.LBB46_210:
	s_or_b64 exec, exec, s[14:15]
	v_mov_b32_e32 v55, v54
	v_mov_b32_e32 v57, v54
.LBB46_211:
	s_or_b64 exec, exec, s[2:3]
.LBB46_212:
	s_andn2_saveexec_b64 s[0:1], s[0:1]
	s_cbranch_execz .LBB46_214
; %bb.213:
	v_mov_b32_e32 v57, 12
	ds_write2_b64 v56, v[32:33], v[24:25] offset0:13 offset1:14
	ds_write2_b64 v56, v[14:15], v[44:45] offset0:15 offset1:16
	;; [unrolled: 1-line block ×5, first 2 shown]
	ds_write_b64 v56, v[50:51] offset:184
.LBB46_214:
	s_or_b64 exec, exec, s[0:1]
	v_cmp_lt_i32_e32 vcc, 12, v57
	s_waitcnt lgkmcnt(0)
	s_barrier
	s_and_saveexec_b64 s[0:1], vcc
	s_cbranch_execz .LBB46_216
; %bb.215:
	ds_read2_b64 v[62:65], v56 offset0:13 offset1:14
	ds_read2_b64 v[66:69], v56 offset0:15 offset1:16
	v_mul_f64 v[40:41], v[52:53], v[40:41]
	ds_read2_b64 v[70:73], v56 offset0:17 offset1:18
	ds_read_b64 v[52:53], v56 offset:184
	s_waitcnt lgkmcnt(0)
	v_fma_f64 v[32:33], -v[40:41], v[62:63], v[32:33]
	v_fma_f64 v[24:25], -v[40:41], v[64:65], v[24:25]
	ds_read2_b64 v[62:65], v56 offset0:19 offset1:20
	v_fma_f64 v[14:15], -v[40:41], v[66:67], v[14:15]
	v_fma_f64 v[44:45], -v[40:41], v[68:69], v[44:45]
	ds_read2_b64 v[66:69], v56 offset0:21 offset1:22
	v_fma_f64 v[38:39], -v[40:41], v[70:71], v[38:39]
	v_fma_f64 v[30:31], -v[40:41], v[72:73], v[30:31]
	s_waitcnt lgkmcnt(0)
	v_fma_f64 v[22:23], -v[40:41], v[62:63], v[22:23]
	v_fma_f64 v[46:47], -v[40:41], v[64:65], v[46:47]
	;; [unrolled: 1-line block ×5, first 2 shown]
.LBB46_216:
	s_or_b64 exec, exec, s[0:1]
	v_lshl_add_u32 v52, v57, 3, v56
	s_barrier
	ds_write_b64 v52, v[32:33]
	s_waitcnt lgkmcnt(0)
	s_barrier
	ds_read_b64 v[52:53], v56 offset:104
	s_cmp_lt_i32 s12, 15
	v_mov_b32_e32 v54, 13
	s_cbranch_scc1 .LBB46_219
; %bb.217:
	v_add_u32_e32 v61, 0x70, v56
	s_mov_b32 s0, 14
	v_mov_b32_e32 v54, 13
.LBB46_218:                             ; =>This Inner Loop Header: Depth=1
	ds_read_b64 v[62:63], v61
	v_mov_b32_e32 v64, s0
	s_add_i32 s0, s0, 1
	v_add_u32_e32 v61, 8, v61
	s_cmp_lg_u32 s12, s0
	s_waitcnt lgkmcnt(0)
	v_cmp_lt_f64_e64 vcc, |v[52:53]|, |v[62:63]|
	v_cndmask_b32_e32 v53, v53, v63, vcc
	v_cndmask_b32_e32 v52, v52, v62, vcc
	;; [unrolled: 1-line block ×3, first 2 shown]
	s_cbranch_scc1 .LBB46_218
.LBB46_219:
	s_waitcnt lgkmcnt(0)
	v_cmp_eq_f64_e32 vcc, 0, v[52:53]
	s_and_saveexec_b64 s[0:1], vcc
	s_xor_b64 s[0:1], exec, s[0:1]
; %bb.220:
	v_cmp_ne_u32_e32 vcc, 0, v60
	v_cndmask_b32_e32 v60, 14, v60, vcc
; %bb.221:
	s_andn2_saveexec_b64 s[0:1], s[0:1]
; %bb.222:
	v_div_scale_f64 v[62:63], s[2:3], v[52:53], v[52:53], 1.0
	v_rcp_f64_e32 v[64:65], v[62:63]
	v_div_scale_f64 v[66:67], vcc, 1.0, v[52:53], 1.0
	v_fma_f64 v[68:69], -v[62:63], v[64:65], 1.0
	v_fmac_f64_e32 v[64:65], v[64:65], v[68:69]
	v_fma_f64 v[68:69], -v[62:63], v[64:65], 1.0
	v_fmac_f64_e32 v[64:65], v[64:65], v[68:69]
	v_mul_f64 v[68:69], v[66:67], v[64:65]
	v_fma_f64 v[62:63], -v[62:63], v[68:69], v[66:67]
	v_div_fmas_f64 v[62:63], v[62:63], v[64:65], v[68:69]
	v_div_fixup_f64 v[52:53], v[62:63], v[52:53], 1.0
; %bb.223:
	s_or_b64 exec, exec, s[0:1]
	v_cmp_ne_u32_e32 vcc, v57, v54
	s_and_saveexec_b64 s[0:1], vcc
	s_xor_b64 s[0:1], exec, s[0:1]
	s_cbranch_execz .LBB46_229
; %bb.224:
	v_cmp_eq_u32_e32 vcc, 13, v57
	s_and_saveexec_b64 s[2:3], vcc
	s_cbranch_execz .LBB46_228
; %bb.225:
	v_cmp_ne_u32_e32 vcc, 13, v54
	s_xor_b64 s[14:15], s[6:7], -1
	s_and_b64 s[16:17], s[14:15], vcc
	s_and_saveexec_b64 s[14:15], s[16:17]
	s_cbranch_execz .LBB46_227
; %bb.226:
	v_ashrrev_i32_e32 v55, 31, v54
	v_lshlrev_b64 v[62:63], 2, v[54:55]
	v_add_co_u32_e32 v62, vcc, v48, v62
	v_addc_co_u32_e32 v63, vcc, v49, v63, vcc
	flat_load_dword v55, v[62:63]
	flat_load_dword v57, v[48:49] offset:52
	s_waitcnt vmcnt(0) lgkmcnt(0)
	flat_store_dword v[48:49], v55 offset:52
	flat_store_dword v[62:63], v57
.LBB46_227:
	s_or_b64 exec, exec, s[14:15]
	v_mov_b32_e32 v55, v54
	v_mov_b32_e32 v57, v54
.LBB46_228:
	s_or_b64 exec, exec, s[2:3]
.LBB46_229:
	s_andn2_saveexec_b64 s[0:1], s[0:1]
	s_cbranch_execz .LBB46_231
; %bb.230:
	v_mov_b32_e32 v62, v24
	v_mov_b32_e32 v63, v25
	v_mov_b32_e32 v64, v14
	v_mov_b32_e32 v65, v15
	ds_write2_b64 v56, v[62:63], v[64:65] offset0:14 offset1:15
	v_mov_b32_e32 v62, v44
	v_mov_b32_e32 v63, v45
	v_mov_b32_e32 v64, v38
	v_mov_b32_e32 v65, v39
	ds_write2_b64 v56, v[62:63], v[64:65] offset0:16 offset1:17
	v_mov_b32_e32 v62, v30
	v_mov_b32_e32 v63, v31
	v_mov_b32_e32 v64, v22
	v_mov_b32_e32 v65, v23
	ds_write2_b64 v56, v[62:63], v[64:65] offset0:18 offset1:19
	v_mov_b32_e32 v62, v46
	v_mov_b32_e32 v63, v47
	v_mov_b32_e32 v64, v42
	v_mov_b32_e32 v65, v43
	ds_write2_b64 v56, v[62:63], v[64:65] offset0:20 offset1:21
	v_mov_b32_e32 v62, v36
	v_mov_b32_e32 v63, v37
	;; [unrolled: 1-line block ×3, first 2 shown]
	ds_write2_b64 v56, v[62:63], v[50:51] offset0:22 offset1:23
.LBB46_231:
	s_or_b64 exec, exec, s[0:1]
	v_cmp_lt_i32_e32 vcc, 13, v57
	s_waitcnt lgkmcnt(0)
	s_barrier
	s_and_saveexec_b64 s[0:1], vcc
	s_cbranch_execz .LBB46_233
; %bb.232:
	ds_read2_b64 v[62:65], v56 offset0:14 offset1:15
	ds_read2_b64 v[66:69], v56 offset0:16 offset1:17
	v_mul_f64 v[32:33], v[52:53], v[32:33]
	ds_read2_b64 v[70:73], v56 offset0:20 offset1:21
	s_waitcnt lgkmcnt(0)
	v_fma_f64 v[24:25], -v[32:33], v[62:63], v[24:25]
	v_fma_f64 v[14:15], -v[32:33], v[64:65], v[14:15]
	ds_read2_b64 v[62:65], v56 offset0:18 offset1:19
	v_fma_f64 v[44:45], -v[32:33], v[66:67], v[44:45]
	v_fma_f64 v[38:39], -v[32:33], v[68:69], v[38:39]
	ds_read2_b64 v[66:69], v56 offset0:22 offset1:23
	v_fma_f64 v[46:47], -v[32:33], v[70:71], v[46:47]
	s_waitcnt lgkmcnt(0)
	v_fma_f64 v[30:31], -v[32:33], v[62:63], v[30:31]
	v_fma_f64 v[22:23], -v[32:33], v[64:65], v[22:23]
	;; [unrolled: 1-line block ×5, first 2 shown]
.LBB46_233:
	s_or_b64 exec, exec, s[0:1]
	v_lshl_add_u32 v52, v57, 3, v56
	s_barrier
	ds_write_b64 v52, v[24:25]
	s_waitcnt lgkmcnt(0)
	s_barrier
	ds_read_b64 v[52:53], v56 offset:112
	s_cmp_lt_i32 s12, 16
	v_mov_b32_e32 v54, 14
	s_cbranch_scc1 .LBB46_236
; %bb.234:
	v_add_u32_e32 v61, 0x78, v56
	s_mov_b32 s0, 15
	v_mov_b32_e32 v54, 14
.LBB46_235:                             ; =>This Inner Loop Header: Depth=1
	ds_read_b64 v[62:63], v61
	v_mov_b32_e32 v64, s0
	s_add_i32 s0, s0, 1
	v_add_u32_e32 v61, 8, v61
	s_cmp_lg_u32 s12, s0
	s_waitcnt lgkmcnt(0)
	v_cmp_lt_f64_e64 vcc, |v[52:53]|, |v[62:63]|
	v_cndmask_b32_e32 v53, v53, v63, vcc
	v_cndmask_b32_e32 v52, v52, v62, vcc
	v_cndmask_b32_e32 v54, v54, v64, vcc
	s_cbranch_scc1 .LBB46_235
.LBB46_236:
	s_waitcnt lgkmcnt(0)
	v_cmp_eq_f64_e32 vcc, 0, v[52:53]
	s_and_saveexec_b64 s[0:1], vcc
	s_xor_b64 s[0:1], exec, s[0:1]
; %bb.237:
	v_cmp_ne_u32_e32 vcc, 0, v60
	v_cndmask_b32_e32 v60, 15, v60, vcc
; %bb.238:
	s_andn2_saveexec_b64 s[0:1], s[0:1]
; %bb.239:
	v_div_scale_f64 v[62:63], s[2:3], v[52:53], v[52:53], 1.0
	v_rcp_f64_e32 v[64:65], v[62:63]
	v_div_scale_f64 v[66:67], vcc, 1.0, v[52:53], 1.0
	v_fma_f64 v[68:69], -v[62:63], v[64:65], 1.0
	v_fmac_f64_e32 v[64:65], v[64:65], v[68:69]
	v_fma_f64 v[68:69], -v[62:63], v[64:65], 1.0
	v_fmac_f64_e32 v[64:65], v[64:65], v[68:69]
	v_mul_f64 v[68:69], v[66:67], v[64:65]
	v_fma_f64 v[62:63], -v[62:63], v[68:69], v[66:67]
	v_div_fmas_f64 v[62:63], v[62:63], v[64:65], v[68:69]
	v_div_fixup_f64 v[52:53], v[62:63], v[52:53], 1.0
; %bb.240:
	s_or_b64 exec, exec, s[0:1]
	v_cmp_ne_u32_e32 vcc, v57, v54
	s_and_saveexec_b64 s[0:1], vcc
	s_xor_b64 s[0:1], exec, s[0:1]
	s_cbranch_execz .LBB46_246
; %bb.241:
	v_cmp_eq_u32_e32 vcc, 14, v57
	s_and_saveexec_b64 s[2:3], vcc
	s_cbranch_execz .LBB46_245
; %bb.242:
	v_cmp_ne_u32_e32 vcc, 14, v54
	s_xor_b64 s[14:15], s[6:7], -1
	s_and_b64 s[16:17], s[14:15], vcc
	s_and_saveexec_b64 s[14:15], s[16:17]
	s_cbranch_execz .LBB46_244
; %bb.243:
	v_ashrrev_i32_e32 v55, 31, v54
	v_lshlrev_b64 v[62:63], 2, v[54:55]
	v_add_co_u32_e32 v62, vcc, v48, v62
	v_addc_co_u32_e32 v63, vcc, v49, v63, vcc
	flat_load_dword v55, v[62:63]
	flat_load_dword v57, v[48:49] offset:56
	s_waitcnt vmcnt(0) lgkmcnt(0)
	flat_store_dword v[48:49], v55 offset:56
	flat_store_dword v[62:63], v57
.LBB46_244:
	s_or_b64 exec, exec, s[14:15]
	v_mov_b32_e32 v55, v54
	v_mov_b32_e32 v57, v54
.LBB46_245:
	s_or_b64 exec, exec, s[2:3]
.LBB46_246:
	s_andn2_saveexec_b64 s[0:1], s[0:1]
	s_cbranch_execz .LBB46_248
; %bb.247:
	v_mov_b32_e32 v57, 14
	ds_write2_b64 v56, v[14:15], v[44:45] offset0:15 offset1:16
	ds_write2_b64 v56, v[38:39], v[30:31] offset0:17 offset1:18
	;; [unrolled: 1-line block ×4, first 2 shown]
	ds_write_b64 v56, v[50:51] offset:184
.LBB46_248:
	s_or_b64 exec, exec, s[0:1]
	v_cmp_lt_i32_e32 vcc, 14, v57
	s_waitcnt lgkmcnt(0)
	s_barrier
	s_and_saveexec_b64 s[0:1], vcc
	s_cbranch_execz .LBB46_250
; %bb.249:
	ds_read2_b64 v[62:65], v56 offset0:15 offset1:16
	ds_read2_b64 v[66:69], v56 offset0:17 offset1:18
	v_mul_f64 v[24:25], v[52:53], v[24:25]
	ds_read_b64 v[52:53], v56 offset:184
	ds_read2_b64 v[70:73], v56 offset0:21 offset1:22
	s_waitcnt lgkmcnt(0)
	v_fma_f64 v[14:15], -v[24:25], v[62:63], v[14:15]
	v_fma_f64 v[44:45], -v[24:25], v[64:65], v[44:45]
	ds_read2_b64 v[62:65], v56 offset0:19 offset1:20
	v_fma_f64 v[38:39], -v[24:25], v[66:67], v[38:39]
	v_fma_f64 v[30:31], -v[24:25], v[68:69], v[30:31]
	;; [unrolled: 1-line block ×4, first 2 shown]
	s_waitcnt lgkmcnt(0)
	v_fma_f64 v[22:23], -v[24:25], v[62:63], v[22:23]
	v_fma_f64 v[46:47], -v[24:25], v[64:65], v[46:47]
	;; [unrolled: 1-line block ×3, first 2 shown]
.LBB46_250:
	s_or_b64 exec, exec, s[0:1]
	v_lshl_add_u32 v52, v57, 3, v56
	s_barrier
	ds_write_b64 v52, v[14:15]
	s_waitcnt lgkmcnt(0)
	s_barrier
	ds_read_b64 v[52:53], v56 offset:120
	s_cmp_lt_i32 s12, 17
	v_mov_b32_e32 v54, 15
	s_cbranch_scc1 .LBB46_253
; %bb.251:
	v_add_u32_e32 v61, 0x80, v56
	s_mov_b32 s0, 16
	v_mov_b32_e32 v54, 15
.LBB46_252:                             ; =>This Inner Loop Header: Depth=1
	ds_read_b64 v[62:63], v61
	v_mov_b32_e32 v64, s0
	s_add_i32 s0, s0, 1
	v_add_u32_e32 v61, 8, v61
	s_cmp_lg_u32 s12, s0
	s_waitcnt lgkmcnt(0)
	v_cmp_lt_f64_e64 vcc, |v[52:53]|, |v[62:63]|
	v_cndmask_b32_e32 v53, v53, v63, vcc
	v_cndmask_b32_e32 v52, v52, v62, vcc
	;; [unrolled: 1-line block ×3, first 2 shown]
	s_cbranch_scc1 .LBB46_252
.LBB46_253:
	s_waitcnt lgkmcnt(0)
	v_cmp_eq_f64_e32 vcc, 0, v[52:53]
	s_and_saveexec_b64 s[0:1], vcc
	s_xor_b64 s[0:1], exec, s[0:1]
; %bb.254:
	v_cmp_ne_u32_e32 vcc, 0, v60
	v_cndmask_b32_e32 v60, 16, v60, vcc
; %bb.255:
	s_andn2_saveexec_b64 s[0:1], s[0:1]
; %bb.256:
	v_div_scale_f64 v[62:63], s[2:3], v[52:53], v[52:53], 1.0
	v_rcp_f64_e32 v[64:65], v[62:63]
	v_div_scale_f64 v[66:67], vcc, 1.0, v[52:53], 1.0
	v_fma_f64 v[68:69], -v[62:63], v[64:65], 1.0
	v_fmac_f64_e32 v[64:65], v[64:65], v[68:69]
	v_fma_f64 v[68:69], -v[62:63], v[64:65], 1.0
	v_fmac_f64_e32 v[64:65], v[64:65], v[68:69]
	v_mul_f64 v[68:69], v[66:67], v[64:65]
	v_fma_f64 v[62:63], -v[62:63], v[68:69], v[66:67]
	v_div_fmas_f64 v[62:63], v[62:63], v[64:65], v[68:69]
	v_div_fixup_f64 v[52:53], v[62:63], v[52:53], 1.0
; %bb.257:
	s_or_b64 exec, exec, s[0:1]
	v_cmp_ne_u32_e32 vcc, v57, v54
	s_and_saveexec_b64 s[0:1], vcc
	s_xor_b64 s[0:1], exec, s[0:1]
	s_cbranch_execz .LBB46_263
; %bb.258:
	v_cmp_eq_u32_e32 vcc, 15, v57
	s_and_saveexec_b64 s[2:3], vcc
	s_cbranch_execz .LBB46_262
; %bb.259:
	v_cmp_ne_u32_e32 vcc, 15, v54
	s_xor_b64 s[14:15], s[6:7], -1
	s_and_b64 s[16:17], s[14:15], vcc
	s_and_saveexec_b64 s[14:15], s[16:17]
	s_cbranch_execz .LBB46_261
; %bb.260:
	v_ashrrev_i32_e32 v55, 31, v54
	v_lshlrev_b64 v[62:63], 2, v[54:55]
	v_add_co_u32_e32 v62, vcc, v48, v62
	v_addc_co_u32_e32 v63, vcc, v49, v63, vcc
	flat_load_dword v55, v[62:63]
	flat_load_dword v57, v[48:49] offset:60
	s_waitcnt vmcnt(0) lgkmcnt(0)
	flat_store_dword v[48:49], v55 offset:60
	flat_store_dword v[62:63], v57
.LBB46_261:
	s_or_b64 exec, exec, s[14:15]
	v_mov_b32_e32 v55, v54
	v_mov_b32_e32 v57, v54
.LBB46_262:
	s_or_b64 exec, exec, s[2:3]
.LBB46_263:
	s_andn2_saveexec_b64 s[0:1], s[0:1]
	s_cbranch_execz .LBB46_265
; %bb.264:
	v_mov_b32_e32 v62, v44
	v_mov_b32_e32 v63, v45
	v_mov_b32_e32 v64, v38
	v_mov_b32_e32 v65, v39
	ds_write2_b64 v56, v[62:63], v[64:65] offset0:16 offset1:17
	v_mov_b32_e32 v62, v30
	v_mov_b32_e32 v63, v31
	v_mov_b32_e32 v64, v22
	v_mov_b32_e32 v65, v23
	ds_write2_b64 v56, v[62:63], v[64:65] offset0:18 offset1:19
	;; [unrolled: 5-line block ×3, first 2 shown]
	v_mov_b32_e32 v62, v36
	v_mov_b32_e32 v63, v37
	;; [unrolled: 1-line block ×3, first 2 shown]
	ds_write2_b64 v56, v[62:63], v[50:51] offset0:22 offset1:23
.LBB46_265:
	s_or_b64 exec, exec, s[0:1]
	v_cmp_lt_i32_e32 vcc, 15, v57
	s_waitcnt lgkmcnt(0)
	s_barrier
	s_and_saveexec_b64 s[0:1], vcc
	s_cbranch_execz .LBB46_267
; %bb.266:
	ds_read2_b64 v[62:65], v56 offset0:16 offset1:17
	ds_read2_b64 v[66:69], v56 offset0:18 offset1:19
	v_mul_f64 v[14:15], v[52:53], v[14:15]
	ds_read2_b64 v[70:73], v56 offset0:20 offset1:21
	s_waitcnt lgkmcnt(0)
	v_fma_f64 v[44:45], -v[14:15], v[62:63], v[44:45]
	v_fma_f64 v[38:39], -v[14:15], v[64:65], v[38:39]
	ds_read2_b64 v[62:65], v56 offset0:22 offset1:23
	v_fma_f64 v[30:31], -v[14:15], v[66:67], v[30:31]
	v_fma_f64 v[22:23], -v[14:15], v[68:69], v[22:23]
	;; [unrolled: 1-line block ×4, first 2 shown]
	s_waitcnt lgkmcnt(0)
	v_fma_f64 v[36:37], -v[14:15], v[62:63], v[36:37]
	v_fma_f64 v[50:51], -v[14:15], v[64:65], v[50:51]
.LBB46_267:
	s_or_b64 exec, exec, s[0:1]
	v_lshl_add_u32 v52, v57, 3, v56
	s_barrier
	ds_write_b64 v52, v[44:45]
	s_waitcnt lgkmcnt(0)
	s_barrier
	ds_read_b64 v[52:53], v56 offset:128
	s_cmp_lt_i32 s12, 18
	v_mov_b32_e32 v54, 16
	s_cbranch_scc1 .LBB46_270
; %bb.268:
	v_add_u32_e32 v61, 0x88, v56
	s_mov_b32 s0, 17
	v_mov_b32_e32 v54, 16
.LBB46_269:                             ; =>This Inner Loop Header: Depth=1
	ds_read_b64 v[62:63], v61
	v_mov_b32_e32 v64, s0
	s_add_i32 s0, s0, 1
	v_add_u32_e32 v61, 8, v61
	s_cmp_lg_u32 s12, s0
	s_waitcnt lgkmcnt(0)
	v_cmp_lt_f64_e64 vcc, |v[52:53]|, |v[62:63]|
	v_cndmask_b32_e32 v53, v53, v63, vcc
	v_cndmask_b32_e32 v52, v52, v62, vcc
	;; [unrolled: 1-line block ×3, first 2 shown]
	s_cbranch_scc1 .LBB46_269
.LBB46_270:
	s_waitcnt lgkmcnt(0)
	v_cmp_eq_f64_e32 vcc, 0, v[52:53]
	s_and_saveexec_b64 s[0:1], vcc
	s_xor_b64 s[0:1], exec, s[0:1]
; %bb.271:
	v_cmp_ne_u32_e32 vcc, 0, v60
	v_cndmask_b32_e32 v60, 17, v60, vcc
; %bb.272:
	s_andn2_saveexec_b64 s[0:1], s[0:1]
; %bb.273:
	v_div_scale_f64 v[62:63], s[2:3], v[52:53], v[52:53], 1.0
	v_rcp_f64_e32 v[64:65], v[62:63]
	v_div_scale_f64 v[66:67], vcc, 1.0, v[52:53], 1.0
	v_fma_f64 v[68:69], -v[62:63], v[64:65], 1.0
	v_fmac_f64_e32 v[64:65], v[64:65], v[68:69]
	v_fma_f64 v[68:69], -v[62:63], v[64:65], 1.0
	v_fmac_f64_e32 v[64:65], v[64:65], v[68:69]
	v_mul_f64 v[68:69], v[66:67], v[64:65]
	v_fma_f64 v[62:63], -v[62:63], v[68:69], v[66:67]
	v_div_fmas_f64 v[62:63], v[62:63], v[64:65], v[68:69]
	v_div_fixup_f64 v[52:53], v[62:63], v[52:53], 1.0
; %bb.274:
	s_or_b64 exec, exec, s[0:1]
	v_cmp_ne_u32_e32 vcc, v57, v54
	s_and_saveexec_b64 s[0:1], vcc
	s_xor_b64 s[0:1], exec, s[0:1]
	s_cbranch_execz .LBB46_280
; %bb.275:
	v_cmp_eq_u32_e32 vcc, 16, v57
	s_and_saveexec_b64 s[2:3], vcc
	s_cbranch_execz .LBB46_279
; %bb.276:
	v_cmp_ne_u32_e32 vcc, 16, v54
	s_xor_b64 s[14:15], s[6:7], -1
	s_and_b64 s[16:17], s[14:15], vcc
	s_and_saveexec_b64 s[14:15], s[16:17]
	s_cbranch_execz .LBB46_278
; %bb.277:
	v_ashrrev_i32_e32 v55, 31, v54
	v_lshlrev_b64 v[62:63], 2, v[54:55]
	v_add_co_u32_e32 v62, vcc, v48, v62
	v_addc_co_u32_e32 v63, vcc, v49, v63, vcc
	flat_load_dword v55, v[62:63]
	flat_load_dword v57, v[48:49] offset:64
	s_waitcnt vmcnt(0) lgkmcnt(0)
	flat_store_dword v[48:49], v55 offset:64
	flat_store_dword v[62:63], v57
.LBB46_278:
	s_or_b64 exec, exec, s[14:15]
	v_mov_b32_e32 v55, v54
	v_mov_b32_e32 v57, v54
.LBB46_279:
	s_or_b64 exec, exec, s[2:3]
.LBB46_280:
	s_andn2_saveexec_b64 s[0:1], s[0:1]
	s_cbranch_execz .LBB46_282
; %bb.281:
	v_mov_b32_e32 v57, 16
	ds_write2_b64 v56, v[38:39], v[30:31] offset0:17 offset1:18
	ds_write2_b64 v56, v[22:23], v[46:47] offset0:19 offset1:20
	;; [unrolled: 1-line block ×3, first 2 shown]
	ds_write_b64 v56, v[50:51] offset:184
.LBB46_282:
	s_or_b64 exec, exec, s[0:1]
	v_cmp_lt_i32_e32 vcc, 16, v57
	s_waitcnt lgkmcnt(0)
	s_barrier
	s_and_saveexec_b64 s[0:1], vcc
	s_cbranch_execz .LBB46_284
; %bb.283:
	ds_read2_b64 v[62:65], v56 offset0:17 offset1:18
	ds_read2_b64 v[66:69], v56 offset0:19 offset1:20
	v_mul_f64 v[44:45], v[52:53], v[44:45]
	ds_read2_b64 v[70:73], v56 offset0:21 offset1:22
	ds_read_b64 v[52:53], v56 offset:184
	s_waitcnt lgkmcnt(0)
	v_fma_f64 v[38:39], -v[44:45], v[62:63], v[38:39]
	v_fma_f64 v[30:31], -v[44:45], v[64:65], v[30:31]
	;; [unrolled: 1-line block ×7, first 2 shown]
.LBB46_284:
	s_or_b64 exec, exec, s[0:1]
	v_lshl_add_u32 v52, v57, 3, v56
	s_barrier
	ds_write_b64 v52, v[38:39]
	s_waitcnt lgkmcnt(0)
	s_barrier
	ds_read_b64 v[52:53], v56 offset:136
	s_cmp_lt_i32 s12, 19
	v_mov_b32_e32 v54, 17
	s_cbranch_scc1 .LBB46_287
; %bb.285:
	v_add_u32_e32 v61, 0x90, v56
	s_mov_b32 s0, 18
	v_mov_b32_e32 v54, 17
.LBB46_286:                             ; =>This Inner Loop Header: Depth=1
	ds_read_b64 v[62:63], v61
	v_mov_b32_e32 v64, s0
	s_add_i32 s0, s0, 1
	v_add_u32_e32 v61, 8, v61
	s_cmp_lg_u32 s12, s0
	s_waitcnt lgkmcnt(0)
	v_cmp_lt_f64_e64 vcc, |v[52:53]|, |v[62:63]|
	v_cndmask_b32_e32 v53, v53, v63, vcc
	v_cndmask_b32_e32 v52, v52, v62, vcc
	;; [unrolled: 1-line block ×3, first 2 shown]
	s_cbranch_scc1 .LBB46_286
.LBB46_287:
	s_waitcnt lgkmcnt(0)
	v_cmp_eq_f64_e32 vcc, 0, v[52:53]
	s_and_saveexec_b64 s[0:1], vcc
	s_xor_b64 s[0:1], exec, s[0:1]
; %bb.288:
	v_cmp_ne_u32_e32 vcc, 0, v60
	v_cndmask_b32_e32 v60, 18, v60, vcc
; %bb.289:
	s_andn2_saveexec_b64 s[0:1], s[0:1]
; %bb.290:
	v_div_scale_f64 v[62:63], s[2:3], v[52:53], v[52:53], 1.0
	v_rcp_f64_e32 v[64:65], v[62:63]
	v_div_scale_f64 v[66:67], vcc, 1.0, v[52:53], 1.0
	v_fma_f64 v[68:69], -v[62:63], v[64:65], 1.0
	v_fmac_f64_e32 v[64:65], v[64:65], v[68:69]
	v_fma_f64 v[68:69], -v[62:63], v[64:65], 1.0
	v_fmac_f64_e32 v[64:65], v[64:65], v[68:69]
	v_mul_f64 v[68:69], v[66:67], v[64:65]
	v_fma_f64 v[62:63], -v[62:63], v[68:69], v[66:67]
	v_div_fmas_f64 v[62:63], v[62:63], v[64:65], v[68:69]
	v_div_fixup_f64 v[52:53], v[62:63], v[52:53], 1.0
; %bb.291:
	s_or_b64 exec, exec, s[0:1]
	v_cmp_ne_u32_e32 vcc, v57, v54
	s_and_saveexec_b64 s[0:1], vcc
	s_xor_b64 s[0:1], exec, s[0:1]
	s_cbranch_execz .LBB46_297
; %bb.292:
	v_cmp_eq_u32_e32 vcc, 17, v57
	s_and_saveexec_b64 s[2:3], vcc
	s_cbranch_execz .LBB46_296
; %bb.293:
	v_cmp_ne_u32_e32 vcc, 17, v54
	s_xor_b64 s[14:15], s[6:7], -1
	s_and_b64 s[16:17], s[14:15], vcc
	s_and_saveexec_b64 s[14:15], s[16:17]
	s_cbranch_execz .LBB46_295
; %bb.294:
	v_ashrrev_i32_e32 v55, 31, v54
	v_lshlrev_b64 v[62:63], 2, v[54:55]
	v_add_co_u32_e32 v62, vcc, v48, v62
	v_addc_co_u32_e32 v63, vcc, v49, v63, vcc
	flat_load_dword v55, v[62:63]
	flat_load_dword v57, v[48:49] offset:68
	s_waitcnt vmcnt(0) lgkmcnt(0)
	flat_store_dword v[48:49], v55 offset:68
	flat_store_dword v[62:63], v57
.LBB46_295:
	s_or_b64 exec, exec, s[14:15]
	v_mov_b32_e32 v55, v54
	v_mov_b32_e32 v57, v54
.LBB46_296:
	s_or_b64 exec, exec, s[2:3]
.LBB46_297:
	s_andn2_saveexec_b64 s[0:1], s[0:1]
	s_cbranch_execz .LBB46_299
; %bb.298:
	v_mov_b32_e32 v62, v30
	v_mov_b32_e32 v63, v31
	;; [unrolled: 1-line block ×4, first 2 shown]
	ds_write2_b64 v56, v[62:63], v[64:65] offset0:18 offset1:19
	v_mov_b32_e32 v62, v46
	v_mov_b32_e32 v63, v47
	;; [unrolled: 1-line block ×4, first 2 shown]
	ds_write2_b64 v56, v[62:63], v[64:65] offset0:20 offset1:21
	v_mov_b32_e32 v62, v36
	v_mov_b32_e32 v63, v37
	;; [unrolled: 1-line block ×3, first 2 shown]
	ds_write2_b64 v56, v[62:63], v[50:51] offset0:22 offset1:23
.LBB46_299:
	s_or_b64 exec, exec, s[0:1]
	v_cmp_lt_i32_e32 vcc, 17, v57
	s_waitcnt lgkmcnt(0)
	s_barrier
	s_and_saveexec_b64 s[0:1], vcc
	s_cbranch_execz .LBB46_301
; %bb.300:
	ds_read2_b64 v[62:65], v56 offset0:18 offset1:19
	ds_read2_b64 v[66:69], v56 offset0:20 offset1:21
	;; [unrolled: 1-line block ×3, first 2 shown]
	v_mul_f64 v[38:39], v[52:53], v[38:39]
	s_waitcnt lgkmcnt(0)
	v_fma_f64 v[30:31], -v[38:39], v[62:63], v[30:31]
	v_fma_f64 v[22:23], -v[38:39], v[64:65], v[22:23]
	;; [unrolled: 1-line block ×6, first 2 shown]
.LBB46_301:
	s_or_b64 exec, exec, s[0:1]
	v_lshl_add_u32 v52, v57, 3, v56
	s_barrier
	ds_write_b64 v52, v[30:31]
	s_waitcnt lgkmcnt(0)
	s_barrier
	ds_read_b64 v[52:53], v56 offset:144
	s_cmp_lt_i32 s12, 20
	v_mov_b32_e32 v54, 18
	s_cbranch_scc1 .LBB46_304
; %bb.302:
	v_add_u32_e32 v61, 0x98, v56
	s_mov_b32 s0, 19
	v_mov_b32_e32 v54, 18
.LBB46_303:                             ; =>This Inner Loop Header: Depth=1
	ds_read_b64 v[62:63], v61
	v_mov_b32_e32 v64, s0
	s_add_i32 s0, s0, 1
	v_add_u32_e32 v61, 8, v61
	s_cmp_lg_u32 s12, s0
	s_waitcnt lgkmcnt(0)
	v_cmp_lt_f64_e64 vcc, |v[52:53]|, |v[62:63]|
	v_cndmask_b32_e32 v53, v53, v63, vcc
	v_cndmask_b32_e32 v52, v52, v62, vcc
	;; [unrolled: 1-line block ×3, first 2 shown]
	s_cbranch_scc1 .LBB46_303
.LBB46_304:
	s_waitcnt lgkmcnt(0)
	v_cmp_eq_f64_e32 vcc, 0, v[52:53]
	s_and_saveexec_b64 s[0:1], vcc
	s_xor_b64 s[0:1], exec, s[0:1]
; %bb.305:
	v_cmp_ne_u32_e32 vcc, 0, v60
	v_cndmask_b32_e32 v60, 19, v60, vcc
; %bb.306:
	s_andn2_saveexec_b64 s[0:1], s[0:1]
; %bb.307:
	v_div_scale_f64 v[62:63], s[2:3], v[52:53], v[52:53], 1.0
	v_rcp_f64_e32 v[64:65], v[62:63]
	v_div_scale_f64 v[66:67], vcc, 1.0, v[52:53], 1.0
	v_fma_f64 v[68:69], -v[62:63], v[64:65], 1.0
	v_fmac_f64_e32 v[64:65], v[64:65], v[68:69]
	v_fma_f64 v[68:69], -v[62:63], v[64:65], 1.0
	v_fmac_f64_e32 v[64:65], v[64:65], v[68:69]
	v_mul_f64 v[68:69], v[66:67], v[64:65]
	v_fma_f64 v[62:63], -v[62:63], v[68:69], v[66:67]
	v_div_fmas_f64 v[62:63], v[62:63], v[64:65], v[68:69]
	v_div_fixup_f64 v[52:53], v[62:63], v[52:53], 1.0
; %bb.308:
	s_or_b64 exec, exec, s[0:1]
	v_cmp_ne_u32_e32 vcc, v57, v54
	s_and_saveexec_b64 s[0:1], vcc
	s_xor_b64 s[0:1], exec, s[0:1]
	s_cbranch_execz .LBB46_314
; %bb.309:
	v_cmp_eq_u32_e32 vcc, 18, v57
	s_and_saveexec_b64 s[2:3], vcc
	s_cbranch_execz .LBB46_313
; %bb.310:
	v_cmp_ne_u32_e32 vcc, 18, v54
	s_xor_b64 s[14:15], s[6:7], -1
	s_and_b64 s[16:17], s[14:15], vcc
	s_and_saveexec_b64 s[14:15], s[16:17]
	s_cbranch_execz .LBB46_312
; %bb.311:
	v_ashrrev_i32_e32 v55, 31, v54
	v_lshlrev_b64 v[62:63], 2, v[54:55]
	v_add_co_u32_e32 v62, vcc, v48, v62
	v_addc_co_u32_e32 v63, vcc, v49, v63, vcc
	flat_load_dword v55, v[62:63]
	flat_load_dword v57, v[48:49] offset:72
	s_waitcnt vmcnt(0) lgkmcnt(0)
	flat_store_dword v[48:49], v55 offset:72
	flat_store_dword v[62:63], v57
.LBB46_312:
	s_or_b64 exec, exec, s[14:15]
	v_mov_b32_e32 v55, v54
	v_mov_b32_e32 v57, v54
.LBB46_313:
	s_or_b64 exec, exec, s[2:3]
.LBB46_314:
	s_andn2_saveexec_b64 s[0:1], s[0:1]
	s_cbranch_execz .LBB46_316
; %bb.315:
	v_mov_b32_e32 v57, 18
	ds_write2_b64 v56, v[22:23], v[46:47] offset0:19 offset1:20
	ds_write2_b64 v56, v[42:43], v[36:37] offset0:21 offset1:22
	ds_write_b64 v56, v[50:51] offset:184
.LBB46_316:
	s_or_b64 exec, exec, s[0:1]
	v_cmp_lt_i32_e32 vcc, 18, v57
	s_waitcnt lgkmcnt(0)
	s_barrier
	s_and_saveexec_b64 s[0:1], vcc
	s_cbranch_execz .LBB46_318
; %bb.317:
	ds_read2_b64 v[62:65], v56 offset0:19 offset1:20
	ds_read2_b64 v[66:69], v56 offset0:21 offset1:22
	v_mul_f64 v[30:31], v[52:53], v[30:31]
	ds_read_b64 v[52:53], v56 offset:184
	s_waitcnt lgkmcnt(0)
	v_fma_f64 v[22:23], -v[30:31], v[62:63], v[22:23]
	v_fma_f64 v[46:47], -v[30:31], v[64:65], v[46:47]
	;; [unrolled: 1-line block ×5, first 2 shown]
.LBB46_318:
	s_or_b64 exec, exec, s[0:1]
	v_lshl_add_u32 v52, v57, 3, v56
	s_barrier
	ds_write_b64 v52, v[22:23]
	s_waitcnt lgkmcnt(0)
	s_barrier
	ds_read_b64 v[52:53], v56 offset:152
	s_cmp_lt_i32 s12, 21
	v_mov_b32_e32 v54, 19
	s_cbranch_scc1 .LBB46_321
; %bb.319:
	v_add_u32_e32 v61, 0xa0, v56
	s_mov_b32 s0, 20
	v_mov_b32_e32 v54, 19
.LBB46_320:                             ; =>This Inner Loop Header: Depth=1
	ds_read_b64 v[62:63], v61
	v_mov_b32_e32 v64, s0
	s_add_i32 s0, s0, 1
	v_add_u32_e32 v61, 8, v61
	s_cmp_lg_u32 s12, s0
	s_waitcnt lgkmcnt(0)
	v_cmp_lt_f64_e64 vcc, |v[52:53]|, |v[62:63]|
	v_cndmask_b32_e32 v53, v53, v63, vcc
	v_cndmask_b32_e32 v52, v52, v62, vcc
	;; [unrolled: 1-line block ×3, first 2 shown]
	s_cbranch_scc1 .LBB46_320
.LBB46_321:
	s_waitcnt lgkmcnt(0)
	v_cmp_eq_f64_e32 vcc, 0, v[52:53]
	s_and_saveexec_b64 s[0:1], vcc
	s_xor_b64 s[0:1], exec, s[0:1]
; %bb.322:
	v_cmp_ne_u32_e32 vcc, 0, v60
	v_cndmask_b32_e32 v60, 20, v60, vcc
; %bb.323:
	s_andn2_saveexec_b64 s[0:1], s[0:1]
; %bb.324:
	v_div_scale_f64 v[62:63], s[2:3], v[52:53], v[52:53], 1.0
	v_rcp_f64_e32 v[64:65], v[62:63]
	v_div_scale_f64 v[66:67], vcc, 1.0, v[52:53], 1.0
	v_fma_f64 v[68:69], -v[62:63], v[64:65], 1.0
	v_fmac_f64_e32 v[64:65], v[64:65], v[68:69]
	v_fma_f64 v[68:69], -v[62:63], v[64:65], 1.0
	v_fmac_f64_e32 v[64:65], v[64:65], v[68:69]
	v_mul_f64 v[68:69], v[66:67], v[64:65]
	v_fma_f64 v[62:63], -v[62:63], v[68:69], v[66:67]
	v_div_fmas_f64 v[62:63], v[62:63], v[64:65], v[68:69]
	v_div_fixup_f64 v[52:53], v[62:63], v[52:53], 1.0
; %bb.325:
	s_or_b64 exec, exec, s[0:1]
	v_cmp_ne_u32_e32 vcc, v57, v54
	s_and_saveexec_b64 s[0:1], vcc
	s_xor_b64 s[0:1], exec, s[0:1]
	s_cbranch_execz .LBB46_331
; %bb.326:
	v_cmp_eq_u32_e32 vcc, 19, v57
	s_and_saveexec_b64 s[2:3], vcc
	s_cbranch_execz .LBB46_330
; %bb.327:
	v_cmp_ne_u32_e32 vcc, 19, v54
	s_xor_b64 s[14:15], s[6:7], -1
	s_and_b64 s[16:17], s[14:15], vcc
	s_and_saveexec_b64 s[14:15], s[16:17]
	s_cbranch_execz .LBB46_329
; %bb.328:
	v_ashrrev_i32_e32 v55, 31, v54
	v_lshlrev_b64 v[62:63], 2, v[54:55]
	v_add_co_u32_e32 v62, vcc, v48, v62
	v_addc_co_u32_e32 v63, vcc, v49, v63, vcc
	flat_load_dword v55, v[62:63]
	flat_load_dword v57, v[48:49] offset:76
	s_waitcnt vmcnt(0) lgkmcnt(0)
	flat_store_dword v[48:49], v55 offset:76
	flat_store_dword v[62:63], v57
.LBB46_329:
	s_or_b64 exec, exec, s[14:15]
	v_mov_b32_e32 v55, v54
	v_mov_b32_e32 v57, v54
.LBB46_330:
	s_or_b64 exec, exec, s[2:3]
.LBB46_331:
	s_andn2_saveexec_b64 s[0:1], s[0:1]
	s_cbranch_execz .LBB46_333
; %bb.332:
	v_mov_b32_e32 v62, v46
	v_mov_b32_e32 v63, v47
	;; [unrolled: 1-line block ×4, first 2 shown]
	ds_write2_b64 v56, v[62:63], v[64:65] offset0:20 offset1:21
	v_mov_b32_e32 v62, v36
	v_mov_b32_e32 v63, v37
	;; [unrolled: 1-line block ×3, first 2 shown]
	ds_write2_b64 v56, v[62:63], v[50:51] offset0:22 offset1:23
.LBB46_333:
	s_or_b64 exec, exec, s[0:1]
	v_cmp_lt_i32_e32 vcc, 19, v57
	s_waitcnt lgkmcnt(0)
	s_barrier
	s_and_saveexec_b64 s[0:1], vcc
	s_cbranch_execz .LBB46_335
; %bb.334:
	ds_read2_b64 v[62:65], v56 offset0:20 offset1:21
	ds_read2_b64 v[66:69], v56 offset0:22 offset1:23
	v_mul_f64 v[22:23], v[52:53], v[22:23]
	s_waitcnt lgkmcnt(0)
	v_fma_f64 v[46:47], -v[22:23], v[62:63], v[46:47]
	v_fma_f64 v[42:43], -v[22:23], v[64:65], v[42:43]
	;; [unrolled: 1-line block ×4, first 2 shown]
.LBB46_335:
	s_or_b64 exec, exec, s[0:1]
	v_lshl_add_u32 v52, v57, 3, v56
	s_barrier
	ds_write_b64 v52, v[46:47]
	s_waitcnt lgkmcnt(0)
	s_barrier
	ds_read_b64 v[52:53], v56 offset:160
	s_cmp_lt_i32 s12, 22
	v_mov_b32_e32 v54, 20
	s_cbranch_scc1 .LBB46_338
; %bb.336:
	v_add_u32_e32 v61, 0xa8, v56
	s_mov_b32 s0, 21
	v_mov_b32_e32 v54, 20
.LBB46_337:                             ; =>This Inner Loop Header: Depth=1
	ds_read_b64 v[62:63], v61
	v_mov_b32_e32 v64, s0
	s_add_i32 s0, s0, 1
	v_add_u32_e32 v61, 8, v61
	s_cmp_lg_u32 s12, s0
	s_waitcnt lgkmcnt(0)
	v_cmp_lt_f64_e64 vcc, |v[52:53]|, |v[62:63]|
	v_cndmask_b32_e32 v53, v53, v63, vcc
	v_cndmask_b32_e32 v52, v52, v62, vcc
	;; [unrolled: 1-line block ×3, first 2 shown]
	s_cbranch_scc1 .LBB46_337
.LBB46_338:
	s_waitcnt lgkmcnt(0)
	v_cmp_eq_f64_e32 vcc, 0, v[52:53]
	s_and_saveexec_b64 s[0:1], vcc
	s_xor_b64 s[0:1], exec, s[0:1]
; %bb.339:
	v_cmp_ne_u32_e32 vcc, 0, v60
	v_cndmask_b32_e32 v60, 21, v60, vcc
; %bb.340:
	s_andn2_saveexec_b64 s[0:1], s[0:1]
; %bb.341:
	v_div_scale_f64 v[62:63], s[2:3], v[52:53], v[52:53], 1.0
	v_rcp_f64_e32 v[64:65], v[62:63]
	v_div_scale_f64 v[66:67], vcc, 1.0, v[52:53], 1.0
	v_fma_f64 v[68:69], -v[62:63], v[64:65], 1.0
	v_fmac_f64_e32 v[64:65], v[64:65], v[68:69]
	v_fma_f64 v[68:69], -v[62:63], v[64:65], 1.0
	v_fmac_f64_e32 v[64:65], v[64:65], v[68:69]
	v_mul_f64 v[68:69], v[66:67], v[64:65]
	v_fma_f64 v[62:63], -v[62:63], v[68:69], v[66:67]
	v_div_fmas_f64 v[62:63], v[62:63], v[64:65], v[68:69]
	v_div_fixup_f64 v[52:53], v[62:63], v[52:53], 1.0
; %bb.342:
	s_or_b64 exec, exec, s[0:1]
	v_cmp_ne_u32_e32 vcc, v57, v54
	s_and_saveexec_b64 s[0:1], vcc
	s_xor_b64 s[0:1], exec, s[0:1]
	s_cbranch_execz .LBB46_348
; %bb.343:
	v_cmp_eq_u32_e32 vcc, 20, v57
	s_and_saveexec_b64 s[2:3], vcc
	s_cbranch_execz .LBB46_347
; %bb.344:
	v_cmp_ne_u32_e32 vcc, 20, v54
	s_xor_b64 s[14:15], s[6:7], -1
	s_and_b64 s[16:17], s[14:15], vcc
	s_and_saveexec_b64 s[14:15], s[16:17]
	s_cbranch_execz .LBB46_346
; %bb.345:
	v_ashrrev_i32_e32 v55, 31, v54
	v_lshlrev_b64 v[62:63], 2, v[54:55]
	v_add_co_u32_e32 v62, vcc, v48, v62
	v_addc_co_u32_e32 v63, vcc, v49, v63, vcc
	flat_load_dword v55, v[62:63]
	flat_load_dword v57, v[48:49] offset:80
	s_waitcnt vmcnt(0) lgkmcnt(0)
	flat_store_dword v[48:49], v55 offset:80
	flat_store_dword v[62:63], v57
.LBB46_346:
	s_or_b64 exec, exec, s[14:15]
	v_mov_b32_e32 v55, v54
	v_mov_b32_e32 v57, v54
.LBB46_347:
	s_or_b64 exec, exec, s[2:3]
.LBB46_348:
	s_andn2_saveexec_b64 s[0:1], s[0:1]
	s_cbranch_execz .LBB46_350
; %bb.349:
	v_mov_b32_e32 v57, 20
	ds_write2_b64 v56, v[42:43], v[36:37] offset0:21 offset1:22
	ds_write_b64 v56, v[50:51] offset:184
.LBB46_350:
	s_or_b64 exec, exec, s[0:1]
	v_cmp_lt_i32_e32 vcc, 20, v57
	s_waitcnt lgkmcnt(0)
	s_barrier
	s_and_saveexec_b64 s[0:1], vcc
	s_cbranch_execz .LBB46_352
; %bb.351:
	ds_read2_b64 v[62:65], v56 offset0:21 offset1:22
	ds_read_b64 v[66:67], v56 offset:184
	v_mul_f64 v[46:47], v[52:53], v[46:47]
	s_waitcnt lgkmcnt(0)
	v_fma_f64 v[42:43], -v[46:47], v[62:63], v[42:43]
	v_fma_f64 v[36:37], -v[46:47], v[64:65], v[36:37]
	;; [unrolled: 1-line block ×3, first 2 shown]
.LBB46_352:
	s_or_b64 exec, exec, s[0:1]
	v_lshl_add_u32 v52, v57, 3, v56
	s_barrier
	ds_write_b64 v52, v[42:43]
	s_waitcnt lgkmcnt(0)
	s_barrier
	ds_read_b64 v[52:53], v56 offset:168
	s_cmp_lt_i32 s12, 23
	v_mov_b32_e32 v54, 21
	s_cbranch_scc1 .LBB46_355
; %bb.353:
	v_add_u32_e32 v61, 0xb0, v56
	s_mov_b32 s0, 22
	v_mov_b32_e32 v54, 21
.LBB46_354:                             ; =>This Inner Loop Header: Depth=1
	ds_read_b64 v[62:63], v61
	v_mov_b32_e32 v64, s0
	s_add_i32 s0, s0, 1
	v_add_u32_e32 v61, 8, v61
	s_cmp_lg_u32 s12, s0
	s_waitcnt lgkmcnt(0)
	v_cmp_lt_f64_e64 vcc, |v[52:53]|, |v[62:63]|
	v_cndmask_b32_e32 v53, v53, v63, vcc
	v_cndmask_b32_e32 v52, v52, v62, vcc
	;; [unrolled: 1-line block ×3, first 2 shown]
	s_cbranch_scc1 .LBB46_354
.LBB46_355:
	s_waitcnt lgkmcnt(0)
	v_cmp_eq_f64_e32 vcc, 0, v[52:53]
	s_and_saveexec_b64 s[0:1], vcc
	s_xor_b64 s[0:1], exec, s[0:1]
; %bb.356:
	v_cmp_ne_u32_e32 vcc, 0, v60
	v_cndmask_b32_e32 v60, 22, v60, vcc
; %bb.357:
	s_andn2_saveexec_b64 s[0:1], s[0:1]
; %bb.358:
	v_div_scale_f64 v[62:63], s[2:3], v[52:53], v[52:53], 1.0
	v_rcp_f64_e32 v[64:65], v[62:63]
	v_div_scale_f64 v[66:67], vcc, 1.0, v[52:53], 1.0
	v_fma_f64 v[68:69], -v[62:63], v[64:65], 1.0
	v_fmac_f64_e32 v[64:65], v[64:65], v[68:69]
	v_fma_f64 v[68:69], -v[62:63], v[64:65], 1.0
	v_fmac_f64_e32 v[64:65], v[64:65], v[68:69]
	v_mul_f64 v[68:69], v[66:67], v[64:65]
	v_fma_f64 v[62:63], -v[62:63], v[68:69], v[66:67]
	v_div_fmas_f64 v[62:63], v[62:63], v[64:65], v[68:69]
	v_div_fixup_f64 v[52:53], v[62:63], v[52:53], 1.0
; %bb.359:
	s_or_b64 exec, exec, s[0:1]
	v_cmp_ne_u32_e32 vcc, v57, v54
	s_and_saveexec_b64 s[0:1], vcc
	s_xor_b64 s[0:1], exec, s[0:1]
	s_cbranch_execz .LBB46_365
; %bb.360:
	v_cmp_eq_u32_e32 vcc, 21, v57
	s_and_saveexec_b64 s[2:3], vcc
	s_cbranch_execz .LBB46_364
; %bb.361:
	v_cmp_ne_u32_e32 vcc, 21, v54
	s_xor_b64 s[14:15], s[6:7], -1
	s_and_b64 s[16:17], s[14:15], vcc
	s_and_saveexec_b64 s[14:15], s[16:17]
	s_cbranch_execz .LBB46_363
; %bb.362:
	v_ashrrev_i32_e32 v55, 31, v54
	v_lshlrev_b64 v[62:63], 2, v[54:55]
	v_add_co_u32_e32 v62, vcc, v48, v62
	v_addc_co_u32_e32 v63, vcc, v49, v63, vcc
	flat_load_dword v55, v[62:63]
	flat_load_dword v57, v[48:49] offset:84
	s_waitcnt vmcnt(0) lgkmcnt(0)
	flat_store_dword v[48:49], v55 offset:84
	flat_store_dword v[62:63], v57
.LBB46_363:
	s_or_b64 exec, exec, s[14:15]
	v_mov_b32_e32 v55, v54
	v_mov_b32_e32 v57, v54
.LBB46_364:
	s_or_b64 exec, exec, s[2:3]
.LBB46_365:
	s_andn2_saveexec_b64 s[0:1], s[0:1]
	s_cbranch_execz .LBB46_367
; %bb.366:
	v_mov_b32_e32 v62, v36
	v_mov_b32_e32 v63, v37
	;; [unrolled: 1-line block ×3, first 2 shown]
	ds_write2_b64 v56, v[62:63], v[50:51] offset0:22 offset1:23
.LBB46_367:
	s_or_b64 exec, exec, s[0:1]
	v_cmp_lt_i32_e32 vcc, 21, v57
	s_waitcnt lgkmcnt(0)
	s_barrier
	s_and_saveexec_b64 s[0:1], vcc
	s_cbranch_execz .LBB46_369
; %bb.368:
	ds_read2_b64 v[62:65], v56 offset0:22 offset1:23
	v_mul_f64 v[42:43], v[52:53], v[42:43]
	s_waitcnt lgkmcnt(0)
	v_fma_f64 v[36:37], -v[42:43], v[62:63], v[36:37]
	v_fma_f64 v[50:51], -v[42:43], v[64:65], v[50:51]
.LBB46_369:
	s_or_b64 exec, exec, s[0:1]
	v_lshl_add_u32 v52, v57, 3, v56
	s_barrier
	ds_write_b64 v52, v[36:37]
	s_waitcnt lgkmcnt(0)
	s_barrier
	ds_read_b64 v[52:53], v56 offset:176
	s_cmp_lt_i32 s12, 24
	v_mov_b32_e32 v54, 22
	s_cbranch_scc1 .LBB46_372
; %bb.370:
	v_add_u32_e32 v61, 0xb8, v56
	s_mov_b32 s0, 23
	v_mov_b32_e32 v54, 22
.LBB46_371:                             ; =>This Inner Loop Header: Depth=1
	ds_read_b64 v[62:63], v61
	v_mov_b32_e32 v64, s0
	s_add_i32 s0, s0, 1
	v_add_u32_e32 v61, 8, v61
	s_cmp_lg_u32 s12, s0
	s_waitcnt lgkmcnt(0)
	v_cmp_lt_f64_e64 vcc, |v[52:53]|, |v[62:63]|
	v_cndmask_b32_e32 v53, v53, v63, vcc
	v_cndmask_b32_e32 v52, v52, v62, vcc
	;; [unrolled: 1-line block ×3, first 2 shown]
	s_cbranch_scc1 .LBB46_371
.LBB46_372:
	s_waitcnt lgkmcnt(0)
	v_cmp_eq_f64_e32 vcc, 0, v[52:53]
	s_and_saveexec_b64 s[0:1], vcc
	s_xor_b64 s[0:1], exec, s[0:1]
; %bb.373:
	v_cmp_ne_u32_e32 vcc, 0, v60
	v_cndmask_b32_e32 v60, 23, v60, vcc
; %bb.374:
	s_andn2_saveexec_b64 s[0:1], s[0:1]
; %bb.375:
	v_div_scale_f64 v[62:63], s[2:3], v[52:53], v[52:53], 1.0
	v_rcp_f64_e32 v[64:65], v[62:63]
	v_div_scale_f64 v[66:67], vcc, 1.0, v[52:53], 1.0
	v_fma_f64 v[68:69], -v[62:63], v[64:65], 1.0
	v_fmac_f64_e32 v[64:65], v[64:65], v[68:69]
	v_fma_f64 v[68:69], -v[62:63], v[64:65], 1.0
	v_fmac_f64_e32 v[64:65], v[64:65], v[68:69]
	v_mul_f64 v[68:69], v[66:67], v[64:65]
	v_fma_f64 v[62:63], -v[62:63], v[68:69], v[66:67]
	v_div_fmas_f64 v[62:63], v[62:63], v[64:65], v[68:69]
	v_div_fixup_f64 v[52:53], v[62:63], v[52:53], 1.0
; %bb.376:
	s_or_b64 exec, exec, s[0:1]
	v_cmp_ne_u32_e32 vcc, v57, v54
	s_and_saveexec_b64 s[0:1], vcc
	s_xor_b64 s[0:1], exec, s[0:1]
	s_cbranch_execz .LBB46_382
; %bb.377:
	v_cmp_eq_u32_e32 vcc, 22, v57
	s_and_saveexec_b64 s[2:3], vcc
	s_cbranch_execz .LBB46_381
; %bb.378:
	v_cmp_ne_u32_e32 vcc, 22, v54
	s_xor_b64 s[14:15], s[6:7], -1
	s_and_b64 s[16:17], s[14:15], vcc
	s_and_saveexec_b64 s[14:15], s[16:17]
	s_cbranch_execz .LBB46_380
; %bb.379:
	v_ashrrev_i32_e32 v55, 31, v54
	v_lshlrev_b64 v[62:63], 2, v[54:55]
	v_add_co_u32_e32 v62, vcc, v48, v62
	v_addc_co_u32_e32 v63, vcc, v49, v63, vcc
	flat_load_dword v55, v[62:63]
	flat_load_dword v57, v[48:49] offset:88
	s_waitcnt vmcnt(0) lgkmcnt(0)
	flat_store_dword v[48:49], v55 offset:88
	flat_store_dword v[62:63], v57
.LBB46_380:
	s_or_b64 exec, exec, s[14:15]
	v_mov_b32_e32 v55, v54
	v_mov_b32_e32 v57, v54
.LBB46_381:
	s_or_b64 exec, exec, s[2:3]
.LBB46_382:
	s_andn2_saveexec_b64 s[0:1], s[0:1]
	s_cbranch_execz .LBB46_384
; %bb.383:
	v_mov_b32_e32 v57, 22
	ds_write_b64 v56, v[50:51] offset:184
.LBB46_384:
	s_or_b64 exec, exec, s[0:1]
	v_cmp_lt_i32_e32 vcc, 22, v57
	s_waitcnt lgkmcnt(0)
	s_barrier
	s_and_saveexec_b64 s[0:1], vcc
	s_cbranch_execz .LBB46_386
; %bb.385:
	ds_read_b64 v[62:63], v56 offset:184
	v_mul_f64 v[36:37], v[52:53], v[36:37]
	s_waitcnt lgkmcnt(0)
	v_fma_f64 v[50:51], -v[36:37], v[62:63], v[50:51]
.LBB46_386:
	s_or_b64 exec, exec, s[0:1]
	v_lshl_add_u32 v52, v57, 3, v56
	s_barrier
	ds_write_b64 v52, v[50:51]
	s_waitcnt lgkmcnt(0)
	s_barrier
	ds_read_b64 v[52:53], v56 offset:184
	s_cmp_lt_i32 s12, 25
	v_mov_b32_e32 v54, 23
	s_cbranch_scc1 .LBB46_389
; %bb.387:
	v_add_u32_e32 v56, 0xc0, v56
	s_mov_b32 s0, 24
	v_mov_b32_e32 v54, 23
.LBB46_388:                             ; =>This Inner Loop Header: Depth=1
	ds_read_b64 v[62:63], v56
	v_mov_b32_e32 v61, s0
	s_add_i32 s0, s0, 1
	v_add_u32_e32 v56, 8, v56
	s_cmp_lg_u32 s12, s0
	s_waitcnt lgkmcnt(0)
	v_cmp_lt_f64_e64 vcc, |v[52:53]|, |v[62:63]|
	v_cndmask_b32_e32 v53, v53, v63, vcc
	v_cndmask_b32_e32 v52, v52, v62, vcc
	;; [unrolled: 1-line block ×3, first 2 shown]
	s_cbranch_scc1 .LBB46_388
.LBB46_389:
	s_waitcnt lgkmcnt(0)
	v_cmp_eq_f64_e32 vcc, 0, v[52:53]
	s_and_saveexec_b64 s[0:1], vcc
	s_xor_b64 s[0:1], exec, s[0:1]
; %bb.390:
	v_cmp_ne_u32_e32 vcc, 0, v60
	v_cndmask_b32_e32 v60, 24, v60, vcc
; %bb.391:
	s_andn2_saveexec_b64 s[0:1], s[0:1]
; %bb.392:
	v_div_scale_f64 v[62:63], s[2:3], v[52:53], v[52:53], 1.0
	v_rcp_f64_e32 v[64:65], v[62:63]
	v_div_scale_f64 v[66:67], vcc, 1.0, v[52:53], 1.0
	v_fma_f64 v[68:69], -v[62:63], v[64:65], 1.0
	v_fmac_f64_e32 v[64:65], v[64:65], v[68:69]
	v_fma_f64 v[68:69], -v[62:63], v[64:65], 1.0
	v_fmac_f64_e32 v[64:65], v[64:65], v[68:69]
	v_mul_f64 v[68:69], v[66:67], v[64:65]
	v_fma_f64 v[62:63], -v[62:63], v[68:69], v[66:67]
	v_div_fmas_f64 v[62:63], v[62:63], v[64:65], v[68:69]
	v_div_fixup_f64 v[52:53], v[62:63], v[52:53], 1.0
; %bb.393:
	s_or_b64 exec, exec, s[0:1]
	v_cmp_ne_u32_e32 vcc, v57, v54
	v_mov_b32_e32 v56, 23
	s_and_saveexec_b64 s[0:1], vcc
	s_cbranch_execz .LBB46_399
; %bb.394:
	v_cmp_eq_u32_e32 vcc, 23, v57
	s_and_saveexec_b64 s[2:3], vcc
	s_cbranch_execz .LBB46_398
; %bb.395:
	v_cmp_ne_u32_e32 vcc, 23, v54
	s_xor_b64 s[6:7], s[6:7], -1
	s_and_b64 s[14:15], s[6:7], vcc
	s_and_saveexec_b64 s[6:7], s[14:15]
	s_cbranch_execz .LBB46_397
; %bb.396:
	v_ashrrev_i32_e32 v55, 31, v54
	v_lshlrev_b64 v[56:57], 2, v[54:55]
	v_add_co_u32_e32 v56, vcc, v48, v56
	v_addc_co_u32_e32 v57, vcc, v49, v57, vcc
	flat_load_dword v55, v[56:57]
	flat_load_dword v61, v[48:49] offset:92
	s_waitcnt vmcnt(0) lgkmcnt(0)
	flat_store_dword v[48:49], v55 offset:92
	flat_store_dword v[56:57], v61
.LBB46_397:
	s_or_b64 exec, exec, s[6:7]
	v_mov_b32_e32 v55, v54
	v_mov_b32_e32 v57, v54
.LBB46_398:
	s_or_b64 exec, exec, s[2:3]
	v_mov_b32_e32 v56, v57
.LBB46_399:
	s_or_b64 exec, exec, s[0:1]
	s_load_dwordx8 s[0:7], s[4:5], 0x28
	v_cmp_gt_i32_e32 vcc, 24, v56
	v_ashrrev_i32_e32 v57, 31, v56
	s_waitcnt lgkmcnt(0)
	s_barrier
	s_barrier
	s_and_saveexec_b64 s[14:15], vcc
	s_cbranch_execz .LBB46_401
; %bb.400:
	v_mul_lo_u32 v54, v3, s4
	v_mul_lo_u32 v61, v2, s5
	v_mad_u64_u32 v[48:49], s[4:5], v2, s4, 0
	s_lshl_b64 s[2:3], s[2:3], 2
	v_add3_u32 v49, v49, v61, v54
	s_add_u32 s0, s2, s0
	v_lshlrev_b64 v[48:49], 2, v[48:49]
	s_addc_u32 s1, s3, s1
	v_mov_b32_e32 v54, s1
	v_add_co_u32_e32 v61, vcc, s0, v48
	v_addc_co_u32_e32 v54, vcc, v54, v49, vcc
	v_lshlrev_b64 v[48:49], 2, v[56:57]
	v_add_co_u32_e32 v48, vcc, v61, v48
	v_addc_co_u32_e32 v49, vcc, v54, v49, vcc
	v_add3_u32 v54, v55, s13, 1
	global_store_dword v[48:49], v54, off
.LBB46_401:
	s_or_b64 exec, exec, s[14:15]
	v_cmp_eq_u32_e32 vcc, 0, v56
	s_and_saveexec_b64 s[2:3], vcc
	s_cbranch_execz .LBB46_404
; %bb.402:
	v_lshlrev_b64 v[2:3], 2, v[2:3]
	v_mov_b32_e32 v48, s7
	v_add_co_u32_e32 v2, vcc, s6, v2
	v_addc_co_u32_e32 v3, vcc, v48, v3, vcc
	global_load_dword v48, v[2:3], off
	v_cmp_lt_i32_e64 s[0:1], 0, v60
	s_waitcnt vmcnt(0)
	v_cmp_eq_u32_e32 vcc, 0, v48
	s_and_b64 s[0:1], vcc, s[0:1]
	s_and_b64 exec, exec, s[0:1]
	s_cbranch_execz .LBB46_404
; %bb.403:
	v_add_u32_e32 v48, s13, v60
	global_store_dword v[2:3], v48, off
.LBB46_404:
	s_or_b64 exec, exec, s[2:3]
	v_mul_f64 v[2:3], v[52:53], v[50:51]
	v_cmp_lt_i32_e32 vcc, 23, v56
	v_lshlrev_b64 v[48:49], 3, v[56:57]
	v_cndmask_b32_e32 v3, v51, v3, vcc
	v_cndmask_b32_e32 v2, v50, v2, vcc
	v_add_co_u32_e32 v48, vcc, v58, v48
	v_addc_co_u32_e32 v49, vcc, v59, v49, vcc
	global_store_dwordx2 v[48:49], v[18:19], off
	v_mov_b32_e32 v19, s11
	v_add_co_u32_e32 v18, vcc, s10, v48
	v_addc_co_u32_e32 v19, vcc, v49, v19, vcc
	global_store_dwordx2 v[18:19], v[12:13], off
	v_add_u32_e32 v12, s9, v56
	v_ashrrev_i32_e32 v13, 31, v12
	v_lshlrev_b64 v[18:19], 3, v[12:13]
	v_add_co_u32_e32 v18, vcc, v58, v18
	v_addc_co_u32_e32 v19, vcc, v59, v19, vcc
	global_store_dwordx2 v[18:19], v[6:7], off
	v_add_u32_e32 v6, s8, v12
	v_ashrrev_i32_e32 v7, 31, v6
	v_lshlrev_b64 v[12:13], 3, v[6:7]
	;; [unrolled: 6-line block ×3, first 2 shown]
	v_add_co_u32_e32 v6, vcc, v58, v6
	v_add_u32_e32 v0, s8, v0
	v_addc_co_u32_e32 v7, vcc, v59, v7, vcc
	v_ashrrev_i32_e32 v1, 31, v0
	global_store_dwordx2 v[6:7], v[28:29], off
	v_lshlrev_b64 v[6:7], 3, v[0:1]
	v_add_co_u32_e32 v6, vcc, v58, v6
	v_add_u32_e32 v0, s8, v0
	v_addc_co_u32_e32 v7, vcc, v59, v7, vcc
	v_ashrrev_i32_e32 v1, 31, v0
	global_store_dwordx2 v[6:7], v[20:21], off
	v_lshlrev_b64 v[6:7], 3, v[0:1]
	;; [unrolled: 6-line block ×18, first 2 shown]
	v_add_u32_e32 v0, s8, v0
	v_add_co_u32_e32 v4, vcc, v58, v4
	v_ashrrev_i32_e32 v1, 31, v0
	v_addc_co_u32_e32 v5, vcc, v59, v5, vcc
	v_lshlrev_b64 v[0:1], 3, v[0:1]
	v_add_co_u32_e32 v0, vcc, v58, v0
	v_addc_co_u32_e32 v1, vcc, v59, v1, vcc
	global_store_dwordx2 v[4:5], v[36:37], off
	global_store_dwordx2 v[0:1], v[2:3], off
.LBB46_405:
	s_endpgm
	.section	.rodata,"a",@progbits
	.p2align	6, 0x0
	.amdhsa_kernel _ZN9rocsolver6v33100L18getf2_small_kernelILi24EdiiPKPdEEvT1_T3_lS5_lPS5_llPT2_S5_S5_S7_l
		.amdhsa_group_segment_fixed_size 0
		.amdhsa_private_segment_fixed_size 0
		.amdhsa_kernarg_size 352
		.amdhsa_user_sgpr_count 6
		.amdhsa_user_sgpr_private_segment_buffer 1
		.amdhsa_user_sgpr_dispatch_ptr 0
		.amdhsa_user_sgpr_queue_ptr 0
		.amdhsa_user_sgpr_kernarg_segment_ptr 1
		.amdhsa_user_sgpr_dispatch_id 0
		.amdhsa_user_sgpr_flat_scratch_init 0
		.amdhsa_user_sgpr_kernarg_preload_length 0
		.amdhsa_user_sgpr_kernarg_preload_offset 0
		.amdhsa_user_sgpr_private_segment_size 0
		.amdhsa_uses_dynamic_stack 0
		.amdhsa_system_sgpr_private_segment_wavefront_offset 0
		.amdhsa_system_sgpr_workgroup_id_x 1
		.amdhsa_system_sgpr_workgroup_id_y 1
		.amdhsa_system_sgpr_workgroup_id_z 0
		.amdhsa_system_sgpr_workgroup_info 0
		.amdhsa_system_vgpr_workitem_id 1
		.amdhsa_next_free_vgpr 74
		.amdhsa_next_free_sgpr 20
		.amdhsa_accum_offset 76
		.amdhsa_reserve_vcc 1
		.amdhsa_reserve_flat_scratch 0
		.amdhsa_float_round_mode_32 0
		.amdhsa_float_round_mode_16_64 0
		.amdhsa_float_denorm_mode_32 3
		.amdhsa_float_denorm_mode_16_64 3
		.amdhsa_dx10_clamp 1
		.amdhsa_ieee_mode 1
		.amdhsa_fp16_overflow 0
		.amdhsa_tg_split 0
		.amdhsa_exception_fp_ieee_invalid_op 0
		.amdhsa_exception_fp_denorm_src 0
		.amdhsa_exception_fp_ieee_div_zero 0
		.amdhsa_exception_fp_ieee_overflow 0
		.amdhsa_exception_fp_ieee_underflow 0
		.amdhsa_exception_fp_ieee_inexact 0
		.amdhsa_exception_int_div_zero 0
	.end_amdhsa_kernel
	.section	.text._ZN9rocsolver6v33100L18getf2_small_kernelILi24EdiiPKPdEEvT1_T3_lS5_lPS5_llPT2_S5_S5_S7_l,"axG",@progbits,_ZN9rocsolver6v33100L18getf2_small_kernelILi24EdiiPKPdEEvT1_T3_lS5_lPS5_llPT2_S5_S5_S7_l,comdat
.Lfunc_end46:
	.size	_ZN9rocsolver6v33100L18getf2_small_kernelILi24EdiiPKPdEEvT1_T3_lS5_lPS5_llPT2_S5_S5_S7_l, .Lfunc_end46-_ZN9rocsolver6v33100L18getf2_small_kernelILi24EdiiPKPdEEvT1_T3_lS5_lPS5_llPT2_S5_S5_S7_l
                                        ; -- End function
	.section	.AMDGPU.csdata,"",@progbits
; Kernel info:
; codeLenInByte = 17108
; NumSgprs: 24
; NumVgprs: 74
; NumAgprs: 0
; TotalNumVgprs: 74
; ScratchSize: 0
; MemoryBound: 0
; FloatMode: 240
; IeeeMode: 1
; LDSByteSize: 0 bytes/workgroup (compile time only)
; SGPRBlocks: 2
; VGPRBlocks: 9
; NumSGPRsForWavesPerEU: 24
; NumVGPRsForWavesPerEU: 74
; AccumOffset: 76
; Occupancy: 6
; WaveLimiterHint : 1
; COMPUTE_PGM_RSRC2:SCRATCH_EN: 0
; COMPUTE_PGM_RSRC2:USER_SGPR: 6
; COMPUTE_PGM_RSRC2:TRAP_HANDLER: 0
; COMPUTE_PGM_RSRC2:TGID_X_EN: 1
; COMPUTE_PGM_RSRC2:TGID_Y_EN: 1
; COMPUTE_PGM_RSRC2:TGID_Z_EN: 0
; COMPUTE_PGM_RSRC2:TIDIG_COMP_CNT: 1
; COMPUTE_PGM_RSRC3_GFX90A:ACCUM_OFFSET: 18
; COMPUTE_PGM_RSRC3_GFX90A:TG_SPLIT: 0
	.section	.text._ZN9rocsolver6v33100L23getf2_npvt_small_kernelILi24EdiiPKPdEEvT1_T3_lS5_lPT2_S5_S5_,"axG",@progbits,_ZN9rocsolver6v33100L23getf2_npvt_small_kernelILi24EdiiPKPdEEvT1_T3_lS5_lPT2_S5_S5_,comdat
	.globl	_ZN9rocsolver6v33100L23getf2_npvt_small_kernelILi24EdiiPKPdEEvT1_T3_lS5_lPT2_S5_S5_ ; -- Begin function _ZN9rocsolver6v33100L23getf2_npvt_small_kernelILi24EdiiPKPdEEvT1_T3_lS5_lPT2_S5_S5_
	.p2align	8
	.type	_ZN9rocsolver6v33100L23getf2_npvt_small_kernelILi24EdiiPKPdEEvT1_T3_lS5_lPT2_S5_S5_,@function
_ZN9rocsolver6v33100L23getf2_npvt_small_kernelILi24EdiiPKPdEEvT1_T3_lS5_lPT2_S5_S5_: ; @_ZN9rocsolver6v33100L23getf2_npvt_small_kernelILi24EdiiPKPdEEvT1_T3_lS5_lPT2_S5_S5_
; %bb.0:
	s_load_dword s0, s[4:5], 0x44
	s_load_dwordx2 s[8:9], s[4:5], 0x30
	v_bfe_u32 v98, v0, 10, 10
	s_waitcnt lgkmcnt(0)
	s_lshr_b32 s10, s0, 16
	s_mul_i32 s7, s7, s10
	v_add_u32_e32 v2, s7, v98
	v_cmp_gt_i32_e32 vcc, s8, v2
	s_and_saveexec_b64 s[0:1], vcc
	s_cbranch_execz .LBB47_123
; %bb.1:
	s_load_dwordx4 s[12:15], s[4:5], 0x8
	s_load_dword s0, s[4:5], 0x18
	v_ashrrev_i32_e32 v3, 31, v2
	v_lshlrev_b64 v[4:5], 3, v[2:3]
	v_and_b32_e32 v146, 0x3ff, v0
	s_waitcnt lgkmcnt(0)
	v_mov_b32_e32 v1, s13
	v_add_co_u32_e32 v4, vcc, s12, v4
	v_addc_co_u32_e32 v5, vcc, v1, v5, vcc
	global_load_dwordx2 v[4:5], v[4:5], off
	s_add_i32 s8, s0, s0
	v_add_u32_e32 v0, s8, v146
	v_ashrrev_i32_e32 v1, 31, v0
	v_add_u32_e32 v6, s0, v0
	v_lshlrev_b64 v[8:9], 3, v[0:1]
	v_add_u32_e32 v0, s0, v6
	v_ashrrev_i32_e32 v1, 31, v0
	v_add_u32_e32 v10, s0, v0
	v_lshlrev_b64 v[12:13], 3, v[0:1]
	v_add_u32_e32 v0, s0, v10
	s_lshl_b64 s[6:7], s[14:15], 3
	v_ashrrev_i32_e32 v1, 31, v0
	v_add_u32_e32 v14, s0, v0
	v_mov_b32_e32 v23, s7
	v_lshlrev_b64 v[16:17], 3, v[0:1]
	v_add_u32_e32 v0, s0, v14
	v_lshlrev_b32_e32 v22, 3, v146
	v_ashrrev_i32_e32 v1, 31, v0
	v_add_u32_e32 v18, s0, v0
	v_lshlrev_b64 v[20:21], 3, v[0:1]
	v_ashrrev_i32_e32 v7, 31, v6
	v_lshlrev_b64 v[6:7], 3, v[6:7]
	v_ashrrev_i32_e32 v11, 31, v10
	;; [unrolled: 2-line block ×4, first 2 shown]
	v_add_u32_e32 v24, s0, v18
	v_lshlrev_b64 v[18:19], 3, v[18:19]
	s_ashr_i32 s1, s0, 31
	s_lshl_b64 s[2:3], s[0:1], 3
	v_mov_b32_e32 v28, s3
	v_ashrrev_i32_e32 v25, 31, v24
	v_lshlrev_b64 v[26:27], 3, v[24:25]
	s_mulk_i32 s10, 0xc0
	s_add_i32 s1, s10, 0
	v_lshl_add_u32 v144, v98, 3, s1
	s_waitcnt vmcnt(0)
	v_add_co_u32_e32 v50, vcc, s6, v4
	v_addc_co_u32_e32 v51, vcc, v5, v23, vcc
	v_add_co_u32_e32 v0, vcc, v50, v22
	v_addc_co_u32_e32 v1, vcc, 0, v51, vcc
	;; [unrolled: 2-line block ×11, first 2 shown]
	v_add_co_u32_e32 v20, vcc, v50, v26
	v_add_u32_e32 v26, s0, v24
	v_addc_co_u32_e32 v21, vcc, v51, v27, vcc
	v_ashrrev_i32_e32 v27, 31, v26
	v_lshlrev_b64 v[24:25], 3, v[26:27]
	v_add_u32_e32 v28, s0, v26
	v_add_co_u32_e32 v24, vcc, v50, v24
	v_ashrrev_i32_e32 v29, 31, v28
	v_addc_co_u32_e32 v25, vcc, v51, v25, vcc
	v_lshlrev_b64 v[26:27], 3, v[28:29]
	v_add_u32_e32 v30, s0, v28
	v_add_co_u32_e32 v26, vcc, v50, v26
	v_ashrrev_i32_e32 v31, 31, v30
	v_addc_co_u32_e32 v27, vcc, v51, v27, vcc
	v_lshlrev_b64 v[28:29], 3, v[30:31]
	v_add_u32_e32 v32, s0, v30
	v_add_co_u32_e32 v28, vcc, v50, v28
	v_ashrrev_i32_e32 v33, 31, v32
	v_addc_co_u32_e32 v29, vcc, v51, v29, vcc
	v_lshlrev_b64 v[30:31], 3, v[32:33]
	v_add_u32_e32 v34, s0, v32
	v_add_co_u32_e32 v30, vcc, v50, v30
	v_ashrrev_i32_e32 v35, 31, v34
	v_addc_co_u32_e32 v31, vcc, v51, v31, vcc
	v_lshlrev_b64 v[32:33], 3, v[34:35]
	v_add_u32_e32 v36, s0, v34
	v_add_co_u32_e32 v32, vcc, v50, v32
	v_ashrrev_i32_e32 v37, 31, v36
	v_addc_co_u32_e32 v33, vcc, v51, v33, vcc
	v_lshlrev_b64 v[34:35], 3, v[36:37]
	v_add_u32_e32 v38, s0, v36
	v_add_co_u32_e32 v34, vcc, v50, v34
	v_ashrrev_i32_e32 v39, 31, v38
	v_addc_co_u32_e32 v35, vcc, v51, v35, vcc
	v_lshlrev_b64 v[36:37], 3, v[38:39]
	v_add_u32_e32 v40, s0, v38
	v_add_co_u32_e32 v36, vcc, v50, v36
	v_ashrrev_i32_e32 v41, 31, v40
	v_addc_co_u32_e32 v37, vcc, v51, v37, vcc
	v_lshlrev_b64 v[38:39], 3, v[40:41]
	v_add_u32_e32 v42, s0, v40
	v_add_co_u32_e32 v38, vcc, v50, v38
	v_ashrrev_i32_e32 v43, 31, v42
	v_addc_co_u32_e32 v39, vcc, v51, v39, vcc
	v_lshlrev_b64 v[40:41], 3, v[42:43]
	v_add_u32_e32 v44, s0, v42
	v_add_co_u32_e32 v40, vcc, v50, v40
	v_ashrrev_i32_e32 v45, 31, v44
	v_addc_co_u32_e32 v41, vcc, v51, v41, vcc
	v_lshlrev_b64 v[42:43], 3, v[44:45]
	v_add_u32_e32 v46, s0, v44
	v_add_co_u32_e32 v42, vcc, v50, v42
	v_ashrrev_i32_e32 v47, 31, v46
	v_addc_co_u32_e32 v43, vcc, v51, v43, vcc
	v_lshlrev_b64 v[44:45], 3, v[46:47]
	v_add_u32_e32 v48, s0, v46
	v_add_co_u32_e32 v44, vcc, v50, v44
	v_ashrrev_i32_e32 v49, 31, v48
	v_addc_co_u32_e32 v45, vcc, v51, v45, vcc
	v_lshlrev_b64 v[46:47], 3, v[48:49]
	v_add_u32_e32 v48, s0, v48
	v_add_co_u32_e32 v46, vcc, v50, v46
	v_ashrrev_i32_e32 v49, 31, v48
	v_addc_co_u32_e32 v47, vcc, v51, v47, vcc
	v_lshlrev_b64 v[48:49], 3, v[48:49]
	v_add_co_u32_e32 v48, vcc, v50, v48
	v_addc_co_u32_e32 v49, vcc, v51, v49, vcc
	global_load_dwordx2 v[50:51], v[0:1], off
	global_load_dwordx2 v[72:73], v[22:23], off
	;; [unrolled: 1-line block ×24, first 2 shown]
	s_movk_i32 s0, 0xc0
	v_mad_u32_u24 v145, v98, s0, 0
	v_cmp_ne_u32_e64 s[2:3], 0, v146
	v_cmp_eq_u32_e64 s[0:1], 0, v146
	s_and_saveexec_b64 s[6:7], s[0:1]
	s_cbranch_execz .LBB47_4
; %bb.2:
	s_waitcnt vmcnt(23)
	ds_write_b64 v144, v[50:51]
	s_waitcnt vmcnt(21)
	ds_write2_b64 v145, v[72:73], v[94:95] offset0:1 offset1:2
	s_waitcnt vmcnt(19)
	ds_write2_b64 v145, v[70:71], v[92:93] offset0:3 offset1:4
	;; [unrolled: 2-line block ×11, first 2 shown]
	s_waitcnt vmcnt(0)
	ds_write_b64 v145, v[96:97] offset:184
	ds_read_b64 v[98:99], v144
	s_waitcnt lgkmcnt(0)
	v_cmp_neq_f64_e32 vcc, 0, v[98:99]
	s_and_b64 exec, exec, vcc
	s_cbranch_execz .LBB47_4
; %bb.3:
	v_div_scale_f64 v[100:101], s[10:11], v[98:99], v[98:99], 1.0
	v_rcp_f64_e32 v[102:103], v[100:101]
	v_div_scale_f64 v[104:105], vcc, 1.0, v[98:99], 1.0
	v_fma_f64 v[106:107], -v[100:101], v[102:103], 1.0
	v_fmac_f64_e32 v[102:103], v[102:103], v[106:107]
	v_fma_f64 v[106:107], -v[100:101], v[102:103], 1.0
	v_fmac_f64_e32 v[102:103], v[102:103], v[106:107]
	v_mul_f64 v[106:107], v[104:105], v[102:103]
	v_fma_f64 v[100:101], -v[100:101], v[106:107], v[104:105]
	v_div_fmas_f64 v[100:101], v[100:101], v[102:103], v[106:107]
	v_div_fixup_f64 v[98:99], v[100:101], v[98:99], 1.0
	ds_write_b64 v144, v[98:99]
.LBB47_4:
	s_or_b64 exec, exec, s[6:7]
	s_waitcnt lgkmcnt(0)
	s_barrier
	ds_read_b64 v[98:99], v144
	s_and_saveexec_b64 s[6:7], s[2:3]
	s_cbranch_execz .LBB47_6
; %bb.5:
	ds_read2_b64 v[100:103], v145 offset0:1 offset1:2
	ds_read2_b64 v[104:107], v145 offset0:3 offset1:4
	;; [unrolled: 1-line block ×3, first 2 shown]
	s_waitcnt vmcnt(23) lgkmcnt(3)
	v_mul_f64 v[50:51], v[98:99], v[50:51]
	s_waitcnt vmcnt(22) lgkmcnt(2)
	v_fma_f64 v[72:73], -v[50:51], v[100:101], v[72:73]
	s_waitcnt vmcnt(21)
	v_fma_f64 v[94:95], -v[50:51], v[102:103], v[94:95]
	ds_read2_b64 v[100:103], v145 offset0:7 offset1:8
	s_waitcnt vmcnt(20) lgkmcnt(2)
	v_fma_f64 v[70:71], -v[50:51], v[104:105], v[70:71]
	s_waitcnt vmcnt(19)
	v_fma_f64 v[92:93], -v[50:51], v[106:107], v[92:93]
	s_waitcnt vmcnt(18) lgkmcnt(1)
	v_fma_f64 v[68:69], -v[50:51], v[108:109], v[68:69]
	ds_read2_b64 v[104:107], v145 offset0:9 offset1:10
	s_waitcnt vmcnt(17)
	v_fma_f64 v[90:91], -v[50:51], v[110:111], v[90:91]
	ds_read2_b64 v[108:111], v145 offset0:11 offset1:12
	s_waitcnt vmcnt(16) lgkmcnt(2)
	v_fma_f64 v[66:67], -v[50:51], v[100:101], v[66:67]
	s_waitcnt vmcnt(15)
	v_fma_f64 v[88:89], -v[50:51], v[102:103], v[88:89]
	s_waitcnt vmcnt(14) lgkmcnt(1)
	v_fma_f64 v[64:65], -v[50:51], v[104:105], v[64:65]
	ds_read2_b64 v[100:103], v145 offset0:13 offset1:14
	s_waitcnt vmcnt(13)
	v_fma_f64 v[86:87], -v[50:51], v[106:107], v[86:87]
	ds_read2_b64 v[104:107], v145 offset0:15 offset1:16
	s_waitcnt vmcnt(12) lgkmcnt(2)
	v_fma_f64 v[62:63], -v[50:51], v[108:109], v[62:63]
	s_waitcnt vmcnt(11)
	v_fma_f64 v[84:85], -v[50:51], v[110:111], v[84:85]
	ds_read2_b64 v[108:111], v145 offset0:17 offset1:18
	s_waitcnt vmcnt(10) lgkmcnt(2)
	v_fma_f64 v[60:61], -v[50:51], v[100:101], v[60:61]
	s_waitcnt vmcnt(9)
	v_fma_f64 v[82:83], -v[50:51], v[102:103], v[82:83]
	ds_read2_b64 v[100:103], v145 offset0:19 offset1:20
	s_waitcnt vmcnt(8) lgkmcnt(2)
	v_fma_f64 v[58:59], -v[50:51], v[104:105], v[58:59]
	s_waitcnt vmcnt(7)
	v_fma_f64 v[80:81], -v[50:51], v[106:107], v[80:81]
	s_waitcnt vmcnt(6) lgkmcnt(1)
	v_fma_f64 v[56:57], -v[50:51], v[108:109], v[56:57]
	ds_read2_b64 v[104:107], v145 offset0:21 offset1:22
	ds_read_b64 v[108:109], v145 offset:184
	s_waitcnt vmcnt(5)
	v_fma_f64 v[78:79], -v[50:51], v[110:111], v[78:79]
	s_waitcnt vmcnt(4) lgkmcnt(2)
	v_fma_f64 v[54:55], -v[50:51], v[100:101], v[54:55]
	s_waitcnt vmcnt(3)
	v_fma_f64 v[76:77], -v[50:51], v[102:103], v[76:77]
	s_waitcnt vmcnt(2) lgkmcnt(1)
	v_fma_f64 v[52:53], -v[50:51], v[104:105], v[52:53]
	s_waitcnt vmcnt(1)
	v_fma_f64 v[74:75], -v[50:51], v[106:107], v[74:75]
	s_waitcnt vmcnt(0) lgkmcnt(0)
	v_fma_f64 v[96:97], -v[50:51], v[108:109], v[96:97]
.LBB47_6:
	s_or_b64 exec, exec, s[6:7]
	v_cmp_eq_u32_e32 vcc, 1, v146
	s_waitcnt lgkmcnt(0)
	s_barrier
	s_and_saveexec_b64 s[2:3], vcc
	s_cbranch_execz .LBB47_9
; %bb.7:
	s_waitcnt vmcnt(21)
	v_mov_b32_e32 v100, v94
	v_mov_b32_e32 v101, v95
	s_waitcnt vmcnt(20)
	v_mov_b32_e32 v102, v70
	v_mov_b32_e32 v103, v71
	ds_write_b64 v144, v[72:73]
	ds_write2_b64 v145, v[100:101], v[102:103] offset0:2 offset1:3
	s_waitcnt vmcnt(19)
	v_mov_b32_e32 v100, v92
	v_mov_b32_e32 v101, v93
	s_waitcnt vmcnt(18)
	v_mov_b32_e32 v102, v68
	v_mov_b32_e32 v103, v69
	ds_write2_b64 v145, v[100:101], v[102:103] offset0:4 offset1:5
	s_waitcnt vmcnt(17)
	v_mov_b32_e32 v100, v90
	v_mov_b32_e32 v101, v91
	s_waitcnt vmcnt(16)
	v_mov_b32_e32 v102, v66
	v_mov_b32_e32 v103, v67
	;; [unrolled: 7-line block ×9, first 2 shown]
	ds_write2_b64 v145, v[100:101], v[102:103] offset0:20 offset1:21
	s_waitcnt vmcnt(1)
	v_mov_b32_e32 v100, v74
	v_mov_b32_e32 v101, v75
	s_waitcnt vmcnt(0)
	ds_write2_b64 v145, v[100:101], v[96:97] offset0:22 offset1:23
	ds_read_b64 v[100:101], v144
	s_waitcnt lgkmcnt(0)
	v_cmp_neq_f64_e32 vcc, 0, v[100:101]
	s_and_b64 exec, exec, vcc
	s_cbranch_execz .LBB47_9
; %bb.8:
	v_div_scale_f64 v[102:103], s[6:7], v[100:101], v[100:101], 1.0
	v_rcp_f64_e32 v[104:105], v[102:103]
	v_div_scale_f64 v[106:107], vcc, 1.0, v[100:101], 1.0
	v_fma_f64 v[108:109], -v[102:103], v[104:105], 1.0
	v_fmac_f64_e32 v[104:105], v[104:105], v[108:109]
	v_fma_f64 v[108:109], -v[102:103], v[104:105], 1.0
	v_fmac_f64_e32 v[104:105], v[104:105], v[108:109]
	v_mul_f64 v[108:109], v[106:107], v[104:105]
	v_fma_f64 v[102:103], -v[102:103], v[108:109], v[106:107]
	v_div_fmas_f64 v[102:103], v[102:103], v[104:105], v[108:109]
	v_div_fixup_f64 v[100:101], v[102:103], v[100:101], 1.0
	ds_write_b64 v144, v[100:101]
.LBB47_9:
	s_or_b64 exec, exec, s[2:3]
	s_waitcnt lgkmcnt(0)
	s_barrier
	ds_read_b64 v[100:101], v144
	v_cmp_lt_u32_e32 vcc, 1, v146
	s_and_saveexec_b64 s[2:3], vcc
	s_cbranch_execz .LBB47_11
; %bb.10:
	ds_read2_b64 v[102:105], v145 offset0:2 offset1:3
	ds_read2_b64 v[106:109], v145 offset0:4 offset1:5
	s_waitcnt vmcnt(22) lgkmcnt(2)
	v_mul_f64 v[72:73], v[100:101], v[72:73]
	ds_read2_b64 v[110:113], v145 offset0:6 offset1:7
	s_waitcnt vmcnt(21) lgkmcnt(2)
	v_fma_f64 v[94:95], -v[72:73], v[102:103], v[94:95]
	s_waitcnt vmcnt(20)
	v_fma_f64 v[70:71], -v[72:73], v[104:105], v[70:71]
	ds_read2_b64 v[102:105], v145 offset0:8 offset1:9
	s_waitcnt vmcnt(19) lgkmcnt(2)
	v_fma_f64 v[92:93], -v[72:73], v[106:107], v[92:93]
	s_waitcnt vmcnt(18)
	v_fma_f64 v[68:69], -v[72:73], v[108:109], v[68:69]
	;; [unrolled: 5-line block ×4, first 2 shown]
	s_waitcnt vmcnt(13) lgkmcnt(1)
	v_fma_f64 v[86:87], -v[72:73], v[106:107], v[86:87]
	ds_read2_b64 v[102:105], v145 offset0:14 offset1:15
	s_waitcnt vmcnt(12)
	v_fma_f64 v[62:63], -v[72:73], v[108:109], v[62:63]
	ds_read2_b64 v[106:109], v145 offset0:16 offset1:17
	s_waitcnt vmcnt(11) lgkmcnt(2)
	v_fma_f64 v[84:85], -v[72:73], v[110:111], v[84:85]
	s_waitcnt vmcnt(10)
	v_fma_f64 v[60:61], -v[72:73], v[112:113], v[60:61]
	s_waitcnt vmcnt(9) lgkmcnt(1)
	v_fma_f64 v[82:83], -v[72:73], v[102:103], v[82:83]
	s_waitcnt vmcnt(8)
	v_fma_f64 v[58:59], -v[72:73], v[104:105], v[58:59]
	ds_read2_b64 v[102:105], v145 offset0:18 offset1:19
	ds_read2_b64 v[110:113], v145 offset0:20 offset1:21
	s_waitcnt vmcnt(7) lgkmcnt(2)
	v_fma_f64 v[80:81], -v[72:73], v[106:107], v[80:81]
	s_waitcnt vmcnt(6)
	v_fma_f64 v[56:57], -v[72:73], v[108:109], v[56:57]
	ds_read2_b64 v[106:109], v145 offset0:22 offset1:23
	s_waitcnt vmcnt(5) lgkmcnt(2)
	v_fma_f64 v[78:79], -v[72:73], v[102:103], v[78:79]
	s_waitcnt vmcnt(4)
	v_fma_f64 v[54:55], -v[72:73], v[104:105], v[54:55]
	s_waitcnt vmcnt(3) lgkmcnt(1)
	v_fma_f64 v[76:77], -v[72:73], v[110:111], v[76:77]
	s_waitcnt vmcnt(2)
	v_fma_f64 v[52:53], -v[72:73], v[112:113], v[52:53]
	;; [unrolled: 4-line block ×3, first 2 shown]
.LBB47_11:
	s_or_b64 exec, exec, s[2:3]
	v_cmp_eq_u32_e32 vcc, 2, v146
	s_waitcnt lgkmcnt(0)
	s_barrier
	s_and_saveexec_b64 s[2:3], vcc
	s_cbranch_execz .LBB47_14
; %bb.12:
	s_waitcnt vmcnt(21)
	ds_write_b64 v144, v[94:95]
	s_waitcnt vmcnt(19)
	ds_write2_b64 v145, v[70:71], v[92:93] offset0:3 offset1:4
	s_waitcnt vmcnt(17)
	ds_write2_b64 v145, v[68:69], v[90:91] offset0:5 offset1:6
	;; [unrolled: 2-line block ×10, first 2 shown]
	s_waitcnt vmcnt(0)
	ds_write_b64 v145, v[96:97] offset:184
	ds_read_b64 v[102:103], v144
	s_waitcnt lgkmcnt(0)
	v_cmp_neq_f64_e32 vcc, 0, v[102:103]
	s_and_b64 exec, exec, vcc
	s_cbranch_execz .LBB47_14
; %bb.13:
	v_div_scale_f64 v[104:105], s[6:7], v[102:103], v[102:103], 1.0
	v_rcp_f64_e32 v[106:107], v[104:105]
	v_div_scale_f64 v[108:109], vcc, 1.0, v[102:103], 1.0
	v_fma_f64 v[110:111], -v[104:105], v[106:107], 1.0
	v_fmac_f64_e32 v[106:107], v[106:107], v[110:111]
	v_fma_f64 v[110:111], -v[104:105], v[106:107], 1.0
	v_fmac_f64_e32 v[106:107], v[106:107], v[110:111]
	v_mul_f64 v[110:111], v[108:109], v[106:107]
	v_fma_f64 v[104:105], -v[104:105], v[110:111], v[108:109]
	v_div_fmas_f64 v[104:105], v[104:105], v[106:107], v[110:111]
	v_div_fixup_f64 v[102:103], v[104:105], v[102:103], 1.0
	ds_write_b64 v144, v[102:103]
.LBB47_14:
	s_or_b64 exec, exec, s[2:3]
	s_waitcnt lgkmcnt(0)
	s_barrier
	ds_read_b64 v[102:103], v144
	v_cmp_lt_u32_e32 vcc, 2, v146
	s_and_saveexec_b64 s[2:3], vcc
	s_cbranch_execz .LBB47_16
; %bb.15:
	ds_read2_b64 v[104:107], v145 offset0:3 offset1:4
	ds_read2_b64 v[108:111], v145 offset0:5 offset1:6
	s_waitcnt vmcnt(21) lgkmcnt(2)
	v_mul_f64 v[94:95], v[102:103], v[94:95]
	ds_read2_b64 v[112:115], v145 offset0:7 offset1:8
	s_waitcnt vmcnt(20) lgkmcnt(2)
	v_fma_f64 v[70:71], -v[94:95], v[104:105], v[70:71]
	s_waitcnt vmcnt(19)
	v_fma_f64 v[92:93], -v[94:95], v[106:107], v[92:93]
	ds_read2_b64 v[104:107], v145 offset0:9 offset1:10
	s_waitcnt vmcnt(18) lgkmcnt(2)
	v_fma_f64 v[68:69], -v[94:95], v[108:109], v[68:69]
	s_waitcnt vmcnt(17)
	v_fma_f64 v[90:91], -v[94:95], v[110:111], v[90:91]
	;; [unrolled: 5-line block ×4, first 2 shown]
	s_waitcnt vmcnt(12) lgkmcnt(1)
	v_fma_f64 v[62:63], -v[94:95], v[108:109], v[62:63]
	ds_read2_b64 v[104:107], v145 offset0:15 offset1:16
	s_waitcnt vmcnt(11)
	v_fma_f64 v[84:85], -v[94:95], v[110:111], v[84:85]
	ds_read2_b64 v[108:111], v145 offset0:17 offset1:18
	s_waitcnt vmcnt(10) lgkmcnt(2)
	v_fma_f64 v[60:61], -v[94:95], v[112:113], v[60:61]
	s_waitcnt vmcnt(9)
	v_fma_f64 v[82:83], -v[94:95], v[114:115], v[82:83]
	s_waitcnt vmcnt(8) lgkmcnt(1)
	v_fma_f64 v[58:59], -v[94:95], v[104:105], v[58:59]
	s_waitcnt vmcnt(7)
	v_fma_f64 v[80:81], -v[94:95], v[106:107], v[80:81]
	ds_read2_b64 v[104:107], v145 offset0:19 offset1:20
	ds_read2_b64 v[112:115], v145 offset0:21 offset1:22
	s_waitcnt vmcnt(6) lgkmcnt(2)
	v_fma_f64 v[56:57], -v[94:95], v[108:109], v[56:57]
	ds_read_b64 v[108:109], v145 offset:184
	s_waitcnt vmcnt(5)
	v_fma_f64 v[78:79], -v[94:95], v[110:111], v[78:79]
	s_waitcnt vmcnt(4) lgkmcnt(2)
	v_fma_f64 v[54:55], -v[94:95], v[104:105], v[54:55]
	s_waitcnt vmcnt(3)
	v_fma_f64 v[76:77], -v[94:95], v[106:107], v[76:77]
	s_waitcnt vmcnt(2) lgkmcnt(1)
	v_fma_f64 v[52:53], -v[94:95], v[112:113], v[52:53]
	;; [unrolled: 4-line block ×3, first 2 shown]
.LBB47_16:
	s_or_b64 exec, exec, s[2:3]
	v_cmp_eq_u32_e32 vcc, 3, v146
	s_waitcnt lgkmcnt(0)
	s_barrier
	s_and_saveexec_b64 s[2:3], vcc
	s_cbranch_execz .LBB47_19
; %bb.17:
	s_waitcnt vmcnt(19)
	v_mov_b32_e32 v104, v92
	v_mov_b32_e32 v105, v93
	s_waitcnt vmcnt(18)
	v_mov_b32_e32 v106, v68
	v_mov_b32_e32 v107, v69
	ds_write_b64 v144, v[70:71]
	ds_write2_b64 v145, v[104:105], v[106:107] offset0:4 offset1:5
	s_waitcnt vmcnt(17)
	v_mov_b32_e32 v104, v90
	v_mov_b32_e32 v105, v91
	s_waitcnt vmcnt(16)
	v_mov_b32_e32 v106, v66
	v_mov_b32_e32 v107, v67
	ds_write2_b64 v145, v[104:105], v[106:107] offset0:6 offset1:7
	s_waitcnt vmcnt(15)
	v_mov_b32_e32 v104, v88
	v_mov_b32_e32 v105, v89
	s_waitcnt vmcnt(14)
	v_mov_b32_e32 v106, v64
	v_mov_b32_e32 v107, v65
	;; [unrolled: 7-line block ×8, first 2 shown]
	ds_write2_b64 v145, v[104:105], v[106:107] offset0:20 offset1:21
	s_waitcnt vmcnt(1)
	v_mov_b32_e32 v104, v74
	v_mov_b32_e32 v105, v75
	s_waitcnt vmcnt(0)
	ds_write2_b64 v145, v[104:105], v[96:97] offset0:22 offset1:23
	ds_read_b64 v[104:105], v144
	s_waitcnt lgkmcnt(0)
	v_cmp_neq_f64_e32 vcc, 0, v[104:105]
	s_and_b64 exec, exec, vcc
	s_cbranch_execz .LBB47_19
; %bb.18:
	v_div_scale_f64 v[106:107], s[6:7], v[104:105], v[104:105], 1.0
	v_rcp_f64_e32 v[108:109], v[106:107]
	v_div_scale_f64 v[110:111], vcc, 1.0, v[104:105], 1.0
	v_fma_f64 v[112:113], -v[106:107], v[108:109], 1.0
	v_fmac_f64_e32 v[108:109], v[108:109], v[112:113]
	v_fma_f64 v[112:113], -v[106:107], v[108:109], 1.0
	v_fmac_f64_e32 v[108:109], v[108:109], v[112:113]
	v_mul_f64 v[112:113], v[110:111], v[108:109]
	v_fma_f64 v[106:107], -v[106:107], v[112:113], v[110:111]
	v_div_fmas_f64 v[106:107], v[106:107], v[108:109], v[112:113]
	v_div_fixup_f64 v[104:105], v[106:107], v[104:105], 1.0
	ds_write_b64 v144, v[104:105]
.LBB47_19:
	s_or_b64 exec, exec, s[2:3]
	s_waitcnt lgkmcnt(0)
	s_barrier
	ds_read_b64 v[104:105], v144
	v_cmp_lt_u32_e32 vcc, 3, v146
	s_and_saveexec_b64 s[2:3], vcc
	s_cbranch_execz .LBB47_21
; %bb.20:
	ds_read2_b64 v[106:109], v145 offset0:4 offset1:5
	ds_read2_b64 v[110:113], v145 offset0:6 offset1:7
	s_waitcnt vmcnt(20) lgkmcnt(2)
	v_mul_f64 v[70:71], v[104:105], v[70:71]
	ds_read2_b64 v[114:117], v145 offset0:8 offset1:9
	s_waitcnt vmcnt(19) lgkmcnt(2)
	v_fma_f64 v[92:93], -v[70:71], v[106:107], v[92:93]
	s_waitcnt vmcnt(18)
	v_fma_f64 v[68:69], -v[70:71], v[108:109], v[68:69]
	ds_read2_b64 v[106:109], v145 offset0:10 offset1:11
	s_waitcnt vmcnt(17) lgkmcnt(2)
	v_fma_f64 v[90:91], -v[70:71], v[110:111], v[90:91]
	s_waitcnt vmcnt(16)
	v_fma_f64 v[66:67], -v[70:71], v[112:113], v[66:67]
	s_waitcnt vmcnt(15) lgkmcnt(1)
	v_fma_f64 v[88:89], -v[70:71], v[114:115], v[88:89]
	ds_read2_b64 v[110:113], v145 offset0:12 offset1:13
	s_waitcnt vmcnt(14)
	v_fma_f64 v[64:65], -v[70:71], v[116:117], v[64:65]
	ds_read2_b64 v[114:117], v145 offset0:14 offset1:15
	s_waitcnt vmcnt(13) lgkmcnt(2)
	v_fma_f64 v[86:87], -v[70:71], v[106:107], v[86:87]
	s_waitcnt vmcnt(12)
	v_fma_f64 v[62:63], -v[70:71], v[108:109], v[62:63]
	ds_read2_b64 v[106:109], v145 offset0:16 offset1:17
	s_waitcnt vmcnt(11) lgkmcnt(2)
	v_fma_f64 v[84:85], -v[70:71], v[110:111], v[84:85]
	;; [unrolled: 5-line block ×3, first 2 shown]
	s_waitcnt vmcnt(8)
	v_fma_f64 v[58:59], -v[70:71], v[116:117], v[58:59]
	s_waitcnt vmcnt(7) lgkmcnt(1)
	v_fma_f64 v[80:81], -v[70:71], v[106:107], v[80:81]
	ds_read2_b64 v[114:117], v145 offset0:20 offset1:21
	s_waitcnt vmcnt(6)
	v_fma_f64 v[56:57], -v[70:71], v[108:109], v[56:57]
	ds_read2_b64 v[106:109], v145 offset0:22 offset1:23
	s_waitcnt vmcnt(5) lgkmcnt(2)
	v_fma_f64 v[78:79], -v[70:71], v[110:111], v[78:79]
	s_waitcnt vmcnt(4)
	v_fma_f64 v[54:55], -v[70:71], v[112:113], v[54:55]
	s_waitcnt vmcnt(3) lgkmcnt(1)
	v_fma_f64 v[76:77], -v[70:71], v[114:115], v[76:77]
	s_waitcnt vmcnt(2)
	v_fma_f64 v[52:53], -v[70:71], v[116:117], v[52:53]
	;; [unrolled: 4-line block ×3, first 2 shown]
.LBB47_21:
	s_or_b64 exec, exec, s[2:3]
	v_cmp_eq_u32_e32 vcc, 4, v146
	s_waitcnt lgkmcnt(0)
	s_barrier
	s_and_saveexec_b64 s[2:3], vcc
	s_cbranch_execz .LBB47_24
; %bb.22:
	s_waitcnt vmcnt(19)
	ds_write_b64 v144, v[92:93]
	s_waitcnt vmcnt(17)
	ds_write2_b64 v145, v[68:69], v[90:91] offset0:5 offset1:6
	s_waitcnt vmcnt(15)
	ds_write2_b64 v145, v[66:67], v[88:89] offset0:7 offset1:8
	;; [unrolled: 2-line block ×9, first 2 shown]
	s_waitcnt vmcnt(0)
	ds_write_b64 v145, v[96:97] offset:184
	ds_read_b64 v[106:107], v144
	s_waitcnt lgkmcnt(0)
	v_cmp_neq_f64_e32 vcc, 0, v[106:107]
	s_and_b64 exec, exec, vcc
	s_cbranch_execz .LBB47_24
; %bb.23:
	v_div_scale_f64 v[108:109], s[6:7], v[106:107], v[106:107], 1.0
	v_rcp_f64_e32 v[110:111], v[108:109]
	v_div_scale_f64 v[112:113], vcc, 1.0, v[106:107], 1.0
	v_fma_f64 v[114:115], -v[108:109], v[110:111], 1.0
	v_fmac_f64_e32 v[110:111], v[110:111], v[114:115]
	v_fma_f64 v[114:115], -v[108:109], v[110:111], 1.0
	v_fmac_f64_e32 v[110:111], v[110:111], v[114:115]
	v_mul_f64 v[114:115], v[112:113], v[110:111]
	v_fma_f64 v[108:109], -v[108:109], v[114:115], v[112:113]
	v_div_fmas_f64 v[108:109], v[108:109], v[110:111], v[114:115]
	v_div_fixup_f64 v[106:107], v[108:109], v[106:107], 1.0
	ds_write_b64 v144, v[106:107]
.LBB47_24:
	s_or_b64 exec, exec, s[2:3]
	s_waitcnt lgkmcnt(0)
	s_barrier
	ds_read_b64 v[106:107], v144
	v_cmp_lt_u32_e32 vcc, 4, v146
	s_and_saveexec_b64 s[2:3], vcc
	s_cbranch_execz .LBB47_26
; %bb.25:
	ds_read2_b64 v[108:111], v145 offset0:5 offset1:6
	ds_read2_b64 v[112:115], v145 offset0:7 offset1:8
	s_waitcnt vmcnt(19) lgkmcnt(2)
	v_mul_f64 v[92:93], v[106:107], v[92:93]
	ds_read2_b64 v[116:119], v145 offset0:9 offset1:10
	s_waitcnt vmcnt(18) lgkmcnt(2)
	v_fma_f64 v[68:69], -v[92:93], v[108:109], v[68:69]
	s_waitcnt vmcnt(17)
	v_fma_f64 v[90:91], -v[92:93], v[110:111], v[90:91]
	ds_read2_b64 v[108:111], v145 offset0:11 offset1:12
	s_waitcnt vmcnt(16) lgkmcnt(2)
	v_fma_f64 v[66:67], -v[92:93], v[112:113], v[66:67]
	s_waitcnt vmcnt(15)
	v_fma_f64 v[88:89], -v[92:93], v[114:115], v[88:89]
	s_waitcnt vmcnt(14) lgkmcnt(1)
	v_fma_f64 v[64:65], -v[92:93], v[116:117], v[64:65]
	ds_read2_b64 v[112:115], v145 offset0:13 offset1:14
	s_waitcnt vmcnt(13)
	v_fma_f64 v[86:87], -v[92:93], v[118:119], v[86:87]
	ds_read2_b64 v[116:119], v145 offset0:15 offset1:16
	s_waitcnt vmcnt(12) lgkmcnt(2)
	v_fma_f64 v[62:63], -v[92:93], v[108:109], v[62:63]
	s_waitcnt vmcnt(11)
	v_fma_f64 v[84:85], -v[92:93], v[110:111], v[84:85]
	ds_read2_b64 v[108:111], v145 offset0:17 offset1:18
	s_waitcnt vmcnt(10) lgkmcnt(2)
	v_fma_f64 v[60:61], -v[92:93], v[112:113], v[60:61]
	;; [unrolled: 5-line block ×3, first 2 shown]
	s_waitcnt vmcnt(7)
	v_fma_f64 v[80:81], -v[92:93], v[118:119], v[80:81]
	s_waitcnt vmcnt(6) lgkmcnt(1)
	v_fma_f64 v[56:57], -v[92:93], v[108:109], v[56:57]
	ds_read2_b64 v[116:119], v145 offset0:21 offset1:22
	ds_read_b64 v[108:109], v145 offset:184
	s_waitcnt vmcnt(5)
	v_fma_f64 v[78:79], -v[92:93], v[110:111], v[78:79]
	s_waitcnt vmcnt(4) lgkmcnt(2)
	v_fma_f64 v[54:55], -v[92:93], v[112:113], v[54:55]
	s_waitcnt vmcnt(3)
	v_fma_f64 v[76:77], -v[92:93], v[114:115], v[76:77]
	s_waitcnt vmcnt(2) lgkmcnt(1)
	v_fma_f64 v[52:53], -v[92:93], v[116:117], v[52:53]
	s_waitcnt vmcnt(1)
	v_fma_f64 v[74:75], -v[92:93], v[118:119], v[74:75]
	s_waitcnt vmcnt(0) lgkmcnt(0)
	v_fma_f64 v[96:97], -v[92:93], v[108:109], v[96:97]
.LBB47_26:
	s_or_b64 exec, exec, s[2:3]
	v_cmp_eq_u32_e32 vcc, 5, v146
	s_waitcnt lgkmcnt(0)
	s_barrier
	s_and_saveexec_b64 s[2:3], vcc
	s_cbranch_execz .LBB47_29
; %bb.27:
	s_waitcnt vmcnt(17)
	v_mov_b32_e32 v108, v90
	v_mov_b32_e32 v109, v91
	s_waitcnt vmcnt(16)
	v_mov_b32_e32 v110, v66
	v_mov_b32_e32 v111, v67
	ds_write_b64 v144, v[68:69]
	ds_write2_b64 v145, v[108:109], v[110:111] offset0:6 offset1:7
	s_waitcnt vmcnt(15)
	v_mov_b32_e32 v108, v88
	v_mov_b32_e32 v109, v89
	s_waitcnt vmcnt(14)
	v_mov_b32_e32 v110, v64
	v_mov_b32_e32 v111, v65
	ds_write2_b64 v145, v[108:109], v[110:111] offset0:8 offset1:9
	s_waitcnt vmcnt(13)
	v_mov_b32_e32 v108, v86
	v_mov_b32_e32 v109, v87
	s_waitcnt vmcnt(12)
	v_mov_b32_e32 v110, v62
	v_mov_b32_e32 v111, v63
	;; [unrolled: 7-line block ×7, first 2 shown]
	ds_write2_b64 v145, v[108:109], v[110:111] offset0:20 offset1:21
	s_waitcnt vmcnt(1)
	v_mov_b32_e32 v108, v74
	v_mov_b32_e32 v109, v75
	s_waitcnt vmcnt(0)
	ds_write2_b64 v145, v[108:109], v[96:97] offset0:22 offset1:23
	ds_read_b64 v[108:109], v144
	s_waitcnt lgkmcnt(0)
	v_cmp_neq_f64_e32 vcc, 0, v[108:109]
	s_and_b64 exec, exec, vcc
	s_cbranch_execz .LBB47_29
; %bb.28:
	v_div_scale_f64 v[110:111], s[6:7], v[108:109], v[108:109], 1.0
	v_rcp_f64_e32 v[112:113], v[110:111]
	v_div_scale_f64 v[114:115], vcc, 1.0, v[108:109], 1.0
	v_fma_f64 v[116:117], -v[110:111], v[112:113], 1.0
	v_fmac_f64_e32 v[112:113], v[112:113], v[116:117]
	v_fma_f64 v[116:117], -v[110:111], v[112:113], 1.0
	v_fmac_f64_e32 v[112:113], v[112:113], v[116:117]
	v_mul_f64 v[116:117], v[114:115], v[112:113]
	v_fma_f64 v[110:111], -v[110:111], v[116:117], v[114:115]
	v_div_fmas_f64 v[110:111], v[110:111], v[112:113], v[116:117]
	v_div_fixup_f64 v[108:109], v[110:111], v[108:109], 1.0
	ds_write_b64 v144, v[108:109]
.LBB47_29:
	s_or_b64 exec, exec, s[2:3]
	s_waitcnt lgkmcnt(0)
	s_barrier
	ds_read_b64 v[108:109], v144
	v_cmp_lt_u32_e32 vcc, 5, v146
	s_and_saveexec_b64 s[2:3], vcc
	s_cbranch_execz .LBB47_31
; %bb.30:
	ds_read2_b64 v[110:113], v145 offset0:6 offset1:7
	ds_read2_b64 v[114:117], v145 offset0:8 offset1:9
	;; [unrolled: 1-line block ×3, first 2 shown]
	s_waitcnt vmcnt(18) lgkmcnt(3)
	v_mul_f64 v[68:69], v[108:109], v[68:69]
	s_waitcnt vmcnt(17) lgkmcnt(2)
	v_fma_f64 v[90:91], -v[68:69], v[110:111], v[90:91]
	s_waitcnt vmcnt(16)
	v_fma_f64 v[66:67], -v[68:69], v[112:113], v[66:67]
	ds_read2_b64 v[110:113], v145 offset0:12 offset1:13
	s_waitcnt vmcnt(15) lgkmcnt(2)
	v_fma_f64 v[88:89], -v[68:69], v[114:115], v[88:89]
	s_waitcnt vmcnt(14)
	v_fma_f64 v[64:65], -v[68:69], v[116:117], v[64:65]
	s_waitcnt vmcnt(13) lgkmcnt(1)
	v_fma_f64 v[86:87], -v[68:69], v[118:119], v[86:87]
	ds_read2_b64 v[114:117], v145 offset0:14 offset1:15
	s_waitcnt vmcnt(12)
	v_fma_f64 v[62:63], -v[68:69], v[120:121], v[62:63]
	ds_read2_b64 v[118:121], v145 offset0:16 offset1:17
	s_waitcnt vmcnt(11) lgkmcnt(2)
	v_fma_f64 v[84:85], -v[68:69], v[110:111], v[84:85]
	s_waitcnt vmcnt(10)
	v_fma_f64 v[60:61], -v[68:69], v[112:113], v[60:61]
	s_waitcnt vmcnt(9) lgkmcnt(1)
	v_fma_f64 v[82:83], -v[68:69], v[114:115], v[82:83]
	s_waitcnt vmcnt(8)
	v_fma_f64 v[58:59], -v[68:69], v[116:117], v[58:59]
	ds_read2_b64 v[110:113], v145 offset0:18 offset1:19
	ds_read2_b64 v[114:117], v145 offset0:20 offset1:21
	s_waitcnt vmcnt(7) lgkmcnt(2)
	v_fma_f64 v[80:81], -v[68:69], v[118:119], v[80:81]
	s_waitcnt vmcnt(6)
	v_fma_f64 v[56:57], -v[68:69], v[120:121], v[56:57]
	ds_read2_b64 v[118:121], v145 offset0:22 offset1:23
	s_waitcnt vmcnt(5) lgkmcnt(2)
	v_fma_f64 v[78:79], -v[68:69], v[110:111], v[78:79]
	s_waitcnt vmcnt(4)
	v_fma_f64 v[54:55], -v[68:69], v[112:113], v[54:55]
	s_waitcnt vmcnt(3) lgkmcnt(1)
	v_fma_f64 v[76:77], -v[68:69], v[114:115], v[76:77]
	s_waitcnt vmcnt(2)
	v_fma_f64 v[52:53], -v[68:69], v[116:117], v[52:53]
	s_waitcnt vmcnt(1) lgkmcnt(0)
	v_fma_f64 v[74:75], -v[68:69], v[118:119], v[74:75]
	s_waitcnt vmcnt(0)
	v_fma_f64 v[96:97], -v[68:69], v[120:121], v[96:97]
.LBB47_31:
	s_or_b64 exec, exec, s[2:3]
	v_cmp_eq_u32_e32 vcc, 6, v146
	s_waitcnt lgkmcnt(0)
	s_barrier
	s_and_saveexec_b64 s[2:3], vcc
	s_cbranch_execz .LBB47_34
; %bb.32:
	s_waitcnt vmcnt(17)
	ds_write_b64 v144, v[90:91]
	s_waitcnt vmcnt(15)
	ds_write2_b64 v145, v[66:67], v[88:89] offset0:7 offset1:8
	s_waitcnt vmcnt(13)
	ds_write2_b64 v145, v[64:65], v[86:87] offset0:9 offset1:10
	;; [unrolled: 2-line block ×8, first 2 shown]
	s_waitcnt vmcnt(0)
	ds_write_b64 v145, v[96:97] offset:184
	ds_read_b64 v[110:111], v144
	s_waitcnt lgkmcnt(0)
	v_cmp_neq_f64_e32 vcc, 0, v[110:111]
	s_and_b64 exec, exec, vcc
	s_cbranch_execz .LBB47_34
; %bb.33:
	v_div_scale_f64 v[112:113], s[6:7], v[110:111], v[110:111], 1.0
	v_rcp_f64_e32 v[114:115], v[112:113]
	v_div_scale_f64 v[116:117], vcc, 1.0, v[110:111], 1.0
	v_fma_f64 v[118:119], -v[112:113], v[114:115], 1.0
	v_fmac_f64_e32 v[114:115], v[114:115], v[118:119]
	v_fma_f64 v[118:119], -v[112:113], v[114:115], 1.0
	v_fmac_f64_e32 v[114:115], v[114:115], v[118:119]
	v_mul_f64 v[118:119], v[116:117], v[114:115]
	v_fma_f64 v[112:113], -v[112:113], v[118:119], v[116:117]
	v_div_fmas_f64 v[112:113], v[112:113], v[114:115], v[118:119]
	v_div_fixup_f64 v[110:111], v[112:113], v[110:111], 1.0
	ds_write_b64 v144, v[110:111]
.LBB47_34:
	s_or_b64 exec, exec, s[2:3]
	s_waitcnt lgkmcnt(0)
	s_barrier
	ds_read_b64 v[110:111], v144
	v_cmp_lt_u32_e32 vcc, 6, v146
	s_and_saveexec_b64 s[2:3], vcc
	s_cbranch_execz .LBB47_36
; %bb.35:
	ds_read2_b64 v[112:115], v145 offset0:7 offset1:8
	ds_read2_b64 v[116:119], v145 offset0:9 offset1:10
	;; [unrolled: 1-line block ×3, first 2 shown]
	s_waitcnt vmcnt(17) lgkmcnt(3)
	v_mul_f64 v[90:91], v[110:111], v[90:91]
	s_waitcnt vmcnt(16) lgkmcnt(2)
	v_fma_f64 v[66:67], -v[90:91], v[112:113], v[66:67]
	s_waitcnt vmcnt(15)
	v_fma_f64 v[88:89], -v[90:91], v[114:115], v[88:89]
	ds_read2_b64 v[112:115], v145 offset0:13 offset1:14
	s_waitcnt vmcnt(14) lgkmcnt(2)
	v_fma_f64 v[64:65], -v[90:91], v[116:117], v[64:65]
	s_waitcnt vmcnt(13)
	v_fma_f64 v[86:87], -v[90:91], v[118:119], v[86:87]
	s_waitcnt vmcnt(12) lgkmcnt(1)
	v_fma_f64 v[62:63], -v[90:91], v[120:121], v[62:63]
	ds_read2_b64 v[116:119], v145 offset0:15 offset1:16
	s_waitcnt vmcnt(11)
	v_fma_f64 v[84:85], -v[90:91], v[122:123], v[84:85]
	ds_read2_b64 v[120:123], v145 offset0:17 offset1:18
	s_waitcnt vmcnt(10) lgkmcnt(2)
	v_fma_f64 v[60:61], -v[90:91], v[112:113], v[60:61]
	s_waitcnt vmcnt(9)
	v_fma_f64 v[82:83], -v[90:91], v[114:115], v[82:83]
	s_waitcnt vmcnt(8) lgkmcnt(1)
	v_fma_f64 v[58:59], -v[90:91], v[116:117], v[58:59]
	s_waitcnt vmcnt(7)
	v_fma_f64 v[80:81], -v[90:91], v[118:119], v[80:81]
	ds_read2_b64 v[112:115], v145 offset0:19 offset1:20
	ds_read2_b64 v[116:119], v145 offset0:21 offset1:22
	s_waitcnt vmcnt(6) lgkmcnt(2)
	v_fma_f64 v[56:57], -v[90:91], v[120:121], v[56:57]
	ds_read_b64 v[120:121], v145 offset:184
	s_waitcnt vmcnt(5)
	v_fma_f64 v[78:79], -v[90:91], v[122:123], v[78:79]
	s_waitcnt vmcnt(4) lgkmcnt(2)
	v_fma_f64 v[54:55], -v[90:91], v[112:113], v[54:55]
	s_waitcnt vmcnt(3)
	v_fma_f64 v[76:77], -v[90:91], v[114:115], v[76:77]
	s_waitcnt vmcnt(2) lgkmcnt(1)
	v_fma_f64 v[52:53], -v[90:91], v[116:117], v[52:53]
	;; [unrolled: 4-line block ×3, first 2 shown]
.LBB47_36:
	s_or_b64 exec, exec, s[2:3]
	v_cmp_eq_u32_e32 vcc, 7, v146
	s_waitcnt lgkmcnt(0)
	s_barrier
	s_and_saveexec_b64 s[2:3], vcc
	s_cbranch_execz .LBB47_39
; %bb.37:
	s_waitcnt vmcnt(15)
	v_mov_b32_e32 v112, v88
	v_mov_b32_e32 v113, v89
	s_waitcnt vmcnt(14)
	v_mov_b32_e32 v114, v64
	v_mov_b32_e32 v115, v65
	ds_write_b64 v144, v[66:67]
	ds_write2_b64 v145, v[112:113], v[114:115] offset0:8 offset1:9
	s_waitcnt vmcnt(13)
	v_mov_b32_e32 v112, v86
	v_mov_b32_e32 v113, v87
	s_waitcnt vmcnt(12)
	v_mov_b32_e32 v114, v62
	v_mov_b32_e32 v115, v63
	ds_write2_b64 v145, v[112:113], v[114:115] offset0:10 offset1:11
	s_waitcnt vmcnt(11)
	v_mov_b32_e32 v112, v84
	v_mov_b32_e32 v113, v85
	s_waitcnt vmcnt(10)
	v_mov_b32_e32 v114, v60
	v_mov_b32_e32 v115, v61
	;; [unrolled: 7-line block ×6, first 2 shown]
	ds_write2_b64 v145, v[112:113], v[114:115] offset0:20 offset1:21
	s_waitcnt vmcnt(1)
	v_mov_b32_e32 v112, v74
	v_mov_b32_e32 v113, v75
	s_waitcnt vmcnt(0)
	ds_write2_b64 v145, v[112:113], v[96:97] offset0:22 offset1:23
	ds_read_b64 v[112:113], v144
	s_waitcnt lgkmcnt(0)
	v_cmp_neq_f64_e32 vcc, 0, v[112:113]
	s_and_b64 exec, exec, vcc
	s_cbranch_execz .LBB47_39
; %bb.38:
	v_div_scale_f64 v[114:115], s[6:7], v[112:113], v[112:113], 1.0
	v_rcp_f64_e32 v[116:117], v[114:115]
	v_div_scale_f64 v[118:119], vcc, 1.0, v[112:113], 1.0
	v_fma_f64 v[120:121], -v[114:115], v[116:117], 1.0
	v_fmac_f64_e32 v[116:117], v[116:117], v[120:121]
	v_fma_f64 v[120:121], -v[114:115], v[116:117], 1.0
	v_fmac_f64_e32 v[116:117], v[116:117], v[120:121]
	v_mul_f64 v[120:121], v[118:119], v[116:117]
	v_fma_f64 v[114:115], -v[114:115], v[120:121], v[118:119]
	v_div_fmas_f64 v[114:115], v[114:115], v[116:117], v[120:121]
	v_div_fixup_f64 v[112:113], v[114:115], v[112:113], 1.0
	ds_write_b64 v144, v[112:113]
.LBB47_39:
	s_or_b64 exec, exec, s[2:3]
	s_waitcnt lgkmcnt(0)
	s_barrier
	ds_read_b64 v[112:113], v144
	v_cmp_lt_u32_e32 vcc, 7, v146
	s_and_saveexec_b64 s[2:3], vcc
	s_cbranch_execz .LBB47_41
; %bb.40:
	ds_read2_b64 v[114:117], v145 offset0:8 offset1:9
	s_waitcnt vmcnt(16) lgkmcnt(1)
	v_mul_f64 v[66:67], v[112:113], v[66:67]
	s_waitcnt vmcnt(15) lgkmcnt(0)
	v_fma_f64 v[88:89], -v[66:67], v[114:115], v[88:89]
	s_waitcnt vmcnt(14)
	v_fma_f64 v[64:65], -v[66:67], v[116:117], v[64:65]
	ds_read2_b64 v[114:117], v145 offset0:10 offset1:11
	s_waitcnt vmcnt(13) lgkmcnt(0)
	v_fma_f64 v[86:87], -v[66:67], v[114:115], v[86:87]
	s_waitcnt vmcnt(12)
	v_fma_f64 v[62:63], -v[66:67], v[116:117], v[62:63]
	ds_read2_b64 v[114:117], v145 offset0:12 offset1:13
	;; [unrolled: 5-line block ×7, first 2 shown]
	s_waitcnt vmcnt(1) lgkmcnt(0)
	v_fma_f64 v[74:75], -v[66:67], v[114:115], v[74:75]
	s_waitcnt vmcnt(0)
	v_fma_f64 v[96:97], -v[66:67], v[116:117], v[96:97]
.LBB47_41:
	s_or_b64 exec, exec, s[2:3]
	v_cmp_eq_u32_e32 vcc, 8, v146
	s_waitcnt lgkmcnt(0)
	s_barrier
	s_and_saveexec_b64 s[2:3], vcc
	s_cbranch_execz .LBB47_44
; %bb.42:
	s_waitcnt vmcnt(15)
	ds_write_b64 v144, v[88:89]
	s_waitcnt vmcnt(13)
	ds_write2_b64 v145, v[64:65], v[86:87] offset0:9 offset1:10
	s_waitcnt vmcnt(11)
	ds_write2_b64 v145, v[62:63], v[84:85] offset0:11 offset1:12
	;; [unrolled: 2-line block ×7, first 2 shown]
	s_waitcnt vmcnt(0)
	ds_write_b64 v145, v[96:97] offset:184
	ds_read_b64 v[114:115], v144
	s_waitcnt lgkmcnt(0)
	v_cmp_neq_f64_e32 vcc, 0, v[114:115]
	s_and_b64 exec, exec, vcc
	s_cbranch_execz .LBB47_44
; %bb.43:
	v_div_scale_f64 v[116:117], s[6:7], v[114:115], v[114:115], 1.0
	v_rcp_f64_e32 v[118:119], v[116:117]
	v_div_scale_f64 v[120:121], vcc, 1.0, v[114:115], 1.0
	v_fma_f64 v[122:123], -v[116:117], v[118:119], 1.0
	v_fmac_f64_e32 v[118:119], v[118:119], v[122:123]
	v_fma_f64 v[122:123], -v[116:117], v[118:119], 1.0
	v_fmac_f64_e32 v[118:119], v[118:119], v[122:123]
	v_mul_f64 v[122:123], v[120:121], v[118:119]
	v_fma_f64 v[116:117], -v[116:117], v[122:123], v[120:121]
	v_div_fmas_f64 v[116:117], v[116:117], v[118:119], v[122:123]
	v_div_fixup_f64 v[114:115], v[116:117], v[114:115], 1.0
	ds_write_b64 v144, v[114:115]
.LBB47_44:
	s_or_b64 exec, exec, s[2:3]
	s_waitcnt lgkmcnt(0)
	s_barrier
	ds_read_b64 v[114:115], v144
	v_cmp_lt_u32_e32 vcc, 8, v146
	s_and_saveexec_b64 s[2:3], vcc
	s_cbranch_execz .LBB47_46
; %bb.45:
	ds_read2_b64 v[116:119], v145 offset0:9 offset1:10
	ds_read2_b64 v[120:123], v145 offset0:11 offset1:12
	s_waitcnt vmcnt(15) lgkmcnt(2)
	v_mul_f64 v[88:89], v[114:115], v[88:89]
	ds_read2_b64 v[124:127], v145 offset0:13 offset1:14
	s_waitcnt vmcnt(14) lgkmcnt(2)
	v_fma_f64 v[64:65], -v[88:89], v[116:117], v[64:65]
	s_waitcnt vmcnt(13)
	v_fma_f64 v[86:87], -v[88:89], v[118:119], v[86:87]
	ds_read2_b64 v[116:119], v145 offset0:15 offset1:16
	s_waitcnt vmcnt(12) lgkmcnt(2)
	v_fma_f64 v[62:63], -v[88:89], v[120:121], v[62:63]
	s_waitcnt vmcnt(11)
	v_fma_f64 v[84:85], -v[88:89], v[122:123], v[84:85]
	;; [unrolled: 5-line block ×3, first 2 shown]
	s_waitcnt vmcnt(8) lgkmcnt(1)
	v_fma_f64 v[58:59], -v[88:89], v[116:117], v[58:59]
	s_waitcnt vmcnt(7)
	v_fma_f64 v[80:81], -v[88:89], v[118:119], v[80:81]
	ds_read2_b64 v[116:119], v145 offset0:19 offset1:20
	s_waitcnt vmcnt(6) lgkmcnt(1)
	v_fma_f64 v[56:57], -v[88:89], v[120:121], v[56:57]
	ds_read2_b64 v[124:127], v145 offset0:21 offset1:22
	ds_read_b64 v[120:121], v145 offset:184
	s_waitcnt vmcnt(5)
	v_fma_f64 v[78:79], -v[88:89], v[122:123], v[78:79]
	s_waitcnt vmcnt(4) lgkmcnt(2)
	v_fma_f64 v[54:55], -v[88:89], v[116:117], v[54:55]
	s_waitcnt vmcnt(3)
	v_fma_f64 v[76:77], -v[88:89], v[118:119], v[76:77]
	s_waitcnt vmcnt(2) lgkmcnt(1)
	v_fma_f64 v[52:53], -v[88:89], v[124:125], v[52:53]
	;; [unrolled: 4-line block ×3, first 2 shown]
.LBB47_46:
	s_or_b64 exec, exec, s[2:3]
	v_cmp_eq_u32_e32 vcc, 9, v146
	s_waitcnt lgkmcnt(0)
	s_barrier
	s_and_saveexec_b64 s[2:3], vcc
	s_cbranch_execz .LBB47_49
; %bb.47:
	s_waitcnt vmcnt(13)
	v_mov_b32_e32 v116, v86
	v_mov_b32_e32 v117, v87
	s_waitcnt vmcnt(12)
	v_mov_b32_e32 v118, v62
	v_mov_b32_e32 v119, v63
	ds_write_b64 v144, v[64:65]
	ds_write2_b64 v145, v[116:117], v[118:119] offset0:10 offset1:11
	s_waitcnt vmcnt(11)
	v_mov_b32_e32 v116, v84
	v_mov_b32_e32 v117, v85
	s_waitcnt vmcnt(10)
	v_mov_b32_e32 v118, v60
	v_mov_b32_e32 v119, v61
	ds_write2_b64 v145, v[116:117], v[118:119] offset0:12 offset1:13
	s_waitcnt vmcnt(9)
	v_mov_b32_e32 v116, v82
	v_mov_b32_e32 v117, v83
	s_waitcnt vmcnt(8)
	v_mov_b32_e32 v118, v58
	v_mov_b32_e32 v119, v59
	;; [unrolled: 7-line block ×5, first 2 shown]
	ds_write2_b64 v145, v[116:117], v[118:119] offset0:20 offset1:21
	s_waitcnt vmcnt(1)
	v_mov_b32_e32 v116, v74
	v_mov_b32_e32 v117, v75
	s_waitcnt vmcnt(0)
	ds_write2_b64 v145, v[116:117], v[96:97] offset0:22 offset1:23
	ds_read_b64 v[116:117], v144
	s_waitcnt lgkmcnt(0)
	v_cmp_neq_f64_e32 vcc, 0, v[116:117]
	s_and_b64 exec, exec, vcc
	s_cbranch_execz .LBB47_49
; %bb.48:
	v_div_scale_f64 v[118:119], s[6:7], v[116:117], v[116:117], 1.0
	v_rcp_f64_e32 v[120:121], v[118:119]
	v_div_scale_f64 v[122:123], vcc, 1.0, v[116:117], 1.0
	v_fma_f64 v[124:125], -v[118:119], v[120:121], 1.0
	v_fmac_f64_e32 v[120:121], v[120:121], v[124:125]
	v_fma_f64 v[124:125], -v[118:119], v[120:121], 1.0
	v_fmac_f64_e32 v[120:121], v[120:121], v[124:125]
	v_mul_f64 v[124:125], v[122:123], v[120:121]
	v_fma_f64 v[118:119], -v[118:119], v[124:125], v[122:123]
	v_div_fmas_f64 v[118:119], v[118:119], v[120:121], v[124:125]
	v_div_fixup_f64 v[116:117], v[118:119], v[116:117], 1.0
	ds_write_b64 v144, v[116:117]
.LBB47_49:
	s_or_b64 exec, exec, s[2:3]
	s_waitcnt lgkmcnt(0)
	s_barrier
	ds_read_b64 v[116:117], v144
	v_cmp_lt_u32_e32 vcc, 9, v146
	s_and_saveexec_b64 s[2:3], vcc
	s_cbranch_execz .LBB47_51
; %bb.50:
	ds_read2_b64 v[118:121], v145 offset0:10 offset1:11
	ds_read2_b64 v[122:125], v145 offset0:12 offset1:13
	s_waitcnt vmcnt(14) lgkmcnt(2)
	v_mul_f64 v[64:65], v[116:117], v[64:65]
	ds_read2_b64 v[126:129], v145 offset0:14 offset1:15
	s_waitcnt vmcnt(13) lgkmcnt(2)
	v_fma_f64 v[86:87], -v[64:65], v[118:119], v[86:87]
	s_waitcnt vmcnt(12)
	v_fma_f64 v[62:63], -v[64:65], v[120:121], v[62:63]
	ds_read2_b64 v[118:121], v145 offset0:16 offset1:17
	s_waitcnt vmcnt(11) lgkmcnt(2)
	v_fma_f64 v[84:85], -v[64:65], v[122:123], v[84:85]
	s_waitcnt vmcnt(10)
	v_fma_f64 v[60:61], -v[64:65], v[124:125], v[60:61]
	s_waitcnt vmcnt(9) lgkmcnt(1)
	v_fma_f64 v[82:83], -v[64:65], v[126:127], v[82:83]
	s_waitcnt vmcnt(8)
	v_fma_f64 v[58:59], -v[64:65], v[128:129], v[58:59]
	ds_read2_b64 v[122:125], v145 offset0:18 offset1:19
	ds_read2_b64 v[126:129], v145 offset0:20 offset1:21
	s_waitcnt vmcnt(7) lgkmcnt(2)
	v_fma_f64 v[80:81], -v[64:65], v[118:119], v[80:81]
	s_waitcnt vmcnt(6)
	v_fma_f64 v[56:57], -v[64:65], v[120:121], v[56:57]
	ds_read2_b64 v[118:121], v145 offset0:22 offset1:23
	s_waitcnt vmcnt(5) lgkmcnt(2)
	v_fma_f64 v[78:79], -v[64:65], v[122:123], v[78:79]
	s_waitcnt vmcnt(4)
	v_fma_f64 v[54:55], -v[64:65], v[124:125], v[54:55]
	s_waitcnt vmcnt(3) lgkmcnt(1)
	v_fma_f64 v[76:77], -v[64:65], v[126:127], v[76:77]
	s_waitcnt vmcnt(2)
	v_fma_f64 v[52:53], -v[64:65], v[128:129], v[52:53]
	;; [unrolled: 4-line block ×3, first 2 shown]
.LBB47_51:
	s_or_b64 exec, exec, s[2:3]
	v_cmp_eq_u32_e32 vcc, 10, v146
	s_waitcnt lgkmcnt(0)
	s_barrier
	s_and_saveexec_b64 s[2:3], vcc
	s_cbranch_execz .LBB47_54
; %bb.52:
	s_waitcnt vmcnt(13)
	ds_write_b64 v144, v[86:87]
	s_waitcnt vmcnt(11)
	ds_write2_b64 v145, v[62:63], v[84:85] offset0:11 offset1:12
	s_waitcnt vmcnt(9)
	ds_write2_b64 v145, v[60:61], v[82:83] offset0:13 offset1:14
	;; [unrolled: 2-line block ×6, first 2 shown]
	s_waitcnt vmcnt(0)
	ds_write_b64 v145, v[96:97] offset:184
	ds_read_b64 v[118:119], v144
	s_waitcnt lgkmcnt(0)
	v_cmp_neq_f64_e32 vcc, 0, v[118:119]
	s_and_b64 exec, exec, vcc
	s_cbranch_execz .LBB47_54
; %bb.53:
	v_div_scale_f64 v[120:121], s[6:7], v[118:119], v[118:119], 1.0
	v_rcp_f64_e32 v[122:123], v[120:121]
	v_div_scale_f64 v[124:125], vcc, 1.0, v[118:119], 1.0
	v_fma_f64 v[126:127], -v[120:121], v[122:123], 1.0
	v_fmac_f64_e32 v[122:123], v[122:123], v[126:127]
	v_fma_f64 v[126:127], -v[120:121], v[122:123], 1.0
	v_fmac_f64_e32 v[122:123], v[122:123], v[126:127]
	v_mul_f64 v[126:127], v[124:125], v[122:123]
	v_fma_f64 v[120:121], -v[120:121], v[126:127], v[124:125]
	v_div_fmas_f64 v[120:121], v[120:121], v[122:123], v[126:127]
	v_div_fixup_f64 v[118:119], v[120:121], v[118:119], 1.0
	ds_write_b64 v144, v[118:119]
.LBB47_54:
	s_or_b64 exec, exec, s[2:3]
	s_waitcnt lgkmcnt(0)
	s_barrier
	ds_read_b64 v[118:119], v144
	v_cmp_lt_u32_e32 vcc, 10, v146
	s_and_saveexec_b64 s[2:3], vcc
	s_cbranch_execz .LBB47_56
; %bb.55:
	ds_read2_b64 v[120:123], v145 offset0:11 offset1:12
	ds_read2_b64 v[124:127], v145 offset0:13 offset1:14
	s_waitcnt vmcnt(13) lgkmcnt(2)
	v_mul_f64 v[86:87], v[118:119], v[86:87]
	ds_read2_b64 v[128:131], v145 offset0:15 offset1:16
	s_waitcnt vmcnt(12) lgkmcnt(2)
	v_fma_f64 v[62:63], -v[86:87], v[120:121], v[62:63]
	s_waitcnt vmcnt(11)
	v_fma_f64 v[84:85], -v[86:87], v[122:123], v[84:85]
	ds_read2_b64 v[120:123], v145 offset0:17 offset1:18
	s_waitcnt vmcnt(10) lgkmcnt(2)
	v_fma_f64 v[60:61], -v[86:87], v[124:125], v[60:61]
	s_waitcnt vmcnt(9)
	v_fma_f64 v[82:83], -v[86:87], v[126:127], v[82:83]
	s_waitcnt vmcnt(8) lgkmcnt(1)
	v_fma_f64 v[58:59], -v[86:87], v[128:129], v[58:59]
	s_waitcnt vmcnt(7)
	v_fma_f64 v[80:81], -v[86:87], v[130:131], v[80:81]
	ds_read2_b64 v[124:127], v145 offset0:19 offset1:20
	ds_read2_b64 v[128:131], v145 offset0:21 offset1:22
	s_waitcnt vmcnt(6) lgkmcnt(2)
	v_fma_f64 v[56:57], -v[86:87], v[120:121], v[56:57]
	ds_read_b64 v[120:121], v145 offset:184
	s_waitcnt vmcnt(5)
	v_fma_f64 v[78:79], -v[86:87], v[122:123], v[78:79]
	s_waitcnt vmcnt(4) lgkmcnt(2)
	v_fma_f64 v[54:55], -v[86:87], v[124:125], v[54:55]
	s_waitcnt vmcnt(3)
	v_fma_f64 v[76:77], -v[86:87], v[126:127], v[76:77]
	s_waitcnt vmcnt(2) lgkmcnt(1)
	v_fma_f64 v[52:53], -v[86:87], v[128:129], v[52:53]
	;; [unrolled: 4-line block ×3, first 2 shown]
.LBB47_56:
	s_or_b64 exec, exec, s[2:3]
	v_cmp_eq_u32_e32 vcc, 11, v146
	s_waitcnt lgkmcnt(0)
	s_barrier
	s_and_saveexec_b64 s[2:3], vcc
	s_cbranch_execz .LBB47_59
; %bb.57:
	s_waitcnt vmcnt(11)
	v_mov_b32_e32 v120, v84
	v_mov_b32_e32 v121, v85
	s_waitcnt vmcnt(10)
	v_mov_b32_e32 v122, v60
	v_mov_b32_e32 v123, v61
	ds_write_b64 v144, v[62:63]
	ds_write2_b64 v145, v[120:121], v[122:123] offset0:12 offset1:13
	s_waitcnt vmcnt(9)
	v_mov_b32_e32 v120, v82
	v_mov_b32_e32 v121, v83
	s_waitcnt vmcnt(8)
	v_mov_b32_e32 v122, v58
	v_mov_b32_e32 v123, v59
	ds_write2_b64 v145, v[120:121], v[122:123] offset0:14 offset1:15
	s_waitcnt vmcnt(7)
	v_mov_b32_e32 v120, v80
	v_mov_b32_e32 v121, v81
	s_waitcnt vmcnt(6)
	v_mov_b32_e32 v122, v56
	v_mov_b32_e32 v123, v57
	;; [unrolled: 7-line block ×4, first 2 shown]
	ds_write2_b64 v145, v[120:121], v[122:123] offset0:20 offset1:21
	s_waitcnt vmcnt(1)
	v_mov_b32_e32 v120, v74
	v_mov_b32_e32 v121, v75
	s_waitcnt vmcnt(0)
	ds_write2_b64 v145, v[120:121], v[96:97] offset0:22 offset1:23
	ds_read_b64 v[120:121], v144
	s_waitcnt lgkmcnt(0)
	v_cmp_neq_f64_e32 vcc, 0, v[120:121]
	s_and_b64 exec, exec, vcc
	s_cbranch_execz .LBB47_59
; %bb.58:
	v_div_scale_f64 v[122:123], s[6:7], v[120:121], v[120:121], 1.0
	v_rcp_f64_e32 v[124:125], v[122:123]
	v_div_scale_f64 v[126:127], vcc, 1.0, v[120:121], 1.0
	v_fma_f64 v[128:129], -v[122:123], v[124:125], 1.0
	v_fmac_f64_e32 v[124:125], v[124:125], v[128:129]
	v_fma_f64 v[128:129], -v[122:123], v[124:125], 1.0
	v_fmac_f64_e32 v[124:125], v[124:125], v[128:129]
	v_mul_f64 v[128:129], v[126:127], v[124:125]
	v_fma_f64 v[122:123], -v[122:123], v[128:129], v[126:127]
	v_div_fmas_f64 v[122:123], v[122:123], v[124:125], v[128:129]
	v_div_fixup_f64 v[120:121], v[122:123], v[120:121], 1.0
	ds_write_b64 v144, v[120:121]
.LBB47_59:
	s_or_b64 exec, exec, s[2:3]
	s_waitcnt lgkmcnt(0)
	s_barrier
	ds_read_b64 v[120:121], v144
	v_cmp_lt_u32_e32 vcc, 11, v146
	s_and_saveexec_b64 s[2:3], vcc
	s_cbranch_execz .LBB47_61
; %bb.60:
	ds_read2_b64 v[122:125], v145 offset0:12 offset1:13
	ds_read2_b64 v[126:129], v145 offset0:14 offset1:15
	;; [unrolled: 1-line block ×3, first 2 shown]
	s_waitcnt vmcnt(12) lgkmcnt(3)
	v_mul_f64 v[62:63], v[120:121], v[62:63]
	s_waitcnt vmcnt(11) lgkmcnt(2)
	v_fma_f64 v[84:85], -v[62:63], v[122:123], v[84:85]
	s_waitcnt vmcnt(10)
	v_fma_f64 v[60:61], -v[62:63], v[124:125], v[60:61]
	ds_read2_b64 v[122:125], v145 offset0:18 offset1:19
	s_waitcnt vmcnt(9) lgkmcnt(2)
	v_fma_f64 v[82:83], -v[62:63], v[126:127], v[82:83]
	s_waitcnt vmcnt(8)
	v_fma_f64 v[58:59], -v[62:63], v[128:129], v[58:59]
	s_waitcnt vmcnt(7) lgkmcnt(1)
	v_fma_f64 v[80:81], -v[62:63], v[130:131], v[80:81]
	ds_read2_b64 v[126:129], v145 offset0:20 offset1:21
	s_waitcnt vmcnt(6)
	v_fma_f64 v[56:57], -v[62:63], v[132:133], v[56:57]
	ds_read2_b64 v[130:133], v145 offset0:22 offset1:23
	s_waitcnt vmcnt(5) lgkmcnt(2)
	v_fma_f64 v[78:79], -v[62:63], v[122:123], v[78:79]
	s_waitcnt vmcnt(4)
	v_fma_f64 v[54:55], -v[62:63], v[124:125], v[54:55]
	s_waitcnt vmcnt(3) lgkmcnt(1)
	v_fma_f64 v[76:77], -v[62:63], v[126:127], v[76:77]
	s_waitcnt vmcnt(2)
	v_fma_f64 v[52:53], -v[62:63], v[128:129], v[52:53]
	;; [unrolled: 4-line block ×3, first 2 shown]
.LBB47_61:
	s_or_b64 exec, exec, s[2:3]
	v_cmp_eq_u32_e32 vcc, 12, v146
	s_waitcnt lgkmcnt(0)
	s_barrier
	s_and_saveexec_b64 s[2:3], vcc
	s_cbranch_execz .LBB47_64
; %bb.62:
	s_waitcnt vmcnt(11)
	ds_write_b64 v144, v[84:85]
	s_waitcnt vmcnt(9)
	ds_write2_b64 v145, v[60:61], v[82:83] offset0:13 offset1:14
	s_waitcnt vmcnt(7)
	ds_write2_b64 v145, v[58:59], v[80:81] offset0:15 offset1:16
	;; [unrolled: 2-line block ×5, first 2 shown]
	s_waitcnt vmcnt(0)
	ds_write_b64 v145, v[96:97] offset:184
	ds_read_b64 v[122:123], v144
	s_waitcnt lgkmcnt(0)
	v_cmp_neq_f64_e32 vcc, 0, v[122:123]
	s_and_b64 exec, exec, vcc
	s_cbranch_execz .LBB47_64
; %bb.63:
	v_div_scale_f64 v[124:125], s[6:7], v[122:123], v[122:123], 1.0
	v_rcp_f64_e32 v[126:127], v[124:125]
	v_div_scale_f64 v[128:129], vcc, 1.0, v[122:123], 1.0
	v_fma_f64 v[130:131], -v[124:125], v[126:127], 1.0
	v_fmac_f64_e32 v[126:127], v[126:127], v[130:131]
	v_fma_f64 v[130:131], -v[124:125], v[126:127], 1.0
	v_fmac_f64_e32 v[126:127], v[126:127], v[130:131]
	v_mul_f64 v[130:131], v[128:129], v[126:127]
	v_fma_f64 v[124:125], -v[124:125], v[130:131], v[128:129]
	v_div_fmas_f64 v[124:125], v[124:125], v[126:127], v[130:131]
	v_div_fixup_f64 v[122:123], v[124:125], v[122:123], 1.0
	ds_write_b64 v144, v[122:123]
.LBB47_64:
	s_or_b64 exec, exec, s[2:3]
	s_waitcnt lgkmcnt(0)
	s_barrier
	ds_read_b64 v[122:123], v144
	v_cmp_lt_u32_e32 vcc, 12, v146
	s_and_saveexec_b64 s[2:3], vcc
	s_cbranch_execz .LBB47_66
; %bb.65:
	ds_read2_b64 v[124:127], v145 offset0:13 offset1:14
	ds_read2_b64 v[128:131], v145 offset0:15 offset1:16
	;; [unrolled: 1-line block ×3, first 2 shown]
	s_waitcnt vmcnt(11) lgkmcnt(3)
	v_mul_f64 v[84:85], v[122:123], v[84:85]
	s_waitcnt vmcnt(10) lgkmcnt(2)
	v_fma_f64 v[60:61], -v[84:85], v[124:125], v[60:61]
	s_waitcnt vmcnt(9)
	v_fma_f64 v[82:83], -v[84:85], v[126:127], v[82:83]
	ds_read2_b64 v[124:127], v145 offset0:19 offset1:20
	s_waitcnt vmcnt(8) lgkmcnt(2)
	v_fma_f64 v[58:59], -v[84:85], v[128:129], v[58:59]
	s_waitcnt vmcnt(7)
	v_fma_f64 v[80:81], -v[84:85], v[130:131], v[80:81]
	s_waitcnt vmcnt(6) lgkmcnt(1)
	v_fma_f64 v[56:57], -v[84:85], v[132:133], v[56:57]
	ds_read2_b64 v[128:131], v145 offset0:21 offset1:22
	ds_read_b64 v[132:133], v145 offset:184
	s_waitcnt vmcnt(5)
	v_fma_f64 v[78:79], -v[84:85], v[134:135], v[78:79]
	s_waitcnt vmcnt(4) lgkmcnt(2)
	v_fma_f64 v[54:55], -v[84:85], v[124:125], v[54:55]
	s_waitcnt vmcnt(3)
	v_fma_f64 v[76:77], -v[84:85], v[126:127], v[76:77]
	s_waitcnt vmcnt(2) lgkmcnt(1)
	v_fma_f64 v[52:53], -v[84:85], v[128:129], v[52:53]
	;; [unrolled: 4-line block ×3, first 2 shown]
.LBB47_66:
	s_or_b64 exec, exec, s[2:3]
	v_cmp_eq_u32_e32 vcc, 13, v146
	s_waitcnt lgkmcnt(0)
	s_barrier
	s_and_saveexec_b64 s[2:3], vcc
	s_cbranch_execz .LBB47_69
; %bb.67:
	s_waitcnt vmcnt(9)
	v_mov_b32_e32 v124, v82
	v_mov_b32_e32 v125, v83
	s_waitcnt vmcnt(8)
	v_mov_b32_e32 v126, v58
	v_mov_b32_e32 v127, v59
	ds_write_b64 v144, v[60:61]
	ds_write2_b64 v145, v[124:125], v[126:127] offset0:14 offset1:15
	s_waitcnt vmcnt(7)
	v_mov_b32_e32 v124, v80
	v_mov_b32_e32 v125, v81
	s_waitcnt vmcnt(6)
	v_mov_b32_e32 v126, v56
	v_mov_b32_e32 v127, v57
	ds_write2_b64 v145, v[124:125], v[126:127] offset0:16 offset1:17
	s_waitcnt vmcnt(5)
	v_mov_b32_e32 v124, v78
	v_mov_b32_e32 v125, v79
	s_waitcnt vmcnt(4)
	v_mov_b32_e32 v126, v54
	v_mov_b32_e32 v127, v55
	;; [unrolled: 7-line block ×3, first 2 shown]
	ds_write2_b64 v145, v[124:125], v[126:127] offset0:20 offset1:21
	s_waitcnt vmcnt(1)
	v_mov_b32_e32 v124, v74
	v_mov_b32_e32 v125, v75
	s_waitcnt vmcnt(0)
	ds_write2_b64 v145, v[124:125], v[96:97] offset0:22 offset1:23
	ds_read_b64 v[124:125], v144
	s_waitcnt lgkmcnt(0)
	v_cmp_neq_f64_e32 vcc, 0, v[124:125]
	s_and_b64 exec, exec, vcc
	s_cbranch_execz .LBB47_69
; %bb.68:
	v_div_scale_f64 v[126:127], s[6:7], v[124:125], v[124:125], 1.0
	v_rcp_f64_e32 v[128:129], v[126:127]
	v_div_scale_f64 v[130:131], vcc, 1.0, v[124:125], 1.0
	v_fma_f64 v[132:133], -v[126:127], v[128:129], 1.0
	v_fmac_f64_e32 v[128:129], v[128:129], v[132:133]
	v_fma_f64 v[132:133], -v[126:127], v[128:129], 1.0
	v_fmac_f64_e32 v[128:129], v[128:129], v[132:133]
	v_mul_f64 v[132:133], v[130:131], v[128:129]
	v_fma_f64 v[126:127], -v[126:127], v[132:133], v[130:131]
	v_div_fmas_f64 v[126:127], v[126:127], v[128:129], v[132:133]
	v_div_fixup_f64 v[124:125], v[126:127], v[124:125], 1.0
	ds_write_b64 v144, v[124:125]
.LBB47_69:
	s_or_b64 exec, exec, s[2:3]
	s_waitcnt lgkmcnt(0)
	s_barrier
	ds_read_b64 v[124:125], v144
	v_cmp_lt_u32_e32 vcc, 13, v146
	s_and_saveexec_b64 s[2:3], vcc
	s_cbranch_execz .LBB47_71
; %bb.70:
	ds_read2_b64 v[126:129], v145 offset0:14 offset1:15
	ds_read2_b64 v[130:133], v145 offset0:16 offset1:17
	s_waitcnt vmcnt(10) lgkmcnt(2)
	v_mul_f64 v[60:61], v[124:125], v[60:61]
	ds_read2_b64 v[134:137], v145 offset0:20 offset1:21
	s_waitcnt vmcnt(9) lgkmcnt(2)
	v_fma_f64 v[82:83], -v[60:61], v[126:127], v[82:83]
	s_waitcnt vmcnt(8)
	v_fma_f64 v[58:59], -v[60:61], v[128:129], v[58:59]
	ds_read2_b64 v[126:129], v145 offset0:18 offset1:19
	s_waitcnt vmcnt(7) lgkmcnt(2)
	v_fma_f64 v[80:81], -v[60:61], v[130:131], v[80:81]
	s_waitcnt vmcnt(6)
	v_fma_f64 v[56:57], -v[60:61], v[132:133], v[56:57]
	ds_read2_b64 v[130:133], v145 offset0:22 offset1:23
	s_waitcnt vmcnt(3) lgkmcnt(2)
	v_fma_f64 v[76:77], -v[60:61], v[134:135], v[76:77]
	s_waitcnt lgkmcnt(1)
	v_fma_f64 v[78:79], -v[60:61], v[126:127], v[78:79]
	v_fma_f64 v[54:55], -v[60:61], v[128:129], v[54:55]
	s_waitcnt vmcnt(2)
	v_fma_f64 v[52:53], -v[60:61], v[136:137], v[52:53]
	s_waitcnt vmcnt(1) lgkmcnt(0)
	v_fma_f64 v[74:75], -v[60:61], v[130:131], v[74:75]
	s_waitcnt vmcnt(0)
	v_fma_f64 v[96:97], -v[60:61], v[132:133], v[96:97]
.LBB47_71:
	s_or_b64 exec, exec, s[2:3]
	v_cmp_eq_u32_e32 vcc, 14, v146
	s_waitcnt lgkmcnt(0)
	s_barrier
	s_and_saveexec_b64 s[2:3], vcc
	s_cbranch_execz .LBB47_74
; %bb.72:
	s_waitcnt vmcnt(9)
	ds_write_b64 v144, v[82:83]
	s_waitcnt vmcnt(7)
	ds_write2_b64 v145, v[58:59], v[80:81] offset0:15 offset1:16
	s_waitcnt vmcnt(5)
	ds_write2_b64 v145, v[56:57], v[78:79] offset0:17 offset1:18
	s_waitcnt vmcnt(3)
	ds_write2_b64 v145, v[54:55], v[76:77] offset0:19 offset1:20
	s_waitcnt vmcnt(1)
	ds_write2_b64 v145, v[52:53], v[74:75] offset0:21 offset1:22
	s_waitcnt vmcnt(0)
	ds_write_b64 v145, v[96:97] offset:184
	ds_read_b64 v[126:127], v144
	s_waitcnt lgkmcnt(0)
	v_cmp_neq_f64_e32 vcc, 0, v[126:127]
	s_and_b64 exec, exec, vcc
	s_cbranch_execz .LBB47_74
; %bb.73:
	v_div_scale_f64 v[128:129], s[6:7], v[126:127], v[126:127], 1.0
	v_rcp_f64_e32 v[130:131], v[128:129]
	v_div_scale_f64 v[132:133], vcc, 1.0, v[126:127], 1.0
	v_fma_f64 v[134:135], -v[128:129], v[130:131], 1.0
	v_fmac_f64_e32 v[130:131], v[130:131], v[134:135]
	v_fma_f64 v[134:135], -v[128:129], v[130:131], 1.0
	v_fmac_f64_e32 v[130:131], v[130:131], v[134:135]
	v_mul_f64 v[134:135], v[132:133], v[130:131]
	v_fma_f64 v[128:129], -v[128:129], v[134:135], v[132:133]
	v_div_fmas_f64 v[128:129], v[128:129], v[130:131], v[134:135]
	v_div_fixup_f64 v[126:127], v[128:129], v[126:127], 1.0
	ds_write_b64 v144, v[126:127]
.LBB47_74:
	s_or_b64 exec, exec, s[2:3]
	s_waitcnt lgkmcnt(0)
	s_barrier
	ds_read_b64 v[126:127], v144
	v_cmp_lt_u32_e32 vcc, 14, v146
	s_and_saveexec_b64 s[2:3], vcc
	s_cbranch_execz .LBB47_76
; %bb.75:
	ds_read2_b64 v[128:131], v145 offset0:15 offset1:16
	ds_read2_b64 v[132:135], v145 offset0:17 offset1:18
	s_waitcnt vmcnt(9) lgkmcnt(2)
	v_mul_f64 v[82:83], v[126:127], v[82:83]
	ds_read2_b64 v[136:139], v145 offset0:21 offset1:22
	s_waitcnt vmcnt(8) lgkmcnt(2)
	v_fma_f64 v[58:59], -v[82:83], v[128:129], v[58:59]
	s_waitcnt vmcnt(7)
	v_fma_f64 v[80:81], -v[82:83], v[130:131], v[80:81]
	ds_read2_b64 v[128:131], v145 offset0:19 offset1:20
	s_waitcnt vmcnt(6) lgkmcnt(2)
	v_fma_f64 v[56:57], -v[82:83], v[132:133], v[56:57]
	ds_read_b64 v[132:133], v145 offset:184
	s_waitcnt vmcnt(5)
	v_fma_f64 v[78:79], -v[82:83], v[134:135], v[78:79]
	s_waitcnt vmcnt(2) lgkmcnt(2)
	v_fma_f64 v[52:53], -v[82:83], v[136:137], v[52:53]
	s_waitcnt lgkmcnt(1)
	v_fma_f64 v[54:55], -v[82:83], v[128:129], v[54:55]
	v_fma_f64 v[76:77], -v[82:83], v[130:131], v[76:77]
	s_waitcnt vmcnt(1)
	v_fma_f64 v[74:75], -v[82:83], v[138:139], v[74:75]
	s_waitcnt vmcnt(0) lgkmcnt(0)
	v_fma_f64 v[96:97], -v[82:83], v[132:133], v[96:97]
.LBB47_76:
	s_or_b64 exec, exec, s[2:3]
	v_cmp_eq_u32_e32 vcc, 15, v146
	s_waitcnt lgkmcnt(0)
	s_barrier
	s_and_saveexec_b64 s[2:3], vcc
	s_cbranch_execz .LBB47_79
; %bb.77:
	s_waitcnt vmcnt(7)
	v_mov_b32_e32 v128, v80
	v_mov_b32_e32 v129, v81
	s_waitcnt vmcnt(6)
	v_mov_b32_e32 v130, v56
	v_mov_b32_e32 v131, v57
	ds_write_b64 v144, v[58:59]
	ds_write2_b64 v145, v[128:129], v[130:131] offset0:16 offset1:17
	s_waitcnt vmcnt(5)
	v_mov_b32_e32 v128, v78
	v_mov_b32_e32 v129, v79
	s_waitcnt vmcnt(4)
	v_mov_b32_e32 v130, v54
	v_mov_b32_e32 v131, v55
	ds_write2_b64 v145, v[128:129], v[130:131] offset0:18 offset1:19
	s_waitcnt vmcnt(3)
	v_mov_b32_e32 v128, v76
	v_mov_b32_e32 v129, v77
	s_waitcnt vmcnt(2)
	v_mov_b32_e32 v130, v52
	v_mov_b32_e32 v131, v53
	ds_write2_b64 v145, v[128:129], v[130:131] offset0:20 offset1:21
	s_waitcnt vmcnt(1)
	v_mov_b32_e32 v128, v74
	v_mov_b32_e32 v129, v75
	s_waitcnt vmcnt(0)
	ds_write2_b64 v145, v[128:129], v[96:97] offset0:22 offset1:23
	ds_read_b64 v[128:129], v144
	s_waitcnt lgkmcnt(0)
	v_cmp_neq_f64_e32 vcc, 0, v[128:129]
	s_and_b64 exec, exec, vcc
	s_cbranch_execz .LBB47_79
; %bb.78:
	v_div_scale_f64 v[130:131], s[6:7], v[128:129], v[128:129], 1.0
	v_rcp_f64_e32 v[132:133], v[130:131]
	v_div_scale_f64 v[134:135], vcc, 1.0, v[128:129], 1.0
	v_fma_f64 v[136:137], -v[130:131], v[132:133], 1.0
	v_fmac_f64_e32 v[132:133], v[132:133], v[136:137]
	v_fma_f64 v[136:137], -v[130:131], v[132:133], 1.0
	v_fmac_f64_e32 v[132:133], v[132:133], v[136:137]
	v_mul_f64 v[136:137], v[134:135], v[132:133]
	v_fma_f64 v[130:131], -v[130:131], v[136:137], v[134:135]
	v_div_fmas_f64 v[130:131], v[130:131], v[132:133], v[136:137]
	v_div_fixup_f64 v[128:129], v[130:131], v[128:129], 1.0
	ds_write_b64 v144, v[128:129]
.LBB47_79:
	s_or_b64 exec, exec, s[2:3]
	s_waitcnt lgkmcnt(0)
	s_barrier
	ds_read_b64 v[128:129], v144
	v_cmp_lt_u32_e32 vcc, 15, v146
	s_and_saveexec_b64 s[2:3], vcc
	s_cbranch_execz .LBB47_81
; %bb.80:
	ds_read2_b64 v[130:133], v145 offset0:16 offset1:17
	ds_read2_b64 v[134:137], v145 offset0:18 offset1:19
	s_waitcnt vmcnt(8) lgkmcnt(2)
	v_mul_f64 v[58:59], v[128:129], v[58:59]
	ds_read2_b64 v[138:141], v145 offset0:20 offset1:21
	s_waitcnt vmcnt(7) lgkmcnt(2)
	v_fma_f64 v[80:81], -v[58:59], v[130:131], v[80:81]
	s_waitcnt vmcnt(6)
	v_fma_f64 v[56:57], -v[58:59], v[132:133], v[56:57]
	ds_read2_b64 v[130:133], v145 offset0:22 offset1:23
	s_waitcnt vmcnt(5) lgkmcnt(2)
	v_fma_f64 v[78:79], -v[58:59], v[134:135], v[78:79]
	s_waitcnt vmcnt(4)
	v_fma_f64 v[54:55], -v[58:59], v[136:137], v[54:55]
	s_waitcnt vmcnt(3) lgkmcnt(1)
	v_fma_f64 v[76:77], -v[58:59], v[138:139], v[76:77]
	s_waitcnt vmcnt(2)
	v_fma_f64 v[52:53], -v[58:59], v[140:141], v[52:53]
	s_waitcnt vmcnt(1) lgkmcnt(0)
	v_fma_f64 v[74:75], -v[58:59], v[130:131], v[74:75]
	s_waitcnt vmcnt(0)
	v_fma_f64 v[96:97], -v[58:59], v[132:133], v[96:97]
.LBB47_81:
	s_or_b64 exec, exec, s[2:3]
	v_cmp_eq_u32_e32 vcc, 16, v146
	s_waitcnt lgkmcnt(0)
	s_barrier
	s_and_saveexec_b64 s[2:3], vcc
	s_cbranch_execz .LBB47_84
; %bb.82:
	s_waitcnt vmcnt(7)
	ds_write_b64 v144, v[80:81]
	s_waitcnt vmcnt(5)
	ds_write2_b64 v145, v[56:57], v[78:79] offset0:17 offset1:18
	s_waitcnt vmcnt(3)
	ds_write2_b64 v145, v[54:55], v[76:77] offset0:19 offset1:20
	;; [unrolled: 2-line block ×3, first 2 shown]
	s_waitcnt vmcnt(0)
	ds_write_b64 v145, v[96:97] offset:184
	ds_read_b64 v[130:131], v144
	s_waitcnt lgkmcnt(0)
	v_cmp_neq_f64_e32 vcc, 0, v[130:131]
	s_and_b64 exec, exec, vcc
	s_cbranch_execz .LBB47_84
; %bb.83:
	v_div_scale_f64 v[132:133], s[6:7], v[130:131], v[130:131], 1.0
	v_rcp_f64_e32 v[134:135], v[132:133]
	v_div_scale_f64 v[136:137], vcc, 1.0, v[130:131], 1.0
	v_fma_f64 v[138:139], -v[132:133], v[134:135], 1.0
	v_fmac_f64_e32 v[134:135], v[134:135], v[138:139]
	v_fma_f64 v[138:139], -v[132:133], v[134:135], 1.0
	v_fmac_f64_e32 v[134:135], v[134:135], v[138:139]
	v_mul_f64 v[138:139], v[136:137], v[134:135]
	v_fma_f64 v[132:133], -v[132:133], v[138:139], v[136:137]
	v_div_fmas_f64 v[132:133], v[132:133], v[134:135], v[138:139]
	v_div_fixup_f64 v[130:131], v[132:133], v[130:131], 1.0
	ds_write_b64 v144, v[130:131]
.LBB47_84:
	s_or_b64 exec, exec, s[2:3]
	s_waitcnt lgkmcnt(0)
	s_barrier
	ds_read_b64 v[130:131], v144
	v_cmp_lt_u32_e32 vcc, 16, v146
	s_and_saveexec_b64 s[2:3], vcc
	s_cbranch_execz .LBB47_86
; %bb.85:
	ds_read2_b64 v[132:135], v145 offset0:17 offset1:18
	ds_read2_b64 v[136:139], v145 offset0:19 offset1:20
	s_waitcnt vmcnt(7) lgkmcnt(2)
	v_mul_f64 v[80:81], v[130:131], v[80:81]
	ds_read2_b64 v[140:143], v145 offset0:21 offset1:22
	s_waitcnt vmcnt(6) lgkmcnt(2)
	v_fma_f64 v[56:57], -v[80:81], v[132:133], v[56:57]
	ds_read_b64 v[132:133], v145 offset:184
	s_waitcnt vmcnt(5)
	v_fma_f64 v[78:79], -v[80:81], v[134:135], v[78:79]
	s_waitcnt vmcnt(4) lgkmcnt(2)
	v_fma_f64 v[54:55], -v[80:81], v[136:137], v[54:55]
	s_waitcnt vmcnt(3)
	v_fma_f64 v[76:77], -v[80:81], v[138:139], v[76:77]
	s_waitcnt vmcnt(2) lgkmcnt(1)
	v_fma_f64 v[52:53], -v[80:81], v[140:141], v[52:53]
	;; [unrolled: 4-line block ×3, first 2 shown]
.LBB47_86:
	s_or_b64 exec, exec, s[2:3]
	v_cmp_eq_u32_e32 vcc, 17, v146
	s_waitcnt lgkmcnt(0)
	s_barrier
	s_and_saveexec_b64 s[2:3], vcc
	s_cbranch_execz .LBB47_89
; %bb.87:
	s_waitcnt vmcnt(5)
	v_mov_b32_e32 v132, v78
	v_mov_b32_e32 v133, v79
	s_waitcnt vmcnt(4)
	v_mov_b32_e32 v134, v54
	v_mov_b32_e32 v135, v55
	ds_write_b64 v144, v[56:57]
	ds_write2_b64 v145, v[132:133], v[134:135] offset0:18 offset1:19
	s_waitcnt vmcnt(3)
	v_mov_b32_e32 v132, v76
	v_mov_b32_e32 v133, v77
	s_waitcnt vmcnt(2)
	v_mov_b32_e32 v134, v52
	v_mov_b32_e32 v135, v53
	ds_write2_b64 v145, v[132:133], v[134:135] offset0:20 offset1:21
	s_waitcnt vmcnt(1)
	v_mov_b32_e32 v132, v74
	v_mov_b32_e32 v133, v75
	s_waitcnt vmcnt(0)
	ds_write2_b64 v145, v[132:133], v[96:97] offset0:22 offset1:23
	ds_read_b64 v[132:133], v144
	s_waitcnt lgkmcnt(0)
	v_cmp_neq_f64_e32 vcc, 0, v[132:133]
	s_and_b64 exec, exec, vcc
	s_cbranch_execz .LBB47_89
; %bb.88:
	v_div_scale_f64 v[134:135], s[6:7], v[132:133], v[132:133], 1.0
	v_rcp_f64_e32 v[136:137], v[134:135]
	v_div_scale_f64 v[138:139], vcc, 1.0, v[132:133], 1.0
	v_fma_f64 v[140:141], -v[134:135], v[136:137], 1.0
	v_fmac_f64_e32 v[136:137], v[136:137], v[140:141]
	v_fma_f64 v[140:141], -v[134:135], v[136:137], 1.0
	v_fmac_f64_e32 v[136:137], v[136:137], v[140:141]
	v_mul_f64 v[140:141], v[138:139], v[136:137]
	v_fma_f64 v[134:135], -v[134:135], v[140:141], v[138:139]
	v_div_fmas_f64 v[134:135], v[134:135], v[136:137], v[140:141]
	v_div_fixup_f64 v[132:133], v[134:135], v[132:133], 1.0
	ds_write_b64 v144, v[132:133]
.LBB47_89:
	s_or_b64 exec, exec, s[2:3]
	s_waitcnt lgkmcnt(0)
	s_barrier
	ds_read_b64 v[132:133], v144
	v_cmp_lt_u32_e32 vcc, 17, v146
	s_and_saveexec_b64 s[2:3], vcc
	s_cbranch_execz .LBB47_91
; %bb.90:
	ds_read2_b64 v[134:137], v145 offset0:18 offset1:19
	ds_read2_b64 v[138:141], v145 offset0:20 offset1:21
	;; [unrolled: 1-line block ×3, first 2 shown]
	s_waitcnt vmcnt(6) lgkmcnt(3)
	v_mul_f64 v[56:57], v[132:133], v[56:57]
	s_waitcnt vmcnt(5) lgkmcnt(2)
	v_fma_f64 v[78:79], -v[56:57], v[134:135], v[78:79]
	s_waitcnt vmcnt(4)
	v_fma_f64 v[54:55], -v[56:57], v[136:137], v[54:55]
	s_waitcnt vmcnt(3) lgkmcnt(1)
	v_fma_f64 v[76:77], -v[56:57], v[138:139], v[76:77]
	s_waitcnt vmcnt(2)
	v_fma_f64 v[52:53], -v[56:57], v[140:141], v[52:53]
	;; [unrolled: 4-line block ×3, first 2 shown]
.LBB47_91:
	s_or_b64 exec, exec, s[2:3]
	v_cmp_eq_u32_e32 vcc, 18, v146
	s_waitcnt lgkmcnt(0)
	s_barrier
	s_and_saveexec_b64 s[2:3], vcc
	s_cbranch_execz .LBB47_94
; %bb.92:
	s_waitcnt vmcnt(5)
	ds_write_b64 v144, v[78:79]
	s_waitcnt vmcnt(3)
	ds_write2_b64 v145, v[54:55], v[76:77] offset0:19 offset1:20
	s_waitcnt vmcnt(1)
	ds_write2_b64 v145, v[52:53], v[74:75] offset0:21 offset1:22
	s_waitcnt vmcnt(0)
	ds_write_b64 v145, v[96:97] offset:184
	ds_read_b64 v[134:135], v144
	s_waitcnt lgkmcnt(0)
	v_cmp_neq_f64_e32 vcc, 0, v[134:135]
	s_and_b64 exec, exec, vcc
	s_cbranch_execz .LBB47_94
; %bb.93:
	v_div_scale_f64 v[136:137], s[6:7], v[134:135], v[134:135], 1.0
	v_rcp_f64_e32 v[138:139], v[136:137]
	v_div_scale_f64 v[140:141], vcc, 1.0, v[134:135], 1.0
	v_fma_f64 v[142:143], -v[136:137], v[138:139], 1.0
	v_fmac_f64_e32 v[138:139], v[138:139], v[142:143]
	v_fma_f64 v[142:143], -v[136:137], v[138:139], 1.0
	v_fmac_f64_e32 v[138:139], v[138:139], v[142:143]
	v_mul_f64 v[142:143], v[140:141], v[138:139]
	v_fma_f64 v[136:137], -v[136:137], v[142:143], v[140:141]
	v_div_fmas_f64 v[136:137], v[136:137], v[138:139], v[142:143]
	v_div_fixup_f64 v[134:135], v[136:137], v[134:135], 1.0
	ds_write_b64 v144, v[134:135]
.LBB47_94:
	s_or_b64 exec, exec, s[2:3]
	s_waitcnt lgkmcnt(0)
	s_barrier
	ds_read_b64 v[134:135], v144
	v_cmp_lt_u32_e32 vcc, 18, v146
	s_and_saveexec_b64 s[2:3], vcc
	s_cbranch_execz .LBB47_96
; %bb.95:
	ds_read2_b64 v[136:139], v145 offset0:19 offset1:20
	ds_read2_b64 v[140:143], v145 offset0:21 offset1:22
	ds_read_b64 v[148:149], v145 offset:184
	s_waitcnt vmcnt(5) lgkmcnt(3)
	v_mul_f64 v[78:79], v[134:135], v[78:79]
	s_waitcnt vmcnt(4) lgkmcnt(2)
	v_fma_f64 v[54:55], -v[78:79], v[136:137], v[54:55]
	s_waitcnt vmcnt(3)
	v_fma_f64 v[76:77], -v[78:79], v[138:139], v[76:77]
	s_waitcnt vmcnt(2) lgkmcnt(1)
	v_fma_f64 v[52:53], -v[78:79], v[140:141], v[52:53]
	s_waitcnt vmcnt(1)
	v_fma_f64 v[74:75], -v[78:79], v[142:143], v[74:75]
	s_waitcnt vmcnt(0) lgkmcnt(0)
	v_fma_f64 v[96:97], -v[78:79], v[148:149], v[96:97]
.LBB47_96:
	s_or_b64 exec, exec, s[2:3]
	v_cmp_eq_u32_e32 vcc, 19, v146
	s_waitcnt lgkmcnt(0)
	s_barrier
	s_and_saveexec_b64 s[2:3], vcc
	s_cbranch_execz .LBB47_99
; %bb.97:
	s_waitcnt vmcnt(3)
	v_mov_b32_e32 v136, v76
	v_mov_b32_e32 v137, v77
	s_waitcnt vmcnt(2)
	v_mov_b32_e32 v138, v52
	v_mov_b32_e32 v139, v53
	ds_write_b64 v144, v[54:55]
	ds_write2_b64 v145, v[136:137], v[138:139] offset0:20 offset1:21
	s_waitcnt vmcnt(1)
	v_mov_b32_e32 v136, v74
	v_mov_b32_e32 v137, v75
	s_waitcnt vmcnt(0)
	ds_write2_b64 v145, v[136:137], v[96:97] offset0:22 offset1:23
	ds_read_b64 v[136:137], v144
	s_waitcnt lgkmcnt(0)
	v_cmp_neq_f64_e32 vcc, 0, v[136:137]
	s_and_b64 exec, exec, vcc
	s_cbranch_execz .LBB47_99
; %bb.98:
	v_div_scale_f64 v[138:139], s[6:7], v[136:137], v[136:137], 1.0
	v_rcp_f64_e32 v[140:141], v[138:139]
	v_div_scale_f64 v[142:143], vcc, 1.0, v[136:137], 1.0
	v_fma_f64 v[148:149], -v[138:139], v[140:141], 1.0
	v_fmac_f64_e32 v[140:141], v[140:141], v[148:149]
	v_fma_f64 v[148:149], -v[138:139], v[140:141], 1.0
	v_fmac_f64_e32 v[140:141], v[140:141], v[148:149]
	v_mul_f64 v[148:149], v[142:143], v[140:141]
	v_fma_f64 v[138:139], -v[138:139], v[148:149], v[142:143]
	v_div_fmas_f64 v[138:139], v[138:139], v[140:141], v[148:149]
	v_div_fixup_f64 v[136:137], v[138:139], v[136:137], 1.0
	ds_write_b64 v144, v[136:137]
.LBB47_99:
	s_or_b64 exec, exec, s[2:3]
	s_waitcnt lgkmcnt(0)
	s_barrier
	ds_read_b64 v[136:137], v144
	v_cmp_lt_u32_e32 vcc, 19, v146
	s_and_saveexec_b64 s[2:3], vcc
	s_cbranch_execz .LBB47_101
; %bb.100:
	ds_read2_b64 v[138:141], v145 offset0:20 offset1:21
	ds_read2_b64 v[148:151], v145 offset0:22 offset1:23
	s_waitcnt vmcnt(4) lgkmcnt(2)
	v_mul_f64 v[54:55], v[136:137], v[54:55]
	s_waitcnt vmcnt(3) lgkmcnt(1)
	v_fma_f64 v[76:77], -v[54:55], v[138:139], v[76:77]
	s_waitcnt vmcnt(2)
	v_fma_f64 v[52:53], -v[54:55], v[140:141], v[52:53]
	s_waitcnt vmcnt(1) lgkmcnt(0)
	v_fma_f64 v[74:75], -v[54:55], v[148:149], v[74:75]
	s_waitcnt vmcnt(0)
	v_fma_f64 v[96:97], -v[54:55], v[150:151], v[96:97]
.LBB47_101:
	s_or_b64 exec, exec, s[2:3]
	v_cmp_eq_u32_e32 vcc, 20, v146
	s_waitcnt lgkmcnt(0)
	s_barrier
	s_and_saveexec_b64 s[2:3], vcc
	s_cbranch_execz .LBB47_104
; %bb.102:
	s_waitcnt vmcnt(3)
	ds_write_b64 v144, v[76:77]
	s_waitcnt vmcnt(1)
	ds_write2_b64 v145, v[52:53], v[74:75] offset0:21 offset1:22
	s_waitcnt vmcnt(0)
	ds_write_b64 v145, v[96:97] offset:184
	ds_read_b64 v[138:139], v144
	s_waitcnt lgkmcnt(0)
	v_cmp_neq_f64_e32 vcc, 0, v[138:139]
	s_and_b64 exec, exec, vcc
	s_cbranch_execz .LBB47_104
; %bb.103:
	v_div_scale_f64 v[140:141], s[6:7], v[138:139], v[138:139], 1.0
	v_rcp_f64_e32 v[142:143], v[140:141]
	v_div_scale_f64 v[148:149], vcc, 1.0, v[138:139], 1.0
	v_fma_f64 v[150:151], -v[140:141], v[142:143], 1.0
	v_fmac_f64_e32 v[142:143], v[142:143], v[150:151]
	v_fma_f64 v[150:151], -v[140:141], v[142:143], 1.0
	v_fmac_f64_e32 v[142:143], v[142:143], v[150:151]
	v_mul_f64 v[150:151], v[148:149], v[142:143]
	v_fma_f64 v[140:141], -v[140:141], v[150:151], v[148:149]
	v_div_fmas_f64 v[140:141], v[140:141], v[142:143], v[150:151]
	v_div_fixup_f64 v[138:139], v[140:141], v[138:139], 1.0
	ds_write_b64 v144, v[138:139]
.LBB47_104:
	s_or_b64 exec, exec, s[2:3]
	s_waitcnt lgkmcnt(0)
	s_barrier
	ds_read_b64 v[138:139], v144
	v_cmp_lt_u32_e32 vcc, 20, v146
	s_and_saveexec_b64 s[2:3], vcc
	s_cbranch_execz .LBB47_106
; %bb.105:
	ds_read2_b64 v[140:143], v145 offset0:21 offset1:22
	ds_read_b64 v[148:149], v145 offset:184
	s_waitcnt vmcnt(3) lgkmcnt(2)
	v_mul_f64 v[76:77], v[138:139], v[76:77]
	s_waitcnt vmcnt(2) lgkmcnt(1)
	v_fma_f64 v[52:53], -v[76:77], v[140:141], v[52:53]
	s_waitcnt vmcnt(1)
	v_fma_f64 v[74:75], -v[76:77], v[142:143], v[74:75]
	s_waitcnt vmcnt(0) lgkmcnt(0)
	v_fma_f64 v[96:97], -v[76:77], v[148:149], v[96:97]
.LBB47_106:
	s_or_b64 exec, exec, s[2:3]
	v_cmp_eq_u32_e32 vcc, 21, v146
	s_waitcnt lgkmcnt(0)
	s_barrier
	s_and_saveexec_b64 s[2:3], vcc
	s_cbranch_execz .LBB47_109
; %bb.107:
	s_waitcnt vmcnt(1)
	v_mov_b32_e32 v140, v74
	v_mov_b32_e32 v141, v75
	ds_write_b64 v144, v[52:53]
	s_waitcnt vmcnt(0)
	ds_write2_b64 v145, v[140:141], v[96:97] offset0:22 offset1:23
	ds_read_b64 v[140:141], v144
	s_waitcnt lgkmcnt(0)
	v_cmp_neq_f64_e32 vcc, 0, v[140:141]
	s_and_b64 exec, exec, vcc
	s_cbranch_execz .LBB47_109
; %bb.108:
	v_div_scale_f64 v[142:143], s[6:7], v[140:141], v[140:141], 1.0
	v_rcp_f64_e32 v[148:149], v[142:143]
	v_div_scale_f64 v[150:151], vcc, 1.0, v[140:141], 1.0
	v_fma_f64 v[152:153], -v[142:143], v[148:149], 1.0
	v_fmac_f64_e32 v[148:149], v[148:149], v[152:153]
	v_fma_f64 v[152:153], -v[142:143], v[148:149], 1.0
	v_fmac_f64_e32 v[148:149], v[148:149], v[152:153]
	v_mul_f64 v[152:153], v[150:151], v[148:149]
	v_fma_f64 v[142:143], -v[142:143], v[152:153], v[150:151]
	v_div_fmas_f64 v[142:143], v[142:143], v[148:149], v[152:153]
	v_div_fixup_f64 v[140:141], v[142:143], v[140:141], 1.0
	ds_write_b64 v144, v[140:141]
.LBB47_109:
	s_or_b64 exec, exec, s[2:3]
	s_waitcnt lgkmcnt(0)
	s_barrier
	ds_read_b64 v[140:141], v144
	v_cmp_lt_u32_e32 vcc, 21, v146
	s_and_saveexec_b64 s[2:3], vcc
	s_cbranch_execz .LBB47_111
; %bb.110:
	ds_read2_b64 v[148:151], v145 offset0:22 offset1:23
	s_waitcnt vmcnt(2) lgkmcnt(1)
	v_mul_f64 v[52:53], v[140:141], v[52:53]
	s_waitcnt vmcnt(1) lgkmcnt(0)
	v_fma_f64 v[74:75], -v[52:53], v[148:149], v[74:75]
	s_waitcnt vmcnt(0)
	v_fma_f64 v[96:97], -v[52:53], v[150:151], v[96:97]
.LBB47_111:
	s_or_b64 exec, exec, s[2:3]
	v_cmp_eq_u32_e32 vcc, 22, v146
	s_waitcnt lgkmcnt(0)
	s_barrier
	s_and_saveexec_b64 s[2:3], vcc
	s_cbranch_execz .LBB47_114
; %bb.112:
	s_waitcnt vmcnt(1)
	ds_write_b64 v144, v[74:75]
	s_waitcnt vmcnt(0)
	ds_write_b64 v145, v[96:97] offset:184
	ds_read_b64 v[142:143], v144
	s_waitcnt lgkmcnt(0)
	v_cmp_neq_f64_e32 vcc, 0, v[142:143]
	s_and_b64 exec, exec, vcc
	s_cbranch_execz .LBB47_114
; %bb.113:
	v_div_scale_f64 v[148:149], s[6:7], v[142:143], v[142:143], 1.0
	v_rcp_f64_e32 v[150:151], v[148:149]
	v_div_scale_f64 v[152:153], vcc, 1.0, v[142:143], 1.0
	v_fma_f64 v[154:155], -v[148:149], v[150:151], 1.0
	v_fmac_f64_e32 v[150:151], v[150:151], v[154:155]
	v_fma_f64 v[154:155], -v[148:149], v[150:151], 1.0
	v_fmac_f64_e32 v[150:151], v[150:151], v[154:155]
	v_mul_f64 v[154:155], v[152:153], v[150:151]
	v_fma_f64 v[148:149], -v[148:149], v[154:155], v[152:153]
	v_div_fmas_f64 v[148:149], v[148:149], v[150:151], v[154:155]
	v_div_fixup_f64 v[142:143], v[148:149], v[142:143], 1.0
	ds_write_b64 v144, v[142:143]
.LBB47_114:
	s_or_b64 exec, exec, s[2:3]
	s_waitcnt lgkmcnt(0)
	s_barrier
	ds_read_b64 v[142:143], v144
	v_cmp_lt_u32_e32 vcc, 22, v146
	s_and_saveexec_b64 s[2:3], vcc
	s_cbranch_execz .LBB47_116
; %bb.115:
	ds_read_b64 v[148:149], v145 offset:184
	s_waitcnt vmcnt(1) lgkmcnt(1)
	v_mul_f64 v[74:75], v[142:143], v[74:75]
	s_waitcnt vmcnt(0) lgkmcnt(0)
	v_fma_f64 v[96:97], -v[74:75], v[148:149], v[96:97]
.LBB47_116:
	s_or_b64 exec, exec, s[2:3]
	v_cmp_eq_u32_e32 vcc, 23, v146
	s_waitcnt lgkmcnt(0)
	s_barrier
	s_and_saveexec_b64 s[2:3], vcc
	s_cbranch_execz .LBB47_119
; %bb.117:
	s_waitcnt vmcnt(0)
	v_cmp_neq_f64_e32 vcc, 0, v[96:97]
	ds_write_b64 v144, v[96:97]
	s_and_b64 exec, exec, vcc
	s_cbranch_execz .LBB47_119
; %bb.118:
	v_div_scale_f64 v[148:149], s[6:7], v[96:97], v[96:97], 1.0
	v_rcp_f64_e32 v[150:151], v[148:149]
	v_div_scale_f64 v[152:153], vcc, 1.0, v[96:97], 1.0
	v_fma_f64 v[154:155], -v[148:149], v[150:151], 1.0
	v_fmac_f64_e32 v[150:151], v[150:151], v[154:155]
	v_fma_f64 v[154:155], -v[148:149], v[150:151], 1.0
	v_fmac_f64_e32 v[150:151], v[150:151], v[154:155]
	v_mul_f64 v[154:155], v[152:153], v[150:151]
	v_fma_f64 v[148:149], -v[148:149], v[154:155], v[152:153]
	v_div_fmas_f64 v[148:149], v[148:149], v[150:151], v[154:155]
	v_div_fixup_f64 v[148:149], v[148:149], v[96:97], 1.0
	ds_write_b64 v144, v[148:149]
.LBB47_119:
	s_or_b64 exec, exec, s[2:3]
	s_waitcnt lgkmcnt(0)
	s_barrier
	ds_read_b64 v[144:145], v144
	s_waitcnt lgkmcnt(0)
	s_barrier
	s_and_saveexec_b64 s[2:3], s[0:1]
	s_cbranch_execz .LBB47_122
; %bb.120:
	v_cmp_eq_f64_e32 vcc, 0, v[98:99]
	v_cmp_neq_f64_e64 s[0:1], 0, v[100:101]
	v_cndmask_b32_e64 v98, 0, 1, vcc
	s_or_b64 vcc, s[0:1], vcc
	v_cndmask_b32_e32 v98, 2, v98, vcc
	v_cmp_eq_f64_e32 vcc, 0, v[102:103]
	v_cmp_eq_u32_e64 s[0:1], 0, v98
	s_load_dwordx2 s[4:5], s[4:5], 0x28
	s_and_b64 s[0:1], vcc, s[0:1]
	v_cndmask_b32_e64 v98, v98, 3, s[0:1]
	v_cmp_eq_f64_e32 vcc, 0, v[104:105]
	v_cmp_eq_u32_e64 s[0:1], 0, v98
	s_and_b64 s[0:1], vcc, s[0:1]
	v_lshlrev_b64 v[2:3], 2, v[2:3]
	v_cndmask_b32_e64 v98, v98, 4, s[0:1]
	s_waitcnt lgkmcnt(0)
	v_mov_b32_e32 v99, s5
	v_add_co_u32_e64 v2, s[0:1], s4, v2
	v_addc_co_u32_e64 v3, s[0:1], v99, v3, s[0:1]
	global_load_dword v99, v[2:3], off
	v_cmp_eq_f64_e32 vcc, 0, v[106:107]
	v_cmp_eq_u32_e64 s[0:1], 0, v98
	s_and_b64 s[0:1], vcc, s[0:1]
	v_cndmask_b32_e64 v98, v98, 5, s[0:1]
	v_cmp_eq_f64_e32 vcc, 0, v[108:109]
	v_cmp_eq_u32_e64 s[0:1], 0, v98
	s_and_b64 s[0:1], vcc, s[0:1]
	v_cndmask_b32_e64 v98, v98, 6, s[0:1]
	;; [unrolled: 4-line block ×20, first 2 shown]
	s_waitcnt vmcnt(0)
	v_cmp_eq_u32_e32 vcc, 0, v99
	v_cmp_ne_u32_e64 s[0:1], 0, v98
	s_and_b64 s[0:1], vcc, s[0:1]
	s_and_b64 exec, exec, s[0:1]
	s_cbranch_execz .LBB47_122
; %bb.121:
	v_add_u32_e32 v98, s9, v98
	global_store_dword v[2:3], v98, off
.LBB47_122:
	s_or_b64 exec, exec, s[2:3]
	s_waitcnt vmcnt(0)
	v_mul_f64 v[2:3], v[144:145], v[96:97]
	v_cmp_lt_u32_e32 vcc, 23, v146
	v_cndmask_b32_e32 v3, v97, v3, vcc
	v_cndmask_b32_e32 v2, v96, v2, vcc
	global_store_dwordx2 v[0:1], v[50:51], off
	global_store_dwordx2 v[22:23], v[72:73], off
	;; [unrolled: 1-line block ×24, first 2 shown]
.LBB47_123:
	s_endpgm
	.section	.rodata,"a",@progbits
	.p2align	6, 0x0
	.amdhsa_kernel _ZN9rocsolver6v33100L23getf2_npvt_small_kernelILi24EdiiPKPdEEvT1_T3_lS5_lPT2_S5_S5_
		.amdhsa_group_segment_fixed_size 0
		.amdhsa_private_segment_fixed_size 0
		.amdhsa_kernarg_size 312
		.amdhsa_user_sgpr_count 6
		.amdhsa_user_sgpr_private_segment_buffer 1
		.amdhsa_user_sgpr_dispatch_ptr 0
		.amdhsa_user_sgpr_queue_ptr 0
		.amdhsa_user_sgpr_kernarg_segment_ptr 1
		.amdhsa_user_sgpr_dispatch_id 0
		.amdhsa_user_sgpr_flat_scratch_init 0
		.amdhsa_user_sgpr_kernarg_preload_length 0
		.amdhsa_user_sgpr_kernarg_preload_offset 0
		.amdhsa_user_sgpr_private_segment_size 0
		.amdhsa_uses_dynamic_stack 0
		.amdhsa_system_sgpr_private_segment_wavefront_offset 0
		.amdhsa_system_sgpr_workgroup_id_x 1
		.amdhsa_system_sgpr_workgroup_id_y 1
		.amdhsa_system_sgpr_workgroup_id_z 0
		.amdhsa_system_sgpr_workgroup_info 0
		.amdhsa_system_vgpr_workitem_id 1
		.amdhsa_next_free_vgpr 156
		.amdhsa_next_free_sgpr 16
		.amdhsa_accum_offset 156
		.amdhsa_reserve_vcc 1
		.amdhsa_reserve_flat_scratch 0
		.amdhsa_float_round_mode_32 0
		.amdhsa_float_round_mode_16_64 0
		.amdhsa_float_denorm_mode_32 3
		.amdhsa_float_denorm_mode_16_64 3
		.amdhsa_dx10_clamp 1
		.amdhsa_ieee_mode 1
		.amdhsa_fp16_overflow 0
		.amdhsa_tg_split 0
		.amdhsa_exception_fp_ieee_invalid_op 0
		.amdhsa_exception_fp_denorm_src 0
		.amdhsa_exception_fp_ieee_div_zero 0
		.amdhsa_exception_fp_ieee_overflow 0
		.amdhsa_exception_fp_ieee_underflow 0
		.amdhsa_exception_fp_ieee_inexact 0
		.amdhsa_exception_int_div_zero 0
	.end_amdhsa_kernel
	.section	.text._ZN9rocsolver6v33100L23getf2_npvt_small_kernelILi24EdiiPKPdEEvT1_T3_lS5_lPT2_S5_S5_,"axG",@progbits,_ZN9rocsolver6v33100L23getf2_npvt_small_kernelILi24EdiiPKPdEEvT1_T3_lS5_lPT2_S5_S5_,comdat
.Lfunc_end47:
	.size	_ZN9rocsolver6v33100L23getf2_npvt_small_kernelILi24EdiiPKPdEEvT1_T3_lS5_lPT2_S5_S5_, .Lfunc_end47-_ZN9rocsolver6v33100L23getf2_npvt_small_kernelILi24EdiiPKPdEEvT1_T3_lS5_lPT2_S5_S5_
                                        ; -- End function
	.section	.AMDGPU.csdata,"",@progbits
; Kernel info:
; codeLenInByte = 13644
; NumSgprs: 20
; NumVgprs: 156
; NumAgprs: 0
; TotalNumVgprs: 156
; ScratchSize: 0
; MemoryBound: 0
; FloatMode: 240
; IeeeMode: 1
; LDSByteSize: 0 bytes/workgroup (compile time only)
; SGPRBlocks: 2
; VGPRBlocks: 19
; NumSGPRsForWavesPerEU: 20
; NumVGPRsForWavesPerEU: 156
; AccumOffset: 156
; Occupancy: 3
; WaveLimiterHint : 1
; COMPUTE_PGM_RSRC2:SCRATCH_EN: 0
; COMPUTE_PGM_RSRC2:USER_SGPR: 6
; COMPUTE_PGM_RSRC2:TRAP_HANDLER: 0
; COMPUTE_PGM_RSRC2:TGID_X_EN: 1
; COMPUTE_PGM_RSRC2:TGID_Y_EN: 1
; COMPUTE_PGM_RSRC2:TGID_Z_EN: 0
; COMPUTE_PGM_RSRC2:TIDIG_COMP_CNT: 1
; COMPUTE_PGM_RSRC3_GFX90A:ACCUM_OFFSET: 38
; COMPUTE_PGM_RSRC3_GFX90A:TG_SPLIT: 0
	.section	.text._ZN9rocsolver6v33100L18getf2_small_kernelILi25EdiiPKPdEEvT1_T3_lS5_lPS5_llPT2_S5_S5_S7_l,"axG",@progbits,_ZN9rocsolver6v33100L18getf2_small_kernelILi25EdiiPKPdEEvT1_T3_lS5_lPS5_llPT2_S5_S5_S7_l,comdat
	.globl	_ZN9rocsolver6v33100L18getf2_small_kernelILi25EdiiPKPdEEvT1_T3_lS5_lPS5_llPT2_S5_S5_S7_l ; -- Begin function _ZN9rocsolver6v33100L18getf2_small_kernelILi25EdiiPKPdEEvT1_T3_lS5_lPS5_llPT2_S5_S5_S7_l
	.p2align	8
	.type	_ZN9rocsolver6v33100L18getf2_small_kernelILi25EdiiPKPdEEvT1_T3_lS5_lPS5_llPT2_S5_S5_S7_l,@function
_ZN9rocsolver6v33100L18getf2_small_kernelILi25EdiiPKPdEEvT1_T3_lS5_lPS5_llPT2_S5_S5_S7_l: ; @_ZN9rocsolver6v33100L18getf2_small_kernelILi25EdiiPKPdEEvT1_T3_lS5_lPS5_llPT2_S5_S5_S7_l
; %bb.0:
	s_load_dword s0, s[4:5], 0x6c
	s_load_dwordx2 s[12:13], s[4:5], 0x48
	v_bfe_u32 v54, v0, 10, 10
	s_waitcnt lgkmcnt(0)
	s_lshr_b32 s0, s0, 16
	s_mul_i32 s7, s7, s0
	v_add_u32_e32 v2, s7, v54
	v_cmp_gt_i32_e32 vcc, s12, v2
	s_and_saveexec_b64 s[0:1], vcc
	s_cbranch_execz .LBB48_422
; %bb.1:
	s_load_dwordx4 s[0:3], s[4:5], 0x8
	s_load_dwordx4 s[8:11], s[4:5], 0x50
	v_ashrrev_i32_e32 v3, 31, v2
	v_lshlrev_b64 v[4:5], 3, v[2:3]
	v_pk_mov_b32 v[50:51], 0, 0
	s_waitcnt lgkmcnt(0)
	v_mov_b32_e32 v1, s1
	v_add_co_u32_e32 v4, vcc, s0, v4
	v_addc_co_u32_e32 v5, vcc, v1, v5, vcc
	global_load_dwordx2 v[4:5], v[4:5], off
	s_cmp_eq_u64 s[8:9], 0
	s_cselect_b64 s[6:7], -1, 0
	s_and_b64 vcc, exec, s[6:7]
	s_cbranch_vccnz .LBB48_3
; %bb.2:
	v_mul_lo_u32 v1, v3, s10
	v_mul_lo_u32 v8, v2, s11
	v_mad_u64_u32 v[6:7], s[0:1], v2, s10, 0
	v_add3_u32 v7, v7, v8, v1
	v_lshlrev_b64 v[6:7], 2, v[6:7]
	v_mov_b32_e32 v1, s9
	v_add_co_u32_e32 v50, vcc, s8, v6
	v_addc_co_u32_e32 v51, vcc, v1, v7, vcc
.LBB48_3:
	s_load_dword s8, s[4:5], 0x18
	s_load_dword s12, s[4:5], 0x0
	s_lshl_b64 s[0:1], s[2:3], 3
	v_mov_b32_e32 v1, s1
	s_waitcnt vmcnt(0)
	v_add_co_u32_e32 v60, vcc, s0, v4
	v_and_b32_e32 v62, 0x3ff, v0
	v_addc_co_u32_e32 v61, vcc, v5, v1, vcc
	v_lshlrev_b32_e32 v55, 3, v62
	v_add_co_u32_e32 v4, vcc, v60, v55
	s_waitcnt lgkmcnt(0)
	s_ashr_i32 s9, s8, 31
	v_addc_co_u32_e32 v5, vcc, 0, v61, vcc
	s_lshl_b64 s[10:11], s[8:9], 3
	v_mov_b32_e32 v0, s11
	v_add_co_u32_e32 v8, vcc, s10, v4
	s_add_i32 s9, s8, s8
	v_addc_co_u32_e32 v9, vcc, v5, v0, vcc
	v_add_u32_e32 v0, s9, v62
	v_ashrrev_i32_e32 v1, 31, v0
	v_lshlrev_b64 v[6:7], 3, v[0:1]
	v_add_u32_e32 v14, s8, v0
	v_add_co_u32_e32 v10, vcc, v60, v6
	v_ashrrev_i32_e32 v15, 31, v14
	v_addc_co_u32_e32 v11, vcc, v61, v7, vcc
	v_lshlrev_b64 v[0:1], 3, v[14:15]
	v_add_co_u32_e32 v16, vcc, v60, v0
	v_addc_co_u32_e32 v17, vcc, v61, v1, vcc
	global_load_dwordx2 v[18:19], v[4:5], off
	global_load_dwordx2 v[12:13], v[8:9], off
	global_load_dwordx2 v[6:7], v[10:11], off
	global_load_dwordx2 v[0:1], v[16:17], off
	v_add_u32_e32 v4, s8, v14
	v_ashrrev_i32_e32 v5, 31, v4
	v_lshlrev_b64 v[8:9], 3, v[4:5]
	v_add_u32_e32 v4, s8, v4
	v_add_co_u32_e32 v8, vcc, v60, v8
	v_ashrrev_i32_e32 v5, 31, v4
	v_addc_co_u32_e32 v9, vcc, v61, v9, vcc
	v_lshlrev_b64 v[10:11], 3, v[4:5]
	v_add_u32_e32 v4, s8, v4
	v_add_co_u32_e32 v14, vcc, v60, v10
	v_ashrrev_i32_e32 v5, 31, v4
	v_addc_co_u32_e32 v15, vcc, v61, v11, vcc
	v_lshlrev_b64 v[10:11], 3, v[4:5]
	v_add_u32_e32 v22, s8, v4
	v_add_co_u32_e32 v16, vcc, v60, v10
	v_ashrrev_i32_e32 v23, 31, v22
	v_addc_co_u32_e32 v17, vcc, v61, v11, vcc
	v_lshlrev_b64 v[4:5], 3, v[22:23]
	v_add_co_u32_e32 v24, vcc, v60, v4
	v_addc_co_u32_e32 v25, vcc, v61, v5, vcc
	global_load_dwordx2 v[28:29], v[8:9], off
	global_load_dwordx2 v[20:21], v[14:15], off
	global_load_dwordx2 v[10:11], v[16:17], off
	global_load_dwordx2 v[4:5], v[24:25], off
	v_add_u32_e32 v8, s8, v22
	v_ashrrev_i32_e32 v9, 31, v8
	v_lshlrev_b64 v[14:15], 3, v[8:9]
	v_add_u32_e32 v8, s8, v8
	v_add_co_u32_e32 v14, vcc, v60, v14
	v_ashrrev_i32_e32 v9, 31, v8
	v_addc_co_u32_e32 v15, vcc, v61, v15, vcc
	v_lshlrev_b64 v[16:17], 3, v[8:9]
	v_add_u32_e32 v8, s8, v8
	v_add_co_u32_e32 v22, vcc, v60, v16
	v_ashrrev_i32_e32 v9, 31, v8
	v_addc_co_u32_e32 v23, vcc, v61, v17, vcc
	;; [unrolled: 24-line block ×5, first 2 shown]
	v_lshlrev_b64 v[38:39], 3, v[30:31]
	v_add_u32_e32 v64, s8, v30
	v_add_co_u32_e32 v58, vcc, v60, v38
	v_ashrrev_i32_e32 v65, 31, v64
	v_addc_co_u32_e32 v59, vcc, v61, v39, vcc
	v_lshlrev_b64 v[30:31], 3, v[64:65]
	v_add_co_u32_e32 v66, vcc, v60, v30
	v_addc_co_u32_e32 v67, vcc, v61, v31, vcc
	global_load_dwordx2 v[48:49], v[52:53], off
	global_load_dwordx2 v[44:45], v[56:57], off
	;; [unrolled: 1-line block ×4, first 2 shown]
	v_add_u32_e32 v52, s8, v64
	v_ashrrev_i32_e32 v53, 31, v52
	v_lshlrev_b64 v[52:53], 3, v[52:53]
	v_add_co_u32_e32 v52, vcc, v60, v52
	v_addc_co_u32_e32 v53, vcc, v61, v53, vcc
	global_load_dwordx2 v[52:53], v[52:53], off
	s_max_i32 s0, s12, 25
	v_mul_lo_u32 v57, s0, v54
	v_lshl_add_u32 v58, v57, 3, 0
	v_add_u32_e32 v54, v58, v55
	s_waitcnt vmcnt(24)
	ds_write_b64 v54, v[18:19]
	s_waitcnt lgkmcnt(0)
	s_barrier
	ds_read_b64 v[54:55], v58
	v_mov_b32_e32 v56, 0
	s_cmp_lt_i32 s12, 2
	v_lshlrev_b32_e32 v63, 3, v57
	s_cbranch_scc1 .LBB48_6
; %bb.4:
	v_add3_u32 v57, v63, 0, 8
	s_mov_b32 s0, 1
	v_mov_b32_e32 v56, 0
.LBB48_5:                               ; =>This Inner Loop Header: Depth=1
	ds_read_b64 v[64:65], v57
	v_mov_b32_e32 v59, s0
	s_add_i32 s0, s0, 1
	v_add_u32_e32 v57, 8, v57
	s_cmp_eq_u32 s12, s0
	s_waitcnt lgkmcnt(0)
	v_cmp_lt_f64_e64 vcc, |v[54:55]|, |v[64:65]|
	v_cndmask_b32_e32 v55, v55, v65, vcc
	v_cndmask_b32_e32 v54, v54, v64, vcc
	;; [unrolled: 1-line block ×3, first 2 shown]
	s_cbranch_scc0 .LBB48_5
.LBB48_6:
	v_cmp_ne_u32_e32 vcc, v62, v56
                                        ; implicit-def: $vgpr59
	s_and_saveexec_b64 s[0:1], vcc
	s_xor_b64 s[0:1], exec, s[0:1]
	s_cbranch_execz .LBB48_12
; %bb.7:
	v_cmp_eq_u32_e32 vcc, 0, v62
	s_and_saveexec_b64 s[2:3], vcc
	s_cbranch_execz .LBB48_11
; %bb.8:
	v_cmp_ne_u32_e32 vcc, 0, v56
	s_xor_b64 s[14:15], s[6:7], -1
	s_and_b64 s[16:17], s[14:15], vcc
	s_and_saveexec_b64 s[14:15], s[16:17]
	s_cbranch_execz .LBB48_10
; %bb.9:
	v_ashrrev_i32_e32 v57, 31, v56
	v_lshlrev_b64 v[64:65], 2, v[56:57]
	v_add_co_u32_e32 v64, vcc, v50, v64
	v_addc_co_u32_e32 v65, vcc, v51, v65, vcc
	flat_load_dword v57, v[64:65]
	flat_load_dword v59, v[50:51]
	s_waitcnt vmcnt(0) lgkmcnt(0)
	flat_store_dword v[50:51], v57
	flat_store_dword v[64:65], v59
.LBB48_10:
	s_or_b64 exec, exec, s[14:15]
	v_mov_b32_e32 v62, v56
.LBB48_11:
	s_or_b64 exec, exec, s[2:3]
	v_mov_b32_e32 v59, v62
                                        ; implicit-def: $vgpr62
.LBB48_12:
	s_or_saveexec_b64 s[0:1], s[0:1]
	v_mov_b32_e32 v57, v59
	s_xor_b64 exec, exec, s[0:1]
	s_cbranch_execz .LBB48_14
; %bb.13:
	v_mov_b32_e32 v59, 0
	v_mov_b32_e32 v57, v62
	s_waitcnt vmcnt(0)
	ds_write2_b64 v58, v[12:13], v[6:7] offset0:1 offset1:2
	ds_write2_b64 v58, v[0:1], v[28:29] offset0:3 offset1:4
	;; [unrolled: 1-line block ×12, first 2 shown]
.LBB48_14:
	s_or_b64 exec, exec, s[0:1]
	s_waitcnt lgkmcnt(0)
	v_cmp_eq_f64_e64 s[0:1], 0, v[54:55]
	v_cmp_lt_i32_e32 vcc, 0, v59
	s_barrier
	s_and_saveexec_b64 s[2:3], vcc
	s_cbranch_execz .LBB48_16
; %bb.15:
	v_div_scale_f64 v[64:65], s[14:15], v[54:55], v[54:55], 1.0
	v_rcp_f64_e32 v[66:67], v[64:65]
	v_div_scale_f64 v[68:69], vcc, 1.0, v[54:55], 1.0
	ds_read2_b64 v[72:75], v58 offset0:5 offset1:6
	v_fma_f64 v[70:71], -v[64:65], v[66:67], 1.0
	v_fmac_f64_e32 v[66:67], v[66:67], v[70:71]
	v_fma_f64 v[70:71], -v[64:65], v[66:67], 1.0
	v_fmac_f64_e32 v[66:67], v[66:67], v[70:71]
	v_mul_f64 v[70:71], v[68:69], v[66:67]
	v_fma_f64 v[64:65], -v[64:65], v[70:71], v[68:69]
	v_div_fmas_f64 v[64:65], v[64:65], v[66:67], v[70:71]
	v_div_fixup_f64 v[68:69], v[64:65], v[54:55], 1.0
	ds_read2_b64 v[64:67], v58 offset0:1 offset1:2
	v_cndmask_b32_e64 v55, v69, v55, s[0:1]
	v_cndmask_b32_e64 v54, v68, v54, s[0:1]
	ds_read2_b64 v[68:71], v58 offset0:3 offset1:4
	v_mul_f64 v[18:19], v[54:55], v[18:19]
	s_waitcnt vmcnt(0) lgkmcnt(0)
	v_fma_f64 v[12:13], -v[18:19], v[64:65], v[12:13]
	v_fma_f64 v[6:7], -v[18:19], v[66:67], v[6:7]
	ds_read2_b64 v[64:67], v58 offset0:7 offset1:8
	v_fma_f64 v[0:1], -v[18:19], v[68:69], v[0:1]
	v_fma_f64 v[28:29], -v[18:19], v[70:71], v[28:29]
	;; [unrolled: 1-line block ×3, first 2 shown]
	ds_read2_b64 v[68:71], v58 offset0:9 offset1:10
	v_fma_f64 v[10:11], -v[18:19], v[74:75], v[10:11]
	ds_read2_b64 v[72:75], v58 offset0:11 offset1:12
	s_waitcnt lgkmcnt(2)
	v_fma_f64 v[4:5], -v[18:19], v[64:65], v[4:5]
	v_fma_f64 v[36:37], -v[18:19], v[66:67], v[36:37]
	s_waitcnt lgkmcnt(1)
	v_fma_f64 v[26:27], -v[18:19], v[68:69], v[26:27]
	ds_read2_b64 v[64:67], v58 offset0:13 offset1:14
	v_fma_f64 v[16:17], -v[18:19], v[70:71], v[16:17]
	ds_read2_b64 v[68:71], v58 offset0:15 offset1:16
	s_waitcnt lgkmcnt(2)
	v_fma_f64 v[8:9], -v[18:19], v[72:73], v[8:9]
	v_fma_f64 v[42:43], -v[18:19], v[74:75], v[42:43]
	ds_read2_b64 v[72:75], v58 offset0:17 offset1:18
	s_waitcnt lgkmcnt(2)
	v_fma_f64 v[34:35], -v[18:19], v[64:65], v[34:35]
	;; [unrolled: 4-line block ×3, first 2 shown]
	v_fma_f64 v[46:47], -v[18:19], v[70:71], v[46:47]
	s_waitcnt lgkmcnt(1)
	v_fma_f64 v[40:41], -v[18:19], v[72:73], v[40:41]
	ds_read2_b64 v[68:71], v58 offset0:21 offset1:22
	v_fma_f64 v[32:33], -v[18:19], v[74:75], v[32:33]
	ds_read2_b64 v[72:75], v58 offset0:23 offset1:24
	s_waitcnt lgkmcnt(2)
	v_fma_f64 v[22:23], -v[18:19], v[64:65], v[22:23]
	v_fma_f64 v[48:49], -v[18:19], v[66:67], v[48:49]
	s_waitcnt lgkmcnt(1)
	v_fma_f64 v[44:45], -v[18:19], v[68:69], v[44:45]
	v_fma_f64 v[38:39], -v[18:19], v[70:71], v[38:39]
	;; [unrolled: 3-line block ×3, first 2 shown]
.LBB48_16:
	s_or_b64 exec, exec, s[2:3]
	v_lshl_add_u32 v54, v59, 3, v58
	s_barrier
	s_waitcnt vmcnt(0)
	ds_write_b64 v54, v[12:13]
	s_waitcnt lgkmcnt(0)
	s_barrier
	ds_read_b64 v[54:55], v58 offset:8
	s_cmp_lt_i32 s12, 3
	v_mov_b32_e32 v56, 1
	s_cbranch_scc1 .LBB48_19
; %bb.17:
	v_add3_u32 v62, v63, 0, 16
	s_mov_b32 s2, 2
	v_mov_b32_e32 v56, 1
.LBB48_18:                              ; =>This Inner Loop Header: Depth=1
	ds_read_b64 v[64:65], v62
	v_mov_b32_e32 v66, s2
	s_add_i32 s2, s2, 1
	v_add_u32_e32 v62, 8, v62
	s_cmp_lg_u32 s12, s2
	s_waitcnt lgkmcnt(0)
	v_cmp_lt_f64_e64 vcc, |v[54:55]|, |v[64:65]|
	v_cndmask_b32_e32 v55, v55, v65, vcc
	v_cndmask_b32_e32 v54, v54, v64, vcc
	;; [unrolled: 1-line block ×3, first 2 shown]
	s_cbranch_scc1 .LBB48_18
.LBB48_19:
	v_cmp_ne_u32_e32 vcc, v59, v56
	s_and_saveexec_b64 s[2:3], vcc
	s_xor_b64 s[2:3], exec, s[2:3]
	s_cbranch_execz .LBB48_25
; %bb.20:
	v_cmp_eq_u32_e32 vcc, 1, v59
	s_and_saveexec_b64 s[14:15], vcc
	s_cbranch_execz .LBB48_24
; %bb.21:
	v_cmp_ne_u32_e32 vcc, 1, v56
	s_xor_b64 s[16:17], s[6:7], -1
	s_and_b64 s[18:19], s[16:17], vcc
	s_and_saveexec_b64 s[16:17], s[18:19]
	s_cbranch_execz .LBB48_23
; %bb.22:
	v_ashrrev_i32_e32 v57, 31, v56
	v_lshlrev_b64 v[64:65], 2, v[56:57]
	v_add_co_u32_e32 v64, vcc, v50, v64
	v_addc_co_u32_e32 v65, vcc, v51, v65, vcc
	flat_load_dword v57, v[64:65]
	flat_load_dword v59, v[50:51] offset:4
	s_waitcnt vmcnt(0) lgkmcnt(0)
	flat_store_dword v[50:51], v57 offset:4
	flat_store_dword v[64:65], v59
.LBB48_23:
	s_or_b64 exec, exec, s[16:17]
	v_mov_b32_e32 v57, v56
	v_mov_b32_e32 v59, v56
.LBB48_24:
	s_or_b64 exec, exec, s[14:15]
.LBB48_25:
	s_andn2_saveexec_b64 s[2:3], s[2:3]
	s_cbranch_execz .LBB48_27
; %bb.26:
	v_mov_b32_e32 v64, v6
	v_mov_b32_e32 v65, v7
	v_mov_b32_e32 v66, v0
	v_mov_b32_e32 v67, v1
	ds_write2_b64 v58, v[64:65], v[66:67] offset0:2 offset1:3
	v_mov_b32_e32 v64, v28
	v_mov_b32_e32 v65, v29
	v_mov_b32_e32 v66, v20
	v_mov_b32_e32 v67, v21
	ds_write2_b64 v58, v[64:65], v[66:67] offset0:4 offset1:5
	v_mov_b32_e32 v64, v10
	v_mov_b32_e32 v65, v11
	v_mov_b32_e32 v66, v4
	v_mov_b32_e32 v67, v5
	ds_write2_b64 v58, v[64:65], v[66:67] offset0:6 offset1:7
	v_mov_b32_e32 v64, v36
	v_mov_b32_e32 v65, v37
	v_mov_b32_e32 v66, v26
	v_mov_b32_e32 v67, v27
	ds_write2_b64 v58, v[64:65], v[66:67] offset0:8 offset1:9
	v_mov_b32_e32 v64, v16
	v_mov_b32_e32 v65, v17
	v_mov_b32_e32 v66, v8
	v_mov_b32_e32 v67, v9
	ds_write2_b64 v58, v[64:65], v[66:67] offset0:10 offset1:11
	v_mov_b32_e32 v64, v42
	v_mov_b32_e32 v65, v43
	v_mov_b32_e32 v66, v34
	v_mov_b32_e32 v67, v35
	ds_write2_b64 v58, v[64:65], v[66:67] offset0:12 offset1:13
	v_mov_b32_e32 v64, v24
	v_mov_b32_e32 v65, v25
	v_mov_b32_e32 v66, v14
	v_mov_b32_e32 v67, v15
	ds_write2_b64 v58, v[64:65], v[66:67] offset0:14 offset1:15
	v_mov_b32_e32 v64, v46
	v_mov_b32_e32 v65, v47
	v_mov_b32_e32 v66, v40
	v_mov_b32_e32 v67, v41
	ds_write2_b64 v58, v[64:65], v[66:67] offset0:16 offset1:17
	v_mov_b32_e32 v64, v32
	v_mov_b32_e32 v65, v33
	v_mov_b32_e32 v66, v22
	v_mov_b32_e32 v67, v23
	ds_write2_b64 v58, v[64:65], v[66:67] offset0:18 offset1:19
	v_mov_b32_e32 v64, v48
	v_mov_b32_e32 v65, v49
	v_mov_b32_e32 v66, v44
	v_mov_b32_e32 v67, v45
	ds_write2_b64 v58, v[64:65], v[66:67] offset0:20 offset1:21
	v_mov_b32_e32 v64, v38
	v_mov_b32_e32 v65, v39
	;; [unrolled: 1-line block ×5, first 2 shown]
	ds_write2_b64 v58, v[64:65], v[66:67] offset0:22 offset1:23
	ds_write_b64 v58, v[52:53] offset:192
.LBB48_27:
	s_or_b64 exec, exec, s[2:3]
	s_waitcnt lgkmcnt(0)
	v_cmp_neq_f64_e64 s[2:3], 0, v[54:55]
	v_cmp_lt_i32_e32 vcc, 1, v59
	s_barrier
	s_and_saveexec_b64 s[14:15], vcc
	s_cbranch_execz .LBB48_29
; %bb.28:
	v_div_scale_f64 v[64:65], s[16:17], v[54:55], v[54:55], 1.0
	v_rcp_f64_e32 v[66:67], v[64:65]
	v_div_scale_f64 v[68:69], vcc, 1.0, v[54:55], 1.0
	ds_read2_b64 v[72:75], v58 offset0:6 offset1:7
	v_fma_f64 v[70:71], -v[64:65], v[66:67], 1.0
	v_fmac_f64_e32 v[66:67], v[66:67], v[70:71]
	v_fma_f64 v[70:71], -v[64:65], v[66:67], 1.0
	v_fmac_f64_e32 v[66:67], v[66:67], v[70:71]
	v_mul_f64 v[70:71], v[68:69], v[66:67]
	v_fma_f64 v[64:65], -v[64:65], v[70:71], v[68:69]
	v_div_fmas_f64 v[64:65], v[64:65], v[66:67], v[70:71]
	v_div_fixup_f64 v[68:69], v[64:65], v[54:55], 1.0
	ds_read2_b64 v[64:67], v58 offset0:2 offset1:3
	v_cndmask_b32_e64 v55, v55, v69, s[2:3]
	v_cndmask_b32_e64 v54, v54, v68, s[2:3]
	ds_read2_b64 v[68:71], v58 offset0:4 offset1:5
	v_mul_f64 v[12:13], v[54:55], v[12:13]
	s_waitcnt lgkmcnt(0)
	v_fma_f64 v[6:7], -v[12:13], v[64:65], v[6:7]
	v_fma_f64 v[0:1], -v[12:13], v[66:67], v[0:1]
	ds_read2_b64 v[64:67], v58 offset0:8 offset1:9
	v_fma_f64 v[28:29], -v[12:13], v[68:69], v[28:29]
	v_fma_f64 v[20:21], -v[12:13], v[70:71], v[20:21]
	ds_read2_b64 v[68:71], v58 offset0:10 offset1:11
	;; [unrolled: 3-line block ×3, first 2 shown]
	s_waitcnt lgkmcnt(0)
	v_fma_f64 v[36:37], -v[12:13], v[64:65], v[36:37]
	v_fma_f64 v[26:27], -v[12:13], v[66:67], v[26:27]
	;; [unrolled: 1-line block ×3, first 2 shown]
	ds_read2_b64 v[64:67], v58 offset0:14 offset1:15
	v_fma_f64 v[8:9], -v[12:13], v[70:71], v[8:9]
	ds_read2_b64 v[68:71], v58 offset0:16 offset1:17
	v_fma_f64 v[42:43], -v[12:13], v[72:73], v[42:43]
	v_fma_f64 v[34:35], -v[12:13], v[74:75], v[34:35]
	s_waitcnt lgkmcnt(0)
	v_fma_f64 v[24:25], -v[12:13], v[64:65], v[24:25]
	ds_read2_b64 v[72:75], v58 offset0:18 offset1:19
	v_fma_f64 v[14:15], -v[12:13], v[66:67], v[14:15]
	ds_read2_b64 v[64:67], v58 offset0:20 offset1:21
	v_fma_f64 v[46:47], -v[12:13], v[68:69], v[46:47]
	v_fma_f64 v[40:41], -v[12:13], v[70:71], v[40:41]
	ds_read2_b64 v[68:71], v58 offset0:22 offset1:23
	ds_read_b64 v[54:55], v58 offset:192
	s_waitcnt lgkmcnt(0)
	v_fma_f64 v[32:33], -v[12:13], v[72:73], v[32:33]
	v_fma_f64 v[22:23], -v[12:13], v[74:75], v[22:23]
	;; [unrolled: 1-line block ×7, first 2 shown]
.LBB48_29:
	s_or_b64 exec, exec, s[14:15]
	v_lshl_add_u32 v54, v59, 3, v58
	s_barrier
	ds_write_b64 v54, v[6:7]
	s_waitcnt lgkmcnt(0)
	s_barrier
	ds_read_b64 v[54:55], v58 offset:16
	s_mov_b32 s14, 3
	s_cmp_lt_i32 s12, 4
	v_mov_b32_e32 v56, 2
	s_cbranch_scc1 .LBB48_32
; %bb.30:
	v_add3_u32 v62, v63, 0, 24
	v_mov_b32_e32 v56, 2
.LBB48_31:                              ; =>This Inner Loop Header: Depth=1
	ds_read_b64 v[64:65], v62
	v_mov_b32_e32 v66, s14
	s_add_i32 s14, s14, 1
	v_add_u32_e32 v62, 8, v62
	s_cmp_lg_u32 s12, s14
	s_waitcnt lgkmcnt(0)
	v_cmp_lt_f64_e64 vcc, |v[54:55]|, |v[64:65]|
	v_cndmask_b32_e32 v55, v55, v65, vcc
	v_cndmask_b32_e32 v54, v54, v64, vcc
	v_cndmask_b32_e32 v56, v56, v66, vcc
	s_cbranch_scc1 .LBB48_31
.LBB48_32:
	v_cndmask_b32_e64 v62, 2, 1, s[0:1]
	v_cndmask_b32_e64 v64, 0, 1, s[0:1]
	;; [unrolled: 1-line block ×3, first 2 shown]
	s_waitcnt lgkmcnt(0)
	v_cmp_eq_f64_e32 vcc, 0, v[54:55]
	s_and_saveexec_b64 s[0:1], vcc
	s_xor_b64 s[0:1], exec, s[0:1]
; %bb.33:
	v_cmp_ne_u32_e32 vcc, 0, v62
	v_cndmask_b32_e32 v62, 3, v62, vcc
; %bb.34:
	s_andn2_saveexec_b64 s[0:1], s[0:1]
; %bb.35:
	v_div_scale_f64 v[64:65], s[2:3], v[54:55], v[54:55], 1.0
	v_rcp_f64_e32 v[66:67], v[64:65]
	v_div_scale_f64 v[68:69], vcc, 1.0, v[54:55], 1.0
	v_fma_f64 v[70:71], -v[64:65], v[66:67], 1.0
	v_fmac_f64_e32 v[66:67], v[66:67], v[70:71]
	v_fma_f64 v[70:71], -v[64:65], v[66:67], 1.0
	v_fmac_f64_e32 v[66:67], v[66:67], v[70:71]
	v_mul_f64 v[70:71], v[68:69], v[66:67]
	v_fma_f64 v[64:65], -v[64:65], v[70:71], v[68:69]
	v_div_fmas_f64 v[64:65], v[64:65], v[66:67], v[70:71]
	v_div_fixup_f64 v[54:55], v[64:65], v[54:55], 1.0
; %bb.36:
	s_or_b64 exec, exec, s[0:1]
	v_cmp_ne_u32_e32 vcc, v59, v56
	s_and_saveexec_b64 s[0:1], vcc
	s_xor_b64 s[0:1], exec, s[0:1]
	s_cbranch_execz .LBB48_42
; %bb.37:
	v_cmp_eq_u32_e32 vcc, 2, v59
	s_and_saveexec_b64 s[2:3], vcc
	s_cbranch_execz .LBB48_41
; %bb.38:
	v_cmp_ne_u32_e32 vcc, 2, v56
	s_xor_b64 s[14:15], s[6:7], -1
	s_and_b64 s[16:17], s[14:15], vcc
	s_and_saveexec_b64 s[14:15], s[16:17]
	s_cbranch_execz .LBB48_40
; %bb.39:
	v_ashrrev_i32_e32 v57, 31, v56
	v_lshlrev_b64 v[64:65], 2, v[56:57]
	v_add_co_u32_e32 v64, vcc, v50, v64
	v_addc_co_u32_e32 v65, vcc, v51, v65, vcc
	flat_load_dword v57, v[64:65]
	flat_load_dword v59, v[50:51] offset:8
	s_waitcnt vmcnt(0) lgkmcnt(0)
	flat_store_dword v[50:51], v57 offset:8
	flat_store_dword v[64:65], v59
.LBB48_40:
	s_or_b64 exec, exec, s[14:15]
	v_mov_b32_e32 v57, v56
	v_mov_b32_e32 v59, v56
.LBB48_41:
	s_or_b64 exec, exec, s[2:3]
.LBB48_42:
	s_andn2_saveexec_b64 s[0:1], s[0:1]
	s_cbranch_execz .LBB48_44
; %bb.43:
	v_mov_b32_e32 v59, 2
	ds_write2_b64 v58, v[0:1], v[28:29] offset0:3 offset1:4
	ds_write2_b64 v58, v[20:21], v[10:11] offset0:5 offset1:6
	;; [unrolled: 1-line block ×11, first 2 shown]
.LBB48_44:
	s_or_b64 exec, exec, s[0:1]
	v_cmp_lt_i32_e32 vcc, 2, v59
	s_waitcnt lgkmcnt(0)
	s_barrier
	s_and_saveexec_b64 s[0:1], vcc
	s_cbranch_execz .LBB48_46
; %bb.45:
	ds_read2_b64 v[64:67], v58 offset0:3 offset1:4
	ds_read2_b64 v[68:71], v58 offset0:5 offset1:6
	v_mul_f64 v[6:7], v[54:55], v[6:7]
	ds_read2_b64 v[72:75], v58 offset0:7 offset1:8
	s_waitcnt lgkmcnt(0)
	v_fma_f64 v[0:1], -v[6:7], v[64:65], v[0:1]
	v_fma_f64 v[28:29], -v[6:7], v[66:67], v[28:29]
	ds_read2_b64 v[64:67], v58 offset0:9 offset1:10
	v_fma_f64 v[20:21], -v[6:7], v[68:69], v[20:21]
	v_fma_f64 v[10:11], -v[6:7], v[70:71], v[10:11]
	ds_read2_b64 v[68:71], v58 offset0:11 offset1:12
	;; [unrolled: 3-line block ×3, first 2 shown]
	s_waitcnt lgkmcnt(0)
	v_fma_f64 v[26:27], -v[6:7], v[64:65], v[26:27]
	v_fma_f64 v[16:17], -v[6:7], v[66:67], v[16:17]
	;; [unrolled: 1-line block ×3, first 2 shown]
	ds_read2_b64 v[64:67], v58 offset0:15 offset1:16
	v_fma_f64 v[42:43], -v[6:7], v[70:71], v[42:43]
	ds_read2_b64 v[68:71], v58 offset0:17 offset1:18
	v_fma_f64 v[34:35], -v[6:7], v[72:73], v[34:35]
	v_fma_f64 v[24:25], -v[6:7], v[74:75], v[24:25]
	s_waitcnt lgkmcnt(0)
	v_fma_f64 v[14:15], -v[6:7], v[64:65], v[14:15]
	v_fma_f64 v[46:47], -v[6:7], v[66:67], v[46:47]
	ds_read2_b64 v[64:67], v58 offset0:19 offset1:20
	ds_read2_b64 v[72:75], v58 offset0:21 offset1:22
	v_fma_f64 v[40:41], -v[6:7], v[68:69], v[40:41]
	v_fma_f64 v[32:33], -v[6:7], v[70:71], v[32:33]
	ds_read2_b64 v[68:71], v58 offset0:23 offset1:24
	s_waitcnt lgkmcnt(0)
	v_fma_f64 v[22:23], -v[6:7], v[64:65], v[22:23]
	v_fma_f64 v[48:49], -v[6:7], v[66:67], v[48:49]
	;; [unrolled: 1-line block ×6, first 2 shown]
.LBB48_46:
	s_or_b64 exec, exec, s[0:1]
	v_lshl_add_u32 v54, v59, 3, v58
	s_barrier
	ds_write_b64 v54, v[0:1]
	s_waitcnt lgkmcnt(0)
	s_barrier
	ds_read_b64 v[54:55], v58 offset:24
	s_cmp_lt_i32 s12, 5
	v_mov_b32_e32 v56, 3
	s_cbranch_scc1 .LBB48_49
; %bb.47:
	v_add3_u32 v64, v63, 0, 32
	s_mov_b32 s0, 4
	v_mov_b32_e32 v56, 3
.LBB48_48:                              ; =>This Inner Loop Header: Depth=1
	ds_read_b64 v[66:67], v64
	v_mov_b32_e32 v65, s0
	s_add_i32 s0, s0, 1
	v_add_u32_e32 v64, 8, v64
	s_cmp_lg_u32 s12, s0
	s_waitcnt lgkmcnt(0)
	v_cmp_lt_f64_e64 vcc, |v[54:55]|, |v[66:67]|
	v_cndmask_b32_e32 v55, v55, v67, vcc
	v_cndmask_b32_e32 v54, v54, v66, vcc
	;; [unrolled: 1-line block ×3, first 2 shown]
	s_cbranch_scc1 .LBB48_48
.LBB48_49:
	s_waitcnt lgkmcnt(0)
	v_cmp_eq_f64_e32 vcc, 0, v[54:55]
	s_and_saveexec_b64 s[0:1], vcc
	s_xor_b64 s[0:1], exec, s[0:1]
; %bb.50:
	v_cmp_ne_u32_e32 vcc, 0, v62
	v_cndmask_b32_e32 v62, 4, v62, vcc
; %bb.51:
	s_andn2_saveexec_b64 s[0:1], s[0:1]
; %bb.52:
	v_div_scale_f64 v[64:65], s[2:3], v[54:55], v[54:55], 1.0
	v_rcp_f64_e32 v[66:67], v[64:65]
	v_div_scale_f64 v[68:69], vcc, 1.0, v[54:55], 1.0
	v_fma_f64 v[70:71], -v[64:65], v[66:67], 1.0
	v_fmac_f64_e32 v[66:67], v[66:67], v[70:71]
	v_fma_f64 v[70:71], -v[64:65], v[66:67], 1.0
	v_fmac_f64_e32 v[66:67], v[66:67], v[70:71]
	v_mul_f64 v[70:71], v[68:69], v[66:67]
	v_fma_f64 v[64:65], -v[64:65], v[70:71], v[68:69]
	v_div_fmas_f64 v[64:65], v[64:65], v[66:67], v[70:71]
	v_div_fixup_f64 v[54:55], v[64:65], v[54:55], 1.0
; %bb.53:
	s_or_b64 exec, exec, s[0:1]
	v_cmp_ne_u32_e32 vcc, v59, v56
	s_and_saveexec_b64 s[0:1], vcc
	s_xor_b64 s[0:1], exec, s[0:1]
	s_cbranch_execz .LBB48_59
; %bb.54:
	v_cmp_eq_u32_e32 vcc, 3, v59
	s_and_saveexec_b64 s[2:3], vcc
	s_cbranch_execz .LBB48_58
; %bb.55:
	v_cmp_ne_u32_e32 vcc, 3, v56
	s_xor_b64 s[14:15], s[6:7], -1
	s_and_b64 s[16:17], s[14:15], vcc
	s_and_saveexec_b64 s[14:15], s[16:17]
	s_cbranch_execz .LBB48_57
; %bb.56:
	v_ashrrev_i32_e32 v57, 31, v56
	v_lshlrev_b64 v[64:65], 2, v[56:57]
	v_add_co_u32_e32 v64, vcc, v50, v64
	v_addc_co_u32_e32 v65, vcc, v51, v65, vcc
	flat_load_dword v57, v[64:65]
	flat_load_dword v59, v[50:51] offset:12
	s_waitcnt vmcnt(0) lgkmcnt(0)
	flat_store_dword v[50:51], v57 offset:12
	flat_store_dword v[64:65], v59
.LBB48_57:
	s_or_b64 exec, exec, s[14:15]
	v_mov_b32_e32 v57, v56
	v_mov_b32_e32 v59, v56
.LBB48_58:
	s_or_b64 exec, exec, s[2:3]
.LBB48_59:
	s_andn2_saveexec_b64 s[0:1], s[0:1]
	s_cbranch_execz .LBB48_61
; %bb.60:
	v_mov_b32_e32 v64, v28
	v_mov_b32_e32 v65, v29
	v_mov_b32_e32 v66, v20
	v_mov_b32_e32 v67, v21
	ds_write2_b64 v58, v[64:65], v[66:67] offset0:4 offset1:5
	v_mov_b32_e32 v64, v10
	v_mov_b32_e32 v65, v11
	v_mov_b32_e32 v66, v4
	v_mov_b32_e32 v67, v5
	ds_write2_b64 v58, v[64:65], v[66:67] offset0:6 offset1:7
	;; [unrolled: 5-line block ×9, first 2 shown]
	v_mov_b32_e32 v64, v38
	v_mov_b32_e32 v65, v39
	;; [unrolled: 1-line block ×5, first 2 shown]
	ds_write2_b64 v58, v[64:65], v[66:67] offset0:22 offset1:23
	ds_write_b64 v58, v[52:53] offset:192
.LBB48_61:
	s_or_b64 exec, exec, s[0:1]
	v_cmp_lt_i32_e32 vcc, 3, v59
	s_waitcnt lgkmcnt(0)
	s_barrier
	s_and_saveexec_b64 s[0:1], vcc
	s_cbranch_execz .LBB48_63
; %bb.62:
	ds_read2_b64 v[64:67], v58 offset0:4 offset1:5
	ds_read2_b64 v[68:71], v58 offset0:6 offset1:7
	v_mul_f64 v[0:1], v[54:55], v[0:1]
	ds_read2_b64 v[72:75], v58 offset0:8 offset1:9
	ds_read_b64 v[54:55], v58 offset:192
	s_waitcnt lgkmcnt(0)
	v_fma_f64 v[28:29], -v[0:1], v[64:65], v[28:29]
	v_fma_f64 v[20:21], -v[0:1], v[66:67], v[20:21]
	ds_read2_b64 v[64:67], v58 offset0:10 offset1:11
	v_fma_f64 v[10:11], -v[0:1], v[68:69], v[10:11]
	v_fma_f64 v[4:5], -v[0:1], v[70:71], v[4:5]
	;; [unrolled: 1-line block ×3, first 2 shown]
	ds_read2_b64 v[68:71], v58 offset0:12 offset1:13
	v_fma_f64 v[26:27], -v[0:1], v[74:75], v[26:27]
	ds_read2_b64 v[72:75], v58 offset0:14 offset1:15
	s_waitcnt lgkmcnt(0)
	v_fma_f64 v[16:17], -v[0:1], v[64:65], v[16:17]
	v_fma_f64 v[8:9], -v[0:1], v[66:67], v[8:9]
	ds_read2_b64 v[64:67], v58 offset0:16 offset1:17
	v_fma_f64 v[42:43], -v[0:1], v[68:69], v[42:43]
	v_fma_f64 v[34:35], -v[0:1], v[70:71], v[34:35]
	ds_read2_b64 v[68:71], v58 offset0:18 offset1:19
	v_fma_f64 v[24:25], -v[0:1], v[72:73], v[24:25]
	v_fma_f64 v[14:15], -v[0:1], v[74:75], v[14:15]
	s_waitcnt lgkmcnt(0)
	v_fma_f64 v[46:47], -v[0:1], v[64:65], v[46:47]
	v_fma_f64 v[40:41], -v[0:1], v[66:67], v[40:41]
	ds_read2_b64 v[64:67], v58 offset0:20 offset1:21
	ds_read2_b64 v[72:75], v58 offset0:22 offset1:23
	v_fma_f64 v[32:33], -v[0:1], v[68:69], v[32:33]
	v_fma_f64 v[22:23], -v[0:1], v[70:71], v[22:23]
	;; [unrolled: 1-line block ×3, first 2 shown]
	s_waitcnt lgkmcnt(0)
	v_fma_f64 v[48:49], -v[0:1], v[64:65], v[48:49]
	v_fma_f64 v[44:45], -v[0:1], v[66:67], v[44:45]
	;; [unrolled: 1-line block ×4, first 2 shown]
.LBB48_63:
	s_or_b64 exec, exec, s[0:1]
	v_lshl_add_u32 v54, v59, 3, v58
	s_barrier
	ds_write_b64 v54, v[28:29]
	s_waitcnt lgkmcnt(0)
	s_barrier
	ds_read_b64 v[54:55], v58 offset:32
	s_cmp_lt_i32 s12, 6
	v_mov_b32_e32 v56, 4
	s_cbranch_scc1 .LBB48_66
; %bb.64:
	v_add3_u32 v64, v63, 0, 40
	s_mov_b32 s0, 5
	v_mov_b32_e32 v56, 4
.LBB48_65:                              ; =>This Inner Loop Header: Depth=1
	ds_read_b64 v[66:67], v64
	v_mov_b32_e32 v65, s0
	s_add_i32 s0, s0, 1
	v_add_u32_e32 v64, 8, v64
	s_cmp_lg_u32 s12, s0
	s_waitcnt lgkmcnt(0)
	v_cmp_lt_f64_e64 vcc, |v[54:55]|, |v[66:67]|
	v_cndmask_b32_e32 v55, v55, v67, vcc
	v_cndmask_b32_e32 v54, v54, v66, vcc
	;; [unrolled: 1-line block ×3, first 2 shown]
	s_cbranch_scc1 .LBB48_65
.LBB48_66:
	s_waitcnt lgkmcnt(0)
	v_cmp_eq_f64_e32 vcc, 0, v[54:55]
	s_and_saveexec_b64 s[0:1], vcc
	s_xor_b64 s[0:1], exec, s[0:1]
; %bb.67:
	v_cmp_ne_u32_e32 vcc, 0, v62
	v_cndmask_b32_e32 v62, 5, v62, vcc
; %bb.68:
	s_andn2_saveexec_b64 s[0:1], s[0:1]
; %bb.69:
	v_div_scale_f64 v[64:65], s[2:3], v[54:55], v[54:55], 1.0
	v_rcp_f64_e32 v[66:67], v[64:65]
	v_div_scale_f64 v[68:69], vcc, 1.0, v[54:55], 1.0
	v_fma_f64 v[70:71], -v[64:65], v[66:67], 1.0
	v_fmac_f64_e32 v[66:67], v[66:67], v[70:71]
	v_fma_f64 v[70:71], -v[64:65], v[66:67], 1.0
	v_fmac_f64_e32 v[66:67], v[66:67], v[70:71]
	v_mul_f64 v[70:71], v[68:69], v[66:67]
	v_fma_f64 v[64:65], -v[64:65], v[70:71], v[68:69]
	v_div_fmas_f64 v[64:65], v[64:65], v[66:67], v[70:71]
	v_div_fixup_f64 v[54:55], v[64:65], v[54:55], 1.0
; %bb.70:
	s_or_b64 exec, exec, s[0:1]
	v_cmp_ne_u32_e32 vcc, v59, v56
	s_and_saveexec_b64 s[0:1], vcc
	s_xor_b64 s[0:1], exec, s[0:1]
	s_cbranch_execz .LBB48_76
; %bb.71:
	v_cmp_eq_u32_e32 vcc, 4, v59
	s_and_saveexec_b64 s[2:3], vcc
	s_cbranch_execz .LBB48_75
; %bb.72:
	v_cmp_ne_u32_e32 vcc, 4, v56
	s_xor_b64 s[14:15], s[6:7], -1
	s_and_b64 s[16:17], s[14:15], vcc
	s_and_saveexec_b64 s[14:15], s[16:17]
	s_cbranch_execz .LBB48_74
; %bb.73:
	v_ashrrev_i32_e32 v57, 31, v56
	v_lshlrev_b64 v[64:65], 2, v[56:57]
	v_add_co_u32_e32 v64, vcc, v50, v64
	v_addc_co_u32_e32 v65, vcc, v51, v65, vcc
	flat_load_dword v57, v[64:65]
	flat_load_dword v59, v[50:51] offset:16
	s_waitcnt vmcnt(0) lgkmcnt(0)
	flat_store_dword v[50:51], v57 offset:16
	flat_store_dword v[64:65], v59
.LBB48_74:
	s_or_b64 exec, exec, s[14:15]
	v_mov_b32_e32 v57, v56
	v_mov_b32_e32 v59, v56
.LBB48_75:
	s_or_b64 exec, exec, s[2:3]
.LBB48_76:
	s_andn2_saveexec_b64 s[0:1], s[0:1]
	s_cbranch_execz .LBB48_78
; %bb.77:
	v_mov_b32_e32 v59, 4
	ds_write2_b64 v58, v[20:21], v[10:11] offset0:5 offset1:6
	ds_write2_b64 v58, v[4:5], v[36:37] offset0:7 offset1:8
	;; [unrolled: 1-line block ×10, first 2 shown]
.LBB48_78:
	s_or_b64 exec, exec, s[0:1]
	v_cmp_lt_i32_e32 vcc, 4, v59
	s_waitcnt lgkmcnt(0)
	s_barrier
	s_and_saveexec_b64 s[0:1], vcc
	s_cbranch_execz .LBB48_80
; %bb.79:
	ds_read2_b64 v[64:67], v58 offset0:5 offset1:6
	ds_read2_b64 v[68:71], v58 offset0:7 offset1:8
	v_mul_f64 v[28:29], v[54:55], v[28:29]
	ds_read2_b64 v[72:75], v58 offset0:9 offset1:10
	s_waitcnt lgkmcnt(0)
	v_fma_f64 v[20:21], -v[28:29], v[64:65], v[20:21]
	v_fma_f64 v[10:11], -v[28:29], v[66:67], v[10:11]
	ds_read2_b64 v[64:67], v58 offset0:11 offset1:12
	v_fma_f64 v[4:5], -v[28:29], v[68:69], v[4:5]
	v_fma_f64 v[36:37], -v[28:29], v[70:71], v[36:37]
	;; [unrolled: 1-line block ×3, first 2 shown]
	ds_read2_b64 v[68:71], v58 offset0:13 offset1:14
	v_fma_f64 v[16:17], -v[28:29], v[74:75], v[16:17]
	ds_read2_b64 v[72:75], v58 offset0:15 offset1:16
	s_waitcnt lgkmcnt(0)
	v_fma_f64 v[8:9], -v[28:29], v[64:65], v[8:9]
	v_fma_f64 v[42:43], -v[28:29], v[66:67], v[42:43]
	ds_read2_b64 v[64:67], v58 offset0:17 offset1:18
	v_fma_f64 v[34:35], -v[28:29], v[68:69], v[34:35]
	v_fma_f64 v[24:25], -v[28:29], v[70:71], v[24:25]
	ds_read2_b64 v[68:71], v58 offset0:19 offset1:20
	v_fma_f64 v[14:15], -v[28:29], v[72:73], v[14:15]
	v_fma_f64 v[46:47], -v[28:29], v[74:75], v[46:47]
	s_waitcnt lgkmcnt(0)
	v_fma_f64 v[40:41], -v[28:29], v[64:65], v[40:41]
	ds_read2_b64 v[72:75], v58 offset0:21 offset1:22
	v_fma_f64 v[32:33], -v[28:29], v[66:67], v[32:33]
	ds_read2_b64 v[64:67], v58 offset0:23 offset1:24
	v_fma_f64 v[22:23], -v[28:29], v[68:69], v[22:23]
	v_fma_f64 v[48:49], -v[28:29], v[70:71], v[48:49]
	s_waitcnt lgkmcnt(0)
	v_fma_f64 v[44:45], -v[28:29], v[72:73], v[44:45]
	v_fma_f64 v[38:39], -v[28:29], v[74:75], v[38:39]
	;; [unrolled: 1-line block ×4, first 2 shown]
.LBB48_80:
	s_or_b64 exec, exec, s[0:1]
	v_lshl_add_u32 v54, v59, 3, v58
	s_barrier
	ds_write_b64 v54, v[20:21]
	s_waitcnt lgkmcnt(0)
	s_barrier
	ds_read_b64 v[54:55], v58 offset:40
	s_cmp_lt_i32 s12, 7
	v_mov_b32_e32 v56, 5
	s_cbranch_scc1 .LBB48_83
; %bb.81:
	v_add3_u32 v64, v63, 0, 48
	s_mov_b32 s0, 6
	v_mov_b32_e32 v56, 5
.LBB48_82:                              ; =>This Inner Loop Header: Depth=1
	ds_read_b64 v[66:67], v64
	v_mov_b32_e32 v65, s0
	s_add_i32 s0, s0, 1
	v_add_u32_e32 v64, 8, v64
	s_cmp_lg_u32 s12, s0
	s_waitcnt lgkmcnt(0)
	v_cmp_lt_f64_e64 vcc, |v[54:55]|, |v[66:67]|
	v_cndmask_b32_e32 v55, v55, v67, vcc
	v_cndmask_b32_e32 v54, v54, v66, vcc
	;; [unrolled: 1-line block ×3, first 2 shown]
	s_cbranch_scc1 .LBB48_82
.LBB48_83:
	s_waitcnt lgkmcnt(0)
	v_cmp_eq_f64_e32 vcc, 0, v[54:55]
	s_and_saveexec_b64 s[0:1], vcc
	s_xor_b64 s[0:1], exec, s[0:1]
; %bb.84:
	v_cmp_ne_u32_e32 vcc, 0, v62
	v_cndmask_b32_e32 v62, 6, v62, vcc
; %bb.85:
	s_andn2_saveexec_b64 s[0:1], s[0:1]
; %bb.86:
	v_div_scale_f64 v[64:65], s[2:3], v[54:55], v[54:55], 1.0
	v_rcp_f64_e32 v[66:67], v[64:65]
	v_div_scale_f64 v[68:69], vcc, 1.0, v[54:55], 1.0
	v_fma_f64 v[70:71], -v[64:65], v[66:67], 1.0
	v_fmac_f64_e32 v[66:67], v[66:67], v[70:71]
	v_fma_f64 v[70:71], -v[64:65], v[66:67], 1.0
	v_fmac_f64_e32 v[66:67], v[66:67], v[70:71]
	v_mul_f64 v[70:71], v[68:69], v[66:67]
	v_fma_f64 v[64:65], -v[64:65], v[70:71], v[68:69]
	v_div_fmas_f64 v[64:65], v[64:65], v[66:67], v[70:71]
	v_div_fixup_f64 v[54:55], v[64:65], v[54:55], 1.0
; %bb.87:
	s_or_b64 exec, exec, s[0:1]
	v_cmp_ne_u32_e32 vcc, v59, v56
	s_and_saveexec_b64 s[0:1], vcc
	s_xor_b64 s[0:1], exec, s[0:1]
	s_cbranch_execz .LBB48_93
; %bb.88:
	v_cmp_eq_u32_e32 vcc, 5, v59
	s_and_saveexec_b64 s[2:3], vcc
	s_cbranch_execz .LBB48_92
; %bb.89:
	v_cmp_ne_u32_e32 vcc, 5, v56
	s_xor_b64 s[14:15], s[6:7], -1
	s_and_b64 s[16:17], s[14:15], vcc
	s_and_saveexec_b64 s[14:15], s[16:17]
	s_cbranch_execz .LBB48_91
; %bb.90:
	v_ashrrev_i32_e32 v57, 31, v56
	v_lshlrev_b64 v[64:65], 2, v[56:57]
	v_add_co_u32_e32 v64, vcc, v50, v64
	v_addc_co_u32_e32 v65, vcc, v51, v65, vcc
	flat_load_dword v57, v[64:65]
	flat_load_dword v59, v[50:51] offset:20
	s_waitcnt vmcnt(0) lgkmcnt(0)
	flat_store_dword v[50:51], v57 offset:20
	flat_store_dword v[64:65], v59
.LBB48_91:
	s_or_b64 exec, exec, s[14:15]
	v_mov_b32_e32 v57, v56
	v_mov_b32_e32 v59, v56
.LBB48_92:
	s_or_b64 exec, exec, s[2:3]
.LBB48_93:
	s_andn2_saveexec_b64 s[0:1], s[0:1]
	s_cbranch_execz .LBB48_95
; %bb.94:
	v_mov_b32_e32 v64, v10
	v_mov_b32_e32 v65, v11
	v_mov_b32_e32 v66, v4
	v_mov_b32_e32 v67, v5
	ds_write2_b64 v58, v[64:65], v[66:67] offset0:6 offset1:7
	v_mov_b32_e32 v64, v36
	v_mov_b32_e32 v65, v37
	v_mov_b32_e32 v66, v26
	v_mov_b32_e32 v67, v27
	ds_write2_b64 v58, v[64:65], v[66:67] offset0:8 offset1:9
	;; [unrolled: 5-line block ×8, first 2 shown]
	v_mov_b32_e32 v64, v38
	v_mov_b32_e32 v65, v39
	;; [unrolled: 1-line block ×5, first 2 shown]
	ds_write2_b64 v58, v[64:65], v[66:67] offset0:22 offset1:23
	ds_write_b64 v58, v[52:53] offset:192
.LBB48_95:
	s_or_b64 exec, exec, s[0:1]
	v_cmp_lt_i32_e32 vcc, 5, v59
	s_waitcnt lgkmcnt(0)
	s_barrier
	s_and_saveexec_b64 s[0:1], vcc
	s_cbranch_execz .LBB48_97
; %bb.96:
	ds_read2_b64 v[64:67], v58 offset0:6 offset1:7
	ds_read2_b64 v[68:71], v58 offset0:8 offset1:9
	;; [unrolled: 1-line block ×3, first 2 shown]
	v_mul_f64 v[20:21], v[54:55], v[20:21]
	ds_read_b64 v[54:55], v58 offset:192
	s_waitcnt lgkmcnt(0)
	v_fma_f64 v[10:11], -v[20:21], v[64:65], v[10:11]
	v_fma_f64 v[4:5], -v[20:21], v[66:67], v[4:5]
	ds_read2_b64 v[64:67], v58 offset0:12 offset1:13
	v_fma_f64 v[36:37], -v[20:21], v[68:69], v[36:37]
	v_fma_f64 v[26:27], -v[20:21], v[70:71], v[26:27]
	;; [unrolled: 1-line block ×3, first 2 shown]
	ds_read2_b64 v[68:71], v58 offset0:14 offset1:15
	v_fma_f64 v[8:9], -v[20:21], v[74:75], v[8:9]
	ds_read2_b64 v[72:75], v58 offset0:16 offset1:17
	s_waitcnt lgkmcnt(0)
	v_fma_f64 v[42:43], -v[20:21], v[64:65], v[42:43]
	v_fma_f64 v[34:35], -v[20:21], v[66:67], v[34:35]
	;; [unrolled: 1-line block ×3, first 2 shown]
	ds_read2_b64 v[64:67], v58 offset0:18 offset1:19
	v_fma_f64 v[14:15], -v[20:21], v[70:71], v[14:15]
	ds_read2_b64 v[68:71], v58 offset0:20 offset1:21
	v_fma_f64 v[46:47], -v[20:21], v[72:73], v[46:47]
	v_fma_f64 v[40:41], -v[20:21], v[74:75], v[40:41]
	ds_read2_b64 v[72:75], v58 offset0:22 offset1:23
	s_waitcnt lgkmcnt(0)
	v_fma_f64 v[32:33], -v[20:21], v[64:65], v[32:33]
	v_fma_f64 v[22:23], -v[20:21], v[66:67], v[22:23]
	;; [unrolled: 1-line block ×7, first 2 shown]
.LBB48_97:
	s_or_b64 exec, exec, s[0:1]
	v_lshl_add_u32 v54, v59, 3, v58
	s_barrier
	ds_write_b64 v54, v[10:11]
	s_waitcnt lgkmcnt(0)
	s_barrier
	ds_read_b64 v[54:55], v58 offset:48
	s_cmp_lt_i32 s12, 8
	v_mov_b32_e32 v56, 6
	s_cbranch_scc1 .LBB48_100
; %bb.98:
	v_add3_u32 v64, v63, 0, 56
	s_mov_b32 s0, 7
	v_mov_b32_e32 v56, 6
.LBB48_99:                              ; =>This Inner Loop Header: Depth=1
	ds_read_b64 v[66:67], v64
	v_mov_b32_e32 v65, s0
	s_add_i32 s0, s0, 1
	v_add_u32_e32 v64, 8, v64
	s_cmp_lg_u32 s12, s0
	s_waitcnt lgkmcnt(0)
	v_cmp_lt_f64_e64 vcc, |v[54:55]|, |v[66:67]|
	v_cndmask_b32_e32 v55, v55, v67, vcc
	v_cndmask_b32_e32 v54, v54, v66, vcc
	;; [unrolled: 1-line block ×3, first 2 shown]
	s_cbranch_scc1 .LBB48_99
.LBB48_100:
	s_waitcnt lgkmcnt(0)
	v_cmp_eq_f64_e32 vcc, 0, v[54:55]
	s_and_saveexec_b64 s[0:1], vcc
	s_xor_b64 s[0:1], exec, s[0:1]
; %bb.101:
	v_cmp_ne_u32_e32 vcc, 0, v62
	v_cndmask_b32_e32 v62, 7, v62, vcc
; %bb.102:
	s_andn2_saveexec_b64 s[0:1], s[0:1]
; %bb.103:
	v_div_scale_f64 v[64:65], s[2:3], v[54:55], v[54:55], 1.0
	v_rcp_f64_e32 v[66:67], v[64:65]
	v_div_scale_f64 v[68:69], vcc, 1.0, v[54:55], 1.0
	v_fma_f64 v[70:71], -v[64:65], v[66:67], 1.0
	v_fmac_f64_e32 v[66:67], v[66:67], v[70:71]
	v_fma_f64 v[70:71], -v[64:65], v[66:67], 1.0
	v_fmac_f64_e32 v[66:67], v[66:67], v[70:71]
	v_mul_f64 v[70:71], v[68:69], v[66:67]
	v_fma_f64 v[64:65], -v[64:65], v[70:71], v[68:69]
	v_div_fmas_f64 v[64:65], v[64:65], v[66:67], v[70:71]
	v_div_fixup_f64 v[54:55], v[64:65], v[54:55], 1.0
; %bb.104:
	s_or_b64 exec, exec, s[0:1]
	v_cmp_ne_u32_e32 vcc, v59, v56
	s_and_saveexec_b64 s[0:1], vcc
	s_xor_b64 s[0:1], exec, s[0:1]
	s_cbranch_execz .LBB48_110
; %bb.105:
	v_cmp_eq_u32_e32 vcc, 6, v59
	s_and_saveexec_b64 s[2:3], vcc
	s_cbranch_execz .LBB48_109
; %bb.106:
	v_cmp_ne_u32_e32 vcc, 6, v56
	s_xor_b64 s[14:15], s[6:7], -1
	s_and_b64 s[16:17], s[14:15], vcc
	s_and_saveexec_b64 s[14:15], s[16:17]
	s_cbranch_execz .LBB48_108
; %bb.107:
	v_ashrrev_i32_e32 v57, 31, v56
	v_lshlrev_b64 v[64:65], 2, v[56:57]
	v_add_co_u32_e32 v64, vcc, v50, v64
	v_addc_co_u32_e32 v65, vcc, v51, v65, vcc
	flat_load_dword v57, v[64:65]
	flat_load_dword v59, v[50:51] offset:24
	s_waitcnt vmcnt(0) lgkmcnt(0)
	flat_store_dword v[50:51], v57 offset:24
	flat_store_dword v[64:65], v59
.LBB48_108:
	s_or_b64 exec, exec, s[14:15]
	v_mov_b32_e32 v57, v56
	v_mov_b32_e32 v59, v56
.LBB48_109:
	s_or_b64 exec, exec, s[2:3]
.LBB48_110:
	s_andn2_saveexec_b64 s[0:1], s[0:1]
	s_cbranch_execz .LBB48_112
; %bb.111:
	v_mov_b32_e32 v59, 6
	ds_write2_b64 v58, v[4:5], v[36:37] offset0:7 offset1:8
	ds_write2_b64 v58, v[26:27], v[16:17] offset0:9 offset1:10
	;; [unrolled: 1-line block ×9, first 2 shown]
.LBB48_112:
	s_or_b64 exec, exec, s[0:1]
	v_cmp_lt_i32_e32 vcc, 6, v59
	s_waitcnt lgkmcnt(0)
	s_barrier
	s_and_saveexec_b64 s[0:1], vcc
	s_cbranch_execz .LBB48_114
; %bb.113:
	ds_read2_b64 v[64:67], v58 offset0:7 offset1:8
	ds_read2_b64 v[68:71], v58 offset0:9 offset1:10
	;; [unrolled: 1-line block ×3, first 2 shown]
	v_mul_f64 v[10:11], v[54:55], v[10:11]
	s_waitcnt lgkmcnt(0)
	v_fma_f64 v[4:5], -v[10:11], v[64:65], v[4:5]
	v_fma_f64 v[36:37], -v[10:11], v[66:67], v[36:37]
	ds_read2_b64 v[64:67], v58 offset0:13 offset1:14
	v_fma_f64 v[26:27], -v[10:11], v[68:69], v[26:27]
	v_fma_f64 v[16:17], -v[10:11], v[70:71], v[16:17]
	v_fma_f64 v[8:9], -v[10:11], v[72:73], v[8:9]
	ds_read2_b64 v[68:71], v58 offset0:15 offset1:16
	v_fma_f64 v[42:43], -v[10:11], v[74:75], v[42:43]
	ds_read2_b64 v[72:75], v58 offset0:17 offset1:18
	s_waitcnt lgkmcnt(0)
	v_fma_f64 v[34:35], -v[10:11], v[64:65], v[34:35]
	v_fma_f64 v[24:25], -v[10:11], v[66:67], v[24:25]
	;; [unrolled: 1-line block ×4, first 2 shown]
	ds_read2_b64 v[64:67], v58 offset0:19 offset1:20
	ds_read2_b64 v[68:71], v58 offset0:21 offset1:22
	v_fma_f64 v[40:41], -v[10:11], v[72:73], v[40:41]
	v_fma_f64 v[32:33], -v[10:11], v[74:75], v[32:33]
	ds_read2_b64 v[72:75], v58 offset0:23 offset1:24
	s_waitcnt lgkmcnt(0)
	v_fma_f64 v[22:23], -v[10:11], v[64:65], v[22:23]
	v_fma_f64 v[48:49], -v[10:11], v[66:67], v[48:49]
	;; [unrolled: 1-line block ×6, first 2 shown]
.LBB48_114:
	s_or_b64 exec, exec, s[0:1]
	v_lshl_add_u32 v54, v59, 3, v58
	s_barrier
	ds_write_b64 v54, v[4:5]
	s_waitcnt lgkmcnt(0)
	s_barrier
	ds_read_b64 v[54:55], v58 offset:56
	s_cmp_lt_i32 s12, 9
	v_mov_b32_e32 v56, 7
	s_cbranch_scc1 .LBB48_117
; %bb.115:
	v_add3_u32 v63, v63, 0, 64
	s_mov_b32 s0, 8
	v_mov_b32_e32 v56, 7
.LBB48_116:                             ; =>This Inner Loop Header: Depth=1
	ds_read_b64 v[64:65], v63
	v_mov_b32_e32 v66, s0
	s_add_i32 s0, s0, 1
	v_add_u32_e32 v63, 8, v63
	s_cmp_lg_u32 s12, s0
	s_waitcnt lgkmcnt(0)
	v_cmp_lt_f64_e64 vcc, |v[54:55]|, |v[64:65]|
	v_cndmask_b32_e32 v55, v55, v65, vcc
	v_cndmask_b32_e32 v54, v54, v64, vcc
	;; [unrolled: 1-line block ×3, first 2 shown]
	s_cbranch_scc1 .LBB48_116
.LBB48_117:
	s_waitcnt lgkmcnt(0)
	v_cmp_eq_f64_e32 vcc, 0, v[54:55]
	s_and_saveexec_b64 s[0:1], vcc
	s_xor_b64 s[0:1], exec, s[0:1]
; %bb.118:
	v_cmp_ne_u32_e32 vcc, 0, v62
	v_cndmask_b32_e32 v62, 8, v62, vcc
; %bb.119:
	s_andn2_saveexec_b64 s[0:1], s[0:1]
; %bb.120:
	v_div_scale_f64 v[64:65], s[2:3], v[54:55], v[54:55], 1.0
	v_rcp_f64_e32 v[66:67], v[64:65]
	v_div_scale_f64 v[68:69], vcc, 1.0, v[54:55], 1.0
	v_fma_f64 v[70:71], -v[64:65], v[66:67], 1.0
	v_fmac_f64_e32 v[66:67], v[66:67], v[70:71]
	v_fma_f64 v[70:71], -v[64:65], v[66:67], 1.0
	v_fmac_f64_e32 v[66:67], v[66:67], v[70:71]
	v_mul_f64 v[70:71], v[68:69], v[66:67]
	v_fma_f64 v[64:65], -v[64:65], v[70:71], v[68:69]
	v_div_fmas_f64 v[64:65], v[64:65], v[66:67], v[70:71]
	v_div_fixup_f64 v[54:55], v[64:65], v[54:55], 1.0
; %bb.121:
	s_or_b64 exec, exec, s[0:1]
	v_cmp_ne_u32_e32 vcc, v59, v56
	s_and_saveexec_b64 s[0:1], vcc
	s_xor_b64 s[0:1], exec, s[0:1]
	s_cbranch_execz .LBB48_127
; %bb.122:
	v_cmp_eq_u32_e32 vcc, 7, v59
	s_and_saveexec_b64 s[2:3], vcc
	s_cbranch_execz .LBB48_126
; %bb.123:
	v_cmp_ne_u32_e32 vcc, 7, v56
	s_xor_b64 s[14:15], s[6:7], -1
	s_and_b64 s[16:17], s[14:15], vcc
	s_and_saveexec_b64 s[14:15], s[16:17]
	s_cbranch_execz .LBB48_125
; %bb.124:
	v_ashrrev_i32_e32 v57, 31, v56
	v_lshlrev_b64 v[64:65], 2, v[56:57]
	v_add_co_u32_e32 v64, vcc, v50, v64
	v_addc_co_u32_e32 v65, vcc, v51, v65, vcc
	flat_load_dword v57, v[64:65]
	flat_load_dword v59, v[50:51] offset:28
	s_waitcnt vmcnt(0) lgkmcnt(0)
	flat_store_dword v[50:51], v57 offset:28
	flat_store_dword v[64:65], v59
.LBB48_125:
	s_or_b64 exec, exec, s[14:15]
	v_mov_b32_e32 v57, v56
	v_mov_b32_e32 v59, v56
.LBB48_126:
	s_or_b64 exec, exec, s[2:3]
.LBB48_127:
	s_andn2_saveexec_b64 s[0:1], s[0:1]
	s_cbranch_execz .LBB48_129
; %bb.128:
	v_mov_b32_e32 v64, v36
	v_mov_b32_e32 v65, v37
	v_mov_b32_e32 v66, v26
	v_mov_b32_e32 v67, v27
	ds_write2_b64 v58, v[64:65], v[66:67] offset0:8 offset1:9
	v_mov_b32_e32 v64, v16
	v_mov_b32_e32 v65, v17
	v_mov_b32_e32 v66, v8
	v_mov_b32_e32 v67, v9
	ds_write2_b64 v58, v[64:65], v[66:67] offset0:10 offset1:11
	;; [unrolled: 5-line block ×7, first 2 shown]
	v_mov_b32_e32 v64, v38
	v_mov_b32_e32 v65, v39
	;; [unrolled: 1-line block ×5, first 2 shown]
	ds_write2_b64 v58, v[64:65], v[66:67] offset0:22 offset1:23
	ds_write_b64 v58, v[52:53] offset:192
.LBB48_129:
	s_or_b64 exec, exec, s[0:1]
	v_cmp_lt_i32_e32 vcc, 7, v59
	s_waitcnt lgkmcnt(0)
	s_barrier
	s_and_saveexec_b64 s[0:1], vcc
	s_cbranch_execz .LBB48_131
; %bb.130:
	ds_read2_b64 v[64:67], v58 offset0:8 offset1:9
	ds_read2_b64 v[68:71], v58 offset0:10 offset1:11
	v_mul_f64 v[4:5], v[54:55], v[4:5]
	ds_read2_b64 v[72:75], v58 offset0:12 offset1:13
	ds_read_b64 v[54:55], v58 offset:192
	s_waitcnt lgkmcnt(0)
	v_fma_f64 v[36:37], -v[4:5], v[64:65], v[36:37]
	v_fma_f64 v[26:27], -v[4:5], v[66:67], v[26:27]
	ds_read2_b64 v[64:67], v58 offset0:14 offset1:15
	v_fma_f64 v[16:17], -v[4:5], v[68:69], v[16:17]
	v_fma_f64 v[8:9], -v[4:5], v[70:71], v[8:9]
	ds_read2_b64 v[68:71], v58 offset0:16 offset1:17
	v_fma_f64 v[42:43], -v[4:5], v[72:73], v[42:43]
	v_fma_f64 v[34:35], -v[4:5], v[74:75], v[34:35]
	ds_read2_b64 v[72:75], v58 offset0:18 offset1:19
	s_waitcnt lgkmcnt(0)
	v_fma_f64 v[24:25], -v[4:5], v[64:65], v[24:25]
	v_fma_f64 v[14:15], -v[4:5], v[66:67], v[14:15]
	;; [unrolled: 1-line block ×4, first 2 shown]
	ds_read2_b64 v[64:67], v58 offset0:20 offset1:21
	ds_read2_b64 v[68:71], v58 offset0:22 offset1:23
	v_fma_f64 v[32:33], -v[4:5], v[72:73], v[32:33]
	v_fma_f64 v[22:23], -v[4:5], v[74:75], v[22:23]
	;; [unrolled: 1-line block ×3, first 2 shown]
	s_waitcnt lgkmcnt(0)
	v_fma_f64 v[48:49], -v[4:5], v[64:65], v[48:49]
	v_fma_f64 v[44:45], -v[4:5], v[66:67], v[44:45]
	v_fma_f64 v[38:39], -v[4:5], v[68:69], v[38:39]
	v_fma_f64 v[30:31], -v[4:5], v[70:71], v[30:31]
.LBB48_131:
	s_or_b64 exec, exec, s[0:1]
	v_lshl_add_u32 v54, v59, 3, v58
	s_barrier
	ds_write_b64 v54, v[36:37]
	s_waitcnt lgkmcnt(0)
	s_barrier
	ds_read_b64 v[54:55], v58 offset:64
	s_cmp_lt_i32 s12, 10
	v_mov_b32_e32 v56, 8
	s_cbranch_scc1 .LBB48_134
; %bb.132:
	v_add_u32_e32 v63, 0x48, v58
	s_mov_b32 s0, 9
	v_mov_b32_e32 v56, 8
.LBB48_133:                             ; =>This Inner Loop Header: Depth=1
	ds_read_b64 v[64:65], v63
	v_mov_b32_e32 v66, s0
	s_add_i32 s0, s0, 1
	v_add_u32_e32 v63, 8, v63
	s_cmp_lg_u32 s12, s0
	s_waitcnt lgkmcnt(0)
	v_cmp_lt_f64_e64 vcc, |v[54:55]|, |v[64:65]|
	v_cndmask_b32_e32 v55, v55, v65, vcc
	v_cndmask_b32_e32 v54, v54, v64, vcc
	;; [unrolled: 1-line block ×3, first 2 shown]
	s_cbranch_scc1 .LBB48_133
.LBB48_134:
	s_waitcnt lgkmcnt(0)
	v_cmp_eq_f64_e32 vcc, 0, v[54:55]
	s_and_saveexec_b64 s[0:1], vcc
	s_xor_b64 s[0:1], exec, s[0:1]
; %bb.135:
	v_cmp_ne_u32_e32 vcc, 0, v62
	v_cndmask_b32_e32 v62, 9, v62, vcc
; %bb.136:
	s_andn2_saveexec_b64 s[0:1], s[0:1]
; %bb.137:
	v_div_scale_f64 v[64:65], s[2:3], v[54:55], v[54:55], 1.0
	v_rcp_f64_e32 v[66:67], v[64:65]
	v_div_scale_f64 v[68:69], vcc, 1.0, v[54:55], 1.0
	v_fma_f64 v[70:71], -v[64:65], v[66:67], 1.0
	v_fmac_f64_e32 v[66:67], v[66:67], v[70:71]
	v_fma_f64 v[70:71], -v[64:65], v[66:67], 1.0
	v_fmac_f64_e32 v[66:67], v[66:67], v[70:71]
	v_mul_f64 v[70:71], v[68:69], v[66:67]
	v_fma_f64 v[64:65], -v[64:65], v[70:71], v[68:69]
	v_div_fmas_f64 v[64:65], v[64:65], v[66:67], v[70:71]
	v_div_fixup_f64 v[54:55], v[64:65], v[54:55], 1.0
; %bb.138:
	s_or_b64 exec, exec, s[0:1]
	v_cmp_ne_u32_e32 vcc, v59, v56
	s_and_saveexec_b64 s[0:1], vcc
	s_xor_b64 s[0:1], exec, s[0:1]
	s_cbranch_execz .LBB48_144
; %bb.139:
	v_cmp_eq_u32_e32 vcc, 8, v59
	s_and_saveexec_b64 s[2:3], vcc
	s_cbranch_execz .LBB48_143
; %bb.140:
	v_cmp_ne_u32_e32 vcc, 8, v56
	s_xor_b64 s[14:15], s[6:7], -1
	s_and_b64 s[16:17], s[14:15], vcc
	s_and_saveexec_b64 s[14:15], s[16:17]
	s_cbranch_execz .LBB48_142
; %bb.141:
	v_ashrrev_i32_e32 v57, 31, v56
	v_lshlrev_b64 v[64:65], 2, v[56:57]
	v_add_co_u32_e32 v64, vcc, v50, v64
	v_addc_co_u32_e32 v65, vcc, v51, v65, vcc
	flat_load_dword v57, v[64:65]
	flat_load_dword v59, v[50:51] offset:32
	s_waitcnt vmcnt(0) lgkmcnt(0)
	flat_store_dword v[50:51], v57 offset:32
	flat_store_dword v[64:65], v59
.LBB48_142:
	s_or_b64 exec, exec, s[14:15]
	v_mov_b32_e32 v57, v56
	v_mov_b32_e32 v59, v56
.LBB48_143:
	s_or_b64 exec, exec, s[2:3]
.LBB48_144:
	s_andn2_saveexec_b64 s[0:1], s[0:1]
	s_cbranch_execz .LBB48_146
; %bb.145:
	v_mov_b32_e32 v59, 8
	ds_write2_b64 v58, v[26:27], v[16:17] offset0:9 offset1:10
	ds_write2_b64 v58, v[8:9], v[42:43] offset0:11 offset1:12
	;; [unrolled: 1-line block ×8, first 2 shown]
.LBB48_146:
	s_or_b64 exec, exec, s[0:1]
	v_cmp_lt_i32_e32 vcc, 8, v59
	s_waitcnt lgkmcnt(0)
	s_barrier
	s_and_saveexec_b64 s[0:1], vcc
	s_cbranch_execz .LBB48_148
; %bb.147:
	ds_read2_b64 v[64:67], v58 offset0:9 offset1:10
	ds_read2_b64 v[68:71], v58 offset0:11 offset1:12
	v_mul_f64 v[36:37], v[54:55], v[36:37]
	ds_read2_b64 v[72:75], v58 offset0:13 offset1:14
	s_waitcnt lgkmcnt(0)
	v_fma_f64 v[26:27], -v[36:37], v[64:65], v[26:27]
	v_fma_f64 v[16:17], -v[36:37], v[66:67], v[16:17]
	ds_read2_b64 v[64:67], v58 offset0:15 offset1:16
	v_fma_f64 v[8:9], -v[36:37], v[68:69], v[8:9]
	v_fma_f64 v[42:43], -v[36:37], v[70:71], v[42:43]
	ds_read2_b64 v[68:71], v58 offset0:17 offset1:18
	v_fma_f64 v[34:35], -v[36:37], v[72:73], v[34:35]
	v_fma_f64 v[24:25], -v[36:37], v[74:75], v[24:25]
	s_waitcnt lgkmcnt(0)
	v_fma_f64 v[14:15], -v[36:37], v[64:65], v[14:15]
	v_fma_f64 v[46:47], -v[36:37], v[66:67], v[46:47]
	ds_read2_b64 v[64:67], v58 offset0:19 offset1:20
	v_fma_f64 v[40:41], -v[36:37], v[68:69], v[40:41]
	ds_read2_b64 v[72:75], v58 offset0:21 offset1:22
	;; [unrolled: 2-line block ×3, first 2 shown]
	s_waitcnt lgkmcnt(0)
	v_fma_f64 v[22:23], -v[36:37], v[64:65], v[22:23]
	v_fma_f64 v[48:49], -v[36:37], v[66:67], v[48:49]
	;; [unrolled: 1-line block ×6, first 2 shown]
.LBB48_148:
	s_or_b64 exec, exec, s[0:1]
	v_lshl_add_u32 v54, v59, 3, v58
	s_barrier
	ds_write_b64 v54, v[26:27]
	s_waitcnt lgkmcnt(0)
	s_barrier
	ds_read_b64 v[54:55], v58 offset:72
	s_cmp_lt_i32 s12, 11
	v_mov_b32_e32 v56, 9
	s_cbranch_scc1 .LBB48_151
; %bb.149:
	v_add_u32_e32 v63, 0x50, v58
	s_mov_b32 s0, 10
	v_mov_b32_e32 v56, 9
.LBB48_150:                             ; =>This Inner Loop Header: Depth=1
	ds_read_b64 v[64:65], v63
	v_mov_b32_e32 v66, s0
	s_add_i32 s0, s0, 1
	v_add_u32_e32 v63, 8, v63
	s_cmp_lg_u32 s12, s0
	s_waitcnt lgkmcnt(0)
	v_cmp_lt_f64_e64 vcc, |v[54:55]|, |v[64:65]|
	v_cndmask_b32_e32 v55, v55, v65, vcc
	v_cndmask_b32_e32 v54, v54, v64, vcc
	;; [unrolled: 1-line block ×3, first 2 shown]
	s_cbranch_scc1 .LBB48_150
.LBB48_151:
	s_waitcnt lgkmcnt(0)
	v_cmp_eq_f64_e32 vcc, 0, v[54:55]
	s_and_saveexec_b64 s[0:1], vcc
	s_xor_b64 s[0:1], exec, s[0:1]
; %bb.152:
	v_cmp_ne_u32_e32 vcc, 0, v62
	v_cndmask_b32_e32 v62, 10, v62, vcc
; %bb.153:
	s_andn2_saveexec_b64 s[0:1], s[0:1]
; %bb.154:
	v_div_scale_f64 v[64:65], s[2:3], v[54:55], v[54:55], 1.0
	v_rcp_f64_e32 v[66:67], v[64:65]
	v_div_scale_f64 v[68:69], vcc, 1.0, v[54:55], 1.0
	v_fma_f64 v[70:71], -v[64:65], v[66:67], 1.0
	v_fmac_f64_e32 v[66:67], v[66:67], v[70:71]
	v_fma_f64 v[70:71], -v[64:65], v[66:67], 1.0
	v_fmac_f64_e32 v[66:67], v[66:67], v[70:71]
	v_mul_f64 v[70:71], v[68:69], v[66:67]
	v_fma_f64 v[64:65], -v[64:65], v[70:71], v[68:69]
	v_div_fmas_f64 v[64:65], v[64:65], v[66:67], v[70:71]
	v_div_fixup_f64 v[54:55], v[64:65], v[54:55], 1.0
; %bb.155:
	s_or_b64 exec, exec, s[0:1]
	v_cmp_ne_u32_e32 vcc, v59, v56
	s_and_saveexec_b64 s[0:1], vcc
	s_xor_b64 s[0:1], exec, s[0:1]
	s_cbranch_execz .LBB48_161
; %bb.156:
	v_cmp_eq_u32_e32 vcc, 9, v59
	s_and_saveexec_b64 s[2:3], vcc
	s_cbranch_execz .LBB48_160
; %bb.157:
	v_cmp_ne_u32_e32 vcc, 9, v56
	s_xor_b64 s[14:15], s[6:7], -1
	s_and_b64 s[16:17], s[14:15], vcc
	s_and_saveexec_b64 s[14:15], s[16:17]
	s_cbranch_execz .LBB48_159
; %bb.158:
	v_ashrrev_i32_e32 v57, 31, v56
	v_lshlrev_b64 v[64:65], 2, v[56:57]
	v_add_co_u32_e32 v64, vcc, v50, v64
	v_addc_co_u32_e32 v65, vcc, v51, v65, vcc
	flat_load_dword v57, v[64:65]
	flat_load_dword v59, v[50:51] offset:36
	s_waitcnt vmcnt(0) lgkmcnt(0)
	flat_store_dword v[50:51], v57 offset:36
	flat_store_dword v[64:65], v59
.LBB48_159:
	s_or_b64 exec, exec, s[14:15]
	v_mov_b32_e32 v57, v56
	v_mov_b32_e32 v59, v56
.LBB48_160:
	s_or_b64 exec, exec, s[2:3]
.LBB48_161:
	s_andn2_saveexec_b64 s[0:1], s[0:1]
	s_cbranch_execz .LBB48_163
; %bb.162:
	v_mov_b32_e32 v64, v16
	v_mov_b32_e32 v65, v17
	v_mov_b32_e32 v66, v8
	v_mov_b32_e32 v67, v9
	ds_write2_b64 v58, v[64:65], v[66:67] offset0:10 offset1:11
	v_mov_b32_e32 v64, v42
	v_mov_b32_e32 v65, v43
	v_mov_b32_e32 v66, v34
	v_mov_b32_e32 v67, v35
	ds_write2_b64 v58, v[64:65], v[66:67] offset0:12 offset1:13
	;; [unrolled: 5-line block ×6, first 2 shown]
	v_mov_b32_e32 v64, v38
	v_mov_b32_e32 v65, v39
	;; [unrolled: 1-line block ×5, first 2 shown]
	ds_write2_b64 v58, v[64:65], v[66:67] offset0:22 offset1:23
	ds_write_b64 v58, v[52:53] offset:192
.LBB48_163:
	s_or_b64 exec, exec, s[0:1]
	v_cmp_lt_i32_e32 vcc, 9, v59
	s_waitcnt lgkmcnt(0)
	s_barrier
	s_and_saveexec_b64 s[0:1], vcc
	s_cbranch_execz .LBB48_165
; %bb.164:
	ds_read2_b64 v[64:67], v58 offset0:10 offset1:11
	ds_read2_b64 v[68:71], v58 offset0:12 offset1:13
	v_mul_f64 v[26:27], v[54:55], v[26:27]
	ds_read2_b64 v[72:75], v58 offset0:14 offset1:15
	ds_read_b64 v[54:55], v58 offset:192
	s_waitcnt lgkmcnt(0)
	v_fma_f64 v[16:17], -v[26:27], v[64:65], v[16:17]
	v_fma_f64 v[8:9], -v[26:27], v[66:67], v[8:9]
	ds_read2_b64 v[64:67], v58 offset0:16 offset1:17
	v_fma_f64 v[42:43], -v[26:27], v[68:69], v[42:43]
	v_fma_f64 v[34:35], -v[26:27], v[70:71], v[34:35]
	;; [unrolled: 1-line block ×3, first 2 shown]
	ds_read2_b64 v[68:71], v58 offset0:18 offset1:19
	v_fma_f64 v[14:15], -v[26:27], v[74:75], v[14:15]
	s_waitcnt lgkmcnt(0)
	v_fma_f64 v[46:47], -v[26:27], v[64:65], v[46:47]
	v_fma_f64 v[40:41], -v[26:27], v[66:67], v[40:41]
	ds_read2_b64 v[64:67], v58 offset0:20 offset1:21
	ds_read2_b64 v[72:75], v58 offset0:22 offset1:23
	v_fma_f64 v[32:33], -v[26:27], v[68:69], v[32:33]
	v_fma_f64 v[22:23], -v[26:27], v[70:71], v[22:23]
	;; [unrolled: 1-line block ×3, first 2 shown]
	s_waitcnt lgkmcnt(0)
	v_fma_f64 v[48:49], -v[26:27], v[64:65], v[48:49]
	v_fma_f64 v[44:45], -v[26:27], v[66:67], v[44:45]
	;; [unrolled: 1-line block ×4, first 2 shown]
.LBB48_165:
	s_or_b64 exec, exec, s[0:1]
	v_lshl_add_u32 v54, v59, 3, v58
	s_barrier
	ds_write_b64 v54, v[16:17]
	s_waitcnt lgkmcnt(0)
	s_barrier
	ds_read_b64 v[54:55], v58 offset:80
	s_cmp_lt_i32 s12, 12
	v_mov_b32_e32 v56, 10
	s_cbranch_scc1 .LBB48_168
; %bb.166:
	v_add_u32_e32 v63, 0x58, v58
	s_mov_b32 s0, 11
	v_mov_b32_e32 v56, 10
.LBB48_167:                             ; =>This Inner Loop Header: Depth=1
	ds_read_b64 v[64:65], v63
	v_mov_b32_e32 v66, s0
	s_add_i32 s0, s0, 1
	v_add_u32_e32 v63, 8, v63
	s_cmp_lg_u32 s12, s0
	s_waitcnt lgkmcnt(0)
	v_cmp_lt_f64_e64 vcc, |v[54:55]|, |v[64:65]|
	v_cndmask_b32_e32 v55, v55, v65, vcc
	v_cndmask_b32_e32 v54, v54, v64, vcc
	v_cndmask_b32_e32 v56, v56, v66, vcc
	s_cbranch_scc1 .LBB48_167
.LBB48_168:
	s_waitcnt lgkmcnt(0)
	v_cmp_eq_f64_e32 vcc, 0, v[54:55]
	s_and_saveexec_b64 s[0:1], vcc
	s_xor_b64 s[0:1], exec, s[0:1]
; %bb.169:
	v_cmp_ne_u32_e32 vcc, 0, v62
	v_cndmask_b32_e32 v62, 11, v62, vcc
; %bb.170:
	s_andn2_saveexec_b64 s[0:1], s[0:1]
; %bb.171:
	v_div_scale_f64 v[64:65], s[2:3], v[54:55], v[54:55], 1.0
	v_rcp_f64_e32 v[66:67], v[64:65]
	v_div_scale_f64 v[68:69], vcc, 1.0, v[54:55], 1.0
	v_fma_f64 v[70:71], -v[64:65], v[66:67], 1.0
	v_fmac_f64_e32 v[66:67], v[66:67], v[70:71]
	v_fma_f64 v[70:71], -v[64:65], v[66:67], 1.0
	v_fmac_f64_e32 v[66:67], v[66:67], v[70:71]
	v_mul_f64 v[70:71], v[68:69], v[66:67]
	v_fma_f64 v[64:65], -v[64:65], v[70:71], v[68:69]
	v_div_fmas_f64 v[64:65], v[64:65], v[66:67], v[70:71]
	v_div_fixup_f64 v[54:55], v[64:65], v[54:55], 1.0
; %bb.172:
	s_or_b64 exec, exec, s[0:1]
	v_cmp_ne_u32_e32 vcc, v59, v56
	s_and_saveexec_b64 s[0:1], vcc
	s_xor_b64 s[0:1], exec, s[0:1]
	s_cbranch_execz .LBB48_178
; %bb.173:
	v_cmp_eq_u32_e32 vcc, 10, v59
	s_and_saveexec_b64 s[2:3], vcc
	s_cbranch_execz .LBB48_177
; %bb.174:
	v_cmp_ne_u32_e32 vcc, 10, v56
	s_xor_b64 s[14:15], s[6:7], -1
	s_and_b64 s[16:17], s[14:15], vcc
	s_and_saveexec_b64 s[14:15], s[16:17]
	s_cbranch_execz .LBB48_176
; %bb.175:
	v_ashrrev_i32_e32 v57, 31, v56
	v_lshlrev_b64 v[64:65], 2, v[56:57]
	v_add_co_u32_e32 v64, vcc, v50, v64
	v_addc_co_u32_e32 v65, vcc, v51, v65, vcc
	flat_load_dword v57, v[64:65]
	flat_load_dword v59, v[50:51] offset:40
	s_waitcnt vmcnt(0) lgkmcnt(0)
	flat_store_dword v[50:51], v57 offset:40
	flat_store_dword v[64:65], v59
.LBB48_176:
	s_or_b64 exec, exec, s[14:15]
	v_mov_b32_e32 v57, v56
	v_mov_b32_e32 v59, v56
.LBB48_177:
	s_or_b64 exec, exec, s[2:3]
.LBB48_178:
	s_andn2_saveexec_b64 s[0:1], s[0:1]
	s_cbranch_execz .LBB48_180
; %bb.179:
	v_mov_b32_e32 v59, 10
	ds_write2_b64 v58, v[8:9], v[42:43] offset0:11 offset1:12
	ds_write2_b64 v58, v[34:35], v[24:25] offset0:13 offset1:14
	;; [unrolled: 1-line block ×7, first 2 shown]
.LBB48_180:
	s_or_b64 exec, exec, s[0:1]
	v_cmp_lt_i32_e32 vcc, 10, v59
	s_waitcnt lgkmcnt(0)
	s_barrier
	s_and_saveexec_b64 s[0:1], vcc
	s_cbranch_execz .LBB48_182
; %bb.181:
	ds_read2_b64 v[64:67], v58 offset0:11 offset1:12
	ds_read2_b64 v[68:71], v58 offset0:13 offset1:14
	v_mul_f64 v[16:17], v[54:55], v[16:17]
	ds_read2_b64 v[72:75], v58 offset0:15 offset1:16
	s_waitcnt lgkmcnt(0)
	v_fma_f64 v[8:9], -v[16:17], v[64:65], v[8:9]
	v_fma_f64 v[42:43], -v[16:17], v[66:67], v[42:43]
	ds_read2_b64 v[64:67], v58 offset0:17 offset1:18
	v_fma_f64 v[34:35], -v[16:17], v[68:69], v[34:35]
	v_fma_f64 v[24:25], -v[16:17], v[70:71], v[24:25]
	;; [unrolled: 1-line block ×4, first 2 shown]
	ds_read2_b64 v[68:71], v58 offset0:19 offset1:20
	ds_read2_b64 v[72:75], v58 offset0:21 offset1:22
	s_waitcnt lgkmcnt(0)
	v_fma_f64 v[40:41], -v[16:17], v[64:65], v[40:41]
	v_fma_f64 v[32:33], -v[16:17], v[66:67], v[32:33]
	ds_read2_b64 v[64:67], v58 offset0:23 offset1:24
	v_fma_f64 v[22:23], -v[16:17], v[68:69], v[22:23]
	v_fma_f64 v[48:49], -v[16:17], v[70:71], v[48:49]
	;; [unrolled: 1-line block ×4, first 2 shown]
	s_waitcnt lgkmcnt(0)
	v_fma_f64 v[30:31], -v[16:17], v[64:65], v[30:31]
	v_fma_f64 v[52:53], -v[16:17], v[66:67], v[52:53]
.LBB48_182:
	s_or_b64 exec, exec, s[0:1]
	v_lshl_add_u32 v54, v59, 3, v58
	s_barrier
	ds_write_b64 v54, v[8:9]
	s_waitcnt lgkmcnt(0)
	s_barrier
	ds_read_b64 v[54:55], v58 offset:88
	s_cmp_lt_i32 s12, 13
	v_mov_b32_e32 v56, 11
	s_cbranch_scc1 .LBB48_185
; %bb.183:
	v_add_u32_e32 v63, 0x60, v58
	s_mov_b32 s0, 12
	v_mov_b32_e32 v56, 11
.LBB48_184:                             ; =>This Inner Loop Header: Depth=1
	ds_read_b64 v[64:65], v63
	v_mov_b32_e32 v66, s0
	s_add_i32 s0, s0, 1
	v_add_u32_e32 v63, 8, v63
	s_cmp_lg_u32 s12, s0
	s_waitcnt lgkmcnt(0)
	v_cmp_lt_f64_e64 vcc, |v[54:55]|, |v[64:65]|
	v_cndmask_b32_e32 v55, v55, v65, vcc
	v_cndmask_b32_e32 v54, v54, v64, vcc
	v_cndmask_b32_e32 v56, v56, v66, vcc
	s_cbranch_scc1 .LBB48_184
.LBB48_185:
	s_waitcnt lgkmcnt(0)
	v_cmp_eq_f64_e32 vcc, 0, v[54:55]
	s_and_saveexec_b64 s[0:1], vcc
	s_xor_b64 s[0:1], exec, s[0:1]
; %bb.186:
	v_cmp_ne_u32_e32 vcc, 0, v62
	v_cndmask_b32_e32 v62, 12, v62, vcc
; %bb.187:
	s_andn2_saveexec_b64 s[0:1], s[0:1]
; %bb.188:
	v_div_scale_f64 v[64:65], s[2:3], v[54:55], v[54:55], 1.0
	v_rcp_f64_e32 v[66:67], v[64:65]
	v_div_scale_f64 v[68:69], vcc, 1.0, v[54:55], 1.0
	v_fma_f64 v[70:71], -v[64:65], v[66:67], 1.0
	v_fmac_f64_e32 v[66:67], v[66:67], v[70:71]
	v_fma_f64 v[70:71], -v[64:65], v[66:67], 1.0
	v_fmac_f64_e32 v[66:67], v[66:67], v[70:71]
	v_mul_f64 v[70:71], v[68:69], v[66:67]
	v_fma_f64 v[64:65], -v[64:65], v[70:71], v[68:69]
	v_div_fmas_f64 v[64:65], v[64:65], v[66:67], v[70:71]
	v_div_fixup_f64 v[54:55], v[64:65], v[54:55], 1.0
; %bb.189:
	s_or_b64 exec, exec, s[0:1]
	v_cmp_ne_u32_e32 vcc, v59, v56
	s_and_saveexec_b64 s[0:1], vcc
	s_xor_b64 s[0:1], exec, s[0:1]
	s_cbranch_execz .LBB48_195
; %bb.190:
	v_cmp_eq_u32_e32 vcc, 11, v59
	s_and_saveexec_b64 s[2:3], vcc
	s_cbranch_execz .LBB48_194
; %bb.191:
	v_cmp_ne_u32_e32 vcc, 11, v56
	s_xor_b64 s[14:15], s[6:7], -1
	s_and_b64 s[16:17], s[14:15], vcc
	s_and_saveexec_b64 s[14:15], s[16:17]
	s_cbranch_execz .LBB48_193
; %bb.192:
	v_ashrrev_i32_e32 v57, 31, v56
	v_lshlrev_b64 v[64:65], 2, v[56:57]
	v_add_co_u32_e32 v64, vcc, v50, v64
	v_addc_co_u32_e32 v65, vcc, v51, v65, vcc
	flat_load_dword v57, v[64:65]
	flat_load_dword v59, v[50:51] offset:44
	s_waitcnt vmcnt(0) lgkmcnt(0)
	flat_store_dword v[50:51], v57 offset:44
	flat_store_dword v[64:65], v59
.LBB48_193:
	s_or_b64 exec, exec, s[14:15]
	v_mov_b32_e32 v57, v56
	v_mov_b32_e32 v59, v56
.LBB48_194:
	s_or_b64 exec, exec, s[2:3]
.LBB48_195:
	s_andn2_saveexec_b64 s[0:1], s[0:1]
	s_cbranch_execz .LBB48_197
; %bb.196:
	v_mov_b32_e32 v64, v42
	v_mov_b32_e32 v65, v43
	v_mov_b32_e32 v66, v34
	v_mov_b32_e32 v67, v35
	ds_write2_b64 v58, v[64:65], v[66:67] offset0:12 offset1:13
	v_mov_b32_e32 v64, v24
	v_mov_b32_e32 v65, v25
	v_mov_b32_e32 v66, v14
	v_mov_b32_e32 v67, v15
	ds_write2_b64 v58, v[64:65], v[66:67] offset0:14 offset1:15
	;; [unrolled: 5-line block ×5, first 2 shown]
	v_mov_b32_e32 v64, v38
	v_mov_b32_e32 v65, v39
	;; [unrolled: 1-line block ×5, first 2 shown]
	ds_write2_b64 v58, v[64:65], v[66:67] offset0:22 offset1:23
	ds_write_b64 v58, v[52:53] offset:192
.LBB48_197:
	s_or_b64 exec, exec, s[0:1]
	v_cmp_lt_i32_e32 vcc, 11, v59
	s_waitcnt lgkmcnt(0)
	s_barrier
	s_and_saveexec_b64 s[0:1], vcc
	s_cbranch_execz .LBB48_199
; %bb.198:
	ds_read2_b64 v[64:67], v58 offset0:12 offset1:13
	ds_read2_b64 v[68:71], v58 offset0:14 offset1:15
	;; [unrolled: 1-line block ×3, first 2 shown]
	v_mul_f64 v[8:9], v[54:55], v[8:9]
	ds_read_b64 v[54:55], v58 offset:192
	s_waitcnt lgkmcnt(0)
	v_fma_f64 v[42:43], -v[8:9], v[64:65], v[42:43]
	v_fma_f64 v[34:35], -v[8:9], v[66:67], v[34:35]
	ds_read2_b64 v[64:67], v58 offset0:18 offset1:19
	v_fma_f64 v[24:25], -v[8:9], v[68:69], v[24:25]
	v_fma_f64 v[14:15], -v[8:9], v[70:71], v[14:15]
	;; [unrolled: 1-line block ×4, first 2 shown]
	ds_read2_b64 v[68:71], v58 offset0:20 offset1:21
	ds_read2_b64 v[72:75], v58 offset0:22 offset1:23
	s_waitcnt lgkmcnt(0)
	v_fma_f64 v[32:33], -v[8:9], v[64:65], v[32:33]
	v_fma_f64 v[22:23], -v[8:9], v[66:67], v[22:23]
	;; [unrolled: 1-line block ×7, first 2 shown]
.LBB48_199:
	s_or_b64 exec, exec, s[0:1]
	v_lshl_add_u32 v54, v59, 3, v58
	s_barrier
	ds_write_b64 v54, v[42:43]
	s_waitcnt lgkmcnt(0)
	s_barrier
	ds_read_b64 v[54:55], v58 offset:96
	s_cmp_lt_i32 s12, 14
	v_mov_b32_e32 v56, 12
	s_cbranch_scc1 .LBB48_202
; %bb.200:
	v_add_u32_e32 v63, 0x68, v58
	s_mov_b32 s0, 13
	v_mov_b32_e32 v56, 12
.LBB48_201:                             ; =>This Inner Loop Header: Depth=1
	ds_read_b64 v[64:65], v63
	v_mov_b32_e32 v66, s0
	s_add_i32 s0, s0, 1
	v_add_u32_e32 v63, 8, v63
	s_cmp_lg_u32 s12, s0
	s_waitcnt lgkmcnt(0)
	v_cmp_lt_f64_e64 vcc, |v[54:55]|, |v[64:65]|
	v_cndmask_b32_e32 v55, v55, v65, vcc
	v_cndmask_b32_e32 v54, v54, v64, vcc
	v_cndmask_b32_e32 v56, v56, v66, vcc
	s_cbranch_scc1 .LBB48_201
.LBB48_202:
	s_waitcnt lgkmcnt(0)
	v_cmp_eq_f64_e32 vcc, 0, v[54:55]
	s_and_saveexec_b64 s[0:1], vcc
	s_xor_b64 s[0:1], exec, s[0:1]
; %bb.203:
	v_cmp_ne_u32_e32 vcc, 0, v62
	v_cndmask_b32_e32 v62, 13, v62, vcc
; %bb.204:
	s_andn2_saveexec_b64 s[0:1], s[0:1]
; %bb.205:
	v_div_scale_f64 v[64:65], s[2:3], v[54:55], v[54:55], 1.0
	v_rcp_f64_e32 v[66:67], v[64:65]
	v_div_scale_f64 v[68:69], vcc, 1.0, v[54:55], 1.0
	v_fma_f64 v[70:71], -v[64:65], v[66:67], 1.0
	v_fmac_f64_e32 v[66:67], v[66:67], v[70:71]
	v_fma_f64 v[70:71], -v[64:65], v[66:67], 1.0
	v_fmac_f64_e32 v[66:67], v[66:67], v[70:71]
	v_mul_f64 v[70:71], v[68:69], v[66:67]
	v_fma_f64 v[64:65], -v[64:65], v[70:71], v[68:69]
	v_div_fmas_f64 v[64:65], v[64:65], v[66:67], v[70:71]
	v_div_fixup_f64 v[54:55], v[64:65], v[54:55], 1.0
; %bb.206:
	s_or_b64 exec, exec, s[0:1]
	v_cmp_ne_u32_e32 vcc, v59, v56
	s_and_saveexec_b64 s[0:1], vcc
	s_xor_b64 s[0:1], exec, s[0:1]
	s_cbranch_execz .LBB48_212
; %bb.207:
	v_cmp_eq_u32_e32 vcc, 12, v59
	s_and_saveexec_b64 s[2:3], vcc
	s_cbranch_execz .LBB48_211
; %bb.208:
	v_cmp_ne_u32_e32 vcc, 12, v56
	s_xor_b64 s[14:15], s[6:7], -1
	s_and_b64 s[16:17], s[14:15], vcc
	s_and_saveexec_b64 s[14:15], s[16:17]
	s_cbranch_execz .LBB48_210
; %bb.209:
	v_ashrrev_i32_e32 v57, 31, v56
	v_lshlrev_b64 v[64:65], 2, v[56:57]
	v_add_co_u32_e32 v64, vcc, v50, v64
	v_addc_co_u32_e32 v65, vcc, v51, v65, vcc
	flat_load_dword v57, v[64:65]
	flat_load_dword v59, v[50:51] offset:48
	s_waitcnt vmcnt(0) lgkmcnt(0)
	flat_store_dword v[50:51], v57 offset:48
	flat_store_dword v[64:65], v59
.LBB48_210:
	s_or_b64 exec, exec, s[14:15]
	v_mov_b32_e32 v57, v56
	v_mov_b32_e32 v59, v56
.LBB48_211:
	s_or_b64 exec, exec, s[2:3]
.LBB48_212:
	s_andn2_saveexec_b64 s[0:1], s[0:1]
	s_cbranch_execz .LBB48_214
; %bb.213:
	v_mov_b32_e32 v59, 12
	ds_write2_b64 v58, v[34:35], v[24:25] offset0:13 offset1:14
	ds_write2_b64 v58, v[14:15], v[46:47] offset0:15 offset1:16
	;; [unrolled: 1-line block ×6, first 2 shown]
.LBB48_214:
	s_or_b64 exec, exec, s[0:1]
	v_cmp_lt_i32_e32 vcc, 12, v59
	s_waitcnt lgkmcnt(0)
	s_barrier
	s_and_saveexec_b64 s[0:1], vcc
	s_cbranch_execz .LBB48_216
; %bb.215:
	ds_read2_b64 v[64:67], v58 offset0:13 offset1:14
	ds_read2_b64 v[68:71], v58 offset0:15 offset1:16
	;; [unrolled: 1-line block ×3, first 2 shown]
	v_mul_f64 v[42:43], v[54:55], v[42:43]
	s_waitcnt lgkmcnt(0)
	v_fma_f64 v[34:35], -v[42:43], v[64:65], v[34:35]
	v_fma_f64 v[24:25], -v[42:43], v[66:67], v[24:25]
	ds_read2_b64 v[64:67], v58 offset0:19 offset1:20
	v_fma_f64 v[14:15], -v[42:43], v[68:69], v[14:15]
	v_fma_f64 v[46:47], -v[42:43], v[70:71], v[46:47]
	;; [unrolled: 1-line block ×3, first 2 shown]
	ds_read2_b64 v[68:71], v58 offset0:21 offset1:22
	v_fma_f64 v[32:33], -v[42:43], v[74:75], v[32:33]
	ds_read2_b64 v[72:75], v58 offset0:23 offset1:24
	s_waitcnt lgkmcnt(0)
	v_fma_f64 v[22:23], -v[42:43], v[64:65], v[22:23]
	v_fma_f64 v[48:49], -v[42:43], v[66:67], v[48:49]
	;; [unrolled: 1-line block ×6, first 2 shown]
.LBB48_216:
	s_or_b64 exec, exec, s[0:1]
	v_lshl_add_u32 v54, v59, 3, v58
	s_barrier
	ds_write_b64 v54, v[34:35]
	s_waitcnt lgkmcnt(0)
	s_barrier
	ds_read_b64 v[54:55], v58 offset:104
	s_cmp_lt_i32 s12, 15
	v_mov_b32_e32 v56, 13
	s_cbranch_scc1 .LBB48_219
; %bb.217:
	v_add_u32_e32 v63, 0x70, v58
	s_mov_b32 s0, 14
	v_mov_b32_e32 v56, 13
.LBB48_218:                             ; =>This Inner Loop Header: Depth=1
	ds_read_b64 v[64:65], v63
	v_mov_b32_e32 v66, s0
	s_add_i32 s0, s0, 1
	v_add_u32_e32 v63, 8, v63
	s_cmp_lg_u32 s12, s0
	s_waitcnt lgkmcnt(0)
	v_cmp_lt_f64_e64 vcc, |v[54:55]|, |v[64:65]|
	v_cndmask_b32_e32 v55, v55, v65, vcc
	v_cndmask_b32_e32 v54, v54, v64, vcc
	;; [unrolled: 1-line block ×3, first 2 shown]
	s_cbranch_scc1 .LBB48_218
.LBB48_219:
	s_waitcnt lgkmcnt(0)
	v_cmp_eq_f64_e32 vcc, 0, v[54:55]
	s_and_saveexec_b64 s[0:1], vcc
	s_xor_b64 s[0:1], exec, s[0:1]
; %bb.220:
	v_cmp_ne_u32_e32 vcc, 0, v62
	v_cndmask_b32_e32 v62, 14, v62, vcc
; %bb.221:
	s_andn2_saveexec_b64 s[0:1], s[0:1]
; %bb.222:
	v_div_scale_f64 v[64:65], s[2:3], v[54:55], v[54:55], 1.0
	v_rcp_f64_e32 v[66:67], v[64:65]
	v_div_scale_f64 v[68:69], vcc, 1.0, v[54:55], 1.0
	v_fma_f64 v[70:71], -v[64:65], v[66:67], 1.0
	v_fmac_f64_e32 v[66:67], v[66:67], v[70:71]
	v_fma_f64 v[70:71], -v[64:65], v[66:67], 1.0
	v_fmac_f64_e32 v[66:67], v[66:67], v[70:71]
	v_mul_f64 v[70:71], v[68:69], v[66:67]
	v_fma_f64 v[64:65], -v[64:65], v[70:71], v[68:69]
	v_div_fmas_f64 v[64:65], v[64:65], v[66:67], v[70:71]
	v_div_fixup_f64 v[54:55], v[64:65], v[54:55], 1.0
; %bb.223:
	s_or_b64 exec, exec, s[0:1]
	v_cmp_ne_u32_e32 vcc, v59, v56
	s_and_saveexec_b64 s[0:1], vcc
	s_xor_b64 s[0:1], exec, s[0:1]
	s_cbranch_execz .LBB48_229
; %bb.224:
	v_cmp_eq_u32_e32 vcc, 13, v59
	s_and_saveexec_b64 s[2:3], vcc
	s_cbranch_execz .LBB48_228
; %bb.225:
	v_cmp_ne_u32_e32 vcc, 13, v56
	s_xor_b64 s[14:15], s[6:7], -1
	s_and_b64 s[16:17], s[14:15], vcc
	s_and_saveexec_b64 s[14:15], s[16:17]
	s_cbranch_execz .LBB48_227
; %bb.226:
	v_ashrrev_i32_e32 v57, 31, v56
	v_lshlrev_b64 v[64:65], 2, v[56:57]
	v_add_co_u32_e32 v64, vcc, v50, v64
	v_addc_co_u32_e32 v65, vcc, v51, v65, vcc
	flat_load_dword v57, v[64:65]
	flat_load_dword v59, v[50:51] offset:52
	s_waitcnt vmcnt(0) lgkmcnt(0)
	flat_store_dword v[50:51], v57 offset:52
	flat_store_dword v[64:65], v59
.LBB48_227:
	s_or_b64 exec, exec, s[14:15]
	v_mov_b32_e32 v57, v56
	v_mov_b32_e32 v59, v56
.LBB48_228:
	s_or_b64 exec, exec, s[2:3]
.LBB48_229:
	s_andn2_saveexec_b64 s[0:1], s[0:1]
	s_cbranch_execz .LBB48_231
; %bb.230:
	v_mov_b32_e32 v64, v24
	v_mov_b32_e32 v65, v25
	v_mov_b32_e32 v66, v14
	v_mov_b32_e32 v67, v15
	ds_write2_b64 v58, v[64:65], v[66:67] offset0:14 offset1:15
	v_mov_b32_e32 v64, v46
	v_mov_b32_e32 v65, v47
	v_mov_b32_e32 v66, v40
	v_mov_b32_e32 v67, v41
	ds_write2_b64 v58, v[64:65], v[66:67] offset0:16 offset1:17
	;; [unrolled: 5-line block ×4, first 2 shown]
	v_mov_b32_e32 v64, v38
	v_mov_b32_e32 v65, v39
	;; [unrolled: 1-line block ×5, first 2 shown]
	ds_write2_b64 v58, v[64:65], v[66:67] offset0:22 offset1:23
	ds_write_b64 v58, v[52:53] offset:192
.LBB48_231:
	s_or_b64 exec, exec, s[0:1]
	v_cmp_lt_i32_e32 vcc, 13, v59
	s_waitcnt lgkmcnt(0)
	s_barrier
	s_and_saveexec_b64 s[0:1], vcc
	s_cbranch_execz .LBB48_233
; %bb.232:
	ds_read2_b64 v[64:67], v58 offset0:14 offset1:15
	ds_read2_b64 v[68:71], v58 offset0:16 offset1:17
	v_mul_f64 v[34:35], v[54:55], v[34:35]
	ds_read2_b64 v[72:75], v58 offset0:18 offset1:19
	ds_read_b64 v[54:55], v58 offset:192
	s_waitcnt lgkmcnt(0)
	v_fma_f64 v[24:25], -v[34:35], v[64:65], v[24:25]
	v_fma_f64 v[14:15], -v[34:35], v[66:67], v[14:15]
	ds_read2_b64 v[64:67], v58 offset0:20 offset1:21
	v_fma_f64 v[46:47], -v[34:35], v[68:69], v[46:47]
	v_fma_f64 v[40:41], -v[34:35], v[70:71], v[40:41]
	ds_read2_b64 v[68:71], v58 offset0:22 offset1:23
	v_fma_f64 v[32:33], -v[34:35], v[72:73], v[32:33]
	v_fma_f64 v[22:23], -v[34:35], v[74:75], v[22:23]
	s_waitcnt lgkmcnt(0)
	v_fma_f64 v[48:49], -v[34:35], v[64:65], v[48:49]
	v_fma_f64 v[44:45], -v[34:35], v[66:67], v[44:45]
	;; [unrolled: 1-line block ×5, first 2 shown]
.LBB48_233:
	s_or_b64 exec, exec, s[0:1]
	v_lshl_add_u32 v54, v59, 3, v58
	s_barrier
	ds_write_b64 v54, v[24:25]
	s_waitcnt lgkmcnt(0)
	s_barrier
	ds_read_b64 v[54:55], v58 offset:112
	s_cmp_lt_i32 s12, 16
	v_mov_b32_e32 v56, 14
	s_cbranch_scc1 .LBB48_236
; %bb.234:
	v_add_u32_e32 v63, 0x78, v58
	s_mov_b32 s0, 15
	v_mov_b32_e32 v56, 14
.LBB48_235:                             ; =>This Inner Loop Header: Depth=1
	ds_read_b64 v[64:65], v63
	v_mov_b32_e32 v66, s0
	s_add_i32 s0, s0, 1
	v_add_u32_e32 v63, 8, v63
	s_cmp_lg_u32 s12, s0
	s_waitcnt lgkmcnt(0)
	v_cmp_lt_f64_e64 vcc, |v[54:55]|, |v[64:65]|
	v_cndmask_b32_e32 v55, v55, v65, vcc
	v_cndmask_b32_e32 v54, v54, v64, vcc
	;; [unrolled: 1-line block ×3, first 2 shown]
	s_cbranch_scc1 .LBB48_235
.LBB48_236:
	s_waitcnt lgkmcnt(0)
	v_cmp_eq_f64_e32 vcc, 0, v[54:55]
	s_and_saveexec_b64 s[0:1], vcc
	s_xor_b64 s[0:1], exec, s[0:1]
; %bb.237:
	v_cmp_ne_u32_e32 vcc, 0, v62
	v_cndmask_b32_e32 v62, 15, v62, vcc
; %bb.238:
	s_andn2_saveexec_b64 s[0:1], s[0:1]
; %bb.239:
	v_div_scale_f64 v[64:65], s[2:3], v[54:55], v[54:55], 1.0
	v_rcp_f64_e32 v[66:67], v[64:65]
	v_div_scale_f64 v[68:69], vcc, 1.0, v[54:55], 1.0
	v_fma_f64 v[70:71], -v[64:65], v[66:67], 1.0
	v_fmac_f64_e32 v[66:67], v[66:67], v[70:71]
	v_fma_f64 v[70:71], -v[64:65], v[66:67], 1.0
	v_fmac_f64_e32 v[66:67], v[66:67], v[70:71]
	v_mul_f64 v[70:71], v[68:69], v[66:67]
	v_fma_f64 v[64:65], -v[64:65], v[70:71], v[68:69]
	v_div_fmas_f64 v[64:65], v[64:65], v[66:67], v[70:71]
	v_div_fixup_f64 v[54:55], v[64:65], v[54:55], 1.0
; %bb.240:
	s_or_b64 exec, exec, s[0:1]
	v_cmp_ne_u32_e32 vcc, v59, v56
	s_and_saveexec_b64 s[0:1], vcc
	s_xor_b64 s[0:1], exec, s[0:1]
	s_cbranch_execz .LBB48_246
; %bb.241:
	v_cmp_eq_u32_e32 vcc, 14, v59
	s_and_saveexec_b64 s[2:3], vcc
	s_cbranch_execz .LBB48_245
; %bb.242:
	v_cmp_ne_u32_e32 vcc, 14, v56
	s_xor_b64 s[14:15], s[6:7], -1
	s_and_b64 s[16:17], s[14:15], vcc
	s_and_saveexec_b64 s[14:15], s[16:17]
	s_cbranch_execz .LBB48_244
; %bb.243:
	v_ashrrev_i32_e32 v57, 31, v56
	v_lshlrev_b64 v[64:65], 2, v[56:57]
	v_add_co_u32_e32 v64, vcc, v50, v64
	v_addc_co_u32_e32 v65, vcc, v51, v65, vcc
	flat_load_dword v57, v[64:65]
	flat_load_dword v59, v[50:51] offset:56
	s_waitcnt vmcnt(0) lgkmcnt(0)
	flat_store_dword v[50:51], v57 offset:56
	flat_store_dword v[64:65], v59
.LBB48_244:
	s_or_b64 exec, exec, s[14:15]
	v_mov_b32_e32 v57, v56
	v_mov_b32_e32 v59, v56
.LBB48_245:
	s_or_b64 exec, exec, s[2:3]
.LBB48_246:
	s_andn2_saveexec_b64 s[0:1], s[0:1]
	s_cbranch_execz .LBB48_248
; %bb.247:
	v_mov_b32_e32 v59, 14
	ds_write2_b64 v58, v[14:15], v[46:47] offset0:15 offset1:16
	ds_write2_b64 v58, v[40:41], v[32:33] offset0:17 offset1:18
	;; [unrolled: 1-line block ×5, first 2 shown]
.LBB48_248:
	s_or_b64 exec, exec, s[0:1]
	v_cmp_lt_i32_e32 vcc, 14, v59
	s_waitcnt lgkmcnt(0)
	s_barrier
	s_and_saveexec_b64 s[0:1], vcc
	s_cbranch_execz .LBB48_250
; %bb.249:
	ds_read2_b64 v[64:67], v58 offset0:15 offset1:16
	ds_read2_b64 v[68:71], v58 offset0:17 offset1:18
	v_mul_f64 v[24:25], v[54:55], v[24:25]
	ds_read2_b64 v[72:75], v58 offset0:21 offset1:22
	s_waitcnt lgkmcnt(0)
	v_fma_f64 v[14:15], -v[24:25], v[64:65], v[14:15]
	v_fma_f64 v[46:47], -v[24:25], v[66:67], v[46:47]
	ds_read2_b64 v[64:67], v58 offset0:19 offset1:20
	v_fma_f64 v[40:41], -v[24:25], v[68:69], v[40:41]
	v_fma_f64 v[32:33], -v[24:25], v[70:71], v[32:33]
	ds_read2_b64 v[68:71], v58 offset0:23 offset1:24
	v_fma_f64 v[44:45], -v[24:25], v[72:73], v[44:45]
	s_waitcnt lgkmcnt(0)
	v_fma_f64 v[22:23], -v[24:25], v[64:65], v[22:23]
	v_fma_f64 v[48:49], -v[24:25], v[66:67], v[48:49]
	v_fma_f64 v[38:39], -v[24:25], v[74:75], v[38:39]
	v_fma_f64 v[30:31], -v[24:25], v[68:69], v[30:31]
	v_fma_f64 v[52:53], -v[24:25], v[70:71], v[52:53]
.LBB48_250:
	s_or_b64 exec, exec, s[0:1]
	v_lshl_add_u32 v54, v59, 3, v58
	s_barrier
	ds_write_b64 v54, v[14:15]
	s_waitcnt lgkmcnt(0)
	s_barrier
	ds_read_b64 v[54:55], v58 offset:120
	s_cmp_lt_i32 s12, 17
	v_mov_b32_e32 v56, 15
	s_cbranch_scc1 .LBB48_253
; %bb.251:
	v_add_u32_e32 v63, 0x80, v58
	s_mov_b32 s0, 16
	v_mov_b32_e32 v56, 15
.LBB48_252:                             ; =>This Inner Loop Header: Depth=1
	ds_read_b64 v[64:65], v63
	v_mov_b32_e32 v66, s0
	s_add_i32 s0, s0, 1
	v_add_u32_e32 v63, 8, v63
	s_cmp_lg_u32 s12, s0
	s_waitcnt lgkmcnt(0)
	v_cmp_lt_f64_e64 vcc, |v[54:55]|, |v[64:65]|
	v_cndmask_b32_e32 v55, v55, v65, vcc
	v_cndmask_b32_e32 v54, v54, v64, vcc
	;; [unrolled: 1-line block ×3, first 2 shown]
	s_cbranch_scc1 .LBB48_252
.LBB48_253:
	s_waitcnt lgkmcnt(0)
	v_cmp_eq_f64_e32 vcc, 0, v[54:55]
	s_and_saveexec_b64 s[0:1], vcc
	s_xor_b64 s[0:1], exec, s[0:1]
; %bb.254:
	v_cmp_ne_u32_e32 vcc, 0, v62
	v_cndmask_b32_e32 v62, 16, v62, vcc
; %bb.255:
	s_andn2_saveexec_b64 s[0:1], s[0:1]
; %bb.256:
	v_div_scale_f64 v[64:65], s[2:3], v[54:55], v[54:55], 1.0
	v_rcp_f64_e32 v[66:67], v[64:65]
	v_div_scale_f64 v[68:69], vcc, 1.0, v[54:55], 1.0
	v_fma_f64 v[70:71], -v[64:65], v[66:67], 1.0
	v_fmac_f64_e32 v[66:67], v[66:67], v[70:71]
	v_fma_f64 v[70:71], -v[64:65], v[66:67], 1.0
	v_fmac_f64_e32 v[66:67], v[66:67], v[70:71]
	v_mul_f64 v[70:71], v[68:69], v[66:67]
	v_fma_f64 v[64:65], -v[64:65], v[70:71], v[68:69]
	v_div_fmas_f64 v[64:65], v[64:65], v[66:67], v[70:71]
	v_div_fixup_f64 v[54:55], v[64:65], v[54:55], 1.0
; %bb.257:
	s_or_b64 exec, exec, s[0:1]
	v_cmp_ne_u32_e32 vcc, v59, v56
	s_and_saveexec_b64 s[0:1], vcc
	s_xor_b64 s[0:1], exec, s[0:1]
	s_cbranch_execz .LBB48_263
; %bb.258:
	v_cmp_eq_u32_e32 vcc, 15, v59
	s_and_saveexec_b64 s[2:3], vcc
	s_cbranch_execz .LBB48_262
; %bb.259:
	v_cmp_ne_u32_e32 vcc, 15, v56
	s_xor_b64 s[14:15], s[6:7], -1
	s_and_b64 s[16:17], s[14:15], vcc
	s_and_saveexec_b64 s[14:15], s[16:17]
	s_cbranch_execz .LBB48_261
; %bb.260:
	v_ashrrev_i32_e32 v57, 31, v56
	v_lshlrev_b64 v[64:65], 2, v[56:57]
	v_add_co_u32_e32 v64, vcc, v50, v64
	v_addc_co_u32_e32 v65, vcc, v51, v65, vcc
	flat_load_dword v57, v[64:65]
	flat_load_dword v59, v[50:51] offset:60
	s_waitcnt vmcnt(0) lgkmcnt(0)
	flat_store_dword v[50:51], v57 offset:60
	flat_store_dword v[64:65], v59
.LBB48_261:
	s_or_b64 exec, exec, s[14:15]
	v_mov_b32_e32 v57, v56
	v_mov_b32_e32 v59, v56
.LBB48_262:
	s_or_b64 exec, exec, s[2:3]
.LBB48_263:
	s_andn2_saveexec_b64 s[0:1], s[0:1]
	s_cbranch_execz .LBB48_265
; %bb.264:
	v_mov_b32_e32 v64, v46
	v_mov_b32_e32 v65, v47
	v_mov_b32_e32 v66, v40
	v_mov_b32_e32 v67, v41
	ds_write2_b64 v58, v[64:65], v[66:67] offset0:16 offset1:17
	v_mov_b32_e32 v64, v32
	v_mov_b32_e32 v65, v33
	v_mov_b32_e32 v66, v22
	v_mov_b32_e32 v67, v23
	ds_write2_b64 v58, v[64:65], v[66:67] offset0:18 offset1:19
	v_mov_b32_e32 v64, v48
	v_mov_b32_e32 v65, v49
	v_mov_b32_e32 v66, v44
	v_mov_b32_e32 v67, v45
	ds_write2_b64 v58, v[64:65], v[66:67] offset0:20 offset1:21
	v_mov_b32_e32 v64, v38
	v_mov_b32_e32 v65, v39
	;; [unrolled: 1-line block ×5, first 2 shown]
	ds_write2_b64 v58, v[64:65], v[66:67] offset0:22 offset1:23
	ds_write_b64 v58, v[52:53] offset:192
.LBB48_265:
	s_or_b64 exec, exec, s[0:1]
	v_cmp_lt_i32_e32 vcc, 15, v59
	s_waitcnt lgkmcnt(0)
	s_barrier
	s_and_saveexec_b64 s[0:1], vcc
	s_cbranch_execz .LBB48_267
; %bb.266:
	ds_read2_b64 v[64:67], v58 offset0:16 offset1:17
	ds_read2_b64 v[68:71], v58 offset0:18 offset1:19
	v_mul_f64 v[14:15], v[54:55], v[14:15]
	ds_read_b64 v[54:55], v58 offset:192
	ds_read2_b64 v[72:75], v58 offset0:22 offset1:23
	s_waitcnt lgkmcnt(0)
	v_fma_f64 v[46:47], -v[14:15], v[64:65], v[46:47]
	v_fma_f64 v[40:41], -v[14:15], v[66:67], v[40:41]
	ds_read2_b64 v[64:67], v58 offset0:20 offset1:21
	v_fma_f64 v[32:33], -v[14:15], v[68:69], v[32:33]
	v_fma_f64 v[22:23], -v[14:15], v[70:71], v[22:23]
	;; [unrolled: 1-line block ×4, first 2 shown]
	s_waitcnt lgkmcnt(0)
	v_fma_f64 v[48:49], -v[14:15], v[64:65], v[48:49]
	v_fma_f64 v[44:45], -v[14:15], v[66:67], v[44:45]
	;; [unrolled: 1-line block ×3, first 2 shown]
.LBB48_267:
	s_or_b64 exec, exec, s[0:1]
	v_lshl_add_u32 v54, v59, 3, v58
	s_barrier
	ds_write_b64 v54, v[46:47]
	s_waitcnt lgkmcnt(0)
	s_barrier
	ds_read_b64 v[54:55], v58 offset:128
	s_cmp_lt_i32 s12, 18
	v_mov_b32_e32 v56, 16
	s_cbranch_scc1 .LBB48_270
; %bb.268:
	v_add_u32_e32 v63, 0x88, v58
	s_mov_b32 s0, 17
	v_mov_b32_e32 v56, 16
.LBB48_269:                             ; =>This Inner Loop Header: Depth=1
	ds_read_b64 v[64:65], v63
	v_mov_b32_e32 v66, s0
	s_add_i32 s0, s0, 1
	v_add_u32_e32 v63, 8, v63
	s_cmp_lg_u32 s12, s0
	s_waitcnt lgkmcnt(0)
	v_cmp_lt_f64_e64 vcc, |v[54:55]|, |v[64:65]|
	v_cndmask_b32_e32 v55, v55, v65, vcc
	v_cndmask_b32_e32 v54, v54, v64, vcc
	;; [unrolled: 1-line block ×3, first 2 shown]
	s_cbranch_scc1 .LBB48_269
.LBB48_270:
	s_waitcnt lgkmcnt(0)
	v_cmp_eq_f64_e32 vcc, 0, v[54:55]
	s_and_saveexec_b64 s[0:1], vcc
	s_xor_b64 s[0:1], exec, s[0:1]
; %bb.271:
	v_cmp_ne_u32_e32 vcc, 0, v62
	v_cndmask_b32_e32 v62, 17, v62, vcc
; %bb.272:
	s_andn2_saveexec_b64 s[0:1], s[0:1]
; %bb.273:
	v_div_scale_f64 v[64:65], s[2:3], v[54:55], v[54:55], 1.0
	v_rcp_f64_e32 v[66:67], v[64:65]
	v_div_scale_f64 v[68:69], vcc, 1.0, v[54:55], 1.0
	v_fma_f64 v[70:71], -v[64:65], v[66:67], 1.0
	v_fmac_f64_e32 v[66:67], v[66:67], v[70:71]
	v_fma_f64 v[70:71], -v[64:65], v[66:67], 1.0
	v_fmac_f64_e32 v[66:67], v[66:67], v[70:71]
	v_mul_f64 v[70:71], v[68:69], v[66:67]
	v_fma_f64 v[64:65], -v[64:65], v[70:71], v[68:69]
	v_div_fmas_f64 v[64:65], v[64:65], v[66:67], v[70:71]
	v_div_fixup_f64 v[54:55], v[64:65], v[54:55], 1.0
; %bb.274:
	s_or_b64 exec, exec, s[0:1]
	v_cmp_ne_u32_e32 vcc, v59, v56
	s_and_saveexec_b64 s[0:1], vcc
	s_xor_b64 s[0:1], exec, s[0:1]
	s_cbranch_execz .LBB48_280
; %bb.275:
	v_cmp_eq_u32_e32 vcc, 16, v59
	s_and_saveexec_b64 s[2:3], vcc
	s_cbranch_execz .LBB48_279
; %bb.276:
	v_cmp_ne_u32_e32 vcc, 16, v56
	s_xor_b64 s[14:15], s[6:7], -1
	s_and_b64 s[16:17], s[14:15], vcc
	s_and_saveexec_b64 s[14:15], s[16:17]
	s_cbranch_execz .LBB48_278
; %bb.277:
	v_ashrrev_i32_e32 v57, 31, v56
	v_lshlrev_b64 v[64:65], 2, v[56:57]
	v_add_co_u32_e32 v64, vcc, v50, v64
	v_addc_co_u32_e32 v65, vcc, v51, v65, vcc
	flat_load_dword v57, v[64:65]
	flat_load_dword v59, v[50:51] offset:64
	s_waitcnt vmcnt(0) lgkmcnt(0)
	flat_store_dword v[50:51], v57 offset:64
	flat_store_dword v[64:65], v59
.LBB48_278:
	s_or_b64 exec, exec, s[14:15]
	v_mov_b32_e32 v57, v56
	v_mov_b32_e32 v59, v56
.LBB48_279:
	s_or_b64 exec, exec, s[2:3]
.LBB48_280:
	s_andn2_saveexec_b64 s[0:1], s[0:1]
	s_cbranch_execz .LBB48_282
; %bb.281:
	v_mov_b32_e32 v59, 16
	ds_write2_b64 v58, v[40:41], v[32:33] offset0:17 offset1:18
	ds_write2_b64 v58, v[22:23], v[48:49] offset0:19 offset1:20
	ds_write2_b64 v58, v[44:45], v[38:39] offset0:21 offset1:22
	ds_write2_b64 v58, v[30:31], v[52:53] offset0:23 offset1:24
.LBB48_282:
	s_or_b64 exec, exec, s[0:1]
	v_cmp_lt_i32_e32 vcc, 16, v59
	s_waitcnt lgkmcnt(0)
	s_barrier
	s_and_saveexec_b64 s[0:1], vcc
	s_cbranch_execz .LBB48_284
; %bb.283:
	ds_read2_b64 v[64:67], v58 offset0:17 offset1:18
	ds_read2_b64 v[68:71], v58 offset0:19 offset1:20
	v_mul_f64 v[46:47], v[54:55], v[46:47]
	ds_read2_b64 v[72:75], v58 offset0:21 offset1:22
	s_waitcnt lgkmcnt(0)
	v_fma_f64 v[40:41], -v[46:47], v[64:65], v[40:41]
	v_fma_f64 v[32:33], -v[46:47], v[66:67], v[32:33]
	ds_read2_b64 v[64:67], v58 offset0:23 offset1:24
	v_fma_f64 v[22:23], -v[46:47], v[68:69], v[22:23]
	v_fma_f64 v[48:49], -v[46:47], v[70:71], v[48:49]
	;; [unrolled: 1-line block ×4, first 2 shown]
	s_waitcnt lgkmcnt(0)
	v_fma_f64 v[30:31], -v[46:47], v[64:65], v[30:31]
	v_fma_f64 v[52:53], -v[46:47], v[66:67], v[52:53]
.LBB48_284:
	s_or_b64 exec, exec, s[0:1]
	v_lshl_add_u32 v54, v59, 3, v58
	s_barrier
	ds_write_b64 v54, v[40:41]
	s_waitcnt lgkmcnt(0)
	s_barrier
	ds_read_b64 v[54:55], v58 offset:136
	s_cmp_lt_i32 s12, 19
	v_mov_b32_e32 v56, 17
	s_cbranch_scc1 .LBB48_287
; %bb.285:
	v_add_u32_e32 v63, 0x90, v58
	s_mov_b32 s0, 18
	v_mov_b32_e32 v56, 17
.LBB48_286:                             ; =>This Inner Loop Header: Depth=1
	ds_read_b64 v[64:65], v63
	v_mov_b32_e32 v66, s0
	s_add_i32 s0, s0, 1
	v_add_u32_e32 v63, 8, v63
	s_cmp_lg_u32 s12, s0
	s_waitcnt lgkmcnt(0)
	v_cmp_lt_f64_e64 vcc, |v[54:55]|, |v[64:65]|
	v_cndmask_b32_e32 v55, v55, v65, vcc
	v_cndmask_b32_e32 v54, v54, v64, vcc
	;; [unrolled: 1-line block ×3, first 2 shown]
	s_cbranch_scc1 .LBB48_286
.LBB48_287:
	s_waitcnt lgkmcnt(0)
	v_cmp_eq_f64_e32 vcc, 0, v[54:55]
	s_and_saveexec_b64 s[0:1], vcc
	s_xor_b64 s[0:1], exec, s[0:1]
; %bb.288:
	v_cmp_ne_u32_e32 vcc, 0, v62
	v_cndmask_b32_e32 v62, 18, v62, vcc
; %bb.289:
	s_andn2_saveexec_b64 s[0:1], s[0:1]
; %bb.290:
	v_div_scale_f64 v[64:65], s[2:3], v[54:55], v[54:55], 1.0
	v_rcp_f64_e32 v[66:67], v[64:65]
	v_div_scale_f64 v[68:69], vcc, 1.0, v[54:55], 1.0
	v_fma_f64 v[70:71], -v[64:65], v[66:67], 1.0
	v_fmac_f64_e32 v[66:67], v[66:67], v[70:71]
	v_fma_f64 v[70:71], -v[64:65], v[66:67], 1.0
	v_fmac_f64_e32 v[66:67], v[66:67], v[70:71]
	v_mul_f64 v[70:71], v[68:69], v[66:67]
	v_fma_f64 v[64:65], -v[64:65], v[70:71], v[68:69]
	v_div_fmas_f64 v[64:65], v[64:65], v[66:67], v[70:71]
	v_div_fixup_f64 v[54:55], v[64:65], v[54:55], 1.0
; %bb.291:
	s_or_b64 exec, exec, s[0:1]
	v_cmp_ne_u32_e32 vcc, v59, v56
	s_and_saveexec_b64 s[0:1], vcc
	s_xor_b64 s[0:1], exec, s[0:1]
	s_cbranch_execz .LBB48_297
; %bb.292:
	v_cmp_eq_u32_e32 vcc, 17, v59
	s_and_saveexec_b64 s[2:3], vcc
	s_cbranch_execz .LBB48_296
; %bb.293:
	v_cmp_ne_u32_e32 vcc, 17, v56
	s_xor_b64 s[14:15], s[6:7], -1
	s_and_b64 s[16:17], s[14:15], vcc
	s_and_saveexec_b64 s[14:15], s[16:17]
	s_cbranch_execz .LBB48_295
; %bb.294:
	v_ashrrev_i32_e32 v57, 31, v56
	v_lshlrev_b64 v[64:65], 2, v[56:57]
	v_add_co_u32_e32 v64, vcc, v50, v64
	v_addc_co_u32_e32 v65, vcc, v51, v65, vcc
	flat_load_dword v57, v[64:65]
	flat_load_dword v59, v[50:51] offset:68
	s_waitcnt vmcnt(0) lgkmcnt(0)
	flat_store_dword v[50:51], v57 offset:68
	flat_store_dword v[64:65], v59
.LBB48_295:
	s_or_b64 exec, exec, s[14:15]
	v_mov_b32_e32 v57, v56
	v_mov_b32_e32 v59, v56
.LBB48_296:
	s_or_b64 exec, exec, s[2:3]
.LBB48_297:
	s_andn2_saveexec_b64 s[0:1], s[0:1]
	s_cbranch_execz .LBB48_299
; %bb.298:
	v_mov_b32_e32 v64, v32
	v_mov_b32_e32 v65, v33
	;; [unrolled: 1-line block ×4, first 2 shown]
	ds_write2_b64 v58, v[64:65], v[66:67] offset0:18 offset1:19
	v_mov_b32_e32 v64, v48
	v_mov_b32_e32 v65, v49
	;; [unrolled: 1-line block ×4, first 2 shown]
	ds_write2_b64 v58, v[64:65], v[66:67] offset0:20 offset1:21
	v_mov_b32_e32 v64, v38
	v_mov_b32_e32 v65, v39
	;; [unrolled: 1-line block ×5, first 2 shown]
	ds_write2_b64 v58, v[64:65], v[66:67] offset0:22 offset1:23
	ds_write_b64 v58, v[52:53] offset:192
.LBB48_299:
	s_or_b64 exec, exec, s[0:1]
	v_cmp_lt_i32_e32 vcc, 17, v59
	s_waitcnt lgkmcnt(0)
	s_barrier
	s_and_saveexec_b64 s[0:1], vcc
	s_cbranch_execz .LBB48_301
; %bb.300:
	ds_read2_b64 v[64:67], v58 offset0:18 offset1:19
	ds_read2_b64 v[68:71], v58 offset0:20 offset1:21
	v_mul_f64 v[40:41], v[54:55], v[40:41]
	ds_read2_b64 v[72:75], v58 offset0:22 offset1:23
	ds_read_b64 v[54:55], v58 offset:192
	s_waitcnt lgkmcnt(0)
	v_fma_f64 v[32:33], -v[40:41], v[64:65], v[32:33]
	v_fma_f64 v[22:23], -v[40:41], v[66:67], v[22:23]
	;; [unrolled: 1-line block ×7, first 2 shown]
.LBB48_301:
	s_or_b64 exec, exec, s[0:1]
	v_lshl_add_u32 v54, v59, 3, v58
	s_barrier
	ds_write_b64 v54, v[32:33]
	s_waitcnt lgkmcnt(0)
	s_barrier
	ds_read_b64 v[54:55], v58 offset:144
	s_cmp_lt_i32 s12, 20
	v_mov_b32_e32 v56, 18
	s_cbranch_scc1 .LBB48_304
; %bb.302:
	v_add_u32_e32 v63, 0x98, v58
	s_mov_b32 s0, 19
	v_mov_b32_e32 v56, 18
.LBB48_303:                             ; =>This Inner Loop Header: Depth=1
	ds_read_b64 v[64:65], v63
	v_mov_b32_e32 v66, s0
	s_add_i32 s0, s0, 1
	v_add_u32_e32 v63, 8, v63
	s_cmp_lg_u32 s12, s0
	s_waitcnt lgkmcnt(0)
	v_cmp_lt_f64_e64 vcc, |v[54:55]|, |v[64:65]|
	v_cndmask_b32_e32 v55, v55, v65, vcc
	v_cndmask_b32_e32 v54, v54, v64, vcc
	;; [unrolled: 1-line block ×3, first 2 shown]
	s_cbranch_scc1 .LBB48_303
.LBB48_304:
	s_waitcnt lgkmcnt(0)
	v_cmp_eq_f64_e32 vcc, 0, v[54:55]
	s_and_saveexec_b64 s[0:1], vcc
	s_xor_b64 s[0:1], exec, s[0:1]
; %bb.305:
	v_cmp_ne_u32_e32 vcc, 0, v62
	v_cndmask_b32_e32 v62, 19, v62, vcc
; %bb.306:
	s_andn2_saveexec_b64 s[0:1], s[0:1]
; %bb.307:
	v_div_scale_f64 v[64:65], s[2:3], v[54:55], v[54:55], 1.0
	v_rcp_f64_e32 v[66:67], v[64:65]
	v_div_scale_f64 v[68:69], vcc, 1.0, v[54:55], 1.0
	v_fma_f64 v[70:71], -v[64:65], v[66:67], 1.0
	v_fmac_f64_e32 v[66:67], v[66:67], v[70:71]
	v_fma_f64 v[70:71], -v[64:65], v[66:67], 1.0
	v_fmac_f64_e32 v[66:67], v[66:67], v[70:71]
	v_mul_f64 v[70:71], v[68:69], v[66:67]
	v_fma_f64 v[64:65], -v[64:65], v[70:71], v[68:69]
	v_div_fmas_f64 v[64:65], v[64:65], v[66:67], v[70:71]
	v_div_fixup_f64 v[54:55], v[64:65], v[54:55], 1.0
; %bb.308:
	s_or_b64 exec, exec, s[0:1]
	v_cmp_ne_u32_e32 vcc, v59, v56
	s_and_saveexec_b64 s[0:1], vcc
	s_xor_b64 s[0:1], exec, s[0:1]
	s_cbranch_execz .LBB48_314
; %bb.309:
	v_cmp_eq_u32_e32 vcc, 18, v59
	s_and_saveexec_b64 s[2:3], vcc
	s_cbranch_execz .LBB48_313
; %bb.310:
	v_cmp_ne_u32_e32 vcc, 18, v56
	s_xor_b64 s[14:15], s[6:7], -1
	s_and_b64 s[16:17], s[14:15], vcc
	s_and_saveexec_b64 s[14:15], s[16:17]
	s_cbranch_execz .LBB48_312
; %bb.311:
	v_ashrrev_i32_e32 v57, 31, v56
	v_lshlrev_b64 v[64:65], 2, v[56:57]
	v_add_co_u32_e32 v64, vcc, v50, v64
	v_addc_co_u32_e32 v65, vcc, v51, v65, vcc
	flat_load_dword v57, v[64:65]
	flat_load_dword v59, v[50:51] offset:72
	s_waitcnt vmcnt(0) lgkmcnt(0)
	flat_store_dword v[50:51], v57 offset:72
	flat_store_dword v[64:65], v59
.LBB48_312:
	s_or_b64 exec, exec, s[14:15]
	v_mov_b32_e32 v57, v56
	v_mov_b32_e32 v59, v56
.LBB48_313:
	s_or_b64 exec, exec, s[2:3]
.LBB48_314:
	s_andn2_saveexec_b64 s[0:1], s[0:1]
	s_cbranch_execz .LBB48_316
; %bb.315:
	v_mov_b32_e32 v59, 18
	ds_write2_b64 v58, v[22:23], v[48:49] offset0:19 offset1:20
	ds_write2_b64 v58, v[44:45], v[38:39] offset0:21 offset1:22
	;; [unrolled: 1-line block ×3, first 2 shown]
.LBB48_316:
	s_or_b64 exec, exec, s[0:1]
	v_cmp_lt_i32_e32 vcc, 18, v59
	s_waitcnt lgkmcnt(0)
	s_barrier
	s_and_saveexec_b64 s[0:1], vcc
	s_cbranch_execz .LBB48_318
; %bb.317:
	ds_read2_b64 v[64:67], v58 offset0:19 offset1:20
	ds_read2_b64 v[68:71], v58 offset0:21 offset1:22
	;; [unrolled: 1-line block ×3, first 2 shown]
	v_mul_f64 v[32:33], v[54:55], v[32:33]
	s_waitcnt lgkmcnt(0)
	v_fma_f64 v[22:23], -v[32:33], v[64:65], v[22:23]
	v_fma_f64 v[48:49], -v[32:33], v[66:67], v[48:49]
	;; [unrolled: 1-line block ×6, first 2 shown]
.LBB48_318:
	s_or_b64 exec, exec, s[0:1]
	v_lshl_add_u32 v54, v59, 3, v58
	s_barrier
	ds_write_b64 v54, v[22:23]
	s_waitcnt lgkmcnt(0)
	s_barrier
	ds_read_b64 v[54:55], v58 offset:152
	s_cmp_lt_i32 s12, 21
	v_mov_b32_e32 v56, 19
	s_cbranch_scc1 .LBB48_321
; %bb.319:
	v_add_u32_e32 v63, 0xa0, v58
	s_mov_b32 s0, 20
	v_mov_b32_e32 v56, 19
.LBB48_320:                             ; =>This Inner Loop Header: Depth=1
	ds_read_b64 v[64:65], v63
	v_mov_b32_e32 v66, s0
	s_add_i32 s0, s0, 1
	v_add_u32_e32 v63, 8, v63
	s_cmp_lg_u32 s12, s0
	s_waitcnt lgkmcnt(0)
	v_cmp_lt_f64_e64 vcc, |v[54:55]|, |v[64:65]|
	v_cndmask_b32_e32 v55, v55, v65, vcc
	v_cndmask_b32_e32 v54, v54, v64, vcc
	;; [unrolled: 1-line block ×3, first 2 shown]
	s_cbranch_scc1 .LBB48_320
.LBB48_321:
	s_waitcnt lgkmcnt(0)
	v_cmp_eq_f64_e32 vcc, 0, v[54:55]
	s_and_saveexec_b64 s[0:1], vcc
	s_xor_b64 s[0:1], exec, s[0:1]
; %bb.322:
	v_cmp_ne_u32_e32 vcc, 0, v62
	v_cndmask_b32_e32 v62, 20, v62, vcc
; %bb.323:
	s_andn2_saveexec_b64 s[0:1], s[0:1]
; %bb.324:
	v_div_scale_f64 v[64:65], s[2:3], v[54:55], v[54:55], 1.0
	v_rcp_f64_e32 v[66:67], v[64:65]
	v_div_scale_f64 v[68:69], vcc, 1.0, v[54:55], 1.0
	v_fma_f64 v[70:71], -v[64:65], v[66:67], 1.0
	v_fmac_f64_e32 v[66:67], v[66:67], v[70:71]
	v_fma_f64 v[70:71], -v[64:65], v[66:67], 1.0
	v_fmac_f64_e32 v[66:67], v[66:67], v[70:71]
	v_mul_f64 v[70:71], v[68:69], v[66:67]
	v_fma_f64 v[64:65], -v[64:65], v[70:71], v[68:69]
	v_div_fmas_f64 v[64:65], v[64:65], v[66:67], v[70:71]
	v_div_fixup_f64 v[54:55], v[64:65], v[54:55], 1.0
; %bb.325:
	s_or_b64 exec, exec, s[0:1]
	v_cmp_ne_u32_e32 vcc, v59, v56
	s_and_saveexec_b64 s[0:1], vcc
	s_xor_b64 s[0:1], exec, s[0:1]
	s_cbranch_execz .LBB48_331
; %bb.326:
	v_cmp_eq_u32_e32 vcc, 19, v59
	s_and_saveexec_b64 s[2:3], vcc
	s_cbranch_execz .LBB48_330
; %bb.327:
	v_cmp_ne_u32_e32 vcc, 19, v56
	s_xor_b64 s[14:15], s[6:7], -1
	s_and_b64 s[16:17], s[14:15], vcc
	s_and_saveexec_b64 s[14:15], s[16:17]
	s_cbranch_execz .LBB48_329
; %bb.328:
	v_ashrrev_i32_e32 v57, 31, v56
	v_lshlrev_b64 v[64:65], 2, v[56:57]
	v_add_co_u32_e32 v64, vcc, v50, v64
	v_addc_co_u32_e32 v65, vcc, v51, v65, vcc
	flat_load_dword v57, v[64:65]
	flat_load_dword v59, v[50:51] offset:76
	s_waitcnt vmcnt(0) lgkmcnt(0)
	flat_store_dword v[50:51], v57 offset:76
	flat_store_dword v[64:65], v59
.LBB48_329:
	s_or_b64 exec, exec, s[14:15]
	v_mov_b32_e32 v57, v56
	v_mov_b32_e32 v59, v56
.LBB48_330:
	s_or_b64 exec, exec, s[2:3]
.LBB48_331:
	s_andn2_saveexec_b64 s[0:1], s[0:1]
	s_cbranch_execz .LBB48_333
; %bb.332:
	v_mov_b32_e32 v64, v48
	v_mov_b32_e32 v65, v49
	;; [unrolled: 1-line block ×4, first 2 shown]
	ds_write2_b64 v58, v[64:65], v[66:67] offset0:20 offset1:21
	v_mov_b32_e32 v64, v38
	v_mov_b32_e32 v65, v39
	;; [unrolled: 1-line block ×5, first 2 shown]
	ds_write2_b64 v58, v[64:65], v[66:67] offset0:22 offset1:23
	ds_write_b64 v58, v[52:53] offset:192
.LBB48_333:
	s_or_b64 exec, exec, s[0:1]
	v_cmp_lt_i32_e32 vcc, 19, v59
	s_waitcnt lgkmcnt(0)
	s_barrier
	s_and_saveexec_b64 s[0:1], vcc
	s_cbranch_execz .LBB48_335
; %bb.334:
	ds_read2_b64 v[64:67], v58 offset0:20 offset1:21
	ds_read2_b64 v[68:71], v58 offset0:22 offset1:23
	v_mul_f64 v[22:23], v[54:55], v[22:23]
	ds_read_b64 v[54:55], v58 offset:192
	s_waitcnt lgkmcnt(0)
	v_fma_f64 v[48:49], -v[22:23], v[64:65], v[48:49]
	v_fma_f64 v[44:45], -v[22:23], v[66:67], v[44:45]
	;; [unrolled: 1-line block ×5, first 2 shown]
.LBB48_335:
	s_or_b64 exec, exec, s[0:1]
	v_lshl_add_u32 v54, v59, 3, v58
	s_barrier
	ds_write_b64 v54, v[48:49]
	s_waitcnt lgkmcnt(0)
	s_barrier
	ds_read_b64 v[54:55], v58 offset:160
	s_cmp_lt_i32 s12, 22
	v_mov_b32_e32 v56, 20
	s_cbranch_scc1 .LBB48_338
; %bb.336:
	v_add_u32_e32 v63, 0xa8, v58
	s_mov_b32 s0, 21
	v_mov_b32_e32 v56, 20
.LBB48_337:                             ; =>This Inner Loop Header: Depth=1
	ds_read_b64 v[64:65], v63
	v_mov_b32_e32 v66, s0
	s_add_i32 s0, s0, 1
	v_add_u32_e32 v63, 8, v63
	s_cmp_lg_u32 s12, s0
	s_waitcnt lgkmcnt(0)
	v_cmp_lt_f64_e64 vcc, |v[54:55]|, |v[64:65]|
	v_cndmask_b32_e32 v55, v55, v65, vcc
	v_cndmask_b32_e32 v54, v54, v64, vcc
	;; [unrolled: 1-line block ×3, first 2 shown]
	s_cbranch_scc1 .LBB48_337
.LBB48_338:
	s_waitcnt lgkmcnt(0)
	v_cmp_eq_f64_e32 vcc, 0, v[54:55]
	s_and_saveexec_b64 s[0:1], vcc
	s_xor_b64 s[0:1], exec, s[0:1]
; %bb.339:
	v_cmp_ne_u32_e32 vcc, 0, v62
	v_cndmask_b32_e32 v62, 21, v62, vcc
; %bb.340:
	s_andn2_saveexec_b64 s[0:1], s[0:1]
; %bb.341:
	v_div_scale_f64 v[64:65], s[2:3], v[54:55], v[54:55], 1.0
	v_rcp_f64_e32 v[66:67], v[64:65]
	v_div_scale_f64 v[68:69], vcc, 1.0, v[54:55], 1.0
	v_fma_f64 v[70:71], -v[64:65], v[66:67], 1.0
	v_fmac_f64_e32 v[66:67], v[66:67], v[70:71]
	v_fma_f64 v[70:71], -v[64:65], v[66:67], 1.0
	v_fmac_f64_e32 v[66:67], v[66:67], v[70:71]
	v_mul_f64 v[70:71], v[68:69], v[66:67]
	v_fma_f64 v[64:65], -v[64:65], v[70:71], v[68:69]
	v_div_fmas_f64 v[64:65], v[64:65], v[66:67], v[70:71]
	v_div_fixup_f64 v[54:55], v[64:65], v[54:55], 1.0
; %bb.342:
	s_or_b64 exec, exec, s[0:1]
	v_cmp_ne_u32_e32 vcc, v59, v56
	s_and_saveexec_b64 s[0:1], vcc
	s_xor_b64 s[0:1], exec, s[0:1]
	s_cbranch_execz .LBB48_348
; %bb.343:
	v_cmp_eq_u32_e32 vcc, 20, v59
	s_and_saveexec_b64 s[2:3], vcc
	s_cbranch_execz .LBB48_347
; %bb.344:
	v_cmp_ne_u32_e32 vcc, 20, v56
	s_xor_b64 s[14:15], s[6:7], -1
	s_and_b64 s[16:17], s[14:15], vcc
	s_and_saveexec_b64 s[14:15], s[16:17]
	s_cbranch_execz .LBB48_346
; %bb.345:
	v_ashrrev_i32_e32 v57, 31, v56
	v_lshlrev_b64 v[64:65], 2, v[56:57]
	v_add_co_u32_e32 v64, vcc, v50, v64
	v_addc_co_u32_e32 v65, vcc, v51, v65, vcc
	flat_load_dword v57, v[64:65]
	flat_load_dword v59, v[50:51] offset:80
	s_waitcnt vmcnt(0) lgkmcnt(0)
	flat_store_dword v[50:51], v57 offset:80
	flat_store_dword v[64:65], v59
.LBB48_346:
	s_or_b64 exec, exec, s[14:15]
	v_mov_b32_e32 v57, v56
	v_mov_b32_e32 v59, v56
.LBB48_347:
	s_or_b64 exec, exec, s[2:3]
.LBB48_348:
	s_andn2_saveexec_b64 s[0:1], s[0:1]
	s_cbranch_execz .LBB48_350
; %bb.349:
	v_mov_b32_e32 v59, 20
	ds_write2_b64 v58, v[44:45], v[38:39] offset0:21 offset1:22
	ds_write2_b64 v58, v[30:31], v[52:53] offset0:23 offset1:24
.LBB48_350:
	s_or_b64 exec, exec, s[0:1]
	v_cmp_lt_i32_e32 vcc, 20, v59
	s_waitcnt lgkmcnt(0)
	s_barrier
	s_and_saveexec_b64 s[0:1], vcc
	s_cbranch_execz .LBB48_352
; %bb.351:
	ds_read2_b64 v[64:67], v58 offset0:21 offset1:22
	ds_read2_b64 v[68:71], v58 offset0:23 offset1:24
	v_mul_f64 v[48:49], v[54:55], v[48:49]
	s_waitcnt lgkmcnt(0)
	v_fma_f64 v[44:45], -v[48:49], v[64:65], v[44:45]
	v_fma_f64 v[38:39], -v[48:49], v[66:67], v[38:39]
	;; [unrolled: 1-line block ×4, first 2 shown]
.LBB48_352:
	s_or_b64 exec, exec, s[0:1]
	v_lshl_add_u32 v54, v59, 3, v58
	s_barrier
	ds_write_b64 v54, v[44:45]
	s_waitcnt lgkmcnt(0)
	s_barrier
	ds_read_b64 v[54:55], v58 offset:168
	s_cmp_lt_i32 s12, 23
	v_mov_b32_e32 v56, 21
	s_cbranch_scc1 .LBB48_355
; %bb.353:
	v_add_u32_e32 v63, 0xb0, v58
	s_mov_b32 s0, 22
	v_mov_b32_e32 v56, 21
.LBB48_354:                             ; =>This Inner Loop Header: Depth=1
	ds_read_b64 v[64:65], v63
	v_mov_b32_e32 v66, s0
	s_add_i32 s0, s0, 1
	v_add_u32_e32 v63, 8, v63
	s_cmp_lg_u32 s12, s0
	s_waitcnt lgkmcnt(0)
	v_cmp_lt_f64_e64 vcc, |v[54:55]|, |v[64:65]|
	v_cndmask_b32_e32 v55, v55, v65, vcc
	v_cndmask_b32_e32 v54, v54, v64, vcc
	;; [unrolled: 1-line block ×3, first 2 shown]
	s_cbranch_scc1 .LBB48_354
.LBB48_355:
	s_waitcnt lgkmcnt(0)
	v_cmp_eq_f64_e32 vcc, 0, v[54:55]
	s_and_saveexec_b64 s[0:1], vcc
	s_xor_b64 s[0:1], exec, s[0:1]
; %bb.356:
	v_cmp_ne_u32_e32 vcc, 0, v62
	v_cndmask_b32_e32 v62, 22, v62, vcc
; %bb.357:
	s_andn2_saveexec_b64 s[0:1], s[0:1]
; %bb.358:
	v_div_scale_f64 v[64:65], s[2:3], v[54:55], v[54:55], 1.0
	v_rcp_f64_e32 v[66:67], v[64:65]
	v_div_scale_f64 v[68:69], vcc, 1.0, v[54:55], 1.0
	v_fma_f64 v[70:71], -v[64:65], v[66:67], 1.0
	v_fmac_f64_e32 v[66:67], v[66:67], v[70:71]
	v_fma_f64 v[70:71], -v[64:65], v[66:67], 1.0
	v_fmac_f64_e32 v[66:67], v[66:67], v[70:71]
	v_mul_f64 v[70:71], v[68:69], v[66:67]
	v_fma_f64 v[64:65], -v[64:65], v[70:71], v[68:69]
	v_div_fmas_f64 v[64:65], v[64:65], v[66:67], v[70:71]
	v_div_fixup_f64 v[54:55], v[64:65], v[54:55], 1.0
; %bb.359:
	s_or_b64 exec, exec, s[0:1]
	v_cmp_ne_u32_e32 vcc, v59, v56
	s_and_saveexec_b64 s[0:1], vcc
	s_xor_b64 s[0:1], exec, s[0:1]
	s_cbranch_execz .LBB48_365
; %bb.360:
	v_cmp_eq_u32_e32 vcc, 21, v59
	s_and_saveexec_b64 s[2:3], vcc
	s_cbranch_execz .LBB48_364
; %bb.361:
	v_cmp_ne_u32_e32 vcc, 21, v56
	s_xor_b64 s[14:15], s[6:7], -1
	s_and_b64 s[16:17], s[14:15], vcc
	s_and_saveexec_b64 s[14:15], s[16:17]
	s_cbranch_execz .LBB48_363
; %bb.362:
	v_ashrrev_i32_e32 v57, 31, v56
	v_lshlrev_b64 v[64:65], 2, v[56:57]
	v_add_co_u32_e32 v64, vcc, v50, v64
	v_addc_co_u32_e32 v65, vcc, v51, v65, vcc
	flat_load_dword v57, v[64:65]
	flat_load_dword v59, v[50:51] offset:84
	s_waitcnt vmcnt(0) lgkmcnt(0)
	flat_store_dword v[50:51], v57 offset:84
	flat_store_dword v[64:65], v59
.LBB48_363:
	s_or_b64 exec, exec, s[14:15]
	v_mov_b32_e32 v57, v56
	v_mov_b32_e32 v59, v56
.LBB48_364:
	s_or_b64 exec, exec, s[2:3]
.LBB48_365:
	s_andn2_saveexec_b64 s[0:1], s[0:1]
	s_cbranch_execz .LBB48_367
; %bb.366:
	v_mov_b32_e32 v64, v38
	v_mov_b32_e32 v65, v39
	;; [unrolled: 1-line block ×5, first 2 shown]
	ds_write2_b64 v58, v[64:65], v[66:67] offset0:22 offset1:23
	ds_write_b64 v58, v[52:53] offset:192
.LBB48_367:
	s_or_b64 exec, exec, s[0:1]
	v_cmp_lt_i32_e32 vcc, 21, v59
	s_waitcnt lgkmcnt(0)
	s_barrier
	s_and_saveexec_b64 s[0:1], vcc
	s_cbranch_execz .LBB48_369
; %bb.368:
	ds_read2_b64 v[64:67], v58 offset0:22 offset1:23
	ds_read_b64 v[68:69], v58 offset:192
	v_mul_f64 v[44:45], v[54:55], v[44:45]
	s_waitcnt lgkmcnt(0)
	v_fma_f64 v[38:39], -v[44:45], v[64:65], v[38:39]
	v_fma_f64 v[30:31], -v[44:45], v[66:67], v[30:31]
	;; [unrolled: 1-line block ×3, first 2 shown]
.LBB48_369:
	s_or_b64 exec, exec, s[0:1]
	v_lshl_add_u32 v54, v59, 3, v58
	s_barrier
	ds_write_b64 v54, v[38:39]
	s_waitcnt lgkmcnt(0)
	s_barrier
	ds_read_b64 v[54:55], v58 offset:176
	s_cmp_lt_i32 s12, 24
	v_mov_b32_e32 v56, 22
	s_cbranch_scc1 .LBB48_372
; %bb.370:
	v_add_u32_e32 v63, 0xb8, v58
	s_mov_b32 s0, 23
	v_mov_b32_e32 v56, 22
.LBB48_371:                             ; =>This Inner Loop Header: Depth=1
	ds_read_b64 v[64:65], v63
	v_mov_b32_e32 v66, s0
	s_add_i32 s0, s0, 1
	v_add_u32_e32 v63, 8, v63
	s_cmp_lg_u32 s12, s0
	s_waitcnt lgkmcnt(0)
	v_cmp_lt_f64_e64 vcc, |v[54:55]|, |v[64:65]|
	v_cndmask_b32_e32 v55, v55, v65, vcc
	v_cndmask_b32_e32 v54, v54, v64, vcc
	;; [unrolled: 1-line block ×3, first 2 shown]
	s_cbranch_scc1 .LBB48_371
.LBB48_372:
	s_waitcnt lgkmcnt(0)
	v_cmp_eq_f64_e32 vcc, 0, v[54:55]
	s_and_saveexec_b64 s[0:1], vcc
	s_xor_b64 s[0:1], exec, s[0:1]
; %bb.373:
	v_cmp_ne_u32_e32 vcc, 0, v62
	v_cndmask_b32_e32 v62, 23, v62, vcc
; %bb.374:
	s_andn2_saveexec_b64 s[0:1], s[0:1]
; %bb.375:
	v_div_scale_f64 v[64:65], s[2:3], v[54:55], v[54:55], 1.0
	v_rcp_f64_e32 v[66:67], v[64:65]
	v_div_scale_f64 v[68:69], vcc, 1.0, v[54:55], 1.0
	v_fma_f64 v[70:71], -v[64:65], v[66:67], 1.0
	v_fmac_f64_e32 v[66:67], v[66:67], v[70:71]
	v_fma_f64 v[70:71], -v[64:65], v[66:67], 1.0
	v_fmac_f64_e32 v[66:67], v[66:67], v[70:71]
	v_mul_f64 v[70:71], v[68:69], v[66:67]
	v_fma_f64 v[64:65], -v[64:65], v[70:71], v[68:69]
	v_div_fmas_f64 v[64:65], v[64:65], v[66:67], v[70:71]
	v_div_fixup_f64 v[54:55], v[64:65], v[54:55], 1.0
; %bb.376:
	s_or_b64 exec, exec, s[0:1]
	v_cmp_ne_u32_e32 vcc, v59, v56
	s_and_saveexec_b64 s[0:1], vcc
	s_xor_b64 s[0:1], exec, s[0:1]
	s_cbranch_execz .LBB48_382
; %bb.377:
	v_cmp_eq_u32_e32 vcc, 22, v59
	s_and_saveexec_b64 s[2:3], vcc
	s_cbranch_execz .LBB48_381
; %bb.378:
	v_cmp_ne_u32_e32 vcc, 22, v56
	s_xor_b64 s[14:15], s[6:7], -1
	s_and_b64 s[16:17], s[14:15], vcc
	s_and_saveexec_b64 s[14:15], s[16:17]
	s_cbranch_execz .LBB48_380
; %bb.379:
	v_ashrrev_i32_e32 v57, 31, v56
	v_lshlrev_b64 v[64:65], 2, v[56:57]
	v_add_co_u32_e32 v64, vcc, v50, v64
	v_addc_co_u32_e32 v65, vcc, v51, v65, vcc
	flat_load_dword v57, v[64:65]
	flat_load_dword v59, v[50:51] offset:88
	s_waitcnt vmcnt(0) lgkmcnt(0)
	flat_store_dword v[50:51], v57 offset:88
	flat_store_dword v[64:65], v59
.LBB48_380:
	s_or_b64 exec, exec, s[14:15]
	v_mov_b32_e32 v57, v56
	v_mov_b32_e32 v59, v56
.LBB48_381:
	s_or_b64 exec, exec, s[2:3]
.LBB48_382:
	s_andn2_saveexec_b64 s[0:1], s[0:1]
	s_cbranch_execz .LBB48_384
; %bb.383:
	v_mov_b32_e32 v59, 22
	ds_write2_b64 v58, v[30:31], v[52:53] offset0:23 offset1:24
.LBB48_384:
	s_or_b64 exec, exec, s[0:1]
	v_cmp_lt_i32_e32 vcc, 22, v59
	s_waitcnt lgkmcnt(0)
	s_barrier
	s_and_saveexec_b64 s[0:1], vcc
	s_cbranch_execz .LBB48_386
; %bb.385:
	ds_read2_b64 v[64:67], v58 offset0:23 offset1:24
	v_mul_f64 v[38:39], v[54:55], v[38:39]
	s_waitcnt lgkmcnt(0)
	v_fma_f64 v[30:31], -v[38:39], v[64:65], v[30:31]
	v_fma_f64 v[52:53], -v[38:39], v[66:67], v[52:53]
.LBB48_386:
	s_or_b64 exec, exec, s[0:1]
	v_lshl_add_u32 v54, v59, 3, v58
	s_barrier
	ds_write_b64 v54, v[30:31]
	s_waitcnt lgkmcnt(0)
	s_barrier
	ds_read_b64 v[54:55], v58 offset:184
	s_cmp_lt_i32 s12, 25
	v_mov_b32_e32 v56, 23
	s_cbranch_scc1 .LBB48_389
; %bb.387:
	v_add_u32_e32 v63, 0xc0, v58
	s_mov_b32 s0, 24
	v_mov_b32_e32 v56, 23
.LBB48_388:                             ; =>This Inner Loop Header: Depth=1
	ds_read_b64 v[64:65], v63
	v_mov_b32_e32 v66, s0
	s_add_i32 s0, s0, 1
	v_add_u32_e32 v63, 8, v63
	s_cmp_lg_u32 s12, s0
	s_waitcnt lgkmcnt(0)
	v_cmp_lt_f64_e64 vcc, |v[54:55]|, |v[64:65]|
	v_cndmask_b32_e32 v55, v55, v65, vcc
	v_cndmask_b32_e32 v54, v54, v64, vcc
	;; [unrolled: 1-line block ×3, first 2 shown]
	s_cbranch_scc1 .LBB48_388
.LBB48_389:
	s_waitcnt lgkmcnt(0)
	v_cmp_eq_f64_e32 vcc, 0, v[54:55]
	s_and_saveexec_b64 s[0:1], vcc
	s_xor_b64 s[0:1], exec, s[0:1]
; %bb.390:
	v_cmp_ne_u32_e32 vcc, 0, v62
	v_cndmask_b32_e32 v62, 24, v62, vcc
; %bb.391:
	s_andn2_saveexec_b64 s[0:1], s[0:1]
; %bb.392:
	v_div_scale_f64 v[64:65], s[2:3], v[54:55], v[54:55], 1.0
	v_rcp_f64_e32 v[66:67], v[64:65]
	v_div_scale_f64 v[68:69], vcc, 1.0, v[54:55], 1.0
	v_fma_f64 v[70:71], -v[64:65], v[66:67], 1.0
	v_fmac_f64_e32 v[66:67], v[66:67], v[70:71]
	v_fma_f64 v[70:71], -v[64:65], v[66:67], 1.0
	v_fmac_f64_e32 v[66:67], v[66:67], v[70:71]
	v_mul_f64 v[70:71], v[68:69], v[66:67]
	v_fma_f64 v[64:65], -v[64:65], v[70:71], v[68:69]
	v_div_fmas_f64 v[64:65], v[64:65], v[66:67], v[70:71]
	v_div_fixup_f64 v[54:55], v[64:65], v[54:55], 1.0
; %bb.393:
	s_or_b64 exec, exec, s[0:1]
	v_cmp_ne_u32_e32 vcc, v59, v56
	s_and_saveexec_b64 s[0:1], vcc
	s_xor_b64 s[0:1], exec, s[0:1]
	s_cbranch_execz .LBB48_399
; %bb.394:
	v_cmp_eq_u32_e32 vcc, 23, v59
	s_and_saveexec_b64 s[2:3], vcc
	s_cbranch_execz .LBB48_398
; %bb.395:
	v_cmp_ne_u32_e32 vcc, 23, v56
	s_xor_b64 s[14:15], s[6:7], -1
	s_and_b64 s[16:17], s[14:15], vcc
	s_and_saveexec_b64 s[14:15], s[16:17]
	s_cbranch_execz .LBB48_397
; %bb.396:
	v_ashrrev_i32_e32 v57, 31, v56
	v_lshlrev_b64 v[64:65], 2, v[56:57]
	v_add_co_u32_e32 v64, vcc, v50, v64
	v_addc_co_u32_e32 v65, vcc, v51, v65, vcc
	flat_load_dword v57, v[64:65]
	flat_load_dword v59, v[50:51] offset:92
	s_waitcnt vmcnt(0) lgkmcnt(0)
	flat_store_dword v[50:51], v57 offset:92
	flat_store_dword v[64:65], v59
.LBB48_397:
	s_or_b64 exec, exec, s[14:15]
	v_mov_b32_e32 v57, v56
	v_mov_b32_e32 v59, v56
.LBB48_398:
	s_or_b64 exec, exec, s[2:3]
.LBB48_399:
	s_andn2_saveexec_b64 s[0:1], s[0:1]
	s_cbranch_execz .LBB48_401
; %bb.400:
	v_mov_b32_e32 v59, 23
	ds_write_b64 v58, v[52:53] offset:192
.LBB48_401:
	s_or_b64 exec, exec, s[0:1]
	v_cmp_lt_i32_e32 vcc, 23, v59
	s_waitcnt lgkmcnt(0)
	s_barrier
	s_and_saveexec_b64 s[0:1], vcc
	s_cbranch_execz .LBB48_403
; %bb.402:
	ds_read_b64 v[64:65], v58 offset:192
	v_mul_f64 v[30:31], v[54:55], v[30:31]
	s_waitcnt lgkmcnt(0)
	v_fma_f64 v[52:53], -v[30:31], v[64:65], v[52:53]
.LBB48_403:
	s_or_b64 exec, exec, s[0:1]
	v_lshl_add_u32 v54, v59, 3, v58
	s_barrier
	ds_write_b64 v54, v[52:53]
	s_waitcnt lgkmcnt(0)
	s_barrier
	ds_read_b64 v[54:55], v58 offset:192
	s_cmp_lt_i32 s12, 26
	v_mov_b32_e32 v56, 24
	s_cbranch_scc1 .LBB48_406
; %bb.404:
	v_add_u32_e32 v58, 0xc8, v58
	s_mov_b32 s0, 25
	v_mov_b32_e32 v56, 24
.LBB48_405:                             ; =>This Inner Loop Header: Depth=1
	ds_read_b64 v[64:65], v58
	v_mov_b32_e32 v63, s0
	s_add_i32 s0, s0, 1
	v_add_u32_e32 v58, 8, v58
	s_cmp_lg_u32 s12, s0
	s_waitcnt lgkmcnt(0)
	v_cmp_lt_f64_e64 vcc, |v[54:55]|, |v[64:65]|
	v_cndmask_b32_e32 v55, v55, v65, vcc
	v_cndmask_b32_e32 v54, v54, v64, vcc
	;; [unrolled: 1-line block ×3, first 2 shown]
	s_cbranch_scc1 .LBB48_405
.LBB48_406:
	s_waitcnt lgkmcnt(0)
	v_cmp_eq_f64_e32 vcc, 0, v[54:55]
	s_and_saveexec_b64 s[0:1], vcc
	s_xor_b64 s[0:1], exec, s[0:1]
; %bb.407:
	v_cmp_ne_u32_e32 vcc, 0, v62
	v_cndmask_b32_e32 v62, 25, v62, vcc
; %bb.408:
	s_andn2_saveexec_b64 s[0:1], s[0:1]
; %bb.409:
	v_div_scale_f64 v[64:65], s[2:3], v[54:55], v[54:55], 1.0
	v_rcp_f64_e32 v[66:67], v[64:65]
	v_div_scale_f64 v[68:69], vcc, 1.0, v[54:55], 1.0
	v_fma_f64 v[70:71], -v[64:65], v[66:67], 1.0
	v_fmac_f64_e32 v[66:67], v[66:67], v[70:71]
	v_fma_f64 v[70:71], -v[64:65], v[66:67], 1.0
	v_fmac_f64_e32 v[66:67], v[66:67], v[70:71]
	v_mul_f64 v[70:71], v[68:69], v[66:67]
	v_fma_f64 v[64:65], -v[64:65], v[70:71], v[68:69]
	v_div_fmas_f64 v[64:65], v[64:65], v[66:67], v[70:71]
	v_div_fixup_f64 v[54:55], v[64:65], v[54:55], 1.0
; %bb.410:
	s_or_b64 exec, exec, s[0:1]
	v_cmp_ne_u32_e32 vcc, v59, v56
	v_mov_b32_e32 v58, 24
	s_and_saveexec_b64 s[0:1], vcc
	s_cbranch_execz .LBB48_416
; %bb.411:
	v_cmp_eq_u32_e32 vcc, 24, v59
	s_and_saveexec_b64 s[2:3], vcc
	s_cbranch_execz .LBB48_415
; %bb.412:
	v_cmp_ne_u32_e32 vcc, 24, v56
	s_xor_b64 s[6:7], s[6:7], -1
	s_and_b64 s[14:15], s[6:7], vcc
	s_and_saveexec_b64 s[6:7], s[14:15]
	s_cbranch_execz .LBB48_414
; %bb.413:
	v_ashrrev_i32_e32 v57, 31, v56
	v_lshlrev_b64 v[58:59], 2, v[56:57]
	v_add_co_u32_e32 v58, vcc, v50, v58
	v_addc_co_u32_e32 v59, vcc, v51, v59, vcc
	flat_load_dword v57, v[58:59]
	flat_load_dword v63, v[50:51] offset:96
	s_waitcnt vmcnt(0) lgkmcnt(0)
	flat_store_dword v[50:51], v57 offset:96
	flat_store_dword v[58:59], v63
.LBB48_414:
	s_or_b64 exec, exec, s[6:7]
	v_mov_b32_e32 v57, v56
	v_mov_b32_e32 v59, v56
.LBB48_415:
	s_or_b64 exec, exec, s[2:3]
	v_mov_b32_e32 v58, v59
.LBB48_416:
	s_or_b64 exec, exec, s[0:1]
	s_load_dwordx8 s[0:7], s[4:5], 0x28
	v_cmp_gt_i32_e32 vcc, 25, v58
	v_ashrrev_i32_e32 v59, 31, v58
	s_waitcnt lgkmcnt(0)
	s_barrier
	s_barrier
	s_and_saveexec_b64 s[14:15], vcc
	s_cbranch_execz .LBB48_418
; %bb.417:
	v_mul_lo_u32 v56, v3, s4
	v_mul_lo_u32 v63, v2, s5
	v_mad_u64_u32 v[50:51], s[4:5], v2, s4, 0
	s_lshl_b64 s[2:3], s[2:3], 2
	v_add3_u32 v51, v51, v63, v56
	s_add_u32 s0, s2, s0
	v_lshlrev_b64 v[50:51], 2, v[50:51]
	s_addc_u32 s1, s3, s1
	v_mov_b32_e32 v56, s1
	v_add_co_u32_e32 v63, vcc, s0, v50
	v_addc_co_u32_e32 v56, vcc, v56, v51, vcc
	v_lshlrev_b64 v[50:51], 2, v[58:59]
	v_add_co_u32_e32 v50, vcc, v63, v50
	v_addc_co_u32_e32 v51, vcc, v56, v51, vcc
	v_add3_u32 v56, v57, s13, 1
	global_store_dword v[50:51], v56, off
.LBB48_418:
	s_or_b64 exec, exec, s[14:15]
	v_cmp_eq_u32_e32 vcc, 0, v58
	s_and_saveexec_b64 s[2:3], vcc
	s_cbranch_execz .LBB48_421
; %bb.419:
	v_lshlrev_b64 v[2:3], 2, v[2:3]
	v_mov_b32_e32 v50, s7
	v_add_co_u32_e32 v2, vcc, s6, v2
	v_addc_co_u32_e32 v3, vcc, v50, v3, vcc
	global_load_dword v50, v[2:3], off
	v_cmp_lt_i32_e64 s[0:1], 0, v62
	s_waitcnt vmcnt(0)
	v_cmp_eq_u32_e32 vcc, 0, v50
	s_and_b64 s[0:1], vcc, s[0:1]
	s_and_b64 exec, exec, s[0:1]
	s_cbranch_execz .LBB48_421
; %bb.420:
	v_add_u32_e32 v50, s13, v62
	global_store_dword v[2:3], v50, off
.LBB48_421:
	s_or_b64 exec, exec, s[2:3]
	v_mul_f64 v[2:3], v[54:55], v[52:53]
	v_cmp_lt_i32_e32 vcc, 24, v58
	v_lshlrev_b64 v[50:51], 3, v[58:59]
	v_cndmask_b32_e32 v3, v53, v3, vcc
	v_cndmask_b32_e32 v2, v52, v2, vcc
	v_add_co_u32_e32 v50, vcc, v60, v50
	v_addc_co_u32_e32 v51, vcc, v61, v51, vcc
	global_store_dwordx2 v[50:51], v[18:19], off
	v_mov_b32_e32 v19, s11
	v_add_co_u32_e32 v18, vcc, s10, v50
	v_addc_co_u32_e32 v19, vcc, v51, v19, vcc
	global_store_dwordx2 v[18:19], v[12:13], off
	v_add_u32_e32 v12, s9, v58
	v_ashrrev_i32_e32 v13, 31, v12
	v_lshlrev_b64 v[18:19], 3, v[12:13]
	v_add_co_u32_e32 v18, vcc, v60, v18
	v_addc_co_u32_e32 v19, vcc, v61, v19, vcc
	global_store_dwordx2 v[18:19], v[6:7], off
	v_add_u32_e32 v6, s8, v12
	v_ashrrev_i32_e32 v7, 31, v6
	v_lshlrev_b64 v[12:13], 3, v[6:7]
	;; [unrolled: 6-line block ×3, first 2 shown]
	v_add_co_u32_e32 v6, vcc, v60, v6
	v_add_u32_e32 v0, s8, v0
	v_addc_co_u32_e32 v7, vcc, v61, v7, vcc
	v_ashrrev_i32_e32 v1, 31, v0
	global_store_dwordx2 v[6:7], v[28:29], off
	v_lshlrev_b64 v[6:7], 3, v[0:1]
	v_add_co_u32_e32 v6, vcc, v60, v6
	v_add_u32_e32 v0, s8, v0
	v_addc_co_u32_e32 v7, vcc, v61, v7, vcc
	v_ashrrev_i32_e32 v1, 31, v0
	global_store_dwordx2 v[6:7], v[20:21], off
	v_lshlrev_b64 v[6:7], 3, v[0:1]
	;; [unrolled: 6-line block ×19, first 2 shown]
	v_add_u32_e32 v0, s8, v0
	v_add_co_u32_e32 v4, vcc, v60, v4
	v_ashrrev_i32_e32 v1, 31, v0
	v_addc_co_u32_e32 v5, vcc, v61, v5, vcc
	v_lshlrev_b64 v[0:1], 3, v[0:1]
	v_add_co_u32_e32 v0, vcc, v60, v0
	v_addc_co_u32_e32 v1, vcc, v61, v1, vcc
	global_store_dwordx2 v[4:5], v[30:31], off
	global_store_dwordx2 v[0:1], v[2:3], off
.LBB48_422:
	s_endpgm
	.section	.rodata,"a",@progbits
	.p2align	6, 0x0
	.amdhsa_kernel _ZN9rocsolver6v33100L18getf2_small_kernelILi25EdiiPKPdEEvT1_T3_lS5_lPS5_llPT2_S5_S5_S7_l
		.amdhsa_group_segment_fixed_size 0
		.amdhsa_private_segment_fixed_size 0
		.amdhsa_kernarg_size 352
		.amdhsa_user_sgpr_count 6
		.amdhsa_user_sgpr_private_segment_buffer 1
		.amdhsa_user_sgpr_dispatch_ptr 0
		.amdhsa_user_sgpr_queue_ptr 0
		.amdhsa_user_sgpr_kernarg_segment_ptr 1
		.amdhsa_user_sgpr_dispatch_id 0
		.amdhsa_user_sgpr_flat_scratch_init 0
		.amdhsa_user_sgpr_kernarg_preload_length 0
		.amdhsa_user_sgpr_kernarg_preload_offset 0
		.amdhsa_user_sgpr_private_segment_size 0
		.amdhsa_uses_dynamic_stack 0
		.amdhsa_system_sgpr_private_segment_wavefront_offset 0
		.amdhsa_system_sgpr_workgroup_id_x 1
		.amdhsa_system_sgpr_workgroup_id_y 1
		.amdhsa_system_sgpr_workgroup_id_z 0
		.amdhsa_system_sgpr_workgroup_info 0
		.amdhsa_system_vgpr_workitem_id 1
		.amdhsa_next_free_vgpr 76
		.amdhsa_next_free_sgpr 20
		.amdhsa_accum_offset 76
		.amdhsa_reserve_vcc 1
		.amdhsa_reserve_flat_scratch 0
		.amdhsa_float_round_mode_32 0
		.amdhsa_float_round_mode_16_64 0
		.amdhsa_float_denorm_mode_32 3
		.amdhsa_float_denorm_mode_16_64 3
		.amdhsa_dx10_clamp 1
		.amdhsa_ieee_mode 1
		.amdhsa_fp16_overflow 0
		.amdhsa_tg_split 0
		.amdhsa_exception_fp_ieee_invalid_op 0
		.amdhsa_exception_fp_denorm_src 0
		.amdhsa_exception_fp_ieee_div_zero 0
		.amdhsa_exception_fp_ieee_overflow 0
		.amdhsa_exception_fp_ieee_underflow 0
		.amdhsa_exception_fp_ieee_inexact 0
		.amdhsa_exception_int_div_zero 0
	.end_amdhsa_kernel
	.section	.text._ZN9rocsolver6v33100L18getf2_small_kernelILi25EdiiPKPdEEvT1_T3_lS5_lPS5_llPT2_S5_S5_S7_l,"axG",@progbits,_ZN9rocsolver6v33100L18getf2_small_kernelILi25EdiiPKPdEEvT1_T3_lS5_lPS5_llPT2_S5_S5_S7_l,comdat
.Lfunc_end48:
	.size	_ZN9rocsolver6v33100L18getf2_small_kernelILi25EdiiPKPdEEvT1_T3_lS5_lPS5_llPT2_S5_S5_S7_l, .Lfunc_end48-_ZN9rocsolver6v33100L18getf2_small_kernelILi25EdiiPKPdEEvT1_T3_lS5_lPS5_llPT2_S5_S5_S7_l
                                        ; -- End function
	.section	.AMDGPU.csdata,"",@progbits
; Kernel info:
; codeLenInByte = 18052
; NumSgprs: 24
; NumVgprs: 76
; NumAgprs: 0
; TotalNumVgprs: 76
; ScratchSize: 0
; MemoryBound: 0
; FloatMode: 240
; IeeeMode: 1
; LDSByteSize: 0 bytes/workgroup (compile time only)
; SGPRBlocks: 2
; VGPRBlocks: 9
; NumSGPRsForWavesPerEU: 24
; NumVGPRsForWavesPerEU: 76
; AccumOffset: 76
; Occupancy: 6
; WaveLimiterHint : 1
; COMPUTE_PGM_RSRC2:SCRATCH_EN: 0
; COMPUTE_PGM_RSRC2:USER_SGPR: 6
; COMPUTE_PGM_RSRC2:TRAP_HANDLER: 0
; COMPUTE_PGM_RSRC2:TGID_X_EN: 1
; COMPUTE_PGM_RSRC2:TGID_Y_EN: 1
; COMPUTE_PGM_RSRC2:TGID_Z_EN: 0
; COMPUTE_PGM_RSRC2:TIDIG_COMP_CNT: 1
; COMPUTE_PGM_RSRC3_GFX90A:ACCUM_OFFSET: 18
; COMPUTE_PGM_RSRC3_GFX90A:TG_SPLIT: 0
	.section	.text._ZN9rocsolver6v33100L23getf2_npvt_small_kernelILi25EdiiPKPdEEvT1_T3_lS5_lPT2_S5_S5_,"axG",@progbits,_ZN9rocsolver6v33100L23getf2_npvt_small_kernelILi25EdiiPKPdEEvT1_T3_lS5_lPT2_S5_S5_,comdat
	.globl	_ZN9rocsolver6v33100L23getf2_npvt_small_kernelILi25EdiiPKPdEEvT1_T3_lS5_lPT2_S5_S5_ ; -- Begin function _ZN9rocsolver6v33100L23getf2_npvt_small_kernelILi25EdiiPKPdEEvT1_T3_lS5_lPT2_S5_S5_
	.p2align	8
	.type	_ZN9rocsolver6v33100L23getf2_npvt_small_kernelILi25EdiiPKPdEEvT1_T3_lS5_lPT2_S5_S5_,@function
_ZN9rocsolver6v33100L23getf2_npvt_small_kernelILi25EdiiPKPdEEvT1_T3_lS5_lPT2_S5_S5_: ; @_ZN9rocsolver6v33100L23getf2_npvt_small_kernelILi25EdiiPKPdEEvT1_T3_lS5_lPT2_S5_S5_
; %bb.0:
	s_load_dword s0, s[4:5], 0x44
	s_load_dwordx2 s[8:9], s[4:5], 0x30
	v_bfe_u32 v102, v0, 10, 10
	s_waitcnt lgkmcnt(0)
	s_lshr_b32 s10, s0, 16
	s_mul_i32 s7, s7, s10
	v_add_u32_e32 v2, s7, v102
	v_cmp_gt_i32_e32 vcc, s8, v2
	s_and_saveexec_b64 s[0:1], vcc
	s_cbranch_execz .LBB49_128
; %bb.1:
	s_load_dwordx4 s[12:15], s[4:5], 0x8
	s_load_dword s0, s[4:5], 0x18
	v_ashrrev_i32_e32 v3, 31, v2
	v_lshlrev_b64 v[4:5], 3, v[2:3]
	v_and_b32_e32 v152, 0x3ff, v0
	s_waitcnt lgkmcnt(0)
	v_mov_b32_e32 v1, s13
	v_add_co_u32_e32 v4, vcc, s12, v4
	v_addc_co_u32_e32 v5, vcc, v1, v5, vcc
	global_load_dwordx2 v[4:5], v[4:5], off
	s_add_i32 s8, s0, s0
	v_add_u32_e32 v0, s8, v152
	v_ashrrev_i32_e32 v1, 31, v0
	v_add_u32_e32 v6, s0, v0
	v_lshlrev_b64 v[8:9], 3, v[0:1]
	v_add_u32_e32 v0, s0, v6
	v_ashrrev_i32_e32 v1, 31, v0
	v_add_u32_e32 v10, s0, v0
	v_lshlrev_b64 v[12:13], 3, v[0:1]
	v_add_u32_e32 v0, s0, v10
	s_lshl_b64 s[6:7], s[14:15], 3
	v_ashrrev_i32_e32 v1, 31, v0
	v_add_u32_e32 v14, s0, v0
	v_mov_b32_e32 v23, s7
	v_lshlrev_b64 v[16:17], 3, v[0:1]
	v_add_u32_e32 v0, s0, v14
	v_lshlrev_b32_e32 v22, 3, v152
	v_ashrrev_i32_e32 v1, 31, v0
	v_add_u32_e32 v18, s0, v0
	v_lshlrev_b64 v[20:21], 3, v[0:1]
	v_ashrrev_i32_e32 v7, 31, v6
	v_lshlrev_b64 v[6:7], 3, v[6:7]
	v_ashrrev_i32_e32 v11, 31, v10
	;; [unrolled: 2-line block ×4, first 2 shown]
	v_add_u32_e32 v24, s0, v18
	v_lshlrev_b64 v[18:19], 3, v[18:19]
	s_ashr_i32 s1, s0, 31
	s_lshl_b64 s[2:3], s[0:1], 3
	v_mov_b32_e32 v28, s3
	v_ashrrev_i32_e32 v25, 31, v24
	v_lshlrev_b64 v[26:27], 3, v[24:25]
	s_mulk_i32 s10, 0xc8
	s_add_i32 s1, s10, 0
	v_lshl_add_u32 v150, v102, 3, s1
	s_waitcnt vmcnt(0)
	v_add_co_u32_e32 v52, vcc, s6, v4
	v_addc_co_u32_e32 v53, vcc, v5, v23, vcc
	v_add_co_u32_e32 v0, vcc, v52, v22
	v_addc_co_u32_e32 v1, vcc, 0, v53, vcc
	;; [unrolled: 2-line block ×11, first 2 shown]
	v_add_co_u32_e32 v20, vcc, v52, v26
	v_add_u32_e32 v26, s0, v24
	v_addc_co_u32_e32 v21, vcc, v53, v27, vcc
	v_ashrrev_i32_e32 v27, 31, v26
	v_lshlrev_b64 v[24:25], 3, v[26:27]
	v_add_u32_e32 v28, s0, v26
	v_add_co_u32_e32 v24, vcc, v52, v24
	v_ashrrev_i32_e32 v29, 31, v28
	v_addc_co_u32_e32 v25, vcc, v53, v25, vcc
	v_lshlrev_b64 v[26:27], 3, v[28:29]
	v_add_u32_e32 v30, s0, v28
	v_add_co_u32_e32 v26, vcc, v52, v26
	v_ashrrev_i32_e32 v31, 31, v30
	v_addc_co_u32_e32 v27, vcc, v53, v27, vcc
	;; [unrolled: 5-line block ×13, first 2 shown]
	v_lshlrev_b64 v[50:51], 3, v[50:51]
	v_add_co_u32_e32 v50, vcc, v52, v50
	v_addc_co_u32_e32 v51, vcc, v53, v51, vcc
	global_load_dwordx2 v[52:53], v[0:1], off
	global_load_dwordx2 v[76:77], v[22:23], off
	;; [unrolled: 1-line block ×25, first 2 shown]
	s_movk_i32 s0, 0xc8
	v_mad_u32_u24 v151, v102, s0, 0
	v_cmp_ne_u32_e64 s[2:3], 0, v152
	v_cmp_eq_u32_e64 s[0:1], 0, v152
	s_and_saveexec_b64 s[6:7], s[0:1]
	s_cbranch_execz .LBB49_4
; %bb.2:
	s_waitcnt vmcnt(24)
	ds_write_b64 v150, v[52:53]
	s_waitcnt vmcnt(22)
	ds_write2_b64 v151, v[76:77], v[98:99] offset0:1 offset1:2
	s_waitcnt vmcnt(20)
	ds_write2_b64 v151, v[74:75], v[96:97] offset0:3 offset1:4
	;; [unrolled: 2-line block ×12, first 2 shown]
	ds_read_b64 v[102:103], v150
	s_waitcnt lgkmcnt(0)
	v_cmp_neq_f64_e32 vcc, 0, v[102:103]
	s_and_b64 exec, exec, vcc
	s_cbranch_execz .LBB49_4
; %bb.3:
	v_div_scale_f64 v[104:105], s[10:11], v[102:103], v[102:103], 1.0
	v_rcp_f64_e32 v[106:107], v[104:105]
	v_div_scale_f64 v[108:109], vcc, 1.0, v[102:103], 1.0
	v_fma_f64 v[110:111], -v[104:105], v[106:107], 1.0
	v_fmac_f64_e32 v[106:107], v[106:107], v[110:111]
	v_fma_f64 v[110:111], -v[104:105], v[106:107], 1.0
	v_fmac_f64_e32 v[106:107], v[106:107], v[110:111]
	v_mul_f64 v[110:111], v[108:109], v[106:107]
	v_fma_f64 v[104:105], -v[104:105], v[110:111], v[108:109]
	v_div_fmas_f64 v[104:105], v[104:105], v[106:107], v[110:111]
	v_div_fixup_f64 v[102:103], v[104:105], v[102:103], 1.0
	ds_write_b64 v150, v[102:103]
.LBB49_4:
	s_or_b64 exec, exec, s[6:7]
	s_waitcnt lgkmcnt(0)
	s_barrier
	ds_read_b64 v[102:103], v150
	s_and_saveexec_b64 s[6:7], s[2:3]
	s_cbranch_execz .LBB49_6
; %bb.5:
	ds_read2_b64 v[104:107], v151 offset0:1 offset1:2
	ds_read2_b64 v[108:111], v151 offset0:3 offset1:4
	;; [unrolled: 1-line block ×3, first 2 shown]
	s_waitcnt vmcnt(24) lgkmcnt(3)
	v_mul_f64 v[52:53], v[102:103], v[52:53]
	s_waitcnt vmcnt(23) lgkmcnt(2)
	v_fma_f64 v[76:77], -v[52:53], v[104:105], v[76:77]
	s_waitcnt vmcnt(22)
	v_fma_f64 v[98:99], -v[52:53], v[106:107], v[98:99]
	ds_read2_b64 v[104:107], v151 offset0:7 offset1:8
	s_waitcnt vmcnt(21) lgkmcnt(2)
	v_fma_f64 v[74:75], -v[52:53], v[108:109], v[74:75]
	s_waitcnt vmcnt(20)
	v_fma_f64 v[96:97], -v[52:53], v[110:111], v[96:97]
	s_waitcnt vmcnt(19) lgkmcnt(1)
	v_fma_f64 v[72:73], -v[52:53], v[112:113], v[72:73]
	ds_read2_b64 v[108:111], v151 offset0:9 offset1:10
	s_waitcnt vmcnt(18)
	v_fma_f64 v[94:95], -v[52:53], v[114:115], v[94:95]
	ds_read2_b64 v[112:115], v151 offset0:11 offset1:12
	s_waitcnt vmcnt(17) lgkmcnt(2)
	v_fma_f64 v[70:71], -v[52:53], v[104:105], v[70:71]
	s_waitcnt vmcnt(16)
	v_fma_f64 v[92:93], -v[52:53], v[106:107], v[92:93]
	s_waitcnt vmcnt(15) lgkmcnt(1)
	v_fma_f64 v[68:69], -v[52:53], v[108:109], v[68:69]
	ds_read2_b64 v[104:107], v151 offset0:13 offset1:14
	s_waitcnt vmcnt(14)
	v_fma_f64 v[90:91], -v[52:53], v[110:111], v[90:91]
	ds_read2_b64 v[108:111], v151 offset0:15 offset1:16
	s_waitcnt vmcnt(13) lgkmcnt(2)
	v_fma_f64 v[66:67], -v[52:53], v[112:113], v[66:67]
	s_waitcnt vmcnt(12)
	v_fma_f64 v[88:89], -v[52:53], v[114:115], v[88:89]
	ds_read2_b64 v[112:115], v151 offset0:17 offset1:18
	s_waitcnt vmcnt(11) lgkmcnt(2)
	v_fma_f64 v[64:65], -v[52:53], v[104:105], v[64:65]
	;; [unrolled: 5-line block ×3, first 2 shown]
	s_waitcnt vmcnt(8)
	v_fma_f64 v[84:85], -v[52:53], v[110:111], v[84:85]
	s_waitcnt vmcnt(7) lgkmcnt(1)
	v_fma_f64 v[60:61], -v[52:53], v[112:113], v[60:61]
	ds_read2_b64 v[108:111], v151 offset0:21 offset1:22
	s_waitcnt vmcnt(6)
	v_fma_f64 v[82:83], -v[52:53], v[114:115], v[82:83]
	ds_read2_b64 v[112:115], v151 offset0:23 offset1:24
	s_waitcnt vmcnt(5) lgkmcnt(2)
	v_fma_f64 v[58:59], -v[52:53], v[104:105], v[58:59]
	s_waitcnt vmcnt(4)
	v_fma_f64 v[80:81], -v[52:53], v[106:107], v[80:81]
	s_waitcnt vmcnt(3) lgkmcnt(1)
	v_fma_f64 v[56:57], -v[52:53], v[108:109], v[56:57]
	s_waitcnt vmcnt(2)
	v_fma_f64 v[78:79], -v[52:53], v[110:111], v[78:79]
	;; [unrolled: 4-line block ×3, first 2 shown]
.LBB49_6:
	s_or_b64 exec, exec, s[6:7]
	v_cmp_eq_u32_e32 vcc, 1, v152
	s_waitcnt lgkmcnt(0)
	s_barrier
	s_and_saveexec_b64 s[2:3], vcc
	s_cbranch_execz .LBB49_9
; %bb.7:
	s_waitcnt vmcnt(22)
	v_mov_b32_e32 v104, v98
	v_mov_b32_e32 v105, v99
	s_waitcnt vmcnt(21)
	v_mov_b32_e32 v106, v74
	v_mov_b32_e32 v107, v75
	ds_write_b64 v150, v[76:77]
	ds_write2_b64 v151, v[104:105], v[106:107] offset0:2 offset1:3
	s_waitcnt vmcnt(20)
	v_mov_b32_e32 v104, v96
	v_mov_b32_e32 v105, v97
	s_waitcnt vmcnt(19)
	v_mov_b32_e32 v106, v72
	v_mov_b32_e32 v107, v73
	ds_write2_b64 v151, v[104:105], v[106:107] offset0:4 offset1:5
	s_waitcnt vmcnt(18)
	v_mov_b32_e32 v104, v94
	v_mov_b32_e32 v105, v95
	s_waitcnt vmcnt(17)
	v_mov_b32_e32 v106, v70
	v_mov_b32_e32 v107, v71
	;; [unrolled: 7-line block ×10, first 2 shown]
	ds_write2_b64 v151, v[104:105], v[106:107] offset0:22 offset1:23
	s_waitcnt vmcnt(0)
	ds_write_b64 v151, v[100:101] offset:192
	ds_read_b64 v[104:105], v150
	s_waitcnt lgkmcnt(0)
	v_cmp_neq_f64_e32 vcc, 0, v[104:105]
	s_and_b64 exec, exec, vcc
	s_cbranch_execz .LBB49_9
; %bb.8:
	v_div_scale_f64 v[106:107], s[6:7], v[104:105], v[104:105], 1.0
	v_rcp_f64_e32 v[108:109], v[106:107]
	v_div_scale_f64 v[110:111], vcc, 1.0, v[104:105], 1.0
	v_fma_f64 v[112:113], -v[106:107], v[108:109], 1.0
	v_fmac_f64_e32 v[108:109], v[108:109], v[112:113]
	v_fma_f64 v[112:113], -v[106:107], v[108:109], 1.0
	v_fmac_f64_e32 v[108:109], v[108:109], v[112:113]
	v_mul_f64 v[112:113], v[110:111], v[108:109]
	v_fma_f64 v[106:107], -v[106:107], v[112:113], v[110:111]
	v_div_fmas_f64 v[106:107], v[106:107], v[108:109], v[112:113]
	v_div_fixup_f64 v[104:105], v[106:107], v[104:105], 1.0
	ds_write_b64 v150, v[104:105]
.LBB49_9:
	s_or_b64 exec, exec, s[2:3]
	s_waitcnt lgkmcnt(0)
	s_barrier
	ds_read_b64 v[104:105], v150
	v_cmp_lt_u32_e32 vcc, 1, v152
	s_and_saveexec_b64 s[2:3], vcc
	s_cbranch_execz .LBB49_11
; %bb.10:
	ds_read2_b64 v[106:109], v151 offset0:2 offset1:3
	ds_read2_b64 v[110:113], v151 offset0:4 offset1:5
	ds_read2_b64 v[114:117], v151 offset0:6 offset1:7
	s_waitcnt vmcnt(23) lgkmcnt(3)
	v_mul_f64 v[76:77], v[104:105], v[76:77]
	s_waitcnt vmcnt(22) lgkmcnt(2)
	v_fma_f64 v[98:99], -v[76:77], v[106:107], v[98:99]
	s_waitcnt vmcnt(21)
	v_fma_f64 v[74:75], -v[76:77], v[108:109], v[74:75]
	ds_read2_b64 v[106:109], v151 offset0:8 offset1:9
	s_waitcnt vmcnt(20) lgkmcnt(2)
	v_fma_f64 v[96:97], -v[76:77], v[110:111], v[96:97]
	s_waitcnt vmcnt(19)
	v_fma_f64 v[72:73], -v[76:77], v[112:113], v[72:73]
	s_waitcnt vmcnt(18) lgkmcnt(1)
	v_fma_f64 v[94:95], -v[76:77], v[114:115], v[94:95]
	ds_read2_b64 v[110:113], v151 offset0:10 offset1:11
	s_waitcnt vmcnt(17)
	v_fma_f64 v[70:71], -v[76:77], v[116:117], v[70:71]
	ds_read2_b64 v[114:117], v151 offset0:12 offset1:13
	s_waitcnt vmcnt(16) lgkmcnt(2)
	v_fma_f64 v[92:93], -v[76:77], v[106:107], v[92:93]
	s_waitcnt vmcnt(15)
	v_fma_f64 v[68:69], -v[76:77], v[108:109], v[68:69]
	s_waitcnt vmcnt(14) lgkmcnt(1)
	v_fma_f64 v[90:91], -v[76:77], v[110:111], v[90:91]
	ds_read2_b64 v[106:109], v151 offset0:14 offset1:15
	s_waitcnt vmcnt(13)
	v_fma_f64 v[66:67], -v[76:77], v[112:113], v[66:67]
	ds_read2_b64 v[110:113], v151 offset0:16 offset1:17
	s_waitcnt vmcnt(12) lgkmcnt(2)
	v_fma_f64 v[88:89], -v[76:77], v[114:115], v[88:89]
	s_waitcnt vmcnt(11)
	v_fma_f64 v[64:65], -v[76:77], v[116:117], v[64:65]
	ds_read2_b64 v[114:117], v151 offset0:18 offset1:19
	s_waitcnt vmcnt(10) lgkmcnt(2)
	v_fma_f64 v[86:87], -v[76:77], v[106:107], v[86:87]
	;; [unrolled: 5-line block ×3, first 2 shown]
	s_waitcnt vmcnt(7)
	v_fma_f64 v[60:61], -v[76:77], v[112:113], v[60:61]
	s_waitcnt vmcnt(6) lgkmcnt(1)
	v_fma_f64 v[82:83], -v[76:77], v[114:115], v[82:83]
	ds_read2_b64 v[110:113], v151 offset0:22 offset1:23
	ds_read_b64 v[114:115], v151 offset:192
	s_waitcnt vmcnt(5)
	v_fma_f64 v[58:59], -v[76:77], v[116:117], v[58:59]
	s_waitcnt vmcnt(4) lgkmcnt(2)
	v_fma_f64 v[80:81], -v[76:77], v[106:107], v[80:81]
	s_waitcnt vmcnt(3)
	v_fma_f64 v[56:57], -v[76:77], v[108:109], v[56:57]
	s_waitcnt vmcnt(2) lgkmcnt(1)
	v_fma_f64 v[78:79], -v[76:77], v[110:111], v[78:79]
	;; [unrolled: 4-line block ×3, first 2 shown]
.LBB49_11:
	s_or_b64 exec, exec, s[2:3]
	v_cmp_eq_u32_e32 vcc, 2, v152
	s_waitcnt lgkmcnt(0)
	s_barrier
	s_and_saveexec_b64 s[2:3], vcc
	s_cbranch_execz .LBB49_14
; %bb.12:
	s_waitcnt vmcnt(22)
	ds_write_b64 v150, v[98:99]
	s_waitcnt vmcnt(20)
	ds_write2_b64 v151, v[74:75], v[96:97] offset0:3 offset1:4
	s_waitcnt vmcnt(18)
	ds_write2_b64 v151, v[72:73], v[94:95] offset0:5 offset1:6
	;; [unrolled: 2-line block ×11, first 2 shown]
	ds_read_b64 v[106:107], v150
	s_waitcnt lgkmcnt(0)
	v_cmp_neq_f64_e32 vcc, 0, v[106:107]
	s_and_b64 exec, exec, vcc
	s_cbranch_execz .LBB49_14
; %bb.13:
	v_div_scale_f64 v[108:109], s[6:7], v[106:107], v[106:107], 1.0
	v_rcp_f64_e32 v[110:111], v[108:109]
	v_div_scale_f64 v[112:113], vcc, 1.0, v[106:107], 1.0
	v_fma_f64 v[114:115], -v[108:109], v[110:111], 1.0
	v_fmac_f64_e32 v[110:111], v[110:111], v[114:115]
	v_fma_f64 v[114:115], -v[108:109], v[110:111], 1.0
	v_fmac_f64_e32 v[110:111], v[110:111], v[114:115]
	v_mul_f64 v[114:115], v[112:113], v[110:111]
	v_fma_f64 v[108:109], -v[108:109], v[114:115], v[112:113]
	v_div_fmas_f64 v[108:109], v[108:109], v[110:111], v[114:115]
	v_div_fixup_f64 v[106:107], v[108:109], v[106:107], 1.0
	ds_write_b64 v150, v[106:107]
.LBB49_14:
	s_or_b64 exec, exec, s[2:3]
	s_waitcnt lgkmcnt(0)
	s_barrier
	ds_read_b64 v[106:107], v150
	v_cmp_lt_u32_e32 vcc, 2, v152
	s_and_saveexec_b64 s[2:3], vcc
	s_cbranch_execz .LBB49_16
; %bb.15:
	ds_read2_b64 v[108:111], v151 offset0:3 offset1:4
	ds_read2_b64 v[112:115], v151 offset0:5 offset1:6
	s_waitcnt vmcnt(22) lgkmcnt(2)
	v_mul_f64 v[98:99], v[106:107], v[98:99]
	ds_read2_b64 v[116:119], v151 offset0:7 offset1:8
	s_waitcnt vmcnt(21) lgkmcnt(2)
	v_fma_f64 v[74:75], -v[98:99], v[108:109], v[74:75]
	s_waitcnt vmcnt(20)
	v_fma_f64 v[96:97], -v[98:99], v[110:111], v[96:97]
	ds_read2_b64 v[108:111], v151 offset0:9 offset1:10
	s_waitcnt vmcnt(19) lgkmcnt(2)
	v_fma_f64 v[72:73], -v[98:99], v[112:113], v[72:73]
	s_waitcnt vmcnt(18)
	v_fma_f64 v[94:95], -v[98:99], v[114:115], v[94:95]
	;; [unrolled: 5-line block ×4, first 2 shown]
	s_waitcnt vmcnt(13) lgkmcnt(1)
	v_fma_f64 v[66:67], -v[98:99], v[112:113], v[66:67]
	ds_read2_b64 v[108:111], v151 offset0:15 offset1:16
	s_waitcnt vmcnt(12)
	v_fma_f64 v[88:89], -v[98:99], v[114:115], v[88:89]
	ds_read2_b64 v[112:115], v151 offset0:17 offset1:18
	s_waitcnt vmcnt(11) lgkmcnt(2)
	v_fma_f64 v[64:65], -v[98:99], v[116:117], v[64:65]
	s_waitcnt vmcnt(10)
	v_fma_f64 v[86:87], -v[98:99], v[118:119], v[86:87]
	s_waitcnt vmcnt(9) lgkmcnt(1)
	v_fma_f64 v[62:63], -v[98:99], v[108:109], v[62:63]
	s_waitcnt vmcnt(8)
	v_fma_f64 v[84:85], -v[98:99], v[110:111], v[84:85]
	ds_read2_b64 v[108:111], v151 offset0:19 offset1:20
	ds_read2_b64 v[116:119], v151 offset0:21 offset1:22
	s_waitcnt vmcnt(7) lgkmcnt(2)
	v_fma_f64 v[60:61], -v[98:99], v[112:113], v[60:61]
	s_waitcnt vmcnt(6)
	v_fma_f64 v[82:83], -v[98:99], v[114:115], v[82:83]
	ds_read2_b64 v[112:115], v151 offset0:23 offset1:24
	s_waitcnt vmcnt(5) lgkmcnt(2)
	v_fma_f64 v[58:59], -v[98:99], v[108:109], v[58:59]
	s_waitcnt vmcnt(4)
	v_fma_f64 v[80:81], -v[98:99], v[110:111], v[80:81]
	s_waitcnt vmcnt(3) lgkmcnt(1)
	v_fma_f64 v[56:57], -v[98:99], v[116:117], v[56:57]
	s_waitcnt vmcnt(2)
	v_fma_f64 v[78:79], -v[98:99], v[118:119], v[78:79]
	;; [unrolled: 4-line block ×3, first 2 shown]
.LBB49_16:
	s_or_b64 exec, exec, s[2:3]
	v_cmp_eq_u32_e32 vcc, 3, v152
	s_waitcnt lgkmcnt(0)
	s_barrier
	s_and_saveexec_b64 s[2:3], vcc
	s_cbranch_execz .LBB49_19
; %bb.17:
	s_waitcnt vmcnt(20)
	v_mov_b32_e32 v108, v96
	v_mov_b32_e32 v109, v97
	s_waitcnt vmcnt(19)
	v_mov_b32_e32 v110, v72
	v_mov_b32_e32 v111, v73
	ds_write_b64 v150, v[74:75]
	ds_write2_b64 v151, v[108:109], v[110:111] offset0:4 offset1:5
	s_waitcnt vmcnt(18)
	v_mov_b32_e32 v108, v94
	v_mov_b32_e32 v109, v95
	s_waitcnt vmcnt(17)
	v_mov_b32_e32 v110, v70
	v_mov_b32_e32 v111, v71
	ds_write2_b64 v151, v[108:109], v[110:111] offset0:6 offset1:7
	s_waitcnt vmcnt(16)
	v_mov_b32_e32 v108, v92
	v_mov_b32_e32 v109, v93
	s_waitcnt vmcnt(15)
	v_mov_b32_e32 v110, v68
	v_mov_b32_e32 v111, v69
	;; [unrolled: 7-line block ×9, first 2 shown]
	ds_write2_b64 v151, v[108:109], v[110:111] offset0:22 offset1:23
	s_waitcnt vmcnt(0)
	ds_write_b64 v151, v[100:101] offset:192
	ds_read_b64 v[108:109], v150
	s_waitcnt lgkmcnt(0)
	v_cmp_neq_f64_e32 vcc, 0, v[108:109]
	s_and_b64 exec, exec, vcc
	s_cbranch_execz .LBB49_19
; %bb.18:
	v_div_scale_f64 v[110:111], s[6:7], v[108:109], v[108:109], 1.0
	v_rcp_f64_e32 v[112:113], v[110:111]
	v_div_scale_f64 v[114:115], vcc, 1.0, v[108:109], 1.0
	v_fma_f64 v[116:117], -v[110:111], v[112:113], 1.0
	v_fmac_f64_e32 v[112:113], v[112:113], v[116:117]
	v_fma_f64 v[116:117], -v[110:111], v[112:113], 1.0
	v_fmac_f64_e32 v[112:113], v[112:113], v[116:117]
	v_mul_f64 v[116:117], v[114:115], v[112:113]
	v_fma_f64 v[110:111], -v[110:111], v[116:117], v[114:115]
	v_div_fmas_f64 v[110:111], v[110:111], v[112:113], v[116:117]
	v_div_fixup_f64 v[108:109], v[110:111], v[108:109], 1.0
	ds_write_b64 v150, v[108:109]
.LBB49_19:
	s_or_b64 exec, exec, s[2:3]
	s_waitcnt lgkmcnt(0)
	s_barrier
	ds_read_b64 v[108:109], v150
	v_cmp_lt_u32_e32 vcc, 3, v152
	s_and_saveexec_b64 s[2:3], vcc
	s_cbranch_execz .LBB49_21
; %bb.20:
	ds_read2_b64 v[110:113], v151 offset0:4 offset1:5
	ds_read2_b64 v[114:117], v151 offset0:6 offset1:7
	s_waitcnt vmcnt(21) lgkmcnt(2)
	v_mul_f64 v[74:75], v[108:109], v[74:75]
	ds_read2_b64 v[118:121], v151 offset0:8 offset1:9
	s_waitcnt vmcnt(20) lgkmcnt(2)
	v_fma_f64 v[96:97], -v[74:75], v[110:111], v[96:97]
	s_waitcnt vmcnt(19)
	v_fma_f64 v[72:73], -v[74:75], v[112:113], v[72:73]
	ds_read2_b64 v[110:113], v151 offset0:10 offset1:11
	s_waitcnt vmcnt(18) lgkmcnt(2)
	v_fma_f64 v[94:95], -v[74:75], v[114:115], v[94:95]
	s_waitcnt vmcnt(17)
	v_fma_f64 v[70:71], -v[74:75], v[116:117], v[70:71]
	;; [unrolled: 5-line block ×4, first 2 shown]
	s_waitcnt vmcnt(12) lgkmcnt(1)
	v_fma_f64 v[88:89], -v[74:75], v[114:115], v[88:89]
	ds_read2_b64 v[110:113], v151 offset0:16 offset1:17
	s_waitcnt vmcnt(11)
	v_fma_f64 v[64:65], -v[74:75], v[116:117], v[64:65]
	ds_read2_b64 v[114:117], v151 offset0:18 offset1:19
	s_waitcnt vmcnt(10) lgkmcnt(2)
	v_fma_f64 v[86:87], -v[74:75], v[118:119], v[86:87]
	s_waitcnt vmcnt(9)
	v_fma_f64 v[62:63], -v[74:75], v[120:121], v[62:63]
	s_waitcnt vmcnt(8) lgkmcnt(1)
	v_fma_f64 v[84:85], -v[74:75], v[110:111], v[84:85]
	s_waitcnt vmcnt(7)
	v_fma_f64 v[60:61], -v[74:75], v[112:113], v[60:61]
	ds_read2_b64 v[110:113], v151 offset0:20 offset1:21
	ds_read2_b64 v[118:121], v151 offset0:22 offset1:23
	s_waitcnt vmcnt(6) lgkmcnt(2)
	v_fma_f64 v[82:83], -v[74:75], v[114:115], v[82:83]
	ds_read_b64 v[114:115], v151 offset:192
	s_waitcnt vmcnt(5)
	v_fma_f64 v[58:59], -v[74:75], v[116:117], v[58:59]
	s_waitcnt vmcnt(4) lgkmcnt(2)
	v_fma_f64 v[80:81], -v[74:75], v[110:111], v[80:81]
	s_waitcnt vmcnt(3)
	v_fma_f64 v[56:57], -v[74:75], v[112:113], v[56:57]
	s_waitcnt vmcnt(2) lgkmcnt(1)
	v_fma_f64 v[78:79], -v[74:75], v[118:119], v[78:79]
	;; [unrolled: 4-line block ×3, first 2 shown]
.LBB49_21:
	s_or_b64 exec, exec, s[2:3]
	v_cmp_eq_u32_e32 vcc, 4, v152
	s_waitcnt lgkmcnt(0)
	s_barrier
	s_and_saveexec_b64 s[2:3], vcc
	s_cbranch_execz .LBB49_24
; %bb.22:
	s_waitcnt vmcnt(20)
	ds_write_b64 v150, v[96:97]
	s_waitcnt vmcnt(18)
	ds_write2_b64 v151, v[72:73], v[94:95] offset0:5 offset1:6
	s_waitcnt vmcnt(16)
	ds_write2_b64 v151, v[70:71], v[92:93] offset0:7 offset1:8
	;; [unrolled: 2-line block ×10, first 2 shown]
	ds_read_b64 v[110:111], v150
	s_waitcnt lgkmcnt(0)
	v_cmp_neq_f64_e32 vcc, 0, v[110:111]
	s_and_b64 exec, exec, vcc
	s_cbranch_execz .LBB49_24
; %bb.23:
	v_div_scale_f64 v[112:113], s[6:7], v[110:111], v[110:111], 1.0
	v_rcp_f64_e32 v[114:115], v[112:113]
	v_div_scale_f64 v[116:117], vcc, 1.0, v[110:111], 1.0
	v_fma_f64 v[118:119], -v[112:113], v[114:115], 1.0
	v_fmac_f64_e32 v[114:115], v[114:115], v[118:119]
	v_fma_f64 v[118:119], -v[112:113], v[114:115], 1.0
	v_fmac_f64_e32 v[114:115], v[114:115], v[118:119]
	v_mul_f64 v[118:119], v[116:117], v[114:115]
	v_fma_f64 v[112:113], -v[112:113], v[118:119], v[116:117]
	v_div_fmas_f64 v[112:113], v[112:113], v[114:115], v[118:119]
	v_div_fixup_f64 v[110:111], v[112:113], v[110:111], 1.0
	ds_write_b64 v150, v[110:111]
.LBB49_24:
	s_or_b64 exec, exec, s[2:3]
	s_waitcnt lgkmcnt(0)
	s_barrier
	ds_read_b64 v[110:111], v150
	v_cmp_lt_u32_e32 vcc, 4, v152
	s_and_saveexec_b64 s[2:3], vcc
	s_cbranch_execz .LBB49_26
; %bb.25:
	ds_read2_b64 v[112:115], v151 offset0:5 offset1:6
	ds_read2_b64 v[116:119], v151 offset0:7 offset1:8
	s_waitcnt vmcnt(20) lgkmcnt(2)
	v_mul_f64 v[96:97], v[110:111], v[96:97]
	ds_read2_b64 v[120:123], v151 offset0:9 offset1:10
	s_waitcnt vmcnt(19) lgkmcnt(2)
	v_fma_f64 v[72:73], -v[96:97], v[112:113], v[72:73]
	s_waitcnt vmcnt(18)
	v_fma_f64 v[94:95], -v[96:97], v[114:115], v[94:95]
	ds_read2_b64 v[112:115], v151 offset0:11 offset1:12
	s_waitcnt vmcnt(17) lgkmcnt(2)
	v_fma_f64 v[70:71], -v[96:97], v[116:117], v[70:71]
	s_waitcnt vmcnt(16)
	v_fma_f64 v[92:93], -v[96:97], v[118:119], v[92:93]
	s_waitcnt vmcnt(15) lgkmcnt(1)
	v_fma_f64 v[68:69], -v[96:97], v[120:121], v[68:69]
	ds_read2_b64 v[116:119], v151 offset0:13 offset1:14
	s_waitcnt vmcnt(14)
	v_fma_f64 v[90:91], -v[96:97], v[122:123], v[90:91]
	ds_read2_b64 v[120:123], v151 offset0:15 offset1:16
	s_waitcnt vmcnt(13) lgkmcnt(2)
	v_fma_f64 v[66:67], -v[96:97], v[112:113], v[66:67]
	s_waitcnt vmcnt(12)
	v_fma_f64 v[88:89], -v[96:97], v[114:115], v[88:89]
	ds_read2_b64 v[112:115], v151 offset0:17 offset1:18
	s_waitcnt vmcnt(11) lgkmcnt(2)
	v_fma_f64 v[64:65], -v[96:97], v[116:117], v[64:65]
	;; [unrolled: 5-line block ×3, first 2 shown]
	s_waitcnt vmcnt(8)
	v_fma_f64 v[84:85], -v[96:97], v[122:123], v[84:85]
	s_waitcnt vmcnt(7) lgkmcnt(1)
	v_fma_f64 v[60:61], -v[96:97], v[112:113], v[60:61]
	ds_read2_b64 v[120:123], v151 offset0:21 offset1:22
	s_waitcnt vmcnt(6)
	v_fma_f64 v[82:83], -v[96:97], v[114:115], v[82:83]
	ds_read2_b64 v[112:115], v151 offset0:23 offset1:24
	s_waitcnt vmcnt(5) lgkmcnt(2)
	v_fma_f64 v[58:59], -v[96:97], v[116:117], v[58:59]
	s_waitcnt vmcnt(4)
	v_fma_f64 v[80:81], -v[96:97], v[118:119], v[80:81]
	s_waitcnt vmcnt(3) lgkmcnt(1)
	v_fma_f64 v[56:57], -v[96:97], v[120:121], v[56:57]
	s_waitcnt vmcnt(2)
	v_fma_f64 v[78:79], -v[96:97], v[122:123], v[78:79]
	;; [unrolled: 4-line block ×3, first 2 shown]
.LBB49_26:
	s_or_b64 exec, exec, s[2:3]
	v_cmp_eq_u32_e32 vcc, 5, v152
	s_waitcnt lgkmcnt(0)
	s_barrier
	s_and_saveexec_b64 s[2:3], vcc
	s_cbranch_execz .LBB49_29
; %bb.27:
	s_waitcnt vmcnt(18)
	v_mov_b32_e32 v112, v94
	v_mov_b32_e32 v113, v95
	s_waitcnt vmcnt(17)
	v_mov_b32_e32 v114, v70
	v_mov_b32_e32 v115, v71
	ds_write_b64 v150, v[72:73]
	ds_write2_b64 v151, v[112:113], v[114:115] offset0:6 offset1:7
	s_waitcnt vmcnt(16)
	v_mov_b32_e32 v112, v92
	v_mov_b32_e32 v113, v93
	s_waitcnt vmcnt(15)
	v_mov_b32_e32 v114, v68
	v_mov_b32_e32 v115, v69
	ds_write2_b64 v151, v[112:113], v[114:115] offset0:8 offset1:9
	s_waitcnt vmcnt(14)
	v_mov_b32_e32 v112, v90
	v_mov_b32_e32 v113, v91
	s_waitcnt vmcnt(13)
	v_mov_b32_e32 v114, v66
	v_mov_b32_e32 v115, v67
	;; [unrolled: 7-line block ×8, first 2 shown]
	ds_write2_b64 v151, v[112:113], v[114:115] offset0:22 offset1:23
	s_waitcnt vmcnt(0)
	ds_write_b64 v151, v[100:101] offset:192
	ds_read_b64 v[112:113], v150
	s_waitcnt lgkmcnt(0)
	v_cmp_neq_f64_e32 vcc, 0, v[112:113]
	s_and_b64 exec, exec, vcc
	s_cbranch_execz .LBB49_29
; %bb.28:
	v_div_scale_f64 v[114:115], s[6:7], v[112:113], v[112:113], 1.0
	v_rcp_f64_e32 v[116:117], v[114:115]
	v_div_scale_f64 v[118:119], vcc, 1.0, v[112:113], 1.0
	v_fma_f64 v[120:121], -v[114:115], v[116:117], 1.0
	v_fmac_f64_e32 v[116:117], v[116:117], v[120:121]
	v_fma_f64 v[120:121], -v[114:115], v[116:117], 1.0
	v_fmac_f64_e32 v[116:117], v[116:117], v[120:121]
	v_mul_f64 v[120:121], v[118:119], v[116:117]
	v_fma_f64 v[114:115], -v[114:115], v[120:121], v[118:119]
	v_div_fmas_f64 v[114:115], v[114:115], v[116:117], v[120:121]
	v_div_fixup_f64 v[112:113], v[114:115], v[112:113], 1.0
	ds_write_b64 v150, v[112:113]
.LBB49_29:
	s_or_b64 exec, exec, s[2:3]
	s_waitcnt lgkmcnt(0)
	s_barrier
	ds_read_b64 v[112:113], v150
	v_cmp_lt_u32_e32 vcc, 5, v152
	s_and_saveexec_b64 s[2:3], vcc
	s_cbranch_execz .LBB49_31
; %bb.30:
	ds_read2_b64 v[114:117], v151 offset0:6 offset1:7
	ds_read2_b64 v[118:121], v151 offset0:8 offset1:9
	s_waitcnt vmcnt(19) lgkmcnt(2)
	v_mul_f64 v[72:73], v[112:113], v[72:73]
	ds_read2_b64 v[122:125], v151 offset0:10 offset1:11
	s_waitcnt vmcnt(18) lgkmcnt(2)
	v_fma_f64 v[94:95], -v[72:73], v[114:115], v[94:95]
	s_waitcnt vmcnt(17)
	v_fma_f64 v[70:71], -v[72:73], v[116:117], v[70:71]
	ds_read2_b64 v[114:117], v151 offset0:12 offset1:13
	s_waitcnt vmcnt(16) lgkmcnt(2)
	v_fma_f64 v[92:93], -v[72:73], v[118:119], v[92:93]
	s_waitcnt vmcnt(15)
	v_fma_f64 v[68:69], -v[72:73], v[120:121], v[68:69]
	s_waitcnt vmcnt(14) lgkmcnt(1)
	v_fma_f64 v[90:91], -v[72:73], v[122:123], v[90:91]
	ds_read2_b64 v[118:121], v151 offset0:14 offset1:15
	s_waitcnt vmcnt(13)
	v_fma_f64 v[66:67], -v[72:73], v[124:125], v[66:67]
	ds_read2_b64 v[122:125], v151 offset0:16 offset1:17
	s_waitcnt vmcnt(12) lgkmcnt(2)
	v_fma_f64 v[88:89], -v[72:73], v[114:115], v[88:89]
	s_waitcnt vmcnt(11)
	v_fma_f64 v[64:65], -v[72:73], v[116:117], v[64:65]
	ds_read2_b64 v[114:117], v151 offset0:18 offset1:19
	s_waitcnt vmcnt(10) lgkmcnt(2)
	v_fma_f64 v[86:87], -v[72:73], v[118:119], v[86:87]
	;; [unrolled: 5-line block ×3, first 2 shown]
	s_waitcnt vmcnt(7)
	v_fma_f64 v[60:61], -v[72:73], v[124:125], v[60:61]
	s_waitcnt vmcnt(6) lgkmcnt(1)
	v_fma_f64 v[82:83], -v[72:73], v[114:115], v[82:83]
	ds_read2_b64 v[122:125], v151 offset0:22 offset1:23
	ds_read_b64 v[114:115], v151 offset:192
	s_waitcnt vmcnt(5)
	v_fma_f64 v[58:59], -v[72:73], v[116:117], v[58:59]
	s_waitcnt vmcnt(4) lgkmcnt(2)
	v_fma_f64 v[80:81], -v[72:73], v[118:119], v[80:81]
	s_waitcnt vmcnt(3)
	v_fma_f64 v[56:57], -v[72:73], v[120:121], v[56:57]
	s_waitcnt vmcnt(2) lgkmcnt(1)
	v_fma_f64 v[78:79], -v[72:73], v[122:123], v[78:79]
	;; [unrolled: 4-line block ×3, first 2 shown]
.LBB49_31:
	s_or_b64 exec, exec, s[2:3]
	v_cmp_eq_u32_e32 vcc, 6, v152
	s_waitcnt lgkmcnt(0)
	s_barrier
	s_and_saveexec_b64 s[2:3], vcc
	s_cbranch_execz .LBB49_34
; %bb.32:
	s_waitcnt vmcnt(18)
	ds_write_b64 v150, v[94:95]
	s_waitcnt vmcnt(16)
	ds_write2_b64 v151, v[70:71], v[92:93] offset0:7 offset1:8
	s_waitcnt vmcnt(14)
	ds_write2_b64 v151, v[68:69], v[90:91] offset0:9 offset1:10
	;; [unrolled: 2-line block ×9, first 2 shown]
	ds_read_b64 v[114:115], v150
	s_waitcnt lgkmcnt(0)
	v_cmp_neq_f64_e32 vcc, 0, v[114:115]
	s_and_b64 exec, exec, vcc
	s_cbranch_execz .LBB49_34
; %bb.33:
	v_div_scale_f64 v[116:117], s[6:7], v[114:115], v[114:115], 1.0
	v_rcp_f64_e32 v[118:119], v[116:117]
	v_div_scale_f64 v[120:121], vcc, 1.0, v[114:115], 1.0
	v_fma_f64 v[122:123], -v[116:117], v[118:119], 1.0
	v_fmac_f64_e32 v[118:119], v[118:119], v[122:123]
	v_fma_f64 v[122:123], -v[116:117], v[118:119], 1.0
	v_fmac_f64_e32 v[118:119], v[118:119], v[122:123]
	v_mul_f64 v[122:123], v[120:121], v[118:119]
	v_fma_f64 v[116:117], -v[116:117], v[122:123], v[120:121]
	v_div_fmas_f64 v[116:117], v[116:117], v[118:119], v[122:123]
	v_div_fixup_f64 v[114:115], v[116:117], v[114:115], 1.0
	ds_write_b64 v150, v[114:115]
.LBB49_34:
	s_or_b64 exec, exec, s[2:3]
	s_waitcnt lgkmcnt(0)
	s_barrier
	ds_read_b64 v[114:115], v150
	v_cmp_lt_u32_e32 vcc, 6, v152
	s_and_saveexec_b64 s[2:3], vcc
	s_cbranch_execz .LBB49_36
; %bb.35:
	ds_read2_b64 v[116:119], v151 offset0:7 offset1:8
	ds_read2_b64 v[120:123], v151 offset0:9 offset1:10
	;; [unrolled: 1-line block ×3, first 2 shown]
	s_waitcnt vmcnt(18) lgkmcnt(3)
	v_mul_f64 v[94:95], v[114:115], v[94:95]
	s_waitcnt vmcnt(17) lgkmcnt(2)
	v_fma_f64 v[70:71], -v[94:95], v[116:117], v[70:71]
	s_waitcnt vmcnt(16)
	v_fma_f64 v[92:93], -v[94:95], v[118:119], v[92:93]
	ds_read2_b64 v[116:119], v151 offset0:13 offset1:14
	s_waitcnt vmcnt(15) lgkmcnt(2)
	v_fma_f64 v[68:69], -v[94:95], v[120:121], v[68:69]
	s_waitcnt vmcnt(14)
	v_fma_f64 v[90:91], -v[94:95], v[122:123], v[90:91]
	s_waitcnt vmcnt(13) lgkmcnt(1)
	v_fma_f64 v[66:67], -v[94:95], v[124:125], v[66:67]
	ds_read2_b64 v[120:123], v151 offset0:15 offset1:16
	s_waitcnt vmcnt(12)
	v_fma_f64 v[88:89], -v[94:95], v[126:127], v[88:89]
	ds_read2_b64 v[124:127], v151 offset0:17 offset1:18
	s_waitcnt vmcnt(11) lgkmcnt(2)
	v_fma_f64 v[64:65], -v[94:95], v[116:117], v[64:65]
	s_waitcnt vmcnt(10)
	v_fma_f64 v[86:87], -v[94:95], v[118:119], v[86:87]
	s_waitcnt vmcnt(9) lgkmcnt(1)
	v_fma_f64 v[62:63], -v[94:95], v[120:121], v[62:63]
	s_waitcnt vmcnt(8)
	v_fma_f64 v[84:85], -v[94:95], v[122:123], v[84:85]
	ds_read2_b64 v[116:119], v151 offset0:19 offset1:20
	ds_read2_b64 v[120:123], v151 offset0:21 offset1:22
	s_waitcnt vmcnt(7) lgkmcnt(2)
	v_fma_f64 v[60:61], -v[94:95], v[124:125], v[60:61]
	s_waitcnt vmcnt(6)
	v_fma_f64 v[82:83], -v[94:95], v[126:127], v[82:83]
	ds_read2_b64 v[124:127], v151 offset0:23 offset1:24
	s_waitcnt vmcnt(5) lgkmcnt(2)
	v_fma_f64 v[58:59], -v[94:95], v[116:117], v[58:59]
	s_waitcnt vmcnt(4)
	v_fma_f64 v[80:81], -v[94:95], v[118:119], v[80:81]
	s_waitcnt vmcnt(3) lgkmcnt(1)
	v_fma_f64 v[56:57], -v[94:95], v[120:121], v[56:57]
	s_waitcnt vmcnt(2)
	v_fma_f64 v[78:79], -v[94:95], v[122:123], v[78:79]
	s_waitcnt vmcnt(1) lgkmcnt(0)
	v_fma_f64 v[54:55], -v[94:95], v[124:125], v[54:55]
	s_waitcnt vmcnt(0)
	v_fma_f64 v[100:101], -v[94:95], v[126:127], v[100:101]
.LBB49_36:
	s_or_b64 exec, exec, s[2:3]
	v_cmp_eq_u32_e32 vcc, 7, v152
	s_waitcnt lgkmcnt(0)
	s_barrier
	s_and_saveexec_b64 s[2:3], vcc
	s_cbranch_execz .LBB49_39
; %bb.37:
	s_waitcnt vmcnt(16)
	v_mov_b32_e32 v116, v92
	v_mov_b32_e32 v117, v93
	s_waitcnt vmcnt(15)
	v_mov_b32_e32 v118, v68
	v_mov_b32_e32 v119, v69
	ds_write_b64 v150, v[70:71]
	ds_write2_b64 v151, v[116:117], v[118:119] offset0:8 offset1:9
	s_waitcnt vmcnt(14)
	v_mov_b32_e32 v116, v90
	v_mov_b32_e32 v117, v91
	s_waitcnt vmcnt(13)
	v_mov_b32_e32 v118, v66
	v_mov_b32_e32 v119, v67
	ds_write2_b64 v151, v[116:117], v[118:119] offset0:10 offset1:11
	s_waitcnt vmcnt(12)
	v_mov_b32_e32 v116, v88
	v_mov_b32_e32 v117, v89
	s_waitcnt vmcnt(11)
	v_mov_b32_e32 v118, v64
	v_mov_b32_e32 v119, v65
	;; [unrolled: 7-line block ×7, first 2 shown]
	ds_write2_b64 v151, v[116:117], v[118:119] offset0:22 offset1:23
	s_waitcnt vmcnt(0)
	ds_write_b64 v151, v[100:101] offset:192
	ds_read_b64 v[116:117], v150
	s_waitcnt lgkmcnt(0)
	v_cmp_neq_f64_e32 vcc, 0, v[116:117]
	s_and_b64 exec, exec, vcc
	s_cbranch_execz .LBB49_39
; %bb.38:
	v_div_scale_f64 v[118:119], s[6:7], v[116:117], v[116:117], 1.0
	v_rcp_f64_e32 v[120:121], v[118:119]
	v_div_scale_f64 v[122:123], vcc, 1.0, v[116:117], 1.0
	v_fma_f64 v[124:125], -v[118:119], v[120:121], 1.0
	v_fmac_f64_e32 v[120:121], v[120:121], v[124:125]
	v_fma_f64 v[124:125], -v[118:119], v[120:121], 1.0
	v_fmac_f64_e32 v[120:121], v[120:121], v[124:125]
	v_mul_f64 v[124:125], v[122:123], v[120:121]
	v_fma_f64 v[118:119], -v[118:119], v[124:125], v[122:123]
	v_div_fmas_f64 v[118:119], v[118:119], v[120:121], v[124:125]
	v_div_fixup_f64 v[116:117], v[118:119], v[116:117], 1.0
	ds_write_b64 v150, v[116:117]
.LBB49_39:
	s_or_b64 exec, exec, s[2:3]
	s_waitcnt lgkmcnt(0)
	s_barrier
	ds_read_b64 v[116:117], v150
	v_cmp_lt_u32_e32 vcc, 7, v152
	s_and_saveexec_b64 s[2:3], vcc
	s_cbranch_execz .LBB49_41
; %bb.40:
	ds_read2_b64 v[118:121], v151 offset0:8 offset1:9
	ds_read2_b64 v[122:125], v151 offset0:10 offset1:11
	;; [unrolled: 1-line block ×3, first 2 shown]
	s_waitcnt vmcnt(17) lgkmcnt(3)
	v_mul_f64 v[70:71], v[116:117], v[70:71]
	s_waitcnt vmcnt(16) lgkmcnt(2)
	v_fma_f64 v[92:93], -v[70:71], v[118:119], v[92:93]
	s_waitcnt vmcnt(15)
	v_fma_f64 v[68:69], -v[70:71], v[120:121], v[68:69]
	ds_read2_b64 v[118:121], v151 offset0:14 offset1:15
	s_waitcnt vmcnt(14) lgkmcnt(2)
	v_fma_f64 v[90:91], -v[70:71], v[122:123], v[90:91]
	s_waitcnt vmcnt(13)
	v_fma_f64 v[66:67], -v[70:71], v[124:125], v[66:67]
	s_waitcnt vmcnt(12) lgkmcnt(1)
	v_fma_f64 v[88:89], -v[70:71], v[126:127], v[88:89]
	ds_read2_b64 v[122:125], v151 offset0:16 offset1:17
	s_waitcnt vmcnt(11)
	v_fma_f64 v[64:65], -v[70:71], v[128:129], v[64:65]
	ds_read2_b64 v[126:129], v151 offset0:18 offset1:19
	s_waitcnt vmcnt(10) lgkmcnt(2)
	v_fma_f64 v[86:87], -v[70:71], v[118:119], v[86:87]
	s_waitcnt vmcnt(9)
	v_fma_f64 v[62:63], -v[70:71], v[120:121], v[62:63]
	s_waitcnt vmcnt(8) lgkmcnt(1)
	v_fma_f64 v[84:85], -v[70:71], v[122:123], v[84:85]
	s_waitcnt vmcnt(7)
	v_fma_f64 v[60:61], -v[70:71], v[124:125], v[60:61]
	ds_read2_b64 v[118:121], v151 offset0:20 offset1:21
	ds_read2_b64 v[122:125], v151 offset0:22 offset1:23
	s_waitcnt vmcnt(6) lgkmcnt(2)
	v_fma_f64 v[82:83], -v[70:71], v[126:127], v[82:83]
	ds_read_b64 v[126:127], v151 offset:192
	s_waitcnt vmcnt(5)
	v_fma_f64 v[58:59], -v[70:71], v[128:129], v[58:59]
	s_waitcnt vmcnt(4) lgkmcnt(2)
	v_fma_f64 v[80:81], -v[70:71], v[118:119], v[80:81]
	s_waitcnt vmcnt(3)
	v_fma_f64 v[56:57], -v[70:71], v[120:121], v[56:57]
	s_waitcnt vmcnt(2) lgkmcnt(1)
	v_fma_f64 v[78:79], -v[70:71], v[122:123], v[78:79]
	;; [unrolled: 4-line block ×3, first 2 shown]
.LBB49_41:
	s_or_b64 exec, exec, s[2:3]
	v_cmp_eq_u32_e32 vcc, 8, v152
	s_waitcnt lgkmcnt(0)
	s_barrier
	s_and_saveexec_b64 s[2:3], vcc
	s_cbranch_execz .LBB49_44
; %bb.42:
	s_waitcnt vmcnt(16)
	ds_write_b64 v150, v[92:93]
	s_waitcnt vmcnt(14)
	ds_write2_b64 v151, v[68:69], v[90:91] offset0:9 offset1:10
	s_waitcnt vmcnt(12)
	ds_write2_b64 v151, v[66:67], v[88:89] offset0:11 offset1:12
	;; [unrolled: 2-line block ×8, first 2 shown]
	ds_read_b64 v[118:119], v150
	s_waitcnt lgkmcnt(0)
	v_cmp_neq_f64_e32 vcc, 0, v[118:119]
	s_and_b64 exec, exec, vcc
	s_cbranch_execz .LBB49_44
; %bb.43:
	v_div_scale_f64 v[120:121], s[6:7], v[118:119], v[118:119], 1.0
	v_rcp_f64_e32 v[122:123], v[120:121]
	v_div_scale_f64 v[124:125], vcc, 1.0, v[118:119], 1.0
	v_fma_f64 v[126:127], -v[120:121], v[122:123], 1.0
	v_fmac_f64_e32 v[122:123], v[122:123], v[126:127]
	v_fma_f64 v[126:127], -v[120:121], v[122:123], 1.0
	v_fmac_f64_e32 v[122:123], v[122:123], v[126:127]
	v_mul_f64 v[126:127], v[124:125], v[122:123]
	v_fma_f64 v[120:121], -v[120:121], v[126:127], v[124:125]
	v_div_fmas_f64 v[120:121], v[120:121], v[122:123], v[126:127]
	v_div_fixup_f64 v[118:119], v[120:121], v[118:119], 1.0
	ds_write_b64 v150, v[118:119]
.LBB49_44:
	s_or_b64 exec, exec, s[2:3]
	s_waitcnt lgkmcnt(0)
	s_barrier
	ds_read_b64 v[118:119], v150
	v_cmp_lt_u32_e32 vcc, 8, v152
	s_and_saveexec_b64 s[2:3], vcc
	s_cbranch_execz .LBB49_46
; %bb.45:
	ds_read2_b64 v[120:123], v151 offset0:9 offset1:10
	ds_read2_b64 v[124:127], v151 offset0:11 offset1:12
	s_waitcnt vmcnt(16) lgkmcnt(2)
	v_mul_f64 v[92:93], v[118:119], v[92:93]
	ds_read2_b64 v[128:131], v151 offset0:13 offset1:14
	s_waitcnt vmcnt(15) lgkmcnt(2)
	v_fma_f64 v[68:69], -v[92:93], v[120:121], v[68:69]
	s_waitcnt vmcnt(14)
	v_fma_f64 v[90:91], -v[92:93], v[122:123], v[90:91]
	ds_read2_b64 v[120:123], v151 offset0:15 offset1:16
	s_waitcnt vmcnt(13) lgkmcnt(2)
	v_fma_f64 v[66:67], -v[92:93], v[124:125], v[66:67]
	s_waitcnt vmcnt(12)
	v_fma_f64 v[88:89], -v[92:93], v[126:127], v[88:89]
	;; [unrolled: 5-line block ×3, first 2 shown]
	s_waitcnt vmcnt(9) lgkmcnt(1)
	v_fma_f64 v[62:63], -v[92:93], v[120:121], v[62:63]
	s_waitcnt vmcnt(8)
	v_fma_f64 v[84:85], -v[92:93], v[122:123], v[84:85]
	ds_read2_b64 v[120:123], v151 offset0:19 offset1:20
	s_waitcnt vmcnt(7) lgkmcnt(1)
	v_fma_f64 v[60:61], -v[92:93], v[124:125], v[60:61]
	ds_read2_b64 v[128:131], v151 offset0:21 offset1:22
	s_waitcnt vmcnt(6)
	v_fma_f64 v[82:83], -v[92:93], v[126:127], v[82:83]
	ds_read2_b64 v[124:127], v151 offset0:23 offset1:24
	s_waitcnt vmcnt(5) lgkmcnt(2)
	v_fma_f64 v[58:59], -v[92:93], v[120:121], v[58:59]
	s_waitcnt vmcnt(4)
	v_fma_f64 v[80:81], -v[92:93], v[122:123], v[80:81]
	s_waitcnt vmcnt(3) lgkmcnt(1)
	v_fma_f64 v[56:57], -v[92:93], v[128:129], v[56:57]
	s_waitcnt vmcnt(2)
	v_fma_f64 v[78:79], -v[92:93], v[130:131], v[78:79]
	;; [unrolled: 4-line block ×3, first 2 shown]
.LBB49_46:
	s_or_b64 exec, exec, s[2:3]
	v_cmp_eq_u32_e32 vcc, 9, v152
	s_waitcnt lgkmcnt(0)
	s_barrier
	s_and_saveexec_b64 s[2:3], vcc
	s_cbranch_execz .LBB49_49
; %bb.47:
	s_waitcnt vmcnt(14)
	v_mov_b32_e32 v120, v90
	v_mov_b32_e32 v121, v91
	s_waitcnt vmcnt(13)
	v_mov_b32_e32 v122, v66
	v_mov_b32_e32 v123, v67
	ds_write_b64 v150, v[68:69]
	ds_write2_b64 v151, v[120:121], v[122:123] offset0:10 offset1:11
	s_waitcnt vmcnt(12)
	v_mov_b32_e32 v120, v88
	v_mov_b32_e32 v121, v89
	s_waitcnt vmcnt(11)
	v_mov_b32_e32 v122, v64
	v_mov_b32_e32 v123, v65
	ds_write2_b64 v151, v[120:121], v[122:123] offset0:12 offset1:13
	s_waitcnt vmcnt(10)
	v_mov_b32_e32 v120, v86
	v_mov_b32_e32 v121, v87
	s_waitcnt vmcnt(9)
	v_mov_b32_e32 v122, v62
	v_mov_b32_e32 v123, v63
	;; [unrolled: 7-line block ×6, first 2 shown]
	ds_write2_b64 v151, v[120:121], v[122:123] offset0:22 offset1:23
	s_waitcnt vmcnt(0)
	ds_write_b64 v151, v[100:101] offset:192
	ds_read_b64 v[120:121], v150
	s_waitcnt lgkmcnt(0)
	v_cmp_neq_f64_e32 vcc, 0, v[120:121]
	s_and_b64 exec, exec, vcc
	s_cbranch_execz .LBB49_49
; %bb.48:
	v_div_scale_f64 v[122:123], s[6:7], v[120:121], v[120:121], 1.0
	v_rcp_f64_e32 v[124:125], v[122:123]
	v_div_scale_f64 v[126:127], vcc, 1.0, v[120:121], 1.0
	v_fma_f64 v[128:129], -v[122:123], v[124:125], 1.0
	v_fmac_f64_e32 v[124:125], v[124:125], v[128:129]
	v_fma_f64 v[128:129], -v[122:123], v[124:125], 1.0
	v_fmac_f64_e32 v[124:125], v[124:125], v[128:129]
	v_mul_f64 v[128:129], v[126:127], v[124:125]
	v_fma_f64 v[122:123], -v[122:123], v[128:129], v[126:127]
	v_div_fmas_f64 v[122:123], v[122:123], v[124:125], v[128:129]
	v_div_fixup_f64 v[120:121], v[122:123], v[120:121], 1.0
	ds_write_b64 v150, v[120:121]
.LBB49_49:
	s_or_b64 exec, exec, s[2:3]
	s_waitcnt lgkmcnt(0)
	s_barrier
	ds_read_b64 v[120:121], v150
	v_cmp_lt_u32_e32 vcc, 9, v152
	s_and_saveexec_b64 s[2:3], vcc
	s_cbranch_execz .LBB49_51
; %bb.50:
	ds_read2_b64 v[122:125], v151 offset0:10 offset1:11
	ds_read2_b64 v[126:129], v151 offset0:12 offset1:13
	s_waitcnt vmcnt(15) lgkmcnt(2)
	v_mul_f64 v[68:69], v[120:121], v[68:69]
	ds_read2_b64 v[130:133], v151 offset0:14 offset1:15
	s_waitcnt vmcnt(14) lgkmcnt(2)
	v_fma_f64 v[90:91], -v[68:69], v[122:123], v[90:91]
	s_waitcnt vmcnt(13)
	v_fma_f64 v[66:67], -v[68:69], v[124:125], v[66:67]
	ds_read2_b64 v[122:125], v151 offset0:16 offset1:17
	s_waitcnt vmcnt(12) lgkmcnt(2)
	v_fma_f64 v[88:89], -v[68:69], v[126:127], v[88:89]
	s_waitcnt vmcnt(11)
	v_fma_f64 v[64:65], -v[68:69], v[128:129], v[64:65]
	ds_read2_b64 v[126:129], v151 offset0:18 offset1:19
	s_waitcnt vmcnt(10) lgkmcnt(2)
	v_fma_f64 v[86:87], -v[68:69], v[130:131], v[86:87]
	s_waitcnt vmcnt(9)
	v_fma_f64 v[62:63], -v[68:69], v[132:133], v[62:63]
	s_waitcnt vmcnt(8) lgkmcnt(1)
	v_fma_f64 v[84:85], -v[68:69], v[122:123], v[84:85]
	s_waitcnt vmcnt(7)
	v_fma_f64 v[60:61], -v[68:69], v[124:125], v[60:61]
	ds_read2_b64 v[122:125], v151 offset0:20 offset1:21
	s_waitcnt vmcnt(6) lgkmcnt(1)
	v_fma_f64 v[82:83], -v[68:69], v[126:127], v[82:83]
	ds_read2_b64 v[130:133], v151 offset0:22 offset1:23
	ds_read_b64 v[126:127], v151 offset:192
	s_waitcnt vmcnt(5)
	v_fma_f64 v[58:59], -v[68:69], v[128:129], v[58:59]
	s_waitcnt vmcnt(4) lgkmcnt(2)
	v_fma_f64 v[80:81], -v[68:69], v[122:123], v[80:81]
	s_waitcnt vmcnt(3)
	v_fma_f64 v[56:57], -v[68:69], v[124:125], v[56:57]
	s_waitcnt vmcnt(2) lgkmcnt(1)
	v_fma_f64 v[78:79], -v[68:69], v[130:131], v[78:79]
	;; [unrolled: 4-line block ×3, first 2 shown]
.LBB49_51:
	s_or_b64 exec, exec, s[2:3]
	v_cmp_eq_u32_e32 vcc, 10, v152
	s_waitcnt lgkmcnt(0)
	s_barrier
	s_and_saveexec_b64 s[2:3], vcc
	s_cbranch_execz .LBB49_54
; %bb.52:
	s_waitcnt vmcnt(14)
	ds_write_b64 v150, v[90:91]
	s_waitcnt vmcnt(12)
	ds_write2_b64 v151, v[66:67], v[88:89] offset0:11 offset1:12
	s_waitcnt vmcnt(10)
	ds_write2_b64 v151, v[64:65], v[86:87] offset0:13 offset1:14
	;; [unrolled: 2-line block ×7, first 2 shown]
	ds_read_b64 v[122:123], v150
	s_waitcnt lgkmcnt(0)
	v_cmp_neq_f64_e32 vcc, 0, v[122:123]
	s_and_b64 exec, exec, vcc
	s_cbranch_execz .LBB49_54
; %bb.53:
	v_div_scale_f64 v[124:125], s[6:7], v[122:123], v[122:123], 1.0
	v_rcp_f64_e32 v[126:127], v[124:125]
	v_div_scale_f64 v[128:129], vcc, 1.0, v[122:123], 1.0
	v_fma_f64 v[130:131], -v[124:125], v[126:127], 1.0
	v_fmac_f64_e32 v[126:127], v[126:127], v[130:131]
	v_fma_f64 v[130:131], -v[124:125], v[126:127], 1.0
	v_fmac_f64_e32 v[126:127], v[126:127], v[130:131]
	v_mul_f64 v[130:131], v[128:129], v[126:127]
	v_fma_f64 v[124:125], -v[124:125], v[130:131], v[128:129]
	v_div_fmas_f64 v[124:125], v[124:125], v[126:127], v[130:131]
	v_div_fixup_f64 v[122:123], v[124:125], v[122:123], 1.0
	ds_write_b64 v150, v[122:123]
.LBB49_54:
	s_or_b64 exec, exec, s[2:3]
	s_waitcnt lgkmcnt(0)
	s_barrier
	ds_read_b64 v[122:123], v150
	v_cmp_lt_u32_e32 vcc, 10, v152
	s_and_saveexec_b64 s[2:3], vcc
	s_cbranch_execz .LBB49_56
; %bb.55:
	ds_read2_b64 v[124:127], v151 offset0:11 offset1:12
	ds_read2_b64 v[128:131], v151 offset0:13 offset1:14
	s_waitcnt vmcnt(14) lgkmcnt(2)
	v_mul_f64 v[90:91], v[122:123], v[90:91]
	ds_read2_b64 v[132:135], v151 offset0:15 offset1:16
	s_waitcnt vmcnt(13) lgkmcnt(2)
	v_fma_f64 v[66:67], -v[90:91], v[124:125], v[66:67]
	s_waitcnt vmcnt(12)
	v_fma_f64 v[88:89], -v[90:91], v[126:127], v[88:89]
	ds_read2_b64 v[124:127], v151 offset0:17 offset1:18
	s_waitcnt vmcnt(11) lgkmcnt(2)
	v_fma_f64 v[64:65], -v[90:91], v[128:129], v[64:65]
	s_waitcnt vmcnt(10)
	v_fma_f64 v[86:87], -v[90:91], v[130:131], v[86:87]
	s_waitcnt vmcnt(9) lgkmcnt(1)
	v_fma_f64 v[62:63], -v[90:91], v[132:133], v[62:63]
	s_waitcnt vmcnt(8)
	v_fma_f64 v[84:85], -v[90:91], v[134:135], v[84:85]
	ds_read2_b64 v[128:131], v151 offset0:19 offset1:20
	ds_read2_b64 v[132:135], v151 offset0:21 offset1:22
	s_waitcnt vmcnt(7) lgkmcnt(2)
	v_fma_f64 v[60:61], -v[90:91], v[124:125], v[60:61]
	s_waitcnt vmcnt(6)
	v_fma_f64 v[82:83], -v[90:91], v[126:127], v[82:83]
	ds_read2_b64 v[124:127], v151 offset0:23 offset1:24
	s_waitcnt vmcnt(5) lgkmcnt(2)
	v_fma_f64 v[58:59], -v[90:91], v[128:129], v[58:59]
	s_waitcnt vmcnt(4)
	v_fma_f64 v[80:81], -v[90:91], v[130:131], v[80:81]
	s_waitcnt vmcnt(3) lgkmcnt(1)
	v_fma_f64 v[56:57], -v[90:91], v[132:133], v[56:57]
	s_waitcnt vmcnt(2)
	v_fma_f64 v[78:79], -v[90:91], v[134:135], v[78:79]
	;; [unrolled: 4-line block ×3, first 2 shown]
.LBB49_56:
	s_or_b64 exec, exec, s[2:3]
	v_cmp_eq_u32_e32 vcc, 11, v152
	s_waitcnt lgkmcnt(0)
	s_barrier
	s_and_saveexec_b64 s[2:3], vcc
	s_cbranch_execz .LBB49_59
; %bb.57:
	s_waitcnt vmcnt(12)
	v_mov_b32_e32 v124, v88
	v_mov_b32_e32 v125, v89
	s_waitcnt vmcnt(11)
	v_mov_b32_e32 v126, v64
	v_mov_b32_e32 v127, v65
	ds_write_b64 v150, v[66:67]
	ds_write2_b64 v151, v[124:125], v[126:127] offset0:12 offset1:13
	s_waitcnt vmcnt(10)
	v_mov_b32_e32 v124, v86
	v_mov_b32_e32 v125, v87
	s_waitcnt vmcnt(9)
	v_mov_b32_e32 v126, v62
	v_mov_b32_e32 v127, v63
	ds_write2_b64 v151, v[124:125], v[126:127] offset0:14 offset1:15
	s_waitcnt vmcnt(8)
	v_mov_b32_e32 v124, v84
	v_mov_b32_e32 v125, v85
	s_waitcnt vmcnt(7)
	v_mov_b32_e32 v126, v60
	v_mov_b32_e32 v127, v61
	;; [unrolled: 7-line block ×5, first 2 shown]
	ds_write2_b64 v151, v[124:125], v[126:127] offset0:22 offset1:23
	s_waitcnt vmcnt(0)
	ds_write_b64 v151, v[100:101] offset:192
	ds_read_b64 v[124:125], v150
	s_waitcnt lgkmcnt(0)
	v_cmp_neq_f64_e32 vcc, 0, v[124:125]
	s_and_b64 exec, exec, vcc
	s_cbranch_execz .LBB49_59
; %bb.58:
	v_div_scale_f64 v[126:127], s[6:7], v[124:125], v[124:125], 1.0
	v_rcp_f64_e32 v[128:129], v[126:127]
	v_div_scale_f64 v[130:131], vcc, 1.0, v[124:125], 1.0
	v_fma_f64 v[132:133], -v[126:127], v[128:129], 1.0
	v_fmac_f64_e32 v[128:129], v[128:129], v[132:133]
	v_fma_f64 v[132:133], -v[126:127], v[128:129], 1.0
	v_fmac_f64_e32 v[128:129], v[128:129], v[132:133]
	v_mul_f64 v[132:133], v[130:131], v[128:129]
	v_fma_f64 v[126:127], -v[126:127], v[132:133], v[130:131]
	v_div_fmas_f64 v[126:127], v[126:127], v[128:129], v[132:133]
	v_div_fixup_f64 v[124:125], v[126:127], v[124:125], 1.0
	ds_write_b64 v150, v[124:125]
.LBB49_59:
	s_or_b64 exec, exec, s[2:3]
	s_waitcnt lgkmcnt(0)
	s_barrier
	ds_read_b64 v[124:125], v150
	v_cmp_lt_u32_e32 vcc, 11, v152
	s_and_saveexec_b64 s[2:3], vcc
	s_cbranch_execz .LBB49_61
; %bb.60:
	ds_read2_b64 v[126:129], v151 offset0:12 offset1:13
	ds_read2_b64 v[130:133], v151 offset0:14 offset1:15
	s_waitcnt vmcnt(13) lgkmcnt(2)
	v_mul_f64 v[66:67], v[124:125], v[66:67]
	ds_read2_b64 v[134:137], v151 offset0:16 offset1:17
	s_waitcnt vmcnt(12) lgkmcnt(2)
	v_fma_f64 v[88:89], -v[66:67], v[126:127], v[88:89]
	s_waitcnt vmcnt(11)
	v_fma_f64 v[64:65], -v[66:67], v[128:129], v[64:65]
	ds_read2_b64 v[126:129], v151 offset0:18 offset1:19
	s_waitcnt vmcnt(10) lgkmcnt(2)
	v_fma_f64 v[86:87], -v[66:67], v[130:131], v[86:87]
	s_waitcnt vmcnt(9)
	v_fma_f64 v[62:63], -v[66:67], v[132:133], v[62:63]
	s_waitcnt vmcnt(8) lgkmcnt(1)
	v_fma_f64 v[84:85], -v[66:67], v[134:135], v[84:85]
	s_waitcnt vmcnt(7)
	v_fma_f64 v[60:61], -v[66:67], v[136:137], v[60:61]
	ds_read2_b64 v[130:133], v151 offset0:20 offset1:21
	ds_read2_b64 v[134:137], v151 offset0:22 offset1:23
	s_waitcnt vmcnt(6) lgkmcnt(2)
	v_fma_f64 v[82:83], -v[66:67], v[126:127], v[82:83]
	ds_read_b64 v[126:127], v151 offset:192
	s_waitcnt vmcnt(5)
	v_fma_f64 v[58:59], -v[66:67], v[128:129], v[58:59]
	s_waitcnt vmcnt(4) lgkmcnt(2)
	v_fma_f64 v[80:81], -v[66:67], v[130:131], v[80:81]
	s_waitcnt vmcnt(3)
	v_fma_f64 v[56:57], -v[66:67], v[132:133], v[56:57]
	s_waitcnt vmcnt(2) lgkmcnt(1)
	v_fma_f64 v[78:79], -v[66:67], v[134:135], v[78:79]
	;; [unrolled: 4-line block ×3, first 2 shown]
.LBB49_61:
	s_or_b64 exec, exec, s[2:3]
	v_cmp_eq_u32_e32 vcc, 12, v152
	s_waitcnt lgkmcnt(0)
	s_barrier
	s_and_saveexec_b64 s[2:3], vcc
	s_cbranch_execz .LBB49_64
; %bb.62:
	s_waitcnt vmcnt(12)
	ds_write_b64 v150, v[88:89]
	s_waitcnt vmcnt(10)
	ds_write2_b64 v151, v[64:65], v[86:87] offset0:13 offset1:14
	s_waitcnt vmcnt(8)
	ds_write2_b64 v151, v[62:63], v[84:85] offset0:15 offset1:16
	;; [unrolled: 2-line block ×6, first 2 shown]
	ds_read_b64 v[126:127], v150
	s_waitcnt lgkmcnt(0)
	v_cmp_neq_f64_e32 vcc, 0, v[126:127]
	s_and_b64 exec, exec, vcc
	s_cbranch_execz .LBB49_64
; %bb.63:
	v_div_scale_f64 v[128:129], s[6:7], v[126:127], v[126:127], 1.0
	v_rcp_f64_e32 v[130:131], v[128:129]
	v_div_scale_f64 v[132:133], vcc, 1.0, v[126:127], 1.0
	v_fma_f64 v[134:135], -v[128:129], v[130:131], 1.0
	v_fmac_f64_e32 v[130:131], v[130:131], v[134:135]
	v_fma_f64 v[134:135], -v[128:129], v[130:131], 1.0
	v_fmac_f64_e32 v[130:131], v[130:131], v[134:135]
	v_mul_f64 v[134:135], v[132:133], v[130:131]
	v_fma_f64 v[128:129], -v[128:129], v[134:135], v[132:133]
	v_div_fmas_f64 v[128:129], v[128:129], v[130:131], v[134:135]
	v_div_fixup_f64 v[126:127], v[128:129], v[126:127], 1.0
	ds_write_b64 v150, v[126:127]
.LBB49_64:
	s_or_b64 exec, exec, s[2:3]
	s_waitcnt lgkmcnt(0)
	s_barrier
	ds_read_b64 v[126:127], v150
	v_cmp_lt_u32_e32 vcc, 12, v152
	s_and_saveexec_b64 s[2:3], vcc
	s_cbranch_execz .LBB49_66
; %bb.65:
	ds_read2_b64 v[128:131], v151 offset0:13 offset1:14
	ds_read2_b64 v[132:135], v151 offset0:15 offset1:16
	;; [unrolled: 1-line block ×3, first 2 shown]
	s_waitcnt vmcnt(12) lgkmcnt(3)
	v_mul_f64 v[88:89], v[126:127], v[88:89]
	s_waitcnt vmcnt(11) lgkmcnt(2)
	v_fma_f64 v[64:65], -v[88:89], v[128:129], v[64:65]
	s_waitcnt vmcnt(10)
	v_fma_f64 v[86:87], -v[88:89], v[130:131], v[86:87]
	ds_read2_b64 v[128:131], v151 offset0:19 offset1:20
	s_waitcnt vmcnt(9) lgkmcnt(2)
	v_fma_f64 v[62:63], -v[88:89], v[132:133], v[62:63]
	s_waitcnt vmcnt(8)
	v_fma_f64 v[84:85], -v[88:89], v[134:135], v[84:85]
	s_waitcnt vmcnt(7) lgkmcnt(1)
	v_fma_f64 v[60:61], -v[88:89], v[136:137], v[60:61]
	ds_read2_b64 v[132:135], v151 offset0:21 offset1:22
	s_waitcnt vmcnt(6)
	v_fma_f64 v[82:83], -v[88:89], v[138:139], v[82:83]
	ds_read2_b64 v[136:139], v151 offset0:23 offset1:24
	s_waitcnt vmcnt(5) lgkmcnt(2)
	v_fma_f64 v[58:59], -v[88:89], v[128:129], v[58:59]
	s_waitcnt vmcnt(4)
	v_fma_f64 v[80:81], -v[88:89], v[130:131], v[80:81]
	s_waitcnt vmcnt(3) lgkmcnt(1)
	v_fma_f64 v[56:57], -v[88:89], v[132:133], v[56:57]
	s_waitcnt vmcnt(2)
	v_fma_f64 v[78:79], -v[88:89], v[134:135], v[78:79]
	;; [unrolled: 4-line block ×3, first 2 shown]
.LBB49_66:
	s_or_b64 exec, exec, s[2:3]
	v_cmp_eq_u32_e32 vcc, 13, v152
	s_waitcnt lgkmcnt(0)
	s_barrier
	s_and_saveexec_b64 s[2:3], vcc
	s_cbranch_execz .LBB49_69
; %bb.67:
	s_waitcnt vmcnt(10)
	v_mov_b32_e32 v128, v86
	v_mov_b32_e32 v129, v87
	s_waitcnt vmcnt(9)
	v_mov_b32_e32 v130, v62
	v_mov_b32_e32 v131, v63
	ds_write_b64 v150, v[64:65]
	ds_write2_b64 v151, v[128:129], v[130:131] offset0:14 offset1:15
	s_waitcnt vmcnt(8)
	v_mov_b32_e32 v128, v84
	v_mov_b32_e32 v129, v85
	s_waitcnt vmcnt(7)
	v_mov_b32_e32 v130, v60
	v_mov_b32_e32 v131, v61
	ds_write2_b64 v151, v[128:129], v[130:131] offset0:16 offset1:17
	s_waitcnt vmcnt(6)
	v_mov_b32_e32 v128, v82
	v_mov_b32_e32 v129, v83
	s_waitcnt vmcnt(5)
	v_mov_b32_e32 v130, v58
	v_mov_b32_e32 v131, v59
	;; [unrolled: 7-line block ×4, first 2 shown]
	ds_write2_b64 v151, v[128:129], v[130:131] offset0:22 offset1:23
	s_waitcnt vmcnt(0)
	ds_write_b64 v151, v[100:101] offset:192
	ds_read_b64 v[128:129], v150
	s_waitcnt lgkmcnt(0)
	v_cmp_neq_f64_e32 vcc, 0, v[128:129]
	s_and_b64 exec, exec, vcc
	s_cbranch_execz .LBB49_69
; %bb.68:
	v_div_scale_f64 v[130:131], s[6:7], v[128:129], v[128:129], 1.0
	v_rcp_f64_e32 v[132:133], v[130:131]
	v_div_scale_f64 v[134:135], vcc, 1.0, v[128:129], 1.0
	v_fma_f64 v[136:137], -v[130:131], v[132:133], 1.0
	v_fmac_f64_e32 v[132:133], v[132:133], v[136:137]
	v_fma_f64 v[136:137], -v[130:131], v[132:133], 1.0
	v_fmac_f64_e32 v[132:133], v[132:133], v[136:137]
	v_mul_f64 v[136:137], v[134:135], v[132:133]
	v_fma_f64 v[130:131], -v[130:131], v[136:137], v[134:135]
	v_div_fmas_f64 v[130:131], v[130:131], v[132:133], v[136:137]
	v_div_fixup_f64 v[128:129], v[130:131], v[128:129], 1.0
	ds_write_b64 v150, v[128:129]
.LBB49_69:
	s_or_b64 exec, exec, s[2:3]
	s_waitcnt lgkmcnt(0)
	s_barrier
	ds_read_b64 v[128:129], v150
	v_cmp_lt_u32_e32 vcc, 13, v152
	s_and_saveexec_b64 s[2:3], vcc
	s_cbranch_execz .LBB49_71
; %bb.70:
	ds_read2_b64 v[130:133], v151 offset0:14 offset1:15
	ds_read2_b64 v[134:137], v151 offset0:16 offset1:17
	ds_read2_b64 v[138:141], v151 offset0:18 offset1:19
	s_waitcnt vmcnt(11) lgkmcnt(3)
	v_mul_f64 v[64:65], v[128:129], v[64:65]
	s_waitcnt vmcnt(10) lgkmcnt(2)
	v_fma_f64 v[86:87], -v[64:65], v[130:131], v[86:87]
	s_waitcnt vmcnt(9)
	v_fma_f64 v[62:63], -v[64:65], v[132:133], v[62:63]
	ds_read2_b64 v[130:133], v151 offset0:20 offset1:21
	s_waitcnt vmcnt(8) lgkmcnt(2)
	v_fma_f64 v[84:85], -v[64:65], v[134:135], v[84:85]
	s_waitcnt vmcnt(7)
	v_fma_f64 v[60:61], -v[64:65], v[136:137], v[60:61]
	s_waitcnt vmcnt(6) lgkmcnt(1)
	v_fma_f64 v[82:83], -v[64:65], v[138:139], v[82:83]
	ds_read2_b64 v[134:137], v151 offset0:22 offset1:23
	ds_read_b64 v[138:139], v151 offset:192
	s_waitcnt vmcnt(5)
	v_fma_f64 v[58:59], -v[64:65], v[140:141], v[58:59]
	s_waitcnt vmcnt(4) lgkmcnt(2)
	v_fma_f64 v[80:81], -v[64:65], v[130:131], v[80:81]
	s_waitcnt vmcnt(3)
	v_fma_f64 v[56:57], -v[64:65], v[132:133], v[56:57]
	s_waitcnt vmcnt(2) lgkmcnt(1)
	v_fma_f64 v[78:79], -v[64:65], v[134:135], v[78:79]
	;; [unrolled: 4-line block ×3, first 2 shown]
.LBB49_71:
	s_or_b64 exec, exec, s[2:3]
	v_cmp_eq_u32_e32 vcc, 14, v152
	s_waitcnt lgkmcnt(0)
	s_barrier
	s_and_saveexec_b64 s[2:3], vcc
	s_cbranch_execz .LBB49_74
; %bb.72:
	s_waitcnt vmcnt(10)
	ds_write_b64 v150, v[86:87]
	s_waitcnt vmcnt(8)
	ds_write2_b64 v151, v[62:63], v[84:85] offset0:15 offset1:16
	s_waitcnt vmcnt(6)
	ds_write2_b64 v151, v[60:61], v[82:83] offset0:17 offset1:18
	;; [unrolled: 2-line block ×5, first 2 shown]
	ds_read_b64 v[130:131], v150
	s_waitcnt lgkmcnt(0)
	v_cmp_neq_f64_e32 vcc, 0, v[130:131]
	s_and_b64 exec, exec, vcc
	s_cbranch_execz .LBB49_74
; %bb.73:
	v_div_scale_f64 v[132:133], s[6:7], v[130:131], v[130:131], 1.0
	v_rcp_f64_e32 v[134:135], v[132:133]
	v_div_scale_f64 v[136:137], vcc, 1.0, v[130:131], 1.0
	v_fma_f64 v[138:139], -v[132:133], v[134:135], 1.0
	v_fmac_f64_e32 v[134:135], v[134:135], v[138:139]
	v_fma_f64 v[138:139], -v[132:133], v[134:135], 1.0
	v_fmac_f64_e32 v[134:135], v[134:135], v[138:139]
	v_mul_f64 v[138:139], v[136:137], v[134:135]
	v_fma_f64 v[132:133], -v[132:133], v[138:139], v[136:137]
	v_div_fmas_f64 v[132:133], v[132:133], v[134:135], v[138:139]
	v_div_fixup_f64 v[130:131], v[132:133], v[130:131], 1.0
	ds_write_b64 v150, v[130:131]
.LBB49_74:
	s_or_b64 exec, exec, s[2:3]
	s_waitcnt lgkmcnt(0)
	s_barrier
	ds_read_b64 v[130:131], v150
	v_cmp_lt_u32_e32 vcc, 14, v152
	s_and_saveexec_b64 s[2:3], vcc
	s_cbranch_execz .LBB49_76
; %bb.75:
	ds_read2_b64 v[132:135], v151 offset0:15 offset1:16
	ds_read2_b64 v[136:139], v151 offset0:17 offset1:18
	s_waitcnt vmcnt(10) lgkmcnt(2)
	v_mul_f64 v[86:87], v[130:131], v[86:87]
	ds_read2_b64 v[140:143], v151 offset0:21 offset1:22
	s_waitcnt vmcnt(9) lgkmcnt(2)
	v_fma_f64 v[62:63], -v[86:87], v[132:133], v[62:63]
	s_waitcnt vmcnt(8)
	v_fma_f64 v[84:85], -v[86:87], v[134:135], v[84:85]
	ds_read2_b64 v[132:135], v151 offset0:19 offset1:20
	s_waitcnt vmcnt(7) lgkmcnt(2)
	v_fma_f64 v[60:61], -v[86:87], v[136:137], v[60:61]
	s_waitcnt vmcnt(6)
	v_fma_f64 v[82:83], -v[86:87], v[138:139], v[82:83]
	ds_read2_b64 v[136:139], v151 offset0:23 offset1:24
	s_waitcnt vmcnt(3) lgkmcnt(2)
	v_fma_f64 v[56:57], -v[86:87], v[140:141], v[56:57]
	s_waitcnt lgkmcnt(1)
	v_fma_f64 v[58:59], -v[86:87], v[132:133], v[58:59]
	v_fma_f64 v[80:81], -v[86:87], v[134:135], v[80:81]
	s_waitcnt vmcnt(2)
	v_fma_f64 v[78:79], -v[86:87], v[142:143], v[78:79]
	s_waitcnt vmcnt(1) lgkmcnt(0)
	v_fma_f64 v[54:55], -v[86:87], v[136:137], v[54:55]
	s_waitcnt vmcnt(0)
	v_fma_f64 v[100:101], -v[86:87], v[138:139], v[100:101]
.LBB49_76:
	s_or_b64 exec, exec, s[2:3]
	v_cmp_eq_u32_e32 vcc, 15, v152
	s_waitcnt lgkmcnt(0)
	s_barrier
	s_and_saveexec_b64 s[2:3], vcc
	s_cbranch_execz .LBB49_79
; %bb.77:
	s_waitcnt vmcnt(8)
	v_mov_b32_e32 v132, v84
	v_mov_b32_e32 v133, v85
	s_waitcnt vmcnt(7)
	v_mov_b32_e32 v134, v60
	v_mov_b32_e32 v135, v61
	ds_write_b64 v150, v[62:63]
	ds_write2_b64 v151, v[132:133], v[134:135] offset0:16 offset1:17
	s_waitcnt vmcnt(6)
	v_mov_b32_e32 v132, v82
	v_mov_b32_e32 v133, v83
	s_waitcnt vmcnt(5)
	v_mov_b32_e32 v134, v58
	v_mov_b32_e32 v135, v59
	ds_write2_b64 v151, v[132:133], v[134:135] offset0:18 offset1:19
	s_waitcnt vmcnt(4)
	v_mov_b32_e32 v132, v80
	v_mov_b32_e32 v133, v81
	s_waitcnt vmcnt(3)
	v_mov_b32_e32 v134, v56
	v_mov_b32_e32 v135, v57
	;; [unrolled: 7-line block ×3, first 2 shown]
	ds_write2_b64 v151, v[132:133], v[134:135] offset0:22 offset1:23
	s_waitcnt vmcnt(0)
	ds_write_b64 v151, v[100:101] offset:192
	ds_read_b64 v[132:133], v150
	s_waitcnt lgkmcnt(0)
	v_cmp_neq_f64_e32 vcc, 0, v[132:133]
	s_and_b64 exec, exec, vcc
	s_cbranch_execz .LBB49_79
; %bb.78:
	v_div_scale_f64 v[134:135], s[6:7], v[132:133], v[132:133], 1.0
	v_rcp_f64_e32 v[136:137], v[134:135]
	v_div_scale_f64 v[138:139], vcc, 1.0, v[132:133], 1.0
	v_fma_f64 v[140:141], -v[134:135], v[136:137], 1.0
	v_fmac_f64_e32 v[136:137], v[136:137], v[140:141]
	v_fma_f64 v[140:141], -v[134:135], v[136:137], 1.0
	v_fmac_f64_e32 v[136:137], v[136:137], v[140:141]
	v_mul_f64 v[140:141], v[138:139], v[136:137]
	v_fma_f64 v[134:135], -v[134:135], v[140:141], v[138:139]
	v_div_fmas_f64 v[134:135], v[134:135], v[136:137], v[140:141]
	v_div_fixup_f64 v[132:133], v[134:135], v[132:133], 1.0
	ds_write_b64 v150, v[132:133]
.LBB49_79:
	s_or_b64 exec, exec, s[2:3]
	s_waitcnt lgkmcnt(0)
	s_barrier
	ds_read_b64 v[132:133], v150
	v_cmp_lt_u32_e32 vcc, 15, v152
	s_and_saveexec_b64 s[2:3], vcc
	s_cbranch_execz .LBB49_81
; %bb.80:
	ds_read2_b64 v[134:137], v151 offset0:16 offset1:17
	ds_read2_b64 v[138:141], v151 offset0:18 offset1:19
	s_waitcnt vmcnt(9) lgkmcnt(2)
	v_mul_f64 v[62:63], v[132:133], v[62:63]
	ds_read2_b64 v[142:145], v151 offset0:22 offset1:23
	s_waitcnt vmcnt(8) lgkmcnt(2)
	v_fma_f64 v[84:85], -v[62:63], v[134:135], v[84:85]
	s_waitcnt vmcnt(7)
	v_fma_f64 v[60:61], -v[62:63], v[136:137], v[60:61]
	ds_read2_b64 v[134:137], v151 offset0:20 offset1:21
	s_waitcnt vmcnt(6) lgkmcnt(2)
	v_fma_f64 v[82:83], -v[62:63], v[138:139], v[82:83]
	ds_read_b64 v[138:139], v151 offset:192
	s_waitcnt vmcnt(5)
	v_fma_f64 v[58:59], -v[62:63], v[140:141], v[58:59]
	s_waitcnt vmcnt(2) lgkmcnt(2)
	v_fma_f64 v[78:79], -v[62:63], v[142:143], v[78:79]
	s_waitcnt lgkmcnt(1)
	v_fma_f64 v[80:81], -v[62:63], v[134:135], v[80:81]
	v_fma_f64 v[56:57], -v[62:63], v[136:137], v[56:57]
	s_waitcnt vmcnt(1)
	v_fma_f64 v[54:55], -v[62:63], v[144:145], v[54:55]
	s_waitcnt vmcnt(0) lgkmcnt(0)
	v_fma_f64 v[100:101], -v[62:63], v[138:139], v[100:101]
.LBB49_81:
	s_or_b64 exec, exec, s[2:3]
	v_cmp_eq_u32_e32 vcc, 16, v152
	s_waitcnt lgkmcnt(0)
	s_barrier
	s_and_saveexec_b64 s[2:3], vcc
	s_cbranch_execz .LBB49_84
; %bb.82:
	s_waitcnt vmcnt(8)
	ds_write_b64 v150, v[84:85]
	s_waitcnt vmcnt(6)
	ds_write2_b64 v151, v[60:61], v[82:83] offset0:17 offset1:18
	s_waitcnt vmcnt(4)
	ds_write2_b64 v151, v[58:59], v[80:81] offset0:19 offset1:20
	;; [unrolled: 2-line block ×4, first 2 shown]
	ds_read_b64 v[134:135], v150
	s_waitcnt lgkmcnt(0)
	v_cmp_neq_f64_e32 vcc, 0, v[134:135]
	s_and_b64 exec, exec, vcc
	s_cbranch_execz .LBB49_84
; %bb.83:
	v_div_scale_f64 v[136:137], s[6:7], v[134:135], v[134:135], 1.0
	v_rcp_f64_e32 v[138:139], v[136:137]
	v_div_scale_f64 v[140:141], vcc, 1.0, v[134:135], 1.0
	v_fma_f64 v[142:143], -v[136:137], v[138:139], 1.0
	v_fmac_f64_e32 v[138:139], v[138:139], v[142:143]
	v_fma_f64 v[142:143], -v[136:137], v[138:139], 1.0
	v_fmac_f64_e32 v[138:139], v[138:139], v[142:143]
	v_mul_f64 v[142:143], v[140:141], v[138:139]
	v_fma_f64 v[136:137], -v[136:137], v[142:143], v[140:141]
	v_div_fmas_f64 v[136:137], v[136:137], v[138:139], v[142:143]
	v_div_fixup_f64 v[134:135], v[136:137], v[134:135], 1.0
	ds_write_b64 v150, v[134:135]
.LBB49_84:
	s_or_b64 exec, exec, s[2:3]
	s_waitcnt lgkmcnt(0)
	s_barrier
	ds_read_b64 v[134:135], v150
	v_cmp_lt_u32_e32 vcc, 16, v152
	s_and_saveexec_b64 s[2:3], vcc
	s_cbranch_execz .LBB49_86
; %bb.85:
	ds_read2_b64 v[136:139], v151 offset0:17 offset1:18
	ds_read2_b64 v[140:143], v151 offset0:19 offset1:20
	s_waitcnt vmcnt(8) lgkmcnt(2)
	v_mul_f64 v[84:85], v[134:135], v[84:85]
	ds_read2_b64 v[144:147], v151 offset0:21 offset1:22
	s_waitcnt vmcnt(7) lgkmcnt(2)
	v_fma_f64 v[60:61], -v[84:85], v[136:137], v[60:61]
	s_waitcnt vmcnt(6)
	v_fma_f64 v[82:83], -v[84:85], v[138:139], v[82:83]
	ds_read2_b64 v[136:139], v151 offset0:23 offset1:24
	s_waitcnt vmcnt(5) lgkmcnt(2)
	v_fma_f64 v[58:59], -v[84:85], v[140:141], v[58:59]
	s_waitcnt vmcnt(4)
	v_fma_f64 v[80:81], -v[84:85], v[142:143], v[80:81]
	s_waitcnt vmcnt(3) lgkmcnt(1)
	v_fma_f64 v[56:57], -v[84:85], v[144:145], v[56:57]
	s_waitcnt vmcnt(2)
	v_fma_f64 v[78:79], -v[84:85], v[146:147], v[78:79]
	;; [unrolled: 4-line block ×3, first 2 shown]
.LBB49_86:
	s_or_b64 exec, exec, s[2:3]
	v_cmp_eq_u32_e32 vcc, 17, v152
	s_waitcnt lgkmcnt(0)
	s_barrier
	s_and_saveexec_b64 s[2:3], vcc
	s_cbranch_execz .LBB49_89
; %bb.87:
	s_waitcnt vmcnt(6)
	v_mov_b32_e32 v136, v82
	v_mov_b32_e32 v137, v83
	s_waitcnt vmcnt(5)
	v_mov_b32_e32 v138, v58
	v_mov_b32_e32 v139, v59
	ds_write_b64 v150, v[60:61]
	ds_write2_b64 v151, v[136:137], v[138:139] offset0:18 offset1:19
	s_waitcnt vmcnt(4)
	v_mov_b32_e32 v136, v80
	v_mov_b32_e32 v137, v81
	s_waitcnt vmcnt(3)
	v_mov_b32_e32 v138, v56
	v_mov_b32_e32 v139, v57
	ds_write2_b64 v151, v[136:137], v[138:139] offset0:20 offset1:21
	s_waitcnt vmcnt(2)
	v_mov_b32_e32 v136, v78
	v_mov_b32_e32 v137, v79
	s_waitcnt vmcnt(1)
	v_mov_b32_e32 v138, v54
	v_mov_b32_e32 v139, v55
	ds_write2_b64 v151, v[136:137], v[138:139] offset0:22 offset1:23
	s_waitcnt vmcnt(0)
	ds_write_b64 v151, v[100:101] offset:192
	ds_read_b64 v[136:137], v150
	s_waitcnt lgkmcnt(0)
	v_cmp_neq_f64_e32 vcc, 0, v[136:137]
	s_and_b64 exec, exec, vcc
	s_cbranch_execz .LBB49_89
; %bb.88:
	v_div_scale_f64 v[138:139], s[6:7], v[136:137], v[136:137], 1.0
	v_rcp_f64_e32 v[140:141], v[138:139]
	v_div_scale_f64 v[142:143], vcc, 1.0, v[136:137], 1.0
	v_fma_f64 v[144:145], -v[138:139], v[140:141], 1.0
	v_fmac_f64_e32 v[140:141], v[140:141], v[144:145]
	v_fma_f64 v[144:145], -v[138:139], v[140:141], 1.0
	v_fmac_f64_e32 v[140:141], v[140:141], v[144:145]
	v_mul_f64 v[144:145], v[142:143], v[140:141]
	v_fma_f64 v[138:139], -v[138:139], v[144:145], v[142:143]
	v_div_fmas_f64 v[138:139], v[138:139], v[140:141], v[144:145]
	v_div_fixup_f64 v[136:137], v[138:139], v[136:137], 1.0
	ds_write_b64 v150, v[136:137]
.LBB49_89:
	s_or_b64 exec, exec, s[2:3]
	s_waitcnt lgkmcnt(0)
	s_barrier
	ds_read_b64 v[136:137], v150
	v_cmp_lt_u32_e32 vcc, 17, v152
	s_and_saveexec_b64 s[2:3], vcc
	s_cbranch_execz .LBB49_91
; %bb.90:
	ds_read2_b64 v[138:141], v151 offset0:18 offset1:19
	ds_read2_b64 v[142:145], v151 offset0:20 offset1:21
	s_waitcnt vmcnt(7) lgkmcnt(2)
	v_mul_f64 v[60:61], v[136:137], v[60:61]
	ds_read2_b64 v[146:149], v151 offset0:22 offset1:23
	s_waitcnt vmcnt(6) lgkmcnt(2)
	v_fma_f64 v[82:83], -v[60:61], v[138:139], v[82:83]
	ds_read_b64 v[138:139], v151 offset:192
	s_waitcnt vmcnt(5)
	v_fma_f64 v[58:59], -v[60:61], v[140:141], v[58:59]
	s_waitcnt vmcnt(4) lgkmcnt(2)
	v_fma_f64 v[80:81], -v[60:61], v[142:143], v[80:81]
	s_waitcnt vmcnt(3)
	v_fma_f64 v[56:57], -v[60:61], v[144:145], v[56:57]
	s_waitcnt vmcnt(2) lgkmcnt(1)
	v_fma_f64 v[78:79], -v[60:61], v[146:147], v[78:79]
	;; [unrolled: 4-line block ×3, first 2 shown]
.LBB49_91:
	s_or_b64 exec, exec, s[2:3]
	v_cmp_eq_u32_e32 vcc, 18, v152
	s_waitcnt lgkmcnt(0)
	s_barrier
	s_and_saveexec_b64 s[2:3], vcc
	s_cbranch_execz .LBB49_94
; %bb.92:
	s_waitcnt vmcnt(6)
	ds_write_b64 v150, v[82:83]
	s_waitcnt vmcnt(4)
	ds_write2_b64 v151, v[58:59], v[80:81] offset0:19 offset1:20
	s_waitcnt vmcnt(2)
	ds_write2_b64 v151, v[56:57], v[78:79] offset0:21 offset1:22
	;; [unrolled: 2-line block ×3, first 2 shown]
	ds_read_b64 v[138:139], v150
	s_waitcnt lgkmcnt(0)
	v_cmp_neq_f64_e32 vcc, 0, v[138:139]
	s_and_b64 exec, exec, vcc
	s_cbranch_execz .LBB49_94
; %bb.93:
	v_div_scale_f64 v[140:141], s[6:7], v[138:139], v[138:139], 1.0
	v_rcp_f64_e32 v[142:143], v[140:141]
	v_div_scale_f64 v[144:145], vcc, 1.0, v[138:139], 1.0
	v_fma_f64 v[146:147], -v[140:141], v[142:143], 1.0
	v_fmac_f64_e32 v[142:143], v[142:143], v[146:147]
	v_fma_f64 v[146:147], -v[140:141], v[142:143], 1.0
	v_fmac_f64_e32 v[142:143], v[142:143], v[146:147]
	v_mul_f64 v[146:147], v[144:145], v[142:143]
	v_fma_f64 v[140:141], -v[140:141], v[146:147], v[144:145]
	v_div_fmas_f64 v[140:141], v[140:141], v[142:143], v[146:147]
	v_div_fixup_f64 v[138:139], v[140:141], v[138:139], 1.0
	ds_write_b64 v150, v[138:139]
.LBB49_94:
	s_or_b64 exec, exec, s[2:3]
	s_waitcnt lgkmcnt(0)
	s_barrier
	ds_read_b64 v[138:139], v150
	v_cmp_lt_u32_e32 vcc, 18, v152
	s_and_saveexec_b64 s[2:3], vcc
	s_cbranch_execz .LBB49_96
; %bb.95:
	ds_read2_b64 v[140:143], v151 offset0:19 offset1:20
	ds_read2_b64 v[144:147], v151 offset0:21 offset1:22
	;; [unrolled: 1-line block ×3, first 2 shown]
	s_waitcnt vmcnt(6) lgkmcnt(3)
	v_mul_f64 v[82:83], v[138:139], v[82:83]
	s_waitcnt vmcnt(5) lgkmcnt(2)
	v_fma_f64 v[58:59], -v[82:83], v[140:141], v[58:59]
	s_waitcnt vmcnt(4)
	v_fma_f64 v[80:81], -v[82:83], v[142:143], v[80:81]
	s_waitcnt vmcnt(3) lgkmcnt(1)
	v_fma_f64 v[56:57], -v[82:83], v[144:145], v[56:57]
	s_waitcnt vmcnt(2)
	v_fma_f64 v[78:79], -v[82:83], v[146:147], v[78:79]
	;; [unrolled: 4-line block ×3, first 2 shown]
.LBB49_96:
	s_or_b64 exec, exec, s[2:3]
	v_cmp_eq_u32_e32 vcc, 19, v152
	s_waitcnt lgkmcnt(0)
	s_barrier
	s_and_saveexec_b64 s[2:3], vcc
	s_cbranch_execz .LBB49_99
; %bb.97:
	s_waitcnt vmcnt(4)
	v_mov_b32_e32 v140, v80
	v_mov_b32_e32 v141, v81
	s_waitcnt vmcnt(3)
	v_mov_b32_e32 v142, v56
	v_mov_b32_e32 v143, v57
	ds_write_b64 v150, v[58:59]
	ds_write2_b64 v151, v[140:141], v[142:143] offset0:20 offset1:21
	s_waitcnt vmcnt(2)
	v_mov_b32_e32 v140, v78
	v_mov_b32_e32 v141, v79
	s_waitcnt vmcnt(1)
	v_mov_b32_e32 v142, v54
	v_mov_b32_e32 v143, v55
	ds_write2_b64 v151, v[140:141], v[142:143] offset0:22 offset1:23
	s_waitcnt vmcnt(0)
	ds_write_b64 v151, v[100:101] offset:192
	ds_read_b64 v[140:141], v150
	s_waitcnt lgkmcnt(0)
	v_cmp_neq_f64_e32 vcc, 0, v[140:141]
	s_and_b64 exec, exec, vcc
	s_cbranch_execz .LBB49_99
; %bb.98:
	v_div_scale_f64 v[142:143], s[6:7], v[140:141], v[140:141], 1.0
	v_rcp_f64_e32 v[144:145], v[142:143]
	v_div_scale_f64 v[146:147], vcc, 1.0, v[140:141], 1.0
	v_fma_f64 v[148:149], -v[142:143], v[144:145], 1.0
	v_fmac_f64_e32 v[144:145], v[144:145], v[148:149]
	v_fma_f64 v[148:149], -v[142:143], v[144:145], 1.0
	v_fmac_f64_e32 v[144:145], v[144:145], v[148:149]
	v_mul_f64 v[148:149], v[146:147], v[144:145]
	v_fma_f64 v[142:143], -v[142:143], v[148:149], v[146:147]
	v_div_fmas_f64 v[142:143], v[142:143], v[144:145], v[148:149]
	v_div_fixup_f64 v[140:141], v[142:143], v[140:141], 1.0
	ds_write_b64 v150, v[140:141]
.LBB49_99:
	s_or_b64 exec, exec, s[2:3]
	s_waitcnt lgkmcnt(0)
	s_barrier
	ds_read_b64 v[140:141], v150
	v_cmp_lt_u32_e32 vcc, 19, v152
	s_and_saveexec_b64 s[2:3], vcc
	s_cbranch_execz .LBB49_101
; %bb.100:
	ds_read2_b64 v[142:145], v151 offset0:20 offset1:21
	ds_read2_b64 v[146:149], v151 offset0:22 offset1:23
	ds_read_b64 v[154:155], v151 offset:192
	s_waitcnt vmcnt(5) lgkmcnt(3)
	v_mul_f64 v[58:59], v[140:141], v[58:59]
	s_waitcnt vmcnt(4) lgkmcnt(2)
	v_fma_f64 v[80:81], -v[58:59], v[142:143], v[80:81]
	s_waitcnt vmcnt(3)
	v_fma_f64 v[56:57], -v[58:59], v[144:145], v[56:57]
	s_waitcnt vmcnt(2) lgkmcnt(1)
	v_fma_f64 v[78:79], -v[58:59], v[146:147], v[78:79]
	s_waitcnt vmcnt(1)
	v_fma_f64 v[54:55], -v[58:59], v[148:149], v[54:55]
	s_waitcnt vmcnt(0) lgkmcnt(0)
	v_fma_f64 v[100:101], -v[58:59], v[154:155], v[100:101]
.LBB49_101:
	s_or_b64 exec, exec, s[2:3]
	v_cmp_eq_u32_e32 vcc, 20, v152
	s_waitcnt lgkmcnt(0)
	s_barrier
	s_and_saveexec_b64 s[2:3], vcc
	s_cbranch_execz .LBB49_104
; %bb.102:
	s_waitcnt vmcnt(4)
	ds_write_b64 v150, v[80:81]
	s_waitcnt vmcnt(2)
	ds_write2_b64 v151, v[56:57], v[78:79] offset0:21 offset1:22
	s_waitcnt vmcnt(0)
	ds_write2_b64 v151, v[54:55], v[100:101] offset0:23 offset1:24
	ds_read_b64 v[142:143], v150
	s_waitcnt lgkmcnt(0)
	v_cmp_neq_f64_e32 vcc, 0, v[142:143]
	s_and_b64 exec, exec, vcc
	s_cbranch_execz .LBB49_104
; %bb.103:
	v_div_scale_f64 v[144:145], s[6:7], v[142:143], v[142:143], 1.0
	v_rcp_f64_e32 v[146:147], v[144:145]
	v_div_scale_f64 v[148:149], vcc, 1.0, v[142:143], 1.0
	v_fma_f64 v[154:155], -v[144:145], v[146:147], 1.0
	v_fmac_f64_e32 v[146:147], v[146:147], v[154:155]
	v_fma_f64 v[154:155], -v[144:145], v[146:147], 1.0
	v_fmac_f64_e32 v[146:147], v[146:147], v[154:155]
	v_mul_f64 v[154:155], v[148:149], v[146:147]
	v_fma_f64 v[144:145], -v[144:145], v[154:155], v[148:149]
	v_div_fmas_f64 v[144:145], v[144:145], v[146:147], v[154:155]
	v_div_fixup_f64 v[142:143], v[144:145], v[142:143], 1.0
	ds_write_b64 v150, v[142:143]
.LBB49_104:
	s_or_b64 exec, exec, s[2:3]
	s_waitcnt lgkmcnt(0)
	s_barrier
	ds_read_b64 v[142:143], v150
	v_cmp_lt_u32_e32 vcc, 20, v152
	s_and_saveexec_b64 s[2:3], vcc
	s_cbranch_execz .LBB49_106
; %bb.105:
	ds_read2_b64 v[144:147], v151 offset0:21 offset1:22
	ds_read2_b64 v[154:157], v151 offset0:23 offset1:24
	s_waitcnt vmcnt(4) lgkmcnt(2)
	v_mul_f64 v[80:81], v[142:143], v[80:81]
	s_waitcnt vmcnt(3) lgkmcnt(1)
	v_fma_f64 v[56:57], -v[80:81], v[144:145], v[56:57]
	s_waitcnt vmcnt(2)
	v_fma_f64 v[78:79], -v[80:81], v[146:147], v[78:79]
	s_waitcnt vmcnt(1) lgkmcnt(0)
	v_fma_f64 v[54:55], -v[80:81], v[154:155], v[54:55]
	s_waitcnt vmcnt(0)
	v_fma_f64 v[100:101], -v[80:81], v[156:157], v[100:101]
.LBB49_106:
	s_or_b64 exec, exec, s[2:3]
	v_cmp_eq_u32_e32 vcc, 21, v152
	s_waitcnt lgkmcnt(0)
	s_barrier
	s_and_saveexec_b64 s[2:3], vcc
	s_cbranch_execz .LBB49_109
; %bb.107:
	s_waitcnt vmcnt(2)
	v_mov_b32_e32 v144, v78
	v_mov_b32_e32 v145, v79
	s_waitcnt vmcnt(1)
	v_mov_b32_e32 v146, v54
	v_mov_b32_e32 v147, v55
	ds_write_b64 v150, v[56:57]
	ds_write2_b64 v151, v[144:145], v[146:147] offset0:22 offset1:23
	s_waitcnt vmcnt(0)
	ds_write_b64 v151, v[100:101] offset:192
	ds_read_b64 v[144:145], v150
	s_waitcnt lgkmcnt(0)
	v_cmp_neq_f64_e32 vcc, 0, v[144:145]
	s_and_b64 exec, exec, vcc
	s_cbranch_execz .LBB49_109
; %bb.108:
	v_div_scale_f64 v[146:147], s[6:7], v[144:145], v[144:145], 1.0
	v_rcp_f64_e32 v[148:149], v[146:147]
	v_div_scale_f64 v[154:155], vcc, 1.0, v[144:145], 1.0
	v_fma_f64 v[156:157], -v[146:147], v[148:149], 1.0
	v_fmac_f64_e32 v[148:149], v[148:149], v[156:157]
	v_fma_f64 v[156:157], -v[146:147], v[148:149], 1.0
	v_fmac_f64_e32 v[148:149], v[148:149], v[156:157]
	v_mul_f64 v[156:157], v[154:155], v[148:149]
	v_fma_f64 v[146:147], -v[146:147], v[156:157], v[154:155]
	v_div_fmas_f64 v[146:147], v[146:147], v[148:149], v[156:157]
	v_div_fixup_f64 v[144:145], v[146:147], v[144:145], 1.0
	ds_write_b64 v150, v[144:145]
.LBB49_109:
	s_or_b64 exec, exec, s[2:3]
	s_waitcnt lgkmcnt(0)
	s_barrier
	ds_read_b64 v[144:145], v150
	v_cmp_lt_u32_e32 vcc, 21, v152
	s_and_saveexec_b64 s[2:3], vcc
	s_cbranch_execz .LBB49_111
; %bb.110:
	ds_read2_b64 v[146:149], v151 offset0:22 offset1:23
	ds_read_b64 v[154:155], v151 offset:192
	s_waitcnt vmcnt(3) lgkmcnt(2)
	v_mul_f64 v[56:57], v[144:145], v[56:57]
	s_waitcnt vmcnt(2) lgkmcnt(1)
	v_fma_f64 v[78:79], -v[56:57], v[146:147], v[78:79]
	s_waitcnt vmcnt(1)
	v_fma_f64 v[54:55], -v[56:57], v[148:149], v[54:55]
	s_waitcnt vmcnt(0) lgkmcnt(0)
	v_fma_f64 v[100:101], -v[56:57], v[154:155], v[100:101]
.LBB49_111:
	s_or_b64 exec, exec, s[2:3]
	v_cmp_eq_u32_e32 vcc, 22, v152
	s_waitcnt lgkmcnt(0)
	s_barrier
	s_and_saveexec_b64 s[2:3], vcc
	s_cbranch_execz .LBB49_114
; %bb.112:
	s_waitcnt vmcnt(2)
	ds_write_b64 v150, v[78:79]
	s_waitcnt vmcnt(0)
	ds_write2_b64 v151, v[54:55], v[100:101] offset0:23 offset1:24
	ds_read_b64 v[146:147], v150
	s_waitcnt lgkmcnt(0)
	v_cmp_neq_f64_e32 vcc, 0, v[146:147]
	s_and_b64 exec, exec, vcc
	s_cbranch_execz .LBB49_114
; %bb.113:
	v_div_scale_f64 v[148:149], s[6:7], v[146:147], v[146:147], 1.0
	v_rcp_f64_e32 v[154:155], v[148:149]
	v_div_scale_f64 v[156:157], vcc, 1.0, v[146:147], 1.0
	v_fma_f64 v[158:159], -v[148:149], v[154:155], 1.0
	v_fmac_f64_e32 v[154:155], v[154:155], v[158:159]
	v_fma_f64 v[158:159], -v[148:149], v[154:155], 1.0
	v_fmac_f64_e32 v[154:155], v[154:155], v[158:159]
	v_mul_f64 v[158:159], v[156:157], v[154:155]
	v_fma_f64 v[148:149], -v[148:149], v[158:159], v[156:157]
	v_div_fmas_f64 v[148:149], v[148:149], v[154:155], v[158:159]
	v_div_fixup_f64 v[146:147], v[148:149], v[146:147], 1.0
	ds_write_b64 v150, v[146:147]
.LBB49_114:
	s_or_b64 exec, exec, s[2:3]
	s_waitcnt lgkmcnt(0)
	s_barrier
	ds_read_b64 v[146:147], v150
	v_cmp_lt_u32_e32 vcc, 22, v152
	s_and_saveexec_b64 s[2:3], vcc
	s_cbranch_execz .LBB49_116
; %bb.115:
	ds_read2_b64 v[154:157], v151 offset0:23 offset1:24
	s_waitcnt vmcnt(2) lgkmcnt(1)
	v_mul_f64 v[78:79], v[146:147], v[78:79]
	s_waitcnt vmcnt(1) lgkmcnt(0)
	v_fma_f64 v[54:55], -v[78:79], v[154:155], v[54:55]
	s_waitcnt vmcnt(0)
	v_fma_f64 v[100:101], -v[78:79], v[156:157], v[100:101]
.LBB49_116:
	s_or_b64 exec, exec, s[2:3]
	v_cmp_eq_u32_e32 vcc, 23, v152
	s_waitcnt lgkmcnt(0)
	s_barrier
	s_and_saveexec_b64 s[2:3], vcc
	s_cbranch_execz .LBB49_119
; %bb.117:
	s_waitcnt vmcnt(1)
	ds_write_b64 v150, v[54:55]
	s_waitcnt vmcnt(0)
	ds_write_b64 v151, v[100:101] offset:192
	ds_read_b64 v[148:149], v150
	s_waitcnt lgkmcnt(0)
	v_cmp_neq_f64_e32 vcc, 0, v[148:149]
	s_and_b64 exec, exec, vcc
	s_cbranch_execz .LBB49_119
; %bb.118:
	v_div_scale_f64 v[154:155], s[6:7], v[148:149], v[148:149], 1.0
	v_rcp_f64_e32 v[156:157], v[154:155]
	v_div_scale_f64 v[158:159], vcc, 1.0, v[148:149], 1.0
	v_fma_f64 v[160:161], -v[154:155], v[156:157], 1.0
	v_fmac_f64_e32 v[156:157], v[156:157], v[160:161]
	v_fma_f64 v[160:161], -v[154:155], v[156:157], 1.0
	v_fmac_f64_e32 v[156:157], v[156:157], v[160:161]
	v_mul_f64 v[160:161], v[158:159], v[156:157]
	v_fma_f64 v[154:155], -v[154:155], v[160:161], v[158:159]
	v_div_fmas_f64 v[154:155], v[154:155], v[156:157], v[160:161]
	v_div_fixup_f64 v[148:149], v[154:155], v[148:149], 1.0
	ds_write_b64 v150, v[148:149]
.LBB49_119:
	s_or_b64 exec, exec, s[2:3]
	s_waitcnt lgkmcnt(0)
	s_barrier
	ds_read_b64 v[148:149], v150
	v_cmp_lt_u32_e32 vcc, 23, v152
	s_and_saveexec_b64 s[2:3], vcc
	s_cbranch_execz .LBB49_121
; %bb.120:
	ds_read_b64 v[154:155], v151 offset:192
	s_waitcnt vmcnt(1) lgkmcnt(1)
	v_mul_f64 v[54:55], v[148:149], v[54:55]
	s_waitcnt vmcnt(0) lgkmcnt(0)
	v_fma_f64 v[100:101], -v[54:55], v[154:155], v[100:101]
.LBB49_121:
	s_or_b64 exec, exec, s[2:3]
	v_cmp_eq_u32_e32 vcc, 24, v152
	s_waitcnt lgkmcnt(0)
	s_barrier
	s_and_saveexec_b64 s[2:3], vcc
	s_cbranch_execz .LBB49_124
; %bb.122:
	s_waitcnt vmcnt(0)
	v_cmp_neq_f64_e32 vcc, 0, v[100:101]
	ds_write_b64 v150, v[100:101]
	s_and_b64 exec, exec, vcc
	s_cbranch_execz .LBB49_124
; %bb.123:
	v_div_scale_f64 v[154:155], s[6:7], v[100:101], v[100:101], 1.0
	v_rcp_f64_e32 v[156:157], v[154:155]
	v_div_scale_f64 v[158:159], vcc, 1.0, v[100:101], 1.0
	v_fma_f64 v[160:161], -v[154:155], v[156:157], 1.0
	v_fmac_f64_e32 v[156:157], v[156:157], v[160:161]
	v_fma_f64 v[160:161], -v[154:155], v[156:157], 1.0
	v_fmac_f64_e32 v[156:157], v[156:157], v[160:161]
	v_mul_f64 v[160:161], v[158:159], v[156:157]
	v_fma_f64 v[154:155], -v[154:155], v[160:161], v[158:159]
	v_div_fmas_f64 v[154:155], v[154:155], v[156:157], v[160:161]
	v_div_fixup_f64 v[154:155], v[154:155], v[100:101], 1.0
	ds_write_b64 v150, v[154:155]
.LBB49_124:
	s_or_b64 exec, exec, s[2:3]
	s_waitcnt lgkmcnt(0)
	s_barrier
	ds_read_b64 v[150:151], v150
	s_waitcnt lgkmcnt(0)
	s_barrier
	s_and_saveexec_b64 s[2:3], s[0:1]
	s_cbranch_execz .LBB49_127
; %bb.125:
	v_cmp_eq_f64_e32 vcc, 0, v[102:103]
	v_cmp_neq_f64_e64 s[0:1], 0, v[104:105]
	v_cndmask_b32_e64 v102, 0, 1, vcc
	s_or_b64 vcc, s[0:1], vcc
	v_cndmask_b32_e32 v102, 2, v102, vcc
	v_cmp_eq_f64_e32 vcc, 0, v[106:107]
	v_cmp_eq_u32_e64 s[0:1], 0, v102
	s_and_b64 s[0:1], vcc, s[0:1]
	v_cndmask_b32_e64 v102, v102, 3, s[0:1]
	v_cmp_eq_f64_e32 vcc, 0, v[108:109]
	v_cmp_eq_u32_e64 s[0:1], 0, v102
	s_load_dwordx2 s[4:5], s[4:5], 0x28
	s_and_b64 s[0:1], vcc, s[0:1]
	v_cndmask_b32_e64 v102, v102, 4, s[0:1]
	v_cmp_eq_f64_e32 vcc, 0, v[110:111]
	v_cmp_eq_u32_e64 s[0:1], 0, v102
	s_and_b64 s[0:1], vcc, s[0:1]
	v_lshlrev_b64 v[2:3], 2, v[2:3]
	v_cndmask_b32_e64 v102, v102, 5, s[0:1]
	s_waitcnt lgkmcnt(0)
	v_mov_b32_e32 v103, s5
	v_add_co_u32_e64 v2, s[0:1], s4, v2
	v_addc_co_u32_e64 v3, s[0:1], v103, v3, s[0:1]
	global_load_dword v103, v[2:3], off
	v_cmp_eq_f64_e32 vcc, 0, v[112:113]
	v_cmp_eq_u32_e64 s[0:1], 0, v102
	s_and_b64 s[0:1], vcc, s[0:1]
	v_cndmask_b32_e64 v102, v102, 6, s[0:1]
	v_cmp_eq_f64_e32 vcc, 0, v[114:115]
	v_cmp_eq_u32_e64 s[0:1], 0, v102
	s_and_b64 s[0:1], vcc, s[0:1]
	v_cndmask_b32_e64 v102, v102, 7, s[0:1]
	;; [unrolled: 4-line block ×20, first 2 shown]
	s_waitcnt vmcnt(0)
	v_cmp_eq_u32_e32 vcc, 0, v103
	v_cmp_ne_u32_e64 s[0:1], 0, v102
	s_and_b64 s[0:1], vcc, s[0:1]
	s_and_b64 exec, exec, s[0:1]
	s_cbranch_execz .LBB49_127
; %bb.126:
	v_add_u32_e32 v102, s9, v102
	global_store_dword v[2:3], v102, off
.LBB49_127:
	s_or_b64 exec, exec, s[2:3]
	s_waitcnt vmcnt(0)
	v_mul_f64 v[2:3], v[150:151], v[100:101]
	v_cmp_lt_u32_e32 vcc, 24, v152
	v_cndmask_b32_e32 v3, v101, v3, vcc
	v_cndmask_b32_e32 v2, v100, v2, vcc
	global_store_dwordx2 v[0:1], v[52:53], off
	global_store_dwordx2 v[22:23], v[76:77], off
	global_store_dwordx2 v[4:5], v[98:99], off
	global_store_dwordx2 v[6:7], v[74:75], off
	global_store_dwordx2 v[8:9], v[96:97], off
	global_store_dwordx2 v[10:11], v[72:73], off
	global_store_dwordx2 v[12:13], v[94:95], off
	global_store_dwordx2 v[14:15], v[70:71], off
	global_store_dwordx2 v[16:17], v[92:93], off
	global_store_dwordx2 v[18:19], v[68:69], off
	global_store_dwordx2 v[20:21], v[90:91], off
	global_store_dwordx2 v[24:25], v[66:67], off
	global_store_dwordx2 v[26:27], v[88:89], off
	global_store_dwordx2 v[28:29], v[64:65], off
	global_store_dwordx2 v[30:31], v[86:87], off
	global_store_dwordx2 v[32:33], v[62:63], off
	global_store_dwordx2 v[34:35], v[84:85], off
	global_store_dwordx2 v[36:37], v[60:61], off
	global_store_dwordx2 v[38:39], v[82:83], off
	global_store_dwordx2 v[40:41], v[58:59], off
	global_store_dwordx2 v[42:43], v[80:81], off
	global_store_dwordx2 v[44:45], v[56:57], off
	global_store_dwordx2 v[46:47], v[78:79], off
	global_store_dwordx2 v[48:49], v[54:55], off
	global_store_dwordx2 v[50:51], v[2:3], off
.LBB49_128:
	s_endpgm
	.section	.rodata,"a",@progbits
	.p2align	6, 0x0
	.amdhsa_kernel _ZN9rocsolver6v33100L23getf2_npvt_small_kernelILi25EdiiPKPdEEvT1_T3_lS5_lPT2_S5_S5_
		.amdhsa_group_segment_fixed_size 0
		.amdhsa_private_segment_fixed_size 0
		.amdhsa_kernarg_size 312
		.amdhsa_user_sgpr_count 6
		.amdhsa_user_sgpr_private_segment_buffer 1
		.amdhsa_user_sgpr_dispatch_ptr 0
		.amdhsa_user_sgpr_queue_ptr 0
		.amdhsa_user_sgpr_kernarg_segment_ptr 1
		.amdhsa_user_sgpr_dispatch_id 0
		.amdhsa_user_sgpr_flat_scratch_init 0
		.amdhsa_user_sgpr_kernarg_preload_length 0
		.amdhsa_user_sgpr_kernarg_preload_offset 0
		.amdhsa_user_sgpr_private_segment_size 0
		.amdhsa_uses_dynamic_stack 0
		.amdhsa_system_sgpr_private_segment_wavefront_offset 0
		.amdhsa_system_sgpr_workgroup_id_x 1
		.amdhsa_system_sgpr_workgroup_id_y 1
		.amdhsa_system_sgpr_workgroup_id_z 0
		.amdhsa_system_sgpr_workgroup_info 0
		.amdhsa_system_vgpr_workitem_id 1
		.amdhsa_next_free_vgpr 162
		.amdhsa_next_free_sgpr 16
		.amdhsa_accum_offset 164
		.amdhsa_reserve_vcc 1
		.amdhsa_reserve_flat_scratch 0
		.amdhsa_float_round_mode_32 0
		.amdhsa_float_round_mode_16_64 0
		.amdhsa_float_denorm_mode_32 3
		.amdhsa_float_denorm_mode_16_64 3
		.amdhsa_dx10_clamp 1
		.amdhsa_ieee_mode 1
		.amdhsa_fp16_overflow 0
		.amdhsa_tg_split 0
		.amdhsa_exception_fp_ieee_invalid_op 0
		.amdhsa_exception_fp_denorm_src 0
		.amdhsa_exception_fp_ieee_div_zero 0
		.amdhsa_exception_fp_ieee_overflow 0
		.amdhsa_exception_fp_ieee_underflow 0
		.amdhsa_exception_fp_ieee_inexact 0
		.amdhsa_exception_int_div_zero 0
	.end_amdhsa_kernel
	.section	.text._ZN9rocsolver6v33100L23getf2_npvt_small_kernelILi25EdiiPKPdEEvT1_T3_lS5_lPT2_S5_S5_,"axG",@progbits,_ZN9rocsolver6v33100L23getf2_npvt_small_kernelILi25EdiiPKPdEEvT1_T3_lS5_lPT2_S5_S5_,comdat
.Lfunc_end49:
	.size	_ZN9rocsolver6v33100L23getf2_npvt_small_kernelILi25EdiiPKPdEEvT1_T3_lS5_lPT2_S5_S5_, .Lfunc_end49-_ZN9rocsolver6v33100L23getf2_npvt_small_kernelILi25EdiiPKPdEEvT1_T3_lS5_lPT2_S5_S5_
                                        ; -- End function
	.section	.AMDGPU.csdata,"",@progbits
; Kernel info:
; codeLenInByte = 14512
; NumSgprs: 20
; NumVgprs: 162
; NumAgprs: 0
; TotalNumVgprs: 162
; ScratchSize: 0
; MemoryBound: 0
; FloatMode: 240
; IeeeMode: 1
; LDSByteSize: 0 bytes/workgroup (compile time only)
; SGPRBlocks: 2
; VGPRBlocks: 20
; NumSGPRsForWavesPerEU: 20
; NumVGPRsForWavesPerEU: 162
; AccumOffset: 164
; Occupancy: 3
; WaveLimiterHint : 1
; COMPUTE_PGM_RSRC2:SCRATCH_EN: 0
; COMPUTE_PGM_RSRC2:USER_SGPR: 6
; COMPUTE_PGM_RSRC2:TRAP_HANDLER: 0
; COMPUTE_PGM_RSRC2:TGID_X_EN: 1
; COMPUTE_PGM_RSRC2:TGID_Y_EN: 1
; COMPUTE_PGM_RSRC2:TGID_Z_EN: 0
; COMPUTE_PGM_RSRC2:TIDIG_COMP_CNT: 1
; COMPUTE_PGM_RSRC3_GFX90A:ACCUM_OFFSET: 40
; COMPUTE_PGM_RSRC3_GFX90A:TG_SPLIT: 0
	.section	.text._ZN9rocsolver6v33100L18getf2_small_kernelILi26EdiiPKPdEEvT1_T3_lS5_lPS5_llPT2_S5_S5_S7_l,"axG",@progbits,_ZN9rocsolver6v33100L18getf2_small_kernelILi26EdiiPKPdEEvT1_T3_lS5_lPS5_llPT2_S5_S5_S7_l,comdat
	.globl	_ZN9rocsolver6v33100L18getf2_small_kernelILi26EdiiPKPdEEvT1_T3_lS5_lPS5_llPT2_S5_S5_S7_l ; -- Begin function _ZN9rocsolver6v33100L18getf2_small_kernelILi26EdiiPKPdEEvT1_T3_lS5_lPS5_llPT2_S5_S5_S7_l
	.p2align	8
	.type	_ZN9rocsolver6v33100L18getf2_small_kernelILi26EdiiPKPdEEvT1_T3_lS5_lPS5_llPT2_S5_S5_S7_l,@function
_ZN9rocsolver6v33100L18getf2_small_kernelILi26EdiiPKPdEEvT1_T3_lS5_lPS5_llPT2_S5_S5_S7_l: ; @_ZN9rocsolver6v33100L18getf2_small_kernelILi26EdiiPKPdEEvT1_T3_lS5_lPS5_llPT2_S5_S5_S7_l
; %bb.0:
	s_load_dword s0, s[4:5], 0x6c
	s_load_dwordx2 s[12:13], s[4:5], 0x48
	v_bfe_u32 v56, v0, 10, 10
	s_waitcnt lgkmcnt(0)
	s_lshr_b32 s0, s0, 16
	s_mul_i32 s7, s7, s0
	v_add_u32_e32 v2, s7, v56
	v_cmp_gt_i32_e32 vcc, s12, v2
	s_and_saveexec_b64 s[0:1], vcc
	s_cbranch_execz .LBB50_439
; %bb.1:
	s_load_dwordx4 s[0:3], s[4:5], 0x8
	s_load_dwordx4 s[8:11], s[4:5], 0x50
	v_ashrrev_i32_e32 v3, 31, v2
	v_lshlrev_b64 v[4:5], 3, v[2:3]
	s_waitcnt lgkmcnt(0)
	v_mov_b32_e32 v1, s1
	v_add_co_u32_e32 v4, vcc, s0, v4
	v_addc_co_u32_e32 v5, vcc, v1, v5, vcc
	global_load_dwordx2 v[6:7], v[4:5], off
	s_cmp_eq_u64 s[8:9], 0
	s_cselect_b64 s[6:7], -1, 0
	s_and_b64 vcc, exec, s[6:7]
	v_pk_mov_b32 v[4:5], 0, 0
	s_cbranch_vccnz .LBB50_3
; %bb.2:
	v_mul_lo_u32 v1, v3, s10
	v_mul_lo_u32 v8, v2, s11
	v_mad_u64_u32 v[4:5], s[0:1], v2, s10, 0
	v_add3_u32 v5, v5, v8, v1
	v_lshlrev_b64 v[4:5], 2, v[4:5]
	v_mov_b32_e32 v1, s9
	v_add_co_u32_e32 v4, vcc, s8, v4
	v_addc_co_u32_e32 v5, vcc, v1, v5, vcc
.LBB50_3:
	s_load_dword s8, s[4:5], 0x18
	s_load_dword s12, s[4:5], 0x0
	s_lshl_b64 s[0:1], s[2:3], 3
	v_mov_b32_e32 v1, s1
	s_waitcnt vmcnt(0)
	v_add_co_u32_e32 v62, vcc, s0, v6
	v_and_b32_e32 v64, 0x3ff, v0
	v_addc_co_u32_e32 v63, vcc, v7, v1, vcc
	v_lshlrev_b32_e32 v57, 3, v64
	s_waitcnt lgkmcnt(0)
	s_ashr_i32 s9, s8, 31
	v_add_co_u32_e32 v0, vcc, v62, v57
	s_lshl_b64 s[10:11], s[8:9], 3
	s_add_i32 s9, s8, s8
	v_addc_co_u32_e32 v1, vcc, 0, v63, vcc
	v_add_u32_e32 v8, s9, v64
	v_mov_b32_e32 v7, s11
	v_add_co_u32_e32 v6, vcc, s10, v0
	v_ashrrev_i32_e32 v9, 31, v8
	v_addc_co_u32_e32 v7, vcc, v1, v7, vcc
	v_lshlrev_b64 v[10:11], 3, v[8:9]
	v_add_u32_e32 v8, s8, v8
	v_add_co_u32_e32 v10, vcc, v62, v10
	v_ashrrev_i32_e32 v9, 31, v8
	v_addc_co_u32_e32 v11, vcc, v63, v11, vcc
	v_lshlrev_b64 v[12:13], 3, v[8:9]
	v_add_co_u32_e32 v12, vcc, v62, v12
	v_addc_co_u32_e32 v13, vcc, v63, v13, vcc
	global_load_dwordx2 v[52:53], v[0:1], off
	global_load_dwordx2 v[50:51], v[6:7], off
	;; [unrolled: 1-line block ×4, first 2 shown]
	v_add_u32_e32 v0, s8, v8
	v_ashrrev_i32_e32 v1, 31, v0
	v_lshlrev_b64 v[6:7], 3, v[0:1]
	v_add_u32_e32 v0, s8, v0
	v_add_co_u32_e32 v6, vcc, v62, v6
	v_ashrrev_i32_e32 v1, 31, v0
	v_addc_co_u32_e32 v7, vcc, v63, v7, vcc
	v_lshlrev_b64 v[8:9], 3, v[0:1]
	v_add_u32_e32 v0, s8, v0
	v_add_co_u32_e32 v8, vcc, v62, v8
	v_ashrrev_i32_e32 v1, 31, v0
	v_addc_co_u32_e32 v9, vcc, v63, v9, vcc
	v_lshlrev_b64 v[10:11], 3, v[0:1]
	v_add_u32_e32 v0, s8, v0
	v_add_co_u32_e32 v10, vcc, v62, v10
	v_ashrrev_i32_e32 v1, 31, v0
	v_addc_co_u32_e32 v11, vcc, v63, v11, vcc
	v_lshlrev_b64 v[12:13], 3, v[0:1]
	v_add_u32_e32 v0, s8, v0
	v_add_co_u32_e32 v12, vcc, v62, v12
	v_ashrrev_i32_e32 v1, 31, v0
	v_addc_co_u32_e32 v13, vcc, v63, v13, vcc
	global_load_dwordx2 v[48:49], v[6:7], off
	global_load_dwordx2 v[44:45], v[8:9], off
	global_load_dwordx2 v[38:39], v[10:11], off
	global_load_dwordx2 v[32:33], v[12:13], off
	v_lshlrev_b64 v[6:7], 3, v[0:1]
	v_add_u32_e32 v0, s8, v0
	v_add_co_u32_e32 v6, vcc, v62, v6
	v_ashrrev_i32_e32 v1, 31, v0
	v_addc_co_u32_e32 v7, vcc, v63, v7, vcc
	v_lshlrev_b64 v[8:9], 3, v[0:1]
	v_add_u32_e32 v0, s8, v0
	v_add_co_u32_e32 v8, vcc, v62, v8
	v_ashrrev_i32_e32 v1, 31, v0
	v_addc_co_u32_e32 v9, vcc, v63, v9, vcc
	v_lshlrev_b64 v[10:11], 3, v[0:1]
	v_add_u32_e32 v0, s8, v0
	v_add_co_u32_e32 v10, vcc, v62, v10
	v_ashrrev_i32_e32 v1, 31, v0
	v_addc_co_u32_e32 v11, vcc, v63, v11, vcc
	v_lshlrev_b64 v[12:13], 3, v[0:1]
	v_add_u32_e32 v0, s8, v0
	v_add_co_u32_e32 v12, vcc, v62, v12
	v_ashrrev_i32_e32 v1, 31, v0
	v_addc_co_u32_e32 v13, vcc, v63, v13, vcc
	global_load_dwordx2 v[42:43], v[6:7], off
	global_load_dwordx2 v[36:37], v[8:9], off
	global_load_dwordx2 v[30:31], v[10:11], off
	global_load_dwordx2 v[24:25], v[12:13], off
	;; [unrolled: 24-line block ×4, first 2 shown]
	v_lshlrev_b64 v[6:7], 3, v[0:1]
	v_add_u32_e32 v0, s8, v0
	v_add_co_u32_e32 v6, vcc, v62, v6
	v_ashrrev_i32_e32 v1, 31, v0
	v_addc_co_u32_e32 v7, vcc, v63, v7, vcc
	v_lshlrev_b64 v[8:9], 3, v[0:1]
	v_add_u32_e32 v0, s8, v0
	v_add_co_u32_e32 v54, vcc, v62, v8
	v_ashrrev_i32_e32 v1, 31, v0
	v_addc_co_u32_e32 v55, vcc, v63, v9, vcc
	;; [unrolled: 5-line block ×3, first 2 shown]
	v_lshlrev_b64 v[0:1], 3, v[60:61]
	v_add_co_u32_e32 v66, vcc, v62, v0
	v_addc_co_u32_e32 v67, vcc, v63, v1, vcc
	global_load_dwordx2 v[18:19], v[6:7], off
	global_load_dwordx2 v[12:13], v[54:55], off
	;; [unrolled: 1-line block ×4, first 2 shown]
	v_add_u32_e32 v6, s8, v60
	v_ashrrev_i32_e32 v7, 31, v6
	v_lshlrev_b64 v[54:55], 3, v[6:7]
	v_add_u32_e32 v6, s8, v6
	v_add_co_u32_e32 v58, vcc, v62, v54
	v_ashrrev_i32_e32 v7, 31, v6
	v_addc_co_u32_e32 v59, vcc, v63, v55, vcc
	v_lshlrev_b64 v[6:7], 3, v[6:7]
	v_add_co_u32_e32 v60, vcc, v62, v6
	v_addc_co_u32_e32 v61, vcc, v63, v7, vcc
	global_load_dwordx2 v[6:7], v[58:59], off
	global_load_dwordx2 v[54:55], v[60:61], off
	s_max_i32 s0, s12, 26
	v_mul_lo_u32 v58, s0, v56
	v_lshl_add_u32 v60, v58, 3, 0
	v_add_u32_e32 v56, v60, v57
	s_waitcnt vmcnt(25)
	ds_write_b64 v56, v[52:53]
	s_waitcnt lgkmcnt(0)
	s_barrier
	ds_read_b64 v[56:57], v60
	s_cmp_lt_i32 s12, 2
	v_lshlrev_b32_e32 v65, 3, v58
	v_mov_b32_e32 v58, 0
	s_cbranch_scc1 .LBB50_6
; %bb.4:
	v_add3_u32 v59, v65, 0, 8
	s_mov_b32 s0, 1
	v_mov_b32_e32 v58, 0
.LBB50_5:                               ; =>This Inner Loop Header: Depth=1
	ds_read_b64 v[66:67], v59
	v_mov_b32_e32 v61, s0
	s_add_i32 s0, s0, 1
	v_add_u32_e32 v59, 8, v59
	s_cmp_eq_u32 s12, s0
	s_waitcnt lgkmcnt(0)
	v_cmp_lt_f64_e64 vcc, |v[56:57]|, |v[66:67]|
	v_cndmask_b32_e32 v57, v57, v67, vcc
	v_cndmask_b32_e32 v56, v56, v66, vcc
	;; [unrolled: 1-line block ×3, first 2 shown]
	s_cbranch_scc0 .LBB50_5
.LBB50_6:
	v_cmp_ne_u32_e32 vcc, v64, v58
                                        ; implicit-def: $vgpr61
	s_and_saveexec_b64 s[0:1], vcc
	s_xor_b64 s[0:1], exec, s[0:1]
	s_cbranch_execz .LBB50_12
; %bb.7:
	v_cmp_eq_u32_e32 vcc, 0, v64
	s_and_saveexec_b64 s[2:3], vcc
	s_cbranch_execz .LBB50_11
; %bb.8:
	v_cmp_ne_u32_e32 vcc, 0, v58
	s_xor_b64 s[14:15], s[6:7], -1
	s_and_b64 s[16:17], s[14:15], vcc
	s_and_saveexec_b64 s[14:15], s[16:17]
	s_cbranch_execz .LBB50_10
; %bb.9:
	v_ashrrev_i32_e32 v59, 31, v58
	v_lshlrev_b64 v[66:67], 2, v[58:59]
	v_add_co_u32_e32 v66, vcc, v4, v66
	v_addc_co_u32_e32 v67, vcc, v5, v67, vcc
	flat_load_dword v59, v[66:67]
	flat_load_dword v61, v[4:5]
	s_waitcnt vmcnt(0) lgkmcnt(0)
	flat_store_dword v[4:5], v59
	flat_store_dword v[66:67], v61
.LBB50_10:
	s_or_b64 exec, exec, s[14:15]
	v_mov_b32_e32 v64, v58
.LBB50_11:
	s_or_b64 exec, exec, s[2:3]
	v_mov_b32_e32 v61, v64
                                        ; implicit-def: $vgpr64
.LBB50_12:
	s_or_saveexec_b64 s[0:1], s[0:1]
	v_mov_b32_e32 v59, v61
	s_xor_b64 exec, exec, s[0:1]
	s_cbranch_execz .LBB50_14
; %bb.13:
	v_mov_b32_e32 v61, 0
	v_mov_b32_e32 v59, v64
	s_waitcnt vmcnt(0)
	ds_write2_b64 v60, v[50:51], v[46:47] offset0:1 offset1:2
	ds_write2_b64 v60, v[40:41], v[48:49] offset0:3 offset1:4
	;; [unrolled: 1-line block ×12, first 2 shown]
	ds_write_b64 v60, v[54:55] offset:200
.LBB50_14:
	s_or_b64 exec, exec, s[0:1]
	s_waitcnt lgkmcnt(0)
	v_cmp_eq_f64_e64 s[0:1], 0, v[56:57]
	v_cmp_lt_i32_e32 vcc, 0, v61
	s_barrier
	s_and_saveexec_b64 s[2:3], vcc
	s_cbranch_execz .LBB50_16
; %bb.15:
	v_div_scale_f64 v[66:67], s[14:15], v[56:57], v[56:57], 1.0
	v_rcp_f64_e32 v[68:69], v[66:67]
	v_div_scale_f64 v[70:71], vcc, 1.0, v[56:57], 1.0
	ds_read2_b64 v[74:77], v60 offset0:5 offset1:6
	v_fma_f64 v[72:73], -v[66:67], v[68:69], 1.0
	v_fmac_f64_e32 v[68:69], v[68:69], v[72:73]
	v_fma_f64 v[72:73], -v[66:67], v[68:69], 1.0
	v_fmac_f64_e32 v[68:69], v[68:69], v[72:73]
	v_mul_f64 v[72:73], v[70:71], v[68:69]
	v_fma_f64 v[66:67], -v[66:67], v[72:73], v[70:71]
	v_div_fmas_f64 v[66:67], v[66:67], v[68:69], v[72:73]
	v_div_fixup_f64 v[70:71], v[66:67], v[56:57], 1.0
	ds_read2_b64 v[66:69], v60 offset0:1 offset1:2
	v_cndmask_b32_e64 v57, v71, v57, s[0:1]
	v_cndmask_b32_e64 v56, v70, v56, s[0:1]
	ds_read2_b64 v[70:73], v60 offset0:3 offset1:4
	v_mul_f64 v[52:53], v[56:57], v[52:53]
	s_waitcnt vmcnt(0) lgkmcnt(0)
	v_fma_f64 v[50:51], -v[52:53], v[66:67], v[50:51]
	v_fma_f64 v[46:47], -v[52:53], v[68:69], v[46:47]
	ds_read2_b64 v[66:69], v60 offset0:7 offset1:8
	v_fma_f64 v[40:41], -v[52:53], v[70:71], v[40:41]
	v_fma_f64 v[48:49], -v[52:53], v[72:73], v[48:49]
	;; [unrolled: 1-line block ×3, first 2 shown]
	ds_read2_b64 v[70:73], v60 offset0:9 offset1:10
	v_fma_f64 v[38:39], -v[52:53], v[76:77], v[38:39]
	ds_read2_b64 v[74:77], v60 offset0:11 offset1:12
	s_waitcnt lgkmcnt(2)
	v_fma_f64 v[32:33], -v[52:53], v[66:67], v[32:33]
	v_fma_f64 v[42:43], -v[52:53], v[68:69], v[42:43]
	s_waitcnt lgkmcnt(1)
	v_fma_f64 v[36:37], -v[52:53], v[70:71], v[36:37]
	ds_read2_b64 v[66:69], v60 offset0:13 offset1:14
	v_fma_f64 v[30:31], -v[52:53], v[72:73], v[30:31]
	ds_read2_b64 v[70:73], v60 offset0:15 offset1:16
	s_waitcnt lgkmcnt(2)
	v_fma_f64 v[24:25], -v[52:53], v[74:75], v[24:25]
	v_fma_f64 v[34:35], -v[52:53], v[76:77], v[34:35]
	ds_read2_b64 v[74:77], v60 offset0:17 offset1:18
	s_waitcnt lgkmcnt(2)
	v_fma_f64 v[28:29], -v[52:53], v[66:67], v[28:29]
	;; [unrolled: 4-line block ×3, first 2 shown]
	v_fma_f64 v[26:27], -v[52:53], v[72:73], v[26:27]
	s_waitcnt lgkmcnt(1)
	v_fma_f64 v[20:21], -v[52:53], v[74:75], v[20:21]
	v_fma_f64 v[14:15], -v[52:53], v[76:77], v[14:15]
	ds_read2_b64 v[70:73], v60 offset0:21 offset1:22
	ds_read2_b64 v[74:77], v60 offset0:23 offset1:24
	ds_read_b64 v[56:57], v60 offset:200
	s_waitcnt lgkmcnt(3)
	v_fma_f64 v[10:11], -v[52:53], v[66:67], v[10:11]
	v_fma_f64 v[18:19], -v[52:53], v[68:69], v[18:19]
	s_waitcnt lgkmcnt(2)
	v_fma_f64 v[12:13], -v[52:53], v[70:71], v[12:13]
	v_fma_f64 v[8:9], -v[52:53], v[72:73], v[8:9]
	;; [unrolled: 3-line block ×3, first 2 shown]
	s_waitcnt lgkmcnt(0)
	v_fma_f64 v[54:55], -v[52:53], v[56:57], v[54:55]
.LBB50_16:
	s_or_b64 exec, exec, s[2:3]
	v_lshl_add_u32 v56, v61, 3, v60
	s_barrier
	s_waitcnt vmcnt(0)
	ds_write_b64 v56, v[50:51]
	s_waitcnt lgkmcnt(0)
	s_barrier
	ds_read_b64 v[56:57], v60 offset:8
	s_cmp_lt_i32 s12, 3
	v_mov_b32_e32 v58, 1
	s_cbranch_scc1 .LBB50_19
; %bb.17:
	v_add3_u32 v64, v65, 0, 16
	s_mov_b32 s2, 2
	v_mov_b32_e32 v58, 1
.LBB50_18:                              ; =>This Inner Loop Header: Depth=1
	ds_read_b64 v[66:67], v64
	v_mov_b32_e32 v68, s2
	s_add_i32 s2, s2, 1
	v_add_u32_e32 v64, 8, v64
	s_cmp_lg_u32 s12, s2
	s_waitcnt lgkmcnt(0)
	v_cmp_lt_f64_e64 vcc, |v[56:57]|, |v[66:67]|
	v_cndmask_b32_e32 v57, v57, v67, vcc
	v_cndmask_b32_e32 v56, v56, v66, vcc
	;; [unrolled: 1-line block ×3, first 2 shown]
	s_cbranch_scc1 .LBB50_18
.LBB50_19:
	v_cmp_ne_u32_e32 vcc, v61, v58
	s_and_saveexec_b64 s[2:3], vcc
	s_xor_b64 s[2:3], exec, s[2:3]
	s_cbranch_execz .LBB50_25
; %bb.20:
	v_cmp_eq_u32_e32 vcc, 1, v61
	s_and_saveexec_b64 s[14:15], vcc
	s_cbranch_execz .LBB50_24
; %bb.21:
	v_cmp_ne_u32_e32 vcc, 1, v58
	s_xor_b64 s[16:17], s[6:7], -1
	s_and_b64 s[18:19], s[16:17], vcc
	s_and_saveexec_b64 s[16:17], s[18:19]
	s_cbranch_execz .LBB50_23
; %bb.22:
	v_ashrrev_i32_e32 v59, 31, v58
	v_lshlrev_b64 v[66:67], 2, v[58:59]
	v_add_co_u32_e32 v66, vcc, v4, v66
	v_addc_co_u32_e32 v67, vcc, v5, v67, vcc
	flat_load_dword v59, v[66:67]
	flat_load_dword v61, v[4:5] offset:4
	s_waitcnt vmcnt(0) lgkmcnt(0)
	flat_store_dword v[4:5], v59 offset:4
	flat_store_dword v[66:67], v61
.LBB50_23:
	s_or_b64 exec, exec, s[16:17]
	v_mov_b32_e32 v59, v58
	v_mov_b32_e32 v61, v58
.LBB50_24:
	s_or_b64 exec, exec, s[14:15]
.LBB50_25:
	s_andn2_saveexec_b64 s[2:3], s[2:3]
	s_cbranch_execz .LBB50_27
; %bb.26:
	v_mov_b32_e32 v66, v46
	v_mov_b32_e32 v67, v47
	v_mov_b32_e32 v68, v40
	v_mov_b32_e32 v69, v41
	ds_write2_b64 v60, v[66:67], v[68:69] offset0:2 offset1:3
	v_mov_b32_e32 v66, v48
	v_mov_b32_e32 v67, v49
	v_mov_b32_e32 v68, v44
	v_mov_b32_e32 v69, v45
	ds_write2_b64 v60, v[66:67], v[68:69] offset0:4 offset1:5
	;; [unrolled: 5-line block ×11, first 2 shown]
	v_mov_b32_e32 v66, v6
	v_mov_b32_e32 v67, v7
	;; [unrolled: 1-line block ×3, first 2 shown]
	ds_write2_b64 v60, v[66:67], v[54:55] offset0:24 offset1:25
.LBB50_27:
	s_or_b64 exec, exec, s[2:3]
	s_waitcnt lgkmcnt(0)
	v_cmp_neq_f64_e64 s[2:3], 0, v[56:57]
	v_cmp_lt_i32_e32 vcc, 1, v61
	s_barrier
	s_and_saveexec_b64 s[14:15], vcc
	s_cbranch_execz .LBB50_29
; %bb.28:
	v_div_scale_f64 v[66:67], s[16:17], v[56:57], v[56:57], 1.0
	v_rcp_f64_e32 v[68:69], v[66:67]
	v_div_scale_f64 v[70:71], vcc, 1.0, v[56:57], 1.0
	ds_read2_b64 v[74:77], v60 offset0:6 offset1:7
	v_fma_f64 v[72:73], -v[66:67], v[68:69], 1.0
	v_fmac_f64_e32 v[68:69], v[68:69], v[72:73]
	v_fma_f64 v[72:73], -v[66:67], v[68:69], 1.0
	v_fmac_f64_e32 v[68:69], v[68:69], v[72:73]
	v_mul_f64 v[72:73], v[70:71], v[68:69]
	v_fma_f64 v[66:67], -v[66:67], v[72:73], v[70:71]
	v_div_fmas_f64 v[66:67], v[66:67], v[68:69], v[72:73]
	v_div_fixup_f64 v[70:71], v[66:67], v[56:57], 1.0
	ds_read2_b64 v[66:69], v60 offset0:2 offset1:3
	v_cndmask_b32_e64 v57, v57, v71, s[2:3]
	v_cndmask_b32_e64 v56, v56, v70, s[2:3]
	ds_read2_b64 v[70:73], v60 offset0:4 offset1:5
	v_mul_f64 v[50:51], v[56:57], v[50:51]
	s_waitcnt lgkmcnt(0)
	v_fma_f64 v[46:47], -v[50:51], v[66:67], v[46:47]
	v_fma_f64 v[40:41], -v[50:51], v[68:69], v[40:41]
	ds_read2_b64 v[66:69], v60 offset0:8 offset1:9
	v_fma_f64 v[48:49], -v[50:51], v[70:71], v[48:49]
	v_fma_f64 v[44:45], -v[50:51], v[72:73], v[44:45]
	;; [unrolled: 1-line block ×3, first 2 shown]
	ds_read2_b64 v[70:73], v60 offset0:10 offset1:11
	v_fma_f64 v[32:33], -v[50:51], v[76:77], v[32:33]
	ds_read2_b64 v[74:77], v60 offset0:12 offset1:13
	s_waitcnt lgkmcnt(0)
	v_fma_f64 v[42:43], -v[50:51], v[66:67], v[42:43]
	v_fma_f64 v[36:37], -v[50:51], v[68:69], v[36:37]
	;; [unrolled: 1-line block ×3, first 2 shown]
	ds_read2_b64 v[66:69], v60 offset0:14 offset1:15
	v_fma_f64 v[24:25], -v[50:51], v[72:73], v[24:25]
	ds_read2_b64 v[70:73], v60 offset0:16 offset1:17
	v_fma_f64 v[34:35], -v[50:51], v[74:75], v[34:35]
	v_fma_f64 v[28:29], -v[50:51], v[76:77], v[28:29]
	ds_read2_b64 v[74:77], v60 offset0:18 offset1:19
	s_waitcnt lgkmcnt(0)
	v_fma_f64 v[22:23], -v[50:51], v[66:67], v[22:23]
	v_fma_f64 v[16:17], -v[50:51], v[68:69], v[16:17]
	ds_read2_b64 v[66:69], v60 offset0:20 offset1:21
	v_fma_f64 v[26:27], -v[50:51], v[70:71], v[26:27]
	v_fma_f64 v[20:21], -v[50:51], v[72:73], v[20:21]
	;; [unrolled: 1-line block ×3, first 2 shown]
	ds_read2_b64 v[70:73], v60 offset0:22 offset1:23
	v_fma_f64 v[10:11], -v[50:51], v[76:77], v[10:11]
	ds_read2_b64 v[74:77], v60 offset0:24 offset1:25
	s_waitcnt lgkmcnt(0)
	v_fma_f64 v[18:19], -v[50:51], v[66:67], v[18:19]
	v_fma_f64 v[12:13], -v[50:51], v[68:69], v[12:13]
	;; [unrolled: 1-line block ×6, first 2 shown]
.LBB50_29:
	s_or_b64 exec, exec, s[14:15]
	v_lshl_add_u32 v56, v61, 3, v60
	s_barrier
	ds_write_b64 v56, v[46:47]
	s_waitcnt lgkmcnt(0)
	s_barrier
	ds_read_b64 v[56:57], v60 offset:16
	s_mov_b32 s14, 3
	s_cmp_lt_i32 s12, 4
	v_mov_b32_e32 v58, 2
	s_cbranch_scc1 .LBB50_32
; %bb.30:
	v_add3_u32 v64, v65, 0, 24
	v_mov_b32_e32 v58, 2
.LBB50_31:                              ; =>This Inner Loop Header: Depth=1
	ds_read_b64 v[66:67], v64
	v_mov_b32_e32 v68, s14
	s_add_i32 s14, s14, 1
	v_add_u32_e32 v64, 8, v64
	s_cmp_lg_u32 s12, s14
	s_waitcnt lgkmcnt(0)
	v_cmp_lt_f64_e64 vcc, |v[56:57]|, |v[66:67]|
	v_cndmask_b32_e32 v57, v57, v67, vcc
	v_cndmask_b32_e32 v56, v56, v66, vcc
	;; [unrolled: 1-line block ×3, first 2 shown]
	s_cbranch_scc1 .LBB50_31
.LBB50_32:
	v_cndmask_b32_e64 v64, 2, 1, s[0:1]
	v_cndmask_b32_e64 v66, 0, 1, s[0:1]
	;; [unrolled: 1-line block ×3, first 2 shown]
	s_waitcnt lgkmcnt(0)
	v_cmp_eq_f64_e32 vcc, 0, v[56:57]
	s_and_saveexec_b64 s[0:1], vcc
	s_xor_b64 s[0:1], exec, s[0:1]
; %bb.33:
	v_cmp_ne_u32_e32 vcc, 0, v64
	v_cndmask_b32_e32 v64, 3, v64, vcc
; %bb.34:
	s_andn2_saveexec_b64 s[0:1], s[0:1]
; %bb.35:
	v_div_scale_f64 v[66:67], s[2:3], v[56:57], v[56:57], 1.0
	v_rcp_f64_e32 v[68:69], v[66:67]
	v_div_scale_f64 v[70:71], vcc, 1.0, v[56:57], 1.0
	v_fma_f64 v[72:73], -v[66:67], v[68:69], 1.0
	v_fmac_f64_e32 v[68:69], v[68:69], v[72:73]
	v_fma_f64 v[72:73], -v[66:67], v[68:69], 1.0
	v_fmac_f64_e32 v[68:69], v[68:69], v[72:73]
	v_mul_f64 v[72:73], v[70:71], v[68:69]
	v_fma_f64 v[66:67], -v[66:67], v[72:73], v[70:71]
	v_div_fmas_f64 v[66:67], v[66:67], v[68:69], v[72:73]
	v_div_fixup_f64 v[56:57], v[66:67], v[56:57], 1.0
; %bb.36:
	s_or_b64 exec, exec, s[0:1]
	v_cmp_ne_u32_e32 vcc, v61, v58
	s_and_saveexec_b64 s[0:1], vcc
	s_xor_b64 s[0:1], exec, s[0:1]
	s_cbranch_execz .LBB50_42
; %bb.37:
	v_cmp_eq_u32_e32 vcc, 2, v61
	s_and_saveexec_b64 s[2:3], vcc
	s_cbranch_execz .LBB50_41
; %bb.38:
	v_cmp_ne_u32_e32 vcc, 2, v58
	s_xor_b64 s[14:15], s[6:7], -1
	s_and_b64 s[16:17], s[14:15], vcc
	s_and_saveexec_b64 s[14:15], s[16:17]
	s_cbranch_execz .LBB50_40
; %bb.39:
	v_ashrrev_i32_e32 v59, 31, v58
	v_lshlrev_b64 v[66:67], 2, v[58:59]
	v_add_co_u32_e32 v66, vcc, v4, v66
	v_addc_co_u32_e32 v67, vcc, v5, v67, vcc
	flat_load_dword v59, v[66:67]
	flat_load_dword v61, v[4:5] offset:8
	s_waitcnt vmcnt(0) lgkmcnt(0)
	flat_store_dword v[4:5], v59 offset:8
	flat_store_dword v[66:67], v61
.LBB50_40:
	s_or_b64 exec, exec, s[14:15]
	v_mov_b32_e32 v59, v58
	v_mov_b32_e32 v61, v58
.LBB50_41:
	s_or_b64 exec, exec, s[2:3]
.LBB50_42:
	s_andn2_saveexec_b64 s[0:1], s[0:1]
	s_cbranch_execz .LBB50_44
; %bb.43:
	v_mov_b32_e32 v61, 2
	ds_write2_b64 v60, v[40:41], v[48:49] offset0:3 offset1:4
	ds_write2_b64 v60, v[44:45], v[38:39] offset0:5 offset1:6
	ds_write2_b64 v60, v[32:33], v[42:43] offset0:7 offset1:8
	ds_write2_b64 v60, v[36:37], v[30:31] offset0:9 offset1:10
	ds_write2_b64 v60, v[24:25], v[34:35] offset0:11 offset1:12
	ds_write2_b64 v60, v[28:29], v[22:23] offset0:13 offset1:14
	ds_write2_b64 v60, v[16:17], v[26:27] offset0:15 offset1:16
	ds_write2_b64 v60, v[20:21], v[14:15] offset0:17 offset1:18
	ds_write2_b64 v60, v[10:11], v[18:19] offset0:19 offset1:20
	ds_write2_b64 v60, v[12:13], v[8:9] offset0:21 offset1:22
	ds_write2_b64 v60, v[0:1], v[6:7] offset0:23 offset1:24
	ds_write_b64 v60, v[54:55] offset:200
.LBB50_44:
	s_or_b64 exec, exec, s[0:1]
	v_cmp_lt_i32_e32 vcc, 2, v61
	s_waitcnt lgkmcnt(0)
	s_barrier
	s_and_saveexec_b64 s[0:1], vcc
	s_cbranch_execz .LBB50_46
; %bb.45:
	ds_read2_b64 v[66:69], v60 offset0:3 offset1:4
	ds_read2_b64 v[70:73], v60 offset0:5 offset1:6
	v_mul_f64 v[46:47], v[56:57], v[46:47]
	ds_read2_b64 v[74:77], v60 offset0:7 offset1:8
	ds_read_b64 v[56:57], v60 offset:200
	s_waitcnt lgkmcnt(0)
	v_fma_f64 v[40:41], -v[46:47], v[66:67], v[40:41]
	v_fma_f64 v[48:49], -v[46:47], v[68:69], v[48:49]
	ds_read2_b64 v[66:69], v60 offset0:9 offset1:10
	v_fma_f64 v[44:45], -v[46:47], v[70:71], v[44:45]
	v_fma_f64 v[38:39], -v[46:47], v[72:73], v[38:39]
	ds_read2_b64 v[70:73], v60 offset0:11 offset1:12
	;; [unrolled: 3-line block ×3, first 2 shown]
	s_waitcnt lgkmcnt(0)
	v_fma_f64 v[36:37], -v[46:47], v[66:67], v[36:37]
	v_fma_f64 v[30:31], -v[46:47], v[68:69], v[30:31]
	;; [unrolled: 1-line block ×3, first 2 shown]
	ds_read2_b64 v[66:69], v60 offset0:15 offset1:16
	v_fma_f64 v[34:35], -v[46:47], v[72:73], v[34:35]
	ds_read2_b64 v[70:73], v60 offset0:17 offset1:18
	v_fma_f64 v[28:29], -v[46:47], v[74:75], v[28:29]
	v_fma_f64 v[22:23], -v[46:47], v[76:77], v[22:23]
	s_waitcnt lgkmcnt(0)
	v_fma_f64 v[16:17], -v[46:47], v[66:67], v[16:17]
	ds_read2_b64 v[74:77], v60 offset0:19 offset1:20
	v_fma_f64 v[26:27], -v[46:47], v[68:69], v[26:27]
	ds_read2_b64 v[66:69], v60 offset0:21 offset1:22
	v_fma_f64 v[20:21], -v[46:47], v[70:71], v[20:21]
	v_fma_f64 v[14:15], -v[46:47], v[72:73], v[14:15]
	ds_read2_b64 v[70:73], v60 offset0:23 offset1:24
	s_waitcnt lgkmcnt(0)
	v_fma_f64 v[10:11], -v[46:47], v[74:75], v[10:11]
	v_fma_f64 v[18:19], -v[46:47], v[76:77], v[18:19]
	v_fma_f64 v[12:13], -v[46:47], v[66:67], v[12:13]
	v_fma_f64 v[8:9], -v[46:47], v[68:69], v[8:9]
	v_fma_f64 v[0:1], -v[46:47], v[70:71], v[0:1]
	v_fma_f64 v[6:7], -v[46:47], v[72:73], v[6:7]
	v_fma_f64 v[54:55], -v[46:47], v[56:57], v[54:55]
.LBB50_46:
	s_or_b64 exec, exec, s[0:1]
	v_lshl_add_u32 v56, v61, 3, v60
	s_barrier
	ds_write_b64 v56, v[40:41]
	s_waitcnt lgkmcnt(0)
	s_barrier
	ds_read_b64 v[56:57], v60 offset:24
	s_cmp_lt_i32 s12, 5
	v_mov_b32_e32 v58, 3
	s_cbranch_scc1 .LBB50_49
; %bb.47:
	v_add3_u32 v66, v65, 0, 32
	s_mov_b32 s0, 4
	v_mov_b32_e32 v58, 3
.LBB50_48:                              ; =>This Inner Loop Header: Depth=1
	ds_read_b64 v[68:69], v66
	v_mov_b32_e32 v67, s0
	s_add_i32 s0, s0, 1
	v_add_u32_e32 v66, 8, v66
	s_cmp_lg_u32 s12, s0
	s_waitcnt lgkmcnt(0)
	v_cmp_lt_f64_e64 vcc, |v[56:57]|, |v[68:69]|
	v_cndmask_b32_e32 v57, v57, v69, vcc
	v_cndmask_b32_e32 v56, v56, v68, vcc
	;; [unrolled: 1-line block ×3, first 2 shown]
	s_cbranch_scc1 .LBB50_48
.LBB50_49:
	s_waitcnt lgkmcnt(0)
	v_cmp_eq_f64_e32 vcc, 0, v[56:57]
	s_and_saveexec_b64 s[0:1], vcc
	s_xor_b64 s[0:1], exec, s[0:1]
; %bb.50:
	v_cmp_ne_u32_e32 vcc, 0, v64
	v_cndmask_b32_e32 v64, 4, v64, vcc
; %bb.51:
	s_andn2_saveexec_b64 s[0:1], s[0:1]
; %bb.52:
	v_div_scale_f64 v[66:67], s[2:3], v[56:57], v[56:57], 1.0
	v_rcp_f64_e32 v[68:69], v[66:67]
	v_div_scale_f64 v[70:71], vcc, 1.0, v[56:57], 1.0
	v_fma_f64 v[72:73], -v[66:67], v[68:69], 1.0
	v_fmac_f64_e32 v[68:69], v[68:69], v[72:73]
	v_fma_f64 v[72:73], -v[66:67], v[68:69], 1.0
	v_fmac_f64_e32 v[68:69], v[68:69], v[72:73]
	v_mul_f64 v[72:73], v[70:71], v[68:69]
	v_fma_f64 v[66:67], -v[66:67], v[72:73], v[70:71]
	v_div_fmas_f64 v[66:67], v[66:67], v[68:69], v[72:73]
	v_div_fixup_f64 v[56:57], v[66:67], v[56:57], 1.0
; %bb.53:
	s_or_b64 exec, exec, s[0:1]
	v_cmp_ne_u32_e32 vcc, v61, v58
	s_and_saveexec_b64 s[0:1], vcc
	s_xor_b64 s[0:1], exec, s[0:1]
	s_cbranch_execz .LBB50_59
; %bb.54:
	v_cmp_eq_u32_e32 vcc, 3, v61
	s_and_saveexec_b64 s[2:3], vcc
	s_cbranch_execz .LBB50_58
; %bb.55:
	v_cmp_ne_u32_e32 vcc, 3, v58
	s_xor_b64 s[14:15], s[6:7], -1
	s_and_b64 s[16:17], s[14:15], vcc
	s_and_saveexec_b64 s[14:15], s[16:17]
	s_cbranch_execz .LBB50_57
; %bb.56:
	v_ashrrev_i32_e32 v59, 31, v58
	v_lshlrev_b64 v[66:67], 2, v[58:59]
	v_add_co_u32_e32 v66, vcc, v4, v66
	v_addc_co_u32_e32 v67, vcc, v5, v67, vcc
	flat_load_dword v59, v[66:67]
	flat_load_dword v61, v[4:5] offset:12
	s_waitcnt vmcnt(0) lgkmcnt(0)
	flat_store_dword v[4:5], v59 offset:12
	flat_store_dword v[66:67], v61
.LBB50_57:
	s_or_b64 exec, exec, s[14:15]
	v_mov_b32_e32 v59, v58
	v_mov_b32_e32 v61, v58
.LBB50_58:
	s_or_b64 exec, exec, s[2:3]
.LBB50_59:
	s_andn2_saveexec_b64 s[0:1], s[0:1]
	s_cbranch_execz .LBB50_61
; %bb.60:
	v_mov_b32_e32 v66, v48
	v_mov_b32_e32 v67, v49
	v_mov_b32_e32 v68, v44
	v_mov_b32_e32 v69, v45
	ds_write2_b64 v60, v[66:67], v[68:69] offset0:4 offset1:5
	v_mov_b32_e32 v66, v38
	v_mov_b32_e32 v67, v39
	v_mov_b32_e32 v68, v32
	v_mov_b32_e32 v69, v33
	ds_write2_b64 v60, v[66:67], v[68:69] offset0:6 offset1:7
	;; [unrolled: 5-line block ×10, first 2 shown]
	v_mov_b32_e32 v66, v6
	v_mov_b32_e32 v67, v7
	;; [unrolled: 1-line block ×3, first 2 shown]
	ds_write2_b64 v60, v[66:67], v[54:55] offset0:24 offset1:25
.LBB50_61:
	s_or_b64 exec, exec, s[0:1]
	v_cmp_lt_i32_e32 vcc, 3, v61
	s_waitcnt lgkmcnt(0)
	s_barrier
	s_and_saveexec_b64 s[0:1], vcc
	s_cbranch_execz .LBB50_63
; %bb.62:
	ds_read2_b64 v[66:69], v60 offset0:4 offset1:5
	ds_read2_b64 v[70:73], v60 offset0:6 offset1:7
	v_mul_f64 v[40:41], v[56:57], v[40:41]
	ds_read2_b64 v[74:77], v60 offset0:8 offset1:9
	s_waitcnt lgkmcnt(0)
	v_fma_f64 v[48:49], -v[40:41], v[66:67], v[48:49]
	v_fma_f64 v[44:45], -v[40:41], v[68:69], v[44:45]
	ds_read2_b64 v[66:69], v60 offset0:10 offset1:11
	v_fma_f64 v[38:39], -v[40:41], v[70:71], v[38:39]
	v_fma_f64 v[32:33], -v[40:41], v[72:73], v[32:33]
	ds_read2_b64 v[70:73], v60 offset0:12 offset1:13
	;; [unrolled: 3-line block ×3, first 2 shown]
	s_waitcnt lgkmcnt(0)
	v_fma_f64 v[30:31], -v[40:41], v[66:67], v[30:31]
	v_fma_f64 v[24:25], -v[40:41], v[68:69], v[24:25]
	;; [unrolled: 1-line block ×3, first 2 shown]
	ds_read2_b64 v[66:69], v60 offset0:16 offset1:17
	v_fma_f64 v[28:29], -v[40:41], v[72:73], v[28:29]
	ds_read2_b64 v[70:73], v60 offset0:18 offset1:19
	v_fma_f64 v[22:23], -v[40:41], v[74:75], v[22:23]
	v_fma_f64 v[16:17], -v[40:41], v[76:77], v[16:17]
	s_waitcnt lgkmcnt(0)
	v_fma_f64 v[26:27], -v[40:41], v[66:67], v[26:27]
	v_fma_f64 v[20:21], -v[40:41], v[68:69], v[20:21]
	ds_read2_b64 v[66:69], v60 offset0:20 offset1:21
	ds_read2_b64 v[74:77], v60 offset0:22 offset1:23
	v_fma_f64 v[14:15], -v[40:41], v[70:71], v[14:15]
	v_fma_f64 v[10:11], -v[40:41], v[72:73], v[10:11]
	ds_read2_b64 v[70:73], v60 offset0:24 offset1:25
	s_waitcnt lgkmcnt(0)
	v_fma_f64 v[18:19], -v[40:41], v[66:67], v[18:19]
	v_fma_f64 v[12:13], -v[40:41], v[68:69], v[12:13]
	;; [unrolled: 1-line block ×6, first 2 shown]
.LBB50_63:
	s_or_b64 exec, exec, s[0:1]
	v_lshl_add_u32 v56, v61, 3, v60
	s_barrier
	ds_write_b64 v56, v[48:49]
	s_waitcnt lgkmcnt(0)
	s_barrier
	ds_read_b64 v[56:57], v60 offset:32
	s_cmp_lt_i32 s12, 6
	v_mov_b32_e32 v58, 4
	s_cbranch_scc1 .LBB50_66
; %bb.64:
	v_add3_u32 v66, v65, 0, 40
	s_mov_b32 s0, 5
	v_mov_b32_e32 v58, 4
.LBB50_65:                              ; =>This Inner Loop Header: Depth=1
	ds_read_b64 v[68:69], v66
	v_mov_b32_e32 v67, s0
	s_add_i32 s0, s0, 1
	v_add_u32_e32 v66, 8, v66
	s_cmp_lg_u32 s12, s0
	s_waitcnt lgkmcnt(0)
	v_cmp_lt_f64_e64 vcc, |v[56:57]|, |v[68:69]|
	v_cndmask_b32_e32 v57, v57, v69, vcc
	v_cndmask_b32_e32 v56, v56, v68, vcc
	;; [unrolled: 1-line block ×3, first 2 shown]
	s_cbranch_scc1 .LBB50_65
.LBB50_66:
	s_waitcnt lgkmcnt(0)
	v_cmp_eq_f64_e32 vcc, 0, v[56:57]
	s_and_saveexec_b64 s[0:1], vcc
	s_xor_b64 s[0:1], exec, s[0:1]
; %bb.67:
	v_cmp_ne_u32_e32 vcc, 0, v64
	v_cndmask_b32_e32 v64, 5, v64, vcc
; %bb.68:
	s_andn2_saveexec_b64 s[0:1], s[0:1]
; %bb.69:
	v_div_scale_f64 v[66:67], s[2:3], v[56:57], v[56:57], 1.0
	v_rcp_f64_e32 v[68:69], v[66:67]
	v_div_scale_f64 v[70:71], vcc, 1.0, v[56:57], 1.0
	v_fma_f64 v[72:73], -v[66:67], v[68:69], 1.0
	v_fmac_f64_e32 v[68:69], v[68:69], v[72:73]
	v_fma_f64 v[72:73], -v[66:67], v[68:69], 1.0
	v_fmac_f64_e32 v[68:69], v[68:69], v[72:73]
	v_mul_f64 v[72:73], v[70:71], v[68:69]
	v_fma_f64 v[66:67], -v[66:67], v[72:73], v[70:71]
	v_div_fmas_f64 v[66:67], v[66:67], v[68:69], v[72:73]
	v_div_fixup_f64 v[56:57], v[66:67], v[56:57], 1.0
; %bb.70:
	s_or_b64 exec, exec, s[0:1]
	v_cmp_ne_u32_e32 vcc, v61, v58
	s_and_saveexec_b64 s[0:1], vcc
	s_xor_b64 s[0:1], exec, s[0:1]
	s_cbranch_execz .LBB50_76
; %bb.71:
	v_cmp_eq_u32_e32 vcc, 4, v61
	s_and_saveexec_b64 s[2:3], vcc
	s_cbranch_execz .LBB50_75
; %bb.72:
	v_cmp_ne_u32_e32 vcc, 4, v58
	s_xor_b64 s[14:15], s[6:7], -1
	s_and_b64 s[16:17], s[14:15], vcc
	s_and_saveexec_b64 s[14:15], s[16:17]
	s_cbranch_execz .LBB50_74
; %bb.73:
	v_ashrrev_i32_e32 v59, 31, v58
	v_lshlrev_b64 v[66:67], 2, v[58:59]
	v_add_co_u32_e32 v66, vcc, v4, v66
	v_addc_co_u32_e32 v67, vcc, v5, v67, vcc
	flat_load_dword v59, v[66:67]
	flat_load_dword v61, v[4:5] offset:16
	s_waitcnt vmcnt(0) lgkmcnt(0)
	flat_store_dword v[4:5], v59 offset:16
	flat_store_dword v[66:67], v61
.LBB50_74:
	s_or_b64 exec, exec, s[14:15]
	v_mov_b32_e32 v59, v58
	v_mov_b32_e32 v61, v58
.LBB50_75:
	s_or_b64 exec, exec, s[2:3]
.LBB50_76:
	s_andn2_saveexec_b64 s[0:1], s[0:1]
	s_cbranch_execz .LBB50_78
; %bb.77:
	v_mov_b32_e32 v61, 4
	ds_write2_b64 v60, v[44:45], v[38:39] offset0:5 offset1:6
	ds_write2_b64 v60, v[32:33], v[42:43] offset0:7 offset1:8
	;; [unrolled: 1-line block ×10, first 2 shown]
	ds_write_b64 v60, v[54:55] offset:200
.LBB50_78:
	s_or_b64 exec, exec, s[0:1]
	v_cmp_lt_i32_e32 vcc, 4, v61
	s_waitcnt lgkmcnt(0)
	s_barrier
	s_and_saveexec_b64 s[0:1], vcc
	s_cbranch_execz .LBB50_80
; %bb.79:
	ds_read2_b64 v[66:69], v60 offset0:5 offset1:6
	ds_read2_b64 v[70:73], v60 offset0:7 offset1:8
	v_mul_f64 v[48:49], v[56:57], v[48:49]
	ds_read2_b64 v[74:77], v60 offset0:9 offset1:10
	ds_read_b64 v[56:57], v60 offset:200
	s_waitcnt lgkmcnt(0)
	v_fma_f64 v[44:45], -v[48:49], v[66:67], v[44:45]
	v_fma_f64 v[38:39], -v[48:49], v[68:69], v[38:39]
	ds_read2_b64 v[66:69], v60 offset0:11 offset1:12
	v_fma_f64 v[32:33], -v[48:49], v[70:71], v[32:33]
	v_fma_f64 v[42:43], -v[48:49], v[72:73], v[42:43]
	;; [unrolled: 1-line block ×3, first 2 shown]
	ds_read2_b64 v[70:73], v60 offset0:13 offset1:14
	v_fma_f64 v[30:31], -v[48:49], v[76:77], v[30:31]
	ds_read2_b64 v[74:77], v60 offset0:15 offset1:16
	s_waitcnt lgkmcnt(0)
	v_fma_f64 v[24:25], -v[48:49], v[66:67], v[24:25]
	v_fma_f64 v[34:35], -v[48:49], v[68:69], v[34:35]
	ds_read2_b64 v[66:69], v60 offset0:17 offset1:18
	v_fma_f64 v[28:29], -v[48:49], v[70:71], v[28:29]
	v_fma_f64 v[22:23], -v[48:49], v[72:73], v[22:23]
	ds_read2_b64 v[70:73], v60 offset0:19 offset1:20
	v_fma_f64 v[16:17], -v[48:49], v[74:75], v[16:17]
	v_fma_f64 v[26:27], -v[48:49], v[76:77], v[26:27]
	s_waitcnt lgkmcnt(0)
	v_fma_f64 v[20:21], -v[48:49], v[66:67], v[20:21]
	v_fma_f64 v[14:15], -v[48:49], v[68:69], v[14:15]
	ds_read2_b64 v[66:69], v60 offset0:21 offset1:22
	ds_read2_b64 v[74:77], v60 offset0:23 offset1:24
	v_fma_f64 v[10:11], -v[48:49], v[70:71], v[10:11]
	v_fma_f64 v[18:19], -v[48:49], v[72:73], v[18:19]
	;; [unrolled: 1-line block ×3, first 2 shown]
	s_waitcnt lgkmcnt(0)
	v_fma_f64 v[12:13], -v[48:49], v[66:67], v[12:13]
	v_fma_f64 v[8:9], -v[48:49], v[68:69], v[8:9]
	v_fma_f64 v[0:1], -v[48:49], v[74:75], v[0:1]
	v_fma_f64 v[6:7], -v[48:49], v[76:77], v[6:7]
.LBB50_80:
	s_or_b64 exec, exec, s[0:1]
	v_lshl_add_u32 v56, v61, 3, v60
	s_barrier
	ds_write_b64 v56, v[44:45]
	s_waitcnt lgkmcnt(0)
	s_barrier
	ds_read_b64 v[56:57], v60 offset:40
	s_cmp_lt_i32 s12, 7
	v_mov_b32_e32 v58, 5
	s_cbranch_scc1 .LBB50_83
; %bb.81:
	v_add3_u32 v66, v65, 0, 48
	s_mov_b32 s0, 6
	v_mov_b32_e32 v58, 5
.LBB50_82:                              ; =>This Inner Loop Header: Depth=1
	ds_read_b64 v[68:69], v66
	v_mov_b32_e32 v67, s0
	s_add_i32 s0, s0, 1
	v_add_u32_e32 v66, 8, v66
	s_cmp_lg_u32 s12, s0
	s_waitcnt lgkmcnt(0)
	v_cmp_lt_f64_e64 vcc, |v[56:57]|, |v[68:69]|
	v_cndmask_b32_e32 v57, v57, v69, vcc
	v_cndmask_b32_e32 v56, v56, v68, vcc
	;; [unrolled: 1-line block ×3, first 2 shown]
	s_cbranch_scc1 .LBB50_82
.LBB50_83:
	s_waitcnt lgkmcnt(0)
	v_cmp_eq_f64_e32 vcc, 0, v[56:57]
	s_and_saveexec_b64 s[0:1], vcc
	s_xor_b64 s[0:1], exec, s[0:1]
; %bb.84:
	v_cmp_ne_u32_e32 vcc, 0, v64
	v_cndmask_b32_e32 v64, 6, v64, vcc
; %bb.85:
	s_andn2_saveexec_b64 s[0:1], s[0:1]
; %bb.86:
	v_div_scale_f64 v[66:67], s[2:3], v[56:57], v[56:57], 1.0
	v_rcp_f64_e32 v[68:69], v[66:67]
	v_div_scale_f64 v[70:71], vcc, 1.0, v[56:57], 1.0
	v_fma_f64 v[72:73], -v[66:67], v[68:69], 1.0
	v_fmac_f64_e32 v[68:69], v[68:69], v[72:73]
	v_fma_f64 v[72:73], -v[66:67], v[68:69], 1.0
	v_fmac_f64_e32 v[68:69], v[68:69], v[72:73]
	v_mul_f64 v[72:73], v[70:71], v[68:69]
	v_fma_f64 v[66:67], -v[66:67], v[72:73], v[70:71]
	v_div_fmas_f64 v[66:67], v[66:67], v[68:69], v[72:73]
	v_div_fixup_f64 v[56:57], v[66:67], v[56:57], 1.0
; %bb.87:
	s_or_b64 exec, exec, s[0:1]
	v_cmp_ne_u32_e32 vcc, v61, v58
	s_and_saveexec_b64 s[0:1], vcc
	s_xor_b64 s[0:1], exec, s[0:1]
	s_cbranch_execz .LBB50_93
; %bb.88:
	v_cmp_eq_u32_e32 vcc, 5, v61
	s_and_saveexec_b64 s[2:3], vcc
	s_cbranch_execz .LBB50_92
; %bb.89:
	v_cmp_ne_u32_e32 vcc, 5, v58
	s_xor_b64 s[14:15], s[6:7], -1
	s_and_b64 s[16:17], s[14:15], vcc
	s_and_saveexec_b64 s[14:15], s[16:17]
	s_cbranch_execz .LBB50_91
; %bb.90:
	v_ashrrev_i32_e32 v59, 31, v58
	v_lshlrev_b64 v[66:67], 2, v[58:59]
	v_add_co_u32_e32 v66, vcc, v4, v66
	v_addc_co_u32_e32 v67, vcc, v5, v67, vcc
	flat_load_dword v59, v[66:67]
	flat_load_dword v61, v[4:5] offset:20
	s_waitcnt vmcnt(0) lgkmcnt(0)
	flat_store_dword v[4:5], v59 offset:20
	flat_store_dword v[66:67], v61
.LBB50_91:
	s_or_b64 exec, exec, s[14:15]
	v_mov_b32_e32 v59, v58
	v_mov_b32_e32 v61, v58
.LBB50_92:
	s_or_b64 exec, exec, s[2:3]
.LBB50_93:
	s_andn2_saveexec_b64 s[0:1], s[0:1]
	s_cbranch_execz .LBB50_95
; %bb.94:
	v_mov_b32_e32 v66, v38
	v_mov_b32_e32 v67, v39
	v_mov_b32_e32 v68, v32
	v_mov_b32_e32 v69, v33
	ds_write2_b64 v60, v[66:67], v[68:69] offset0:6 offset1:7
	v_mov_b32_e32 v66, v42
	v_mov_b32_e32 v67, v43
	v_mov_b32_e32 v68, v36
	v_mov_b32_e32 v69, v37
	ds_write2_b64 v60, v[66:67], v[68:69] offset0:8 offset1:9
	;; [unrolled: 5-line block ×9, first 2 shown]
	v_mov_b32_e32 v66, v6
	v_mov_b32_e32 v67, v7
	;; [unrolled: 1-line block ×3, first 2 shown]
	ds_write2_b64 v60, v[66:67], v[54:55] offset0:24 offset1:25
.LBB50_95:
	s_or_b64 exec, exec, s[0:1]
	v_cmp_lt_i32_e32 vcc, 5, v61
	s_waitcnt lgkmcnt(0)
	s_barrier
	s_and_saveexec_b64 s[0:1], vcc
	s_cbranch_execz .LBB50_97
; %bb.96:
	ds_read2_b64 v[66:69], v60 offset0:6 offset1:7
	ds_read2_b64 v[70:73], v60 offset0:8 offset1:9
	v_mul_f64 v[44:45], v[56:57], v[44:45]
	ds_read2_b64 v[74:77], v60 offset0:10 offset1:11
	s_waitcnt lgkmcnt(0)
	v_fma_f64 v[38:39], -v[44:45], v[66:67], v[38:39]
	v_fma_f64 v[32:33], -v[44:45], v[68:69], v[32:33]
	ds_read2_b64 v[66:69], v60 offset0:12 offset1:13
	v_fma_f64 v[42:43], -v[44:45], v[70:71], v[42:43]
	v_fma_f64 v[36:37], -v[44:45], v[72:73], v[36:37]
	;; [unrolled: 1-line block ×3, first 2 shown]
	ds_read2_b64 v[70:73], v60 offset0:14 offset1:15
	v_fma_f64 v[24:25], -v[44:45], v[76:77], v[24:25]
	ds_read2_b64 v[74:77], v60 offset0:16 offset1:17
	s_waitcnt lgkmcnt(0)
	v_fma_f64 v[34:35], -v[44:45], v[66:67], v[34:35]
	v_fma_f64 v[28:29], -v[44:45], v[68:69], v[28:29]
	ds_read2_b64 v[66:69], v60 offset0:18 offset1:19
	v_fma_f64 v[22:23], -v[44:45], v[70:71], v[22:23]
	v_fma_f64 v[16:17], -v[44:45], v[72:73], v[16:17]
	ds_read2_b64 v[70:73], v60 offset0:20 offset1:21
	v_fma_f64 v[26:27], -v[44:45], v[74:75], v[26:27]
	v_fma_f64 v[20:21], -v[44:45], v[76:77], v[20:21]
	s_waitcnt lgkmcnt(0)
	v_fma_f64 v[14:15], -v[44:45], v[66:67], v[14:15]
	ds_read2_b64 v[74:77], v60 offset0:22 offset1:23
	v_fma_f64 v[10:11], -v[44:45], v[68:69], v[10:11]
	ds_read2_b64 v[66:69], v60 offset0:24 offset1:25
	v_fma_f64 v[18:19], -v[44:45], v[70:71], v[18:19]
	v_fma_f64 v[12:13], -v[44:45], v[72:73], v[12:13]
	s_waitcnt lgkmcnt(0)
	v_fma_f64 v[8:9], -v[44:45], v[74:75], v[8:9]
	v_fma_f64 v[0:1], -v[44:45], v[76:77], v[0:1]
	;; [unrolled: 1-line block ×4, first 2 shown]
.LBB50_97:
	s_or_b64 exec, exec, s[0:1]
	v_lshl_add_u32 v56, v61, 3, v60
	s_barrier
	ds_write_b64 v56, v[38:39]
	s_waitcnt lgkmcnt(0)
	s_barrier
	ds_read_b64 v[56:57], v60 offset:48
	s_cmp_lt_i32 s12, 8
	v_mov_b32_e32 v58, 6
	s_cbranch_scc1 .LBB50_100
; %bb.98:
	v_add3_u32 v66, v65, 0, 56
	s_mov_b32 s0, 7
	v_mov_b32_e32 v58, 6
.LBB50_99:                              ; =>This Inner Loop Header: Depth=1
	ds_read_b64 v[68:69], v66
	v_mov_b32_e32 v67, s0
	s_add_i32 s0, s0, 1
	v_add_u32_e32 v66, 8, v66
	s_cmp_lg_u32 s12, s0
	s_waitcnt lgkmcnt(0)
	v_cmp_lt_f64_e64 vcc, |v[56:57]|, |v[68:69]|
	v_cndmask_b32_e32 v57, v57, v69, vcc
	v_cndmask_b32_e32 v56, v56, v68, vcc
	;; [unrolled: 1-line block ×3, first 2 shown]
	s_cbranch_scc1 .LBB50_99
.LBB50_100:
	s_waitcnt lgkmcnt(0)
	v_cmp_eq_f64_e32 vcc, 0, v[56:57]
	s_and_saveexec_b64 s[0:1], vcc
	s_xor_b64 s[0:1], exec, s[0:1]
; %bb.101:
	v_cmp_ne_u32_e32 vcc, 0, v64
	v_cndmask_b32_e32 v64, 7, v64, vcc
; %bb.102:
	s_andn2_saveexec_b64 s[0:1], s[0:1]
; %bb.103:
	v_div_scale_f64 v[66:67], s[2:3], v[56:57], v[56:57], 1.0
	v_rcp_f64_e32 v[68:69], v[66:67]
	v_div_scale_f64 v[70:71], vcc, 1.0, v[56:57], 1.0
	v_fma_f64 v[72:73], -v[66:67], v[68:69], 1.0
	v_fmac_f64_e32 v[68:69], v[68:69], v[72:73]
	v_fma_f64 v[72:73], -v[66:67], v[68:69], 1.0
	v_fmac_f64_e32 v[68:69], v[68:69], v[72:73]
	v_mul_f64 v[72:73], v[70:71], v[68:69]
	v_fma_f64 v[66:67], -v[66:67], v[72:73], v[70:71]
	v_div_fmas_f64 v[66:67], v[66:67], v[68:69], v[72:73]
	v_div_fixup_f64 v[56:57], v[66:67], v[56:57], 1.0
; %bb.104:
	s_or_b64 exec, exec, s[0:1]
	v_cmp_ne_u32_e32 vcc, v61, v58
	s_and_saveexec_b64 s[0:1], vcc
	s_xor_b64 s[0:1], exec, s[0:1]
	s_cbranch_execz .LBB50_110
; %bb.105:
	v_cmp_eq_u32_e32 vcc, 6, v61
	s_and_saveexec_b64 s[2:3], vcc
	s_cbranch_execz .LBB50_109
; %bb.106:
	v_cmp_ne_u32_e32 vcc, 6, v58
	s_xor_b64 s[14:15], s[6:7], -1
	s_and_b64 s[16:17], s[14:15], vcc
	s_and_saveexec_b64 s[14:15], s[16:17]
	s_cbranch_execz .LBB50_108
; %bb.107:
	v_ashrrev_i32_e32 v59, 31, v58
	v_lshlrev_b64 v[66:67], 2, v[58:59]
	v_add_co_u32_e32 v66, vcc, v4, v66
	v_addc_co_u32_e32 v67, vcc, v5, v67, vcc
	flat_load_dword v59, v[66:67]
	flat_load_dword v61, v[4:5] offset:24
	s_waitcnt vmcnt(0) lgkmcnt(0)
	flat_store_dword v[4:5], v59 offset:24
	flat_store_dword v[66:67], v61
.LBB50_108:
	s_or_b64 exec, exec, s[14:15]
	v_mov_b32_e32 v59, v58
	v_mov_b32_e32 v61, v58
.LBB50_109:
	s_or_b64 exec, exec, s[2:3]
.LBB50_110:
	s_andn2_saveexec_b64 s[0:1], s[0:1]
	s_cbranch_execz .LBB50_112
; %bb.111:
	v_mov_b32_e32 v61, 6
	ds_write2_b64 v60, v[32:33], v[42:43] offset0:7 offset1:8
	ds_write2_b64 v60, v[36:37], v[30:31] offset0:9 offset1:10
	;; [unrolled: 1-line block ×9, first 2 shown]
	ds_write_b64 v60, v[54:55] offset:200
.LBB50_112:
	s_or_b64 exec, exec, s[0:1]
	v_cmp_lt_i32_e32 vcc, 6, v61
	s_waitcnt lgkmcnt(0)
	s_barrier
	s_and_saveexec_b64 s[0:1], vcc
	s_cbranch_execz .LBB50_114
; %bb.113:
	ds_read2_b64 v[66:69], v60 offset0:7 offset1:8
	ds_read2_b64 v[70:73], v60 offset0:9 offset1:10
	;; [unrolled: 1-line block ×3, first 2 shown]
	v_mul_f64 v[38:39], v[56:57], v[38:39]
	ds_read_b64 v[56:57], v60 offset:200
	s_waitcnt lgkmcnt(0)
	v_fma_f64 v[32:33], -v[38:39], v[66:67], v[32:33]
	v_fma_f64 v[42:43], -v[38:39], v[68:69], v[42:43]
	ds_read2_b64 v[66:69], v60 offset0:13 offset1:14
	v_fma_f64 v[36:37], -v[38:39], v[70:71], v[36:37]
	v_fma_f64 v[30:31], -v[38:39], v[72:73], v[30:31]
	;; [unrolled: 1-line block ×3, first 2 shown]
	ds_read2_b64 v[70:73], v60 offset0:15 offset1:16
	v_fma_f64 v[34:35], -v[38:39], v[76:77], v[34:35]
	ds_read2_b64 v[74:77], v60 offset0:17 offset1:18
	s_waitcnt lgkmcnt(0)
	v_fma_f64 v[28:29], -v[38:39], v[66:67], v[28:29]
	v_fma_f64 v[22:23], -v[38:39], v[68:69], v[22:23]
	;; [unrolled: 1-line block ×3, first 2 shown]
	ds_read2_b64 v[66:69], v60 offset0:19 offset1:20
	v_fma_f64 v[26:27], -v[38:39], v[72:73], v[26:27]
	ds_read2_b64 v[70:73], v60 offset0:21 offset1:22
	v_fma_f64 v[20:21], -v[38:39], v[74:75], v[20:21]
	v_fma_f64 v[14:15], -v[38:39], v[76:77], v[14:15]
	ds_read2_b64 v[74:77], v60 offset0:23 offset1:24
	s_waitcnt lgkmcnt(0)
	v_fma_f64 v[10:11], -v[38:39], v[66:67], v[10:11]
	v_fma_f64 v[18:19], -v[38:39], v[68:69], v[18:19]
	;; [unrolled: 1-line block ×7, first 2 shown]
.LBB50_114:
	s_or_b64 exec, exec, s[0:1]
	v_lshl_add_u32 v56, v61, 3, v60
	s_barrier
	ds_write_b64 v56, v[32:33]
	s_waitcnt lgkmcnt(0)
	s_barrier
	ds_read_b64 v[56:57], v60 offset:56
	s_cmp_lt_i32 s12, 9
	v_mov_b32_e32 v58, 7
	s_cbranch_scc1 .LBB50_117
; %bb.115:
	v_add3_u32 v65, v65, 0, 64
	s_mov_b32 s0, 8
	v_mov_b32_e32 v58, 7
.LBB50_116:                             ; =>This Inner Loop Header: Depth=1
	ds_read_b64 v[66:67], v65
	v_mov_b32_e32 v68, s0
	s_add_i32 s0, s0, 1
	v_add_u32_e32 v65, 8, v65
	s_cmp_lg_u32 s12, s0
	s_waitcnt lgkmcnt(0)
	v_cmp_lt_f64_e64 vcc, |v[56:57]|, |v[66:67]|
	v_cndmask_b32_e32 v57, v57, v67, vcc
	v_cndmask_b32_e32 v56, v56, v66, vcc
	;; [unrolled: 1-line block ×3, first 2 shown]
	s_cbranch_scc1 .LBB50_116
.LBB50_117:
	s_waitcnt lgkmcnt(0)
	v_cmp_eq_f64_e32 vcc, 0, v[56:57]
	s_and_saveexec_b64 s[0:1], vcc
	s_xor_b64 s[0:1], exec, s[0:1]
; %bb.118:
	v_cmp_ne_u32_e32 vcc, 0, v64
	v_cndmask_b32_e32 v64, 8, v64, vcc
; %bb.119:
	s_andn2_saveexec_b64 s[0:1], s[0:1]
; %bb.120:
	v_div_scale_f64 v[66:67], s[2:3], v[56:57], v[56:57], 1.0
	v_rcp_f64_e32 v[68:69], v[66:67]
	v_div_scale_f64 v[70:71], vcc, 1.0, v[56:57], 1.0
	v_fma_f64 v[72:73], -v[66:67], v[68:69], 1.0
	v_fmac_f64_e32 v[68:69], v[68:69], v[72:73]
	v_fma_f64 v[72:73], -v[66:67], v[68:69], 1.0
	v_fmac_f64_e32 v[68:69], v[68:69], v[72:73]
	v_mul_f64 v[72:73], v[70:71], v[68:69]
	v_fma_f64 v[66:67], -v[66:67], v[72:73], v[70:71]
	v_div_fmas_f64 v[66:67], v[66:67], v[68:69], v[72:73]
	v_div_fixup_f64 v[56:57], v[66:67], v[56:57], 1.0
; %bb.121:
	s_or_b64 exec, exec, s[0:1]
	v_cmp_ne_u32_e32 vcc, v61, v58
	s_and_saveexec_b64 s[0:1], vcc
	s_xor_b64 s[0:1], exec, s[0:1]
	s_cbranch_execz .LBB50_127
; %bb.122:
	v_cmp_eq_u32_e32 vcc, 7, v61
	s_and_saveexec_b64 s[2:3], vcc
	s_cbranch_execz .LBB50_126
; %bb.123:
	v_cmp_ne_u32_e32 vcc, 7, v58
	s_xor_b64 s[14:15], s[6:7], -1
	s_and_b64 s[16:17], s[14:15], vcc
	s_and_saveexec_b64 s[14:15], s[16:17]
	s_cbranch_execz .LBB50_125
; %bb.124:
	v_ashrrev_i32_e32 v59, 31, v58
	v_lshlrev_b64 v[66:67], 2, v[58:59]
	v_add_co_u32_e32 v66, vcc, v4, v66
	v_addc_co_u32_e32 v67, vcc, v5, v67, vcc
	flat_load_dword v59, v[66:67]
	flat_load_dword v61, v[4:5] offset:28
	s_waitcnt vmcnt(0) lgkmcnt(0)
	flat_store_dword v[4:5], v59 offset:28
	flat_store_dword v[66:67], v61
.LBB50_125:
	s_or_b64 exec, exec, s[14:15]
	v_mov_b32_e32 v59, v58
	v_mov_b32_e32 v61, v58
.LBB50_126:
	s_or_b64 exec, exec, s[2:3]
.LBB50_127:
	s_andn2_saveexec_b64 s[0:1], s[0:1]
	s_cbranch_execz .LBB50_129
; %bb.128:
	v_mov_b32_e32 v66, v42
	v_mov_b32_e32 v67, v43
	v_mov_b32_e32 v68, v36
	v_mov_b32_e32 v69, v37
	ds_write2_b64 v60, v[66:67], v[68:69] offset0:8 offset1:9
	v_mov_b32_e32 v66, v30
	v_mov_b32_e32 v67, v31
	v_mov_b32_e32 v68, v24
	v_mov_b32_e32 v69, v25
	ds_write2_b64 v60, v[66:67], v[68:69] offset0:10 offset1:11
	;; [unrolled: 5-line block ×8, first 2 shown]
	v_mov_b32_e32 v66, v6
	v_mov_b32_e32 v67, v7
	;; [unrolled: 1-line block ×3, first 2 shown]
	ds_write2_b64 v60, v[66:67], v[54:55] offset0:24 offset1:25
.LBB50_129:
	s_or_b64 exec, exec, s[0:1]
	v_cmp_lt_i32_e32 vcc, 7, v61
	s_waitcnt lgkmcnt(0)
	s_barrier
	s_and_saveexec_b64 s[0:1], vcc
	s_cbranch_execz .LBB50_131
; %bb.130:
	ds_read2_b64 v[66:69], v60 offset0:8 offset1:9
	ds_read2_b64 v[70:73], v60 offset0:10 offset1:11
	;; [unrolled: 1-line block ×3, first 2 shown]
	v_mul_f64 v[32:33], v[56:57], v[32:33]
	s_waitcnt lgkmcnt(0)
	v_fma_f64 v[42:43], -v[32:33], v[66:67], v[42:43]
	v_fma_f64 v[36:37], -v[32:33], v[68:69], v[36:37]
	ds_read2_b64 v[66:69], v60 offset0:14 offset1:15
	v_fma_f64 v[30:31], -v[32:33], v[70:71], v[30:31]
	v_fma_f64 v[24:25], -v[32:33], v[72:73], v[24:25]
	;; [unrolled: 1-line block ×3, first 2 shown]
	ds_read2_b64 v[70:73], v60 offset0:16 offset1:17
	v_fma_f64 v[28:29], -v[32:33], v[76:77], v[28:29]
	ds_read2_b64 v[74:77], v60 offset0:18 offset1:19
	s_waitcnt lgkmcnt(0)
	v_fma_f64 v[22:23], -v[32:33], v[66:67], v[22:23]
	v_fma_f64 v[16:17], -v[32:33], v[68:69], v[16:17]
	;; [unrolled: 1-line block ×4, first 2 shown]
	ds_read2_b64 v[66:69], v60 offset0:20 offset1:21
	ds_read2_b64 v[70:73], v60 offset0:22 offset1:23
	v_fma_f64 v[14:15], -v[32:33], v[74:75], v[14:15]
	v_fma_f64 v[10:11], -v[32:33], v[76:77], v[10:11]
	ds_read2_b64 v[74:77], v60 offset0:24 offset1:25
	s_waitcnt lgkmcnt(0)
	v_fma_f64 v[18:19], -v[32:33], v[66:67], v[18:19]
	v_fma_f64 v[12:13], -v[32:33], v[68:69], v[12:13]
	;; [unrolled: 1-line block ×6, first 2 shown]
.LBB50_131:
	s_or_b64 exec, exec, s[0:1]
	v_lshl_add_u32 v56, v61, 3, v60
	s_barrier
	ds_write_b64 v56, v[42:43]
	s_waitcnt lgkmcnt(0)
	s_barrier
	ds_read_b64 v[56:57], v60 offset:64
	s_cmp_lt_i32 s12, 10
	v_mov_b32_e32 v58, 8
	s_cbranch_scc1 .LBB50_134
; %bb.132:
	v_add_u32_e32 v65, 0x48, v60
	s_mov_b32 s0, 9
	v_mov_b32_e32 v58, 8
.LBB50_133:                             ; =>This Inner Loop Header: Depth=1
	ds_read_b64 v[66:67], v65
	v_mov_b32_e32 v68, s0
	s_add_i32 s0, s0, 1
	v_add_u32_e32 v65, 8, v65
	s_cmp_lg_u32 s12, s0
	s_waitcnt lgkmcnt(0)
	v_cmp_lt_f64_e64 vcc, |v[56:57]|, |v[66:67]|
	v_cndmask_b32_e32 v57, v57, v67, vcc
	v_cndmask_b32_e32 v56, v56, v66, vcc
	;; [unrolled: 1-line block ×3, first 2 shown]
	s_cbranch_scc1 .LBB50_133
.LBB50_134:
	s_waitcnt lgkmcnt(0)
	v_cmp_eq_f64_e32 vcc, 0, v[56:57]
	s_and_saveexec_b64 s[0:1], vcc
	s_xor_b64 s[0:1], exec, s[0:1]
; %bb.135:
	v_cmp_ne_u32_e32 vcc, 0, v64
	v_cndmask_b32_e32 v64, 9, v64, vcc
; %bb.136:
	s_andn2_saveexec_b64 s[0:1], s[0:1]
; %bb.137:
	v_div_scale_f64 v[66:67], s[2:3], v[56:57], v[56:57], 1.0
	v_rcp_f64_e32 v[68:69], v[66:67]
	v_div_scale_f64 v[70:71], vcc, 1.0, v[56:57], 1.0
	v_fma_f64 v[72:73], -v[66:67], v[68:69], 1.0
	v_fmac_f64_e32 v[68:69], v[68:69], v[72:73]
	v_fma_f64 v[72:73], -v[66:67], v[68:69], 1.0
	v_fmac_f64_e32 v[68:69], v[68:69], v[72:73]
	v_mul_f64 v[72:73], v[70:71], v[68:69]
	v_fma_f64 v[66:67], -v[66:67], v[72:73], v[70:71]
	v_div_fmas_f64 v[66:67], v[66:67], v[68:69], v[72:73]
	v_div_fixup_f64 v[56:57], v[66:67], v[56:57], 1.0
; %bb.138:
	s_or_b64 exec, exec, s[0:1]
	v_cmp_ne_u32_e32 vcc, v61, v58
	s_and_saveexec_b64 s[0:1], vcc
	s_xor_b64 s[0:1], exec, s[0:1]
	s_cbranch_execz .LBB50_144
; %bb.139:
	v_cmp_eq_u32_e32 vcc, 8, v61
	s_and_saveexec_b64 s[2:3], vcc
	s_cbranch_execz .LBB50_143
; %bb.140:
	v_cmp_ne_u32_e32 vcc, 8, v58
	s_xor_b64 s[14:15], s[6:7], -1
	s_and_b64 s[16:17], s[14:15], vcc
	s_and_saveexec_b64 s[14:15], s[16:17]
	s_cbranch_execz .LBB50_142
; %bb.141:
	v_ashrrev_i32_e32 v59, 31, v58
	v_lshlrev_b64 v[66:67], 2, v[58:59]
	v_add_co_u32_e32 v66, vcc, v4, v66
	v_addc_co_u32_e32 v67, vcc, v5, v67, vcc
	flat_load_dword v59, v[66:67]
	flat_load_dword v61, v[4:5] offset:32
	s_waitcnt vmcnt(0) lgkmcnt(0)
	flat_store_dword v[4:5], v59 offset:32
	flat_store_dword v[66:67], v61
.LBB50_142:
	s_or_b64 exec, exec, s[14:15]
	v_mov_b32_e32 v59, v58
	v_mov_b32_e32 v61, v58
.LBB50_143:
	s_or_b64 exec, exec, s[2:3]
.LBB50_144:
	s_andn2_saveexec_b64 s[0:1], s[0:1]
	s_cbranch_execz .LBB50_146
; %bb.145:
	v_mov_b32_e32 v61, 8
	ds_write2_b64 v60, v[36:37], v[30:31] offset0:9 offset1:10
	ds_write2_b64 v60, v[24:25], v[34:35] offset0:11 offset1:12
	;; [unrolled: 1-line block ×8, first 2 shown]
	ds_write_b64 v60, v[54:55] offset:200
.LBB50_146:
	s_or_b64 exec, exec, s[0:1]
	v_cmp_lt_i32_e32 vcc, 8, v61
	s_waitcnt lgkmcnt(0)
	s_barrier
	s_and_saveexec_b64 s[0:1], vcc
	s_cbranch_execz .LBB50_148
; %bb.147:
	ds_read2_b64 v[66:69], v60 offset0:9 offset1:10
	ds_read2_b64 v[70:73], v60 offset0:11 offset1:12
	v_mul_f64 v[42:43], v[56:57], v[42:43]
	ds_read2_b64 v[74:77], v60 offset0:13 offset1:14
	ds_read_b64 v[56:57], v60 offset:200
	s_waitcnt lgkmcnt(0)
	v_fma_f64 v[36:37], -v[42:43], v[66:67], v[36:37]
	v_fma_f64 v[30:31], -v[42:43], v[68:69], v[30:31]
	ds_read2_b64 v[66:69], v60 offset0:15 offset1:16
	v_fma_f64 v[24:25], -v[42:43], v[70:71], v[24:25]
	v_fma_f64 v[34:35], -v[42:43], v[72:73], v[34:35]
	ds_read2_b64 v[70:73], v60 offset0:17 offset1:18
	;; [unrolled: 3-line block ×3, first 2 shown]
	s_waitcnt lgkmcnt(0)
	v_fma_f64 v[16:17], -v[42:43], v[66:67], v[16:17]
	v_fma_f64 v[26:27], -v[42:43], v[68:69], v[26:27]
	;; [unrolled: 1-line block ×4, first 2 shown]
	ds_read2_b64 v[66:69], v60 offset0:21 offset1:22
	ds_read2_b64 v[70:73], v60 offset0:23 offset1:24
	v_fma_f64 v[10:11], -v[42:43], v[74:75], v[10:11]
	v_fma_f64 v[18:19], -v[42:43], v[76:77], v[18:19]
	;; [unrolled: 1-line block ×3, first 2 shown]
	s_waitcnt lgkmcnt(0)
	v_fma_f64 v[12:13], -v[42:43], v[66:67], v[12:13]
	v_fma_f64 v[8:9], -v[42:43], v[68:69], v[8:9]
	;; [unrolled: 1-line block ×4, first 2 shown]
.LBB50_148:
	s_or_b64 exec, exec, s[0:1]
	v_lshl_add_u32 v56, v61, 3, v60
	s_barrier
	ds_write_b64 v56, v[36:37]
	s_waitcnt lgkmcnt(0)
	s_barrier
	ds_read_b64 v[56:57], v60 offset:72
	s_cmp_lt_i32 s12, 11
	v_mov_b32_e32 v58, 9
	s_cbranch_scc1 .LBB50_151
; %bb.149:
	v_add_u32_e32 v65, 0x50, v60
	s_mov_b32 s0, 10
	v_mov_b32_e32 v58, 9
.LBB50_150:                             ; =>This Inner Loop Header: Depth=1
	ds_read_b64 v[66:67], v65
	v_mov_b32_e32 v68, s0
	s_add_i32 s0, s0, 1
	v_add_u32_e32 v65, 8, v65
	s_cmp_lg_u32 s12, s0
	s_waitcnt lgkmcnt(0)
	v_cmp_lt_f64_e64 vcc, |v[56:57]|, |v[66:67]|
	v_cndmask_b32_e32 v57, v57, v67, vcc
	v_cndmask_b32_e32 v56, v56, v66, vcc
	;; [unrolled: 1-line block ×3, first 2 shown]
	s_cbranch_scc1 .LBB50_150
.LBB50_151:
	s_waitcnt lgkmcnt(0)
	v_cmp_eq_f64_e32 vcc, 0, v[56:57]
	s_and_saveexec_b64 s[0:1], vcc
	s_xor_b64 s[0:1], exec, s[0:1]
; %bb.152:
	v_cmp_ne_u32_e32 vcc, 0, v64
	v_cndmask_b32_e32 v64, 10, v64, vcc
; %bb.153:
	s_andn2_saveexec_b64 s[0:1], s[0:1]
; %bb.154:
	v_div_scale_f64 v[66:67], s[2:3], v[56:57], v[56:57], 1.0
	v_rcp_f64_e32 v[68:69], v[66:67]
	v_div_scale_f64 v[70:71], vcc, 1.0, v[56:57], 1.0
	v_fma_f64 v[72:73], -v[66:67], v[68:69], 1.0
	v_fmac_f64_e32 v[68:69], v[68:69], v[72:73]
	v_fma_f64 v[72:73], -v[66:67], v[68:69], 1.0
	v_fmac_f64_e32 v[68:69], v[68:69], v[72:73]
	v_mul_f64 v[72:73], v[70:71], v[68:69]
	v_fma_f64 v[66:67], -v[66:67], v[72:73], v[70:71]
	v_div_fmas_f64 v[66:67], v[66:67], v[68:69], v[72:73]
	v_div_fixup_f64 v[56:57], v[66:67], v[56:57], 1.0
; %bb.155:
	s_or_b64 exec, exec, s[0:1]
	v_cmp_ne_u32_e32 vcc, v61, v58
	s_and_saveexec_b64 s[0:1], vcc
	s_xor_b64 s[0:1], exec, s[0:1]
	s_cbranch_execz .LBB50_161
; %bb.156:
	v_cmp_eq_u32_e32 vcc, 9, v61
	s_and_saveexec_b64 s[2:3], vcc
	s_cbranch_execz .LBB50_160
; %bb.157:
	v_cmp_ne_u32_e32 vcc, 9, v58
	s_xor_b64 s[14:15], s[6:7], -1
	s_and_b64 s[16:17], s[14:15], vcc
	s_and_saveexec_b64 s[14:15], s[16:17]
	s_cbranch_execz .LBB50_159
; %bb.158:
	v_ashrrev_i32_e32 v59, 31, v58
	v_lshlrev_b64 v[66:67], 2, v[58:59]
	v_add_co_u32_e32 v66, vcc, v4, v66
	v_addc_co_u32_e32 v67, vcc, v5, v67, vcc
	flat_load_dword v59, v[66:67]
	flat_load_dword v61, v[4:5] offset:36
	s_waitcnt vmcnt(0) lgkmcnt(0)
	flat_store_dword v[4:5], v59 offset:36
	flat_store_dword v[66:67], v61
.LBB50_159:
	s_or_b64 exec, exec, s[14:15]
	v_mov_b32_e32 v59, v58
	v_mov_b32_e32 v61, v58
.LBB50_160:
	s_or_b64 exec, exec, s[2:3]
.LBB50_161:
	s_andn2_saveexec_b64 s[0:1], s[0:1]
	s_cbranch_execz .LBB50_163
; %bb.162:
	v_mov_b32_e32 v66, v30
	v_mov_b32_e32 v67, v31
	v_mov_b32_e32 v68, v24
	v_mov_b32_e32 v69, v25
	ds_write2_b64 v60, v[66:67], v[68:69] offset0:10 offset1:11
	v_mov_b32_e32 v66, v34
	v_mov_b32_e32 v67, v35
	v_mov_b32_e32 v68, v28
	v_mov_b32_e32 v69, v29
	ds_write2_b64 v60, v[66:67], v[68:69] offset0:12 offset1:13
	;; [unrolled: 5-line block ×7, first 2 shown]
	v_mov_b32_e32 v66, v6
	v_mov_b32_e32 v67, v7
	;; [unrolled: 1-line block ×3, first 2 shown]
	ds_write2_b64 v60, v[66:67], v[54:55] offset0:24 offset1:25
.LBB50_163:
	s_or_b64 exec, exec, s[0:1]
	v_cmp_lt_i32_e32 vcc, 9, v61
	s_waitcnt lgkmcnt(0)
	s_barrier
	s_and_saveexec_b64 s[0:1], vcc
	s_cbranch_execz .LBB50_165
; %bb.164:
	ds_read2_b64 v[66:69], v60 offset0:10 offset1:11
	ds_read2_b64 v[70:73], v60 offset0:12 offset1:13
	v_mul_f64 v[36:37], v[56:57], v[36:37]
	ds_read2_b64 v[74:77], v60 offset0:14 offset1:15
	s_waitcnt lgkmcnt(0)
	v_fma_f64 v[30:31], -v[36:37], v[66:67], v[30:31]
	v_fma_f64 v[24:25], -v[36:37], v[68:69], v[24:25]
	ds_read2_b64 v[66:69], v60 offset0:16 offset1:17
	v_fma_f64 v[34:35], -v[36:37], v[70:71], v[34:35]
	v_fma_f64 v[28:29], -v[36:37], v[72:73], v[28:29]
	ds_read2_b64 v[70:73], v60 offset0:18 offset1:19
	v_fma_f64 v[22:23], -v[36:37], v[74:75], v[22:23]
	v_fma_f64 v[16:17], -v[36:37], v[76:77], v[16:17]
	s_waitcnt lgkmcnt(0)
	v_fma_f64 v[26:27], -v[36:37], v[66:67], v[26:27]
	v_fma_f64 v[20:21], -v[36:37], v[68:69], v[20:21]
	ds_read2_b64 v[66:69], v60 offset0:20 offset1:21
	v_fma_f64 v[14:15], -v[36:37], v[70:71], v[14:15]
	ds_read2_b64 v[74:77], v60 offset0:22 offset1:23
	;; [unrolled: 2-line block ×3, first 2 shown]
	s_waitcnt lgkmcnt(0)
	v_fma_f64 v[18:19], -v[36:37], v[66:67], v[18:19]
	v_fma_f64 v[12:13], -v[36:37], v[68:69], v[12:13]
	;; [unrolled: 1-line block ×6, first 2 shown]
.LBB50_165:
	s_or_b64 exec, exec, s[0:1]
	v_lshl_add_u32 v56, v61, 3, v60
	s_barrier
	ds_write_b64 v56, v[30:31]
	s_waitcnt lgkmcnt(0)
	s_barrier
	ds_read_b64 v[56:57], v60 offset:80
	s_cmp_lt_i32 s12, 12
	v_mov_b32_e32 v58, 10
	s_cbranch_scc1 .LBB50_168
; %bb.166:
	v_add_u32_e32 v65, 0x58, v60
	s_mov_b32 s0, 11
	v_mov_b32_e32 v58, 10
.LBB50_167:                             ; =>This Inner Loop Header: Depth=1
	ds_read_b64 v[66:67], v65
	v_mov_b32_e32 v68, s0
	s_add_i32 s0, s0, 1
	v_add_u32_e32 v65, 8, v65
	s_cmp_lg_u32 s12, s0
	s_waitcnt lgkmcnt(0)
	v_cmp_lt_f64_e64 vcc, |v[56:57]|, |v[66:67]|
	v_cndmask_b32_e32 v57, v57, v67, vcc
	v_cndmask_b32_e32 v56, v56, v66, vcc
	;; [unrolled: 1-line block ×3, first 2 shown]
	s_cbranch_scc1 .LBB50_167
.LBB50_168:
	s_waitcnt lgkmcnt(0)
	v_cmp_eq_f64_e32 vcc, 0, v[56:57]
	s_and_saveexec_b64 s[0:1], vcc
	s_xor_b64 s[0:1], exec, s[0:1]
; %bb.169:
	v_cmp_ne_u32_e32 vcc, 0, v64
	v_cndmask_b32_e32 v64, 11, v64, vcc
; %bb.170:
	s_andn2_saveexec_b64 s[0:1], s[0:1]
; %bb.171:
	v_div_scale_f64 v[66:67], s[2:3], v[56:57], v[56:57], 1.0
	v_rcp_f64_e32 v[68:69], v[66:67]
	v_div_scale_f64 v[70:71], vcc, 1.0, v[56:57], 1.0
	v_fma_f64 v[72:73], -v[66:67], v[68:69], 1.0
	v_fmac_f64_e32 v[68:69], v[68:69], v[72:73]
	v_fma_f64 v[72:73], -v[66:67], v[68:69], 1.0
	v_fmac_f64_e32 v[68:69], v[68:69], v[72:73]
	v_mul_f64 v[72:73], v[70:71], v[68:69]
	v_fma_f64 v[66:67], -v[66:67], v[72:73], v[70:71]
	v_div_fmas_f64 v[66:67], v[66:67], v[68:69], v[72:73]
	v_div_fixup_f64 v[56:57], v[66:67], v[56:57], 1.0
; %bb.172:
	s_or_b64 exec, exec, s[0:1]
	v_cmp_ne_u32_e32 vcc, v61, v58
	s_and_saveexec_b64 s[0:1], vcc
	s_xor_b64 s[0:1], exec, s[0:1]
	s_cbranch_execz .LBB50_178
; %bb.173:
	v_cmp_eq_u32_e32 vcc, 10, v61
	s_and_saveexec_b64 s[2:3], vcc
	s_cbranch_execz .LBB50_177
; %bb.174:
	v_cmp_ne_u32_e32 vcc, 10, v58
	s_xor_b64 s[14:15], s[6:7], -1
	s_and_b64 s[16:17], s[14:15], vcc
	s_and_saveexec_b64 s[14:15], s[16:17]
	s_cbranch_execz .LBB50_176
; %bb.175:
	v_ashrrev_i32_e32 v59, 31, v58
	v_lshlrev_b64 v[66:67], 2, v[58:59]
	v_add_co_u32_e32 v66, vcc, v4, v66
	v_addc_co_u32_e32 v67, vcc, v5, v67, vcc
	flat_load_dword v59, v[66:67]
	flat_load_dword v61, v[4:5] offset:40
	s_waitcnt vmcnt(0) lgkmcnt(0)
	flat_store_dword v[4:5], v59 offset:40
	flat_store_dword v[66:67], v61
.LBB50_176:
	s_or_b64 exec, exec, s[14:15]
	v_mov_b32_e32 v59, v58
	v_mov_b32_e32 v61, v58
.LBB50_177:
	s_or_b64 exec, exec, s[2:3]
.LBB50_178:
	s_andn2_saveexec_b64 s[0:1], s[0:1]
	s_cbranch_execz .LBB50_180
; %bb.179:
	v_mov_b32_e32 v61, 10
	ds_write2_b64 v60, v[24:25], v[34:35] offset0:11 offset1:12
	ds_write2_b64 v60, v[28:29], v[22:23] offset0:13 offset1:14
	;; [unrolled: 1-line block ×7, first 2 shown]
	ds_write_b64 v60, v[54:55] offset:200
.LBB50_180:
	s_or_b64 exec, exec, s[0:1]
	v_cmp_lt_i32_e32 vcc, 10, v61
	s_waitcnt lgkmcnt(0)
	s_barrier
	s_and_saveexec_b64 s[0:1], vcc
	s_cbranch_execz .LBB50_182
; %bb.181:
	ds_read2_b64 v[66:69], v60 offset0:11 offset1:12
	ds_read2_b64 v[70:73], v60 offset0:13 offset1:14
	v_mul_f64 v[30:31], v[56:57], v[30:31]
	ds_read2_b64 v[74:77], v60 offset0:15 offset1:16
	ds_read_b64 v[56:57], v60 offset:200
	s_waitcnt lgkmcnt(0)
	v_fma_f64 v[24:25], -v[30:31], v[66:67], v[24:25]
	v_fma_f64 v[34:35], -v[30:31], v[68:69], v[34:35]
	ds_read2_b64 v[66:69], v60 offset0:17 offset1:18
	v_fma_f64 v[28:29], -v[30:31], v[70:71], v[28:29]
	v_fma_f64 v[22:23], -v[30:31], v[72:73], v[22:23]
	v_fma_f64 v[16:17], -v[30:31], v[74:75], v[16:17]
	ds_read2_b64 v[70:73], v60 offset0:19 offset1:20
	v_fma_f64 v[26:27], -v[30:31], v[76:77], v[26:27]
	s_waitcnt lgkmcnt(0)
	v_fma_f64 v[20:21], -v[30:31], v[66:67], v[20:21]
	v_fma_f64 v[14:15], -v[30:31], v[68:69], v[14:15]
	ds_read2_b64 v[66:69], v60 offset0:21 offset1:22
	ds_read2_b64 v[74:77], v60 offset0:23 offset1:24
	v_fma_f64 v[10:11], -v[30:31], v[70:71], v[10:11]
	v_fma_f64 v[18:19], -v[30:31], v[72:73], v[18:19]
	;; [unrolled: 1-line block ×3, first 2 shown]
	s_waitcnt lgkmcnt(0)
	v_fma_f64 v[12:13], -v[30:31], v[66:67], v[12:13]
	v_fma_f64 v[8:9], -v[30:31], v[68:69], v[8:9]
	;; [unrolled: 1-line block ×4, first 2 shown]
.LBB50_182:
	s_or_b64 exec, exec, s[0:1]
	v_lshl_add_u32 v56, v61, 3, v60
	s_barrier
	ds_write_b64 v56, v[24:25]
	s_waitcnt lgkmcnt(0)
	s_barrier
	ds_read_b64 v[56:57], v60 offset:88
	s_cmp_lt_i32 s12, 13
	v_mov_b32_e32 v58, 11
	s_cbranch_scc1 .LBB50_185
; %bb.183:
	v_add_u32_e32 v65, 0x60, v60
	s_mov_b32 s0, 12
	v_mov_b32_e32 v58, 11
.LBB50_184:                             ; =>This Inner Loop Header: Depth=1
	ds_read_b64 v[66:67], v65
	v_mov_b32_e32 v68, s0
	s_add_i32 s0, s0, 1
	v_add_u32_e32 v65, 8, v65
	s_cmp_lg_u32 s12, s0
	s_waitcnt lgkmcnt(0)
	v_cmp_lt_f64_e64 vcc, |v[56:57]|, |v[66:67]|
	v_cndmask_b32_e32 v57, v57, v67, vcc
	v_cndmask_b32_e32 v56, v56, v66, vcc
	;; [unrolled: 1-line block ×3, first 2 shown]
	s_cbranch_scc1 .LBB50_184
.LBB50_185:
	s_waitcnt lgkmcnt(0)
	v_cmp_eq_f64_e32 vcc, 0, v[56:57]
	s_and_saveexec_b64 s[0:1], vcc
	s_xor_b64 s[0:1], exec, s[0:1]
; %bb.186:
	v_cmp_ne_u32_e32 vcc, 0, v64
	v_cndmask_b32_e32 v64, 12, v64, vcc
; %bb.187:
	s_andn2_saveexec_b64 s[0:1], s[0:1]
; %bb.188:
	v_div_scale_f64 v[66:67], s[2:3], v[56:57], v[56:57], 1.0
	v_rcp_f64_e32 v[68:69], v[66:67]
	v_div_scale_f64 v[70:71], vcc, 1.0, v[56:57], 1.0
	v_fma_f64 v[72:73], -v[66:67], v[68:69], 1.0
	v_fmac_f64_e32 v[68:69], v[68:69], v[72:73]
	v_fma_f64 v[72:73], -v[66:67], v[68:69], 1.0
	v_fmac_f64_e32 v[68:69], v[68:69], v[72:73]
	v_mul_f64 v[72:73], v[70:71], v[68:69]
	v_fma_f64 v[66:67], -v[66:67], v[72:73], v[70:71]
	v_div_fmas_f64 v[66:67], v[66:67], v[68:69], v[72:73]
	v_div_fixup_f64 v[56:57], v[66:67], v[56:57], 1.0
; %bb.189:
	s_or_b64 exec, exec, s[0:1]
	v_cmp_ne_u32_e32 vcc, v61, v58
	s_and_saveexec_b64 s[0:1], vcc
	s_xor_b64 s[0:1], exec, s[0:1]
	s_cbranch_execz .LBB50_195
; %bb.190:
	v_cmp_eq_u32_e32 vcc, 11, v61
	s_and_saveexec_b64 s[2:3], vcc
	s_cbranch_execz .LBB50_194
; %bb.191:
	v_cmp_ne_u32_e32 vcc, 11, v58
	s_xor_b64 s[14:15], s[6:7], -1
	s_and_b64 s[16:17], s[14:15], vcc
	s_and_saveexec_b64 s[14:15], s[16:17]
	s_cbranch_execz .LBB50_193
; %bb.192:
	v_ashrrev_i32_e32 v59, 31, v58
	v_lshlrev_b64 v[66:67], 2, v[58:59]
	v_add_co_u32_e32 v66, vcc, v4, v66
	v_addc_co_u32_e32 v67, vcc, v5, v67, vcc
	flat_load_dword v59, v[66:67]
	flat_load_dword v61, v[4:5] offset:44
	s_waitcnt vmcnt(0) lgkmcnt(0)
	flat_store_dword v[4:5], v59 offset:44
	flat_store_dword v[66:67], v61
.LBB50_193:
	s_or_b64 exec, exec, s[14:15]
	v_mov_b32_e32 v59, v58
	v_mov_b32_e32 v61, v58
.LBB50_194:
	s_or_b64 exec, exec, s[2:3]
.LBB50_195:
	s_andn2_saveexec_b64 s[0:1], s[0:1]
	s_cbranch_execz .LBB50_197
; %bb.196:
	v_mov_b32_e32 v66, v34
	v_mov_b32_e32 v67, v35
	v_mov_b32_e32 v68, v28
	v_mov_b32_e32 v69, v29
	ds_write2_b64 v60, v[66:67], v[68:69] offset0:12 offset1:13
	v_mov_b32_e32 v66, v22
	v_mov_b32_e32 v67, v23
	v_mov_b32_e32 v68, v16
	v_mov_b32_e32 v69, v17
	ds_write2_b64 v60, v[66:67], v[68:69] offset0:14 offset1:15
	;; [unrolled: 5-line block ×6, first 2 shown]
	v_mov_b32_e32 v66, v6
	v_mov_b32_e32 v67, v7
	;; [unrolled: 1-line block ×3, first 2 shown]
	ds_write2_b64 v60, v[66:67], v[54:55] offset0:24 offset1:25
.LBB50_197:
	s_or_b64 exec, exec, s[0:1]
	v_cmp_lt_i32_e32 vcc, 11, v61
	s_waitcnt lgkmcnt(0)
	s_barrier
	s_and_saveexec_b64 s[0:1], vcc
	s_cbranch_execz .LBB50_199
; %bb.198:
	ds_read2_b64 v[66:69], v60 offset0:12 offset1:13
	ds_read2_b64 v[70:73], v60 offset0:14 offset1:15
	v_mul_f64 v[24:25], v[56:57], v[24:25]
	ds_read2_b64 v[74:77], v60 offset0:16 offset1:17
	s_waitcnt lgkmcnt(0)
	v_fma_f64 v[34:35], -v[24:25], v[66:67], v[34:35]
	v_fma_f64 v[28:29], -v[24:25], v[68:69], v[28:29]
	ds_read2_b64 v[66:69], v60 offset0:18 offset1:19
	v_fma_f64 v[22:23], -v[24:25], v[70:71], v[22:23]
	v_fma_f64 v[16:17], -v[24:25], v[72:73], v[16:17]
	;; [unrolled: 1-line block ×4, first 2 shown]
	ds_read2_b64 v[70:73], v60 offset0:20 offset1:21
	ds_read2_b64 v[74:77], v60 offset0:22 offset1:23
	s_waitcnt lgkmcnt(0)
	v_fma_f64 v[14:15], -v[24:25], v[66:67], v[14:15]
	v_fma_f64 v[10:11], -v[24:25], v[68:69], v[10:11]
	ds_read2_b64 v[66:69], v60 offset0:24 offset1:25
	v_fma_f64 v[18:19], -v[24:25], v[70:71], v[18:19]
	v_fma_f64 v[12:13], -v[24:25], v[72:73], v[12:13]
	;; [unrolled: 1-line block ×4, first 2 shown]
	s_waitcnt lgkmcnt(0)
	v_fma_f64 v[6:7], -v[24:25], v[66:67], v[6:7]
	v_fma_f64 v[54:55], -v[24:25], v[68:69], v[54:55]
.LBB50_199:
	s_or_b64 exec, exec, s[0:1]
	v_lshl_add_u32 v56, v61, 3, v60
	s_barrier
	ds_write_b64 v56, v[34:35]
	s_waitcnt lgkmcnt(0)
	s_barrier
	ds_read_b64 v[56:57], v60 offset:96
	s_cmp_lt_i32 s12, 14
	v_mov_b32_e32 v58, 12
	s_cbranch_scc1 .LBB50_202
; %bb.200:
	v_add_u32_e32 v65, 0x68, v60
	s_mov_b32 s0, 13
	v_mov_b32_e32 v58, 12
.LBB50_201:                             ; =>This Inner Loop Header: Depth=1
	ds_read_b64 v[66:67], v65
	v_mov_b32_e32 v68, s0
	s_add_i32 s0, s0, 1
	v_add_u32_e32 v65, 8, v65
	s_cmp_lg_u32 s12, s0
	s_waitcnt lgkmcnt(0)
	v_cmp_lt_f64_e64 vcc, |v[56:57]|, |v[66:67]|
	v_cndmask_b32_e32 v57, v57, v67, vcc
	v_cndmask_b32_e32 v56, v56, v66, vcc
	;; [unrolled: 1-line block ×3, first 2 shown]
	s_cbranch_scc1 .LBB50_201
.LBB50_202:
	s_waitcnt lgkmcnt(0)
	v_cmp_eq_f64_e32 vcc, 0, v[56:57]
	s_and_saveexec_b64 s[0:1], vcc
	s_xor_b64 s[0:1], exec, s[0:1]
; %bb.203:
	v_cmp_ne_u32_e32 vcc, 0, v64
	v_cndmask_b32_e32 v64, 13, v64, vcc
; %bb.204:
	s_andn2_saveexec_b64 s[0:1], s[0:1]
; %bb.205:
	v_div_scale_f64 v[66:67], s[2:3], v[56:57], v[56:57], 1.0
	v_rcp_f64_e32 v[68:69], v[66:67]
	v_div_scale_f64 v[70:71], vcc, 1.0, v[56:57], 1.0
	v_fma_f64 v[72:73], -v[66:67], v[68:69], 1.0
	v_fmac_f64_e32 v[68:69], v[68:69], v[72:73]
	v_fma_f64 v[72:73], -v[66:67], v[68:69], 1.0
	v_fmac_f64_e32 v[68:69], v[68:69], v[72:73]
	v_mul_f64 v[72:73], v[70:71], v[68:69]
	v_fma_f64 v[66:67], -v[66:67], v[72:73], v[70:71]
	v_div_fmas_f64 v[66:67], v[66:67], v[68:69], v[72:73]
	v_div_fixup_f64 v[56:57], v[66:67], v[56:57], 1.0
; %bb.206:
	s_or_b64 exec, exec, s[0:1]
	v_cmp_ne_u32_e32 vcc, v61, v58
	s_and_saveexec_b64 s[0:1], vcc
	s_xor_b64 s[0:1], exec, s[0:1]
	s_cbranch_execz .LBB50_212
; %bb.207:
	v_cmp_eq_u32_e32 vcc, 12, v61
	s_and_saveexec_b64 s[2:3], vcc
	s_cbranch_execz .LBB50_211
; %bb.208:
	v_cmp_ne_u32_e32 vcc, 12, v58
	s_xor_b64 s[14:15], s[6:7], -1
	s_and_b64 s[16:17], s[14:15], vcc
	s_and_saveexec_b64 s[14:15], s[16:17]
	s_cbranch_execz .LBB50_210
; %bb.209:
	v_ashrrev_i32_e32 v59, 31, v58
	v_lshlrev_b64 v[66:67], 2, v[58:59]
	v_add_co_u32_e32 v66, vcc, v4, v66
	v_addc_co_u32_e32 v67, vcc, v5, v67, vcc
	flat_load_dword v59, v[66:67]
	flat_load_dword v61, v[4:5] offset:48
	s_waitcnt vmcnt(0) lgkmcnt(0)
	flat_store_dword v[4:5], v59 offset:48
	flat_store_dword v[66:67], v61
.LBB50_210:
	s_or_b64 exec, exec, s[14:15]
	v_mov_b32_e32 v59, v58
	v_mov_b32_e32 v61, v58
.LBB50_211:
	s_or_b64 exec, exec, s[2:3]
.LBB50_212:
	s_andn2_saveexec_b64 s[0:1], s[0:1]
	s_cbranch_execz .LBB50_214
; %bb.213:
	v_mov_b32_e32 v61, 12
	ds_write2_b64 v60, v[28:29], v[22:23] offset0:13 offset1:14
	ds_write2_b64 v60, v[16:17], v[26:27] offset0:15 offset1:16
	;; [unrolled: 1-line block ×6, first 2 shown]
	ds_write_b64 v60, v[54:55] offset:200
.LBB50_214:
	s_or_b64 exec, exec, s[0:1]
	v_cmp_lt_i32_e32 vcc, 12, v61
	s_waitcnt lgkmcnt(0)
	s_barrier
	s_and_saveexec_b64 s[0:1], vcc
	s_cbranch_execz .LBB50_216
; %bb.215:
	ds_read2_b64 v[66:69], v60 offset0:13 offset1:14
	ds_read2_b64 v[70:73], v60 offset0:15 offset1:16
	;; [unrolled: 1-line block ×3, first 2 shown]
	v_mul_f64 v[34:35], v[56:57], v[34:35]
	ds_read_b64 v[56:57], v60 offset:200
	s_waitcnt lgkmcnt(0)
	v_fma_f64 v[28:29], -v[34:35], v[66:67], v[28:29]
	v_fma_f64 v[22:23], -v[34:35], v[68:69], v[22:23]
	ds_read2_b64 v[66:69], v60 offset0:19 offset1:20
	v_fma_f64 v[16:17], -v[34:35], v[70:71], v[16:17]
	v_fma_f64 v[26:27], -v[34:35], v[72:73], v[26:27]
	;; [unrolled: 1-line block ×4, first 2 shown]
	ds_read2_b64 v[70:73], v60 offset0:21 offset1:22
	ds_read2_b64 v[74:77], v60 offset0:23 offset1:24
	s_waitcnt lgkmcnt(0)
	v_fma_f64 v[10:11], -v[34:35], v[66:67], v[10:11]
	v_fma_f64 v[18:19], -v[34:35], v[68:69], v[18:19]
	;; [unrolled: 1-line block ×7, first 2 shown]
.LBB50_216:
	s_or_b64 exec, exec, s[0:1]
	v_lshl_add_u32 v56, v61, 3, v60
	s_barrier
	ds_write_b64 v56, v[28:29]
	s_waitcnt lgkmcnt(0)
	s_barrier
	ds_read_b64 v[56:57], v60 offset:104
	s_cmp_lt_i32 s12, 15
	v_mov_b32_e32 v58, 13
	s_cbranch_scc1 .LBB50_219
; %bb.217:
	v_add_u32_e32 v65, 0x70, v60
	s_mov_b32 s0, 14
	v_mov_b32_e32 v58, 13
.LBB50_218:                             ; =>This Inner Loop Header: Depth=1
	ds_read_b64 v[66:67], v65
	v_mov_b32_e32 v68, s0
	s_add_i32 s0, s0, 1
	v_add_u32_e32 v65, 8, v65
	s_cmp_lg_u32 s12, s0
	s_waitcnt lgkmcnt(0)
	v_cmp_lt_f64_e64 vcc, |v[56:57]|, |v[66:67]|
	v_cndmask_b32_e32 v57, v57, v67, vcc
	v_cndmask_b32_e32 v56, v56, v66, vcc
	;; [unrolled: 1-line block ×3, first 2 shown]
	s_cbranch_scc1 .LBB50_218
.LBB50_219:
	s_waitcnt lgkmcnt(0)
	v_cmp_eq_f64_e32 vcc, 0, v[56:57]
	s_and_saveexec_b64 s[0:1], vcc
	s_xor_b64 s[0:1], exec, s[0:1]
; %bb.220:
	v_cmp_ne_u32_e32 vcc, 0, v64
	v_cndmask_b32_e32 v64, 14, v64, vcc
; %bb.221:
	s_andn2_saveexec_b64 s[0:1], s[0:1]
; %bb.222:
	v_div_scale_f64 v[66:67], s[2:3], v[56:57], v[56:57], 1.0
	v_rcp_f64_e32 v[68:69], v[66:67]
	v_div_scale_f64 v[70:71], vcc, 1.0, v[56:57], 1.0
	v_fma_f64 v[72:73], -v[66:67], v[68:69], 1.0
	v_fmac_f64_e32 v[68:69], v[68:69], v[72:73]
	v_fma_f64 v[72:73], -v[66:67], v[68:69], 1.0
	v_fmac_f64_e32 v[68:69], v[68:69], v[72:73]
	v_mul_f64 v[72:73], v[70:71], v[68:69]
	v_fma_f64 v[66:67], -v[66:67], v[72:73], v[70:71]
	v_div_fmas_f64 v[66:67], v[66:67], v[68:69], v[72:73]
	v_div_fixup_f64 v[56:57], v[66:67], v[56:57], 1.0
; %bb.223:
	s_or_b64 exec, exec, s[0:1]
	v_cmp_ne_u32_e32 vcc, v61, v58
	s_and_saveexec_b64 s[0:1], vcc
	s_xor_b64 s[0:1], exec, s[0:1]
	s_cbranch_execz .LBB50_229
; %bb.224:
	v_cmp_eq_u32_e32 vcc, 13, v61
	s_and_saveexec_b64 s[2:3], vcc
	s_cbranch_execz .LBB50_228
; %bb.225:
	v_cmp_ne_u32_e32 vcc, 13, v58
	s_xor_b64 s[14:15], s[6:7], -1
	s_and_b64 s[16:17], s[14:15], vcc
	s_and_saveexec_b64 s[14:15], s[16:17]
	s_cbranch_execz .LBB50_227
; %bb.226:
	v_ashrrev_i32_e32 v59, 31, v58
	v_lshlrev_b64 v[66:67], 2, v[58:59]
	v_add_co_u32_e32 v66, vcc, v4, v66
	v_addc_co_u32_e32 v67, vcc, v5, v67, vcc
	flat_load_dword v59, v[66:67]
	flat_load_dword v61, v[4:5] offset:52
	s_waitcnt vmcnt(0) lgkmcnt(0)
	flat_store_dword v[4:5], v59 offset:52
	flat_store_dword v[66:67], v61
.LBB50_227:
	s_or_b64 exec, exec, s[14:15]
	v_mov_b32_e32 v59, v58
	v_mov_b32_e32 v61, v58
.LBB50_228:
	s_or_b64 exec, exec, s[2:3]
.LBB50_229:
	s_andn2_saveexec_b64 s[0:1], s[0:1]
	s_cbranch_execz .LBB50_231
; %bb.230:
	v_mov_b32_e32 v66, v22
	v_mov_b32_e32 v67, v23
	v_mov_b32_e32 v68, v16
	v_mov_b32_e32 v69, v17
	ds_write2_b64 v60, v[66:67], v[68:69] offset0:14 offset1:15
	v_mov_b32_e32 v66, v26
	v_mov_b32_e32 v67, v27
	v_mov_b32_e32 v68, v20
	v_mov_b32_e32 v69, v21
	ds_write2_b64 v60, v[66:67], v[68:69] offset0:16 offset1:17
	;; [unrolled: 5-line block ×5, first 2 shown]
	v_mov_b32_e32 v66, v6
	v_mov_b32_e32 v67, v7
	;; [unrolled: 1-line block ×3, first 2 shown]
	ds_write2_b64 v60, v[66:67], v[54:55] offset0:24 offset1:25
.LBB50_231:
	s_or_b64 exec, exec, s[0:1]
	v_cmp_lt_i32_e32 vcc, 13, v61
	s_waitcnt lgkmcnt(0)
	s_barrier
	s_and_saveexec_b64 s[0:1], vcc
	s_cbranch_execz .LBB50_233
; %bb.232:
	ds_read2_b64 v[66:69], v60 offset0:14 offset1:15
	ds_read2_b64 v[70:73], v60 offset0:16 offset1:17
	;; [unrolled: 1-line block ×3, first 2 shown]
	v_mul_f64 v[28:29], v[56:57], v[28:29]
	s_waitcnt lgkmcnt(0)
	v_fma_f64 v[22:23], -v[28:29], v[66:67], v[22:23]
	v_fma_f64 v[16:17], -v[28:29], v[68:69], v[16:17]
	ds_read2_b64 v[66:69], v60 offset0:20 offset1:21
	v_fma_f64 v[26:27], -v[28:29], v[70:71], v[26:27]
	v_fma_f64 v[20:21], -v[28:29], v[72:73], v[20:21]
	;; [unrolled: 1-line block ×3, first 2 shown]
	ds_read2_b64 v[70:73], v60 offset0:22 offset1:23
	v_fma_f64 v[10:11], -v[28:29], v[76:77], v[10:11]
	ds_read2_b64 v[74:77], v60 offset0:24 offset1:25
	s_waitcnt lgkmcnt(0)
	v_fma_f64 v[18:19], -v[28:29], v[66:67], v[18:19]
	v_fma_f64 v[12:13], -v[28:29], v[68:69], v[12:13]
	;; [unrolled: 1-line block ×6, first 2 shown]
.LBB50_233:
	s_or_b64 exec, exec, s[0:1]
	v_lshl_add_u32 v56, v61, 3, v60
	s_barrier
	ds_write_b64 v56, v[22:23]
	s_waitcnt lgkmcnt(0)
	s_barrier
	ds_read_b64 v[56:57], v60 offset:112
	s_cmp_lt_i32 s12, 16
	v_mov_b32_e32 v58, 14
	s_cbranch_scc1 .LBB50_236
; %bb.234:
	v_add_u32_e32 v65, 0x78, v60
	s_mov_b32 s0, 15
	v_mov_b32_e32 v58, 14
.LBB50_235:                             ; =>This Inner Loop Header: Depth=1
	ds_read_b64 v[66:67], v65
	v_mov_b32_e32 v68, s0
	s_add_i32 s0, s0, 1
	v_add_u32_e32 v65, 8, v65
	s_cmp_lg_u32 s12, s0
	s_waitcnt lgkmcnt(0)
	v_cmp_lt_f64_e64 vcc, |v[56:57]|, |v[66:67]|
	v_cndmask_b32_e32 v57, v57, v67, vcc
	v_cndmask_b32_e32 v56, v56, v66, vcc
	v_cndmask_b32_e32 v58, v58, v68, vcc
	s_cbranch_scc1 .LBB50_235
.LBB50_236:
	s_waitcnt lgkmcnt(0)
	v_cmp_eq_f64_e32 vcc, 0, v[56:57]
	s_and_saveexec_b64 s[0:1], vcc
	s_xor_b64 s[0:1], exec, s[0:1]
; %bb.237:
	v_cmp_ne_u32_e32 vcc, 0, v64
	v_cndmask_b32_e32 v64, 15, v64, vcc
; %bb.238:
	s_andn2_saveexec_b64 s[0:1], s[0:1]
; %bb.239:
	v_div_scale_f64 v[66:67], s[2:3], v[56:57], v[56:57], 1.0
	v_rcp_f64_e32 v[68:69], v[66:67]
	v_div_scale_f64 v[70:71], vcc, 1.0, v[56:57], 1.0
	v_fma_f64 v[72:73], -v[66:67], v[68:69], 1.0
	v_fmac_f64_e32 v[68:69], v[68:69], v[72:73]
	v_fma_f64 v[72:73], -v[66:67], v[68:69], 1.0
	v_fmac_f64_e32 v[68:69], v[68:69], v[72:73]
	v_mul_f64 v[72:73], v[70:71], v[68:69]
	v_fma_f64 v[66:67], -v[66:67], v[72:73], v[70:71]
	v_div_fmas_f64 v[66:67], v[66:67], v[68:69], v[72:73]
	v_div_fixup_f64 v[56:57], v[66:67], v[56:57], 1.0
; %bb.240:
	s_or_b64 exec, exec, s[0:1]
	v_cmp_ne_u32_e32 vcc, v61, v58
	s_and_saveexec_b64 s[0:1], vcc
	s_xor_b64 s[0:1], exec, s[0:1]
	s_cbranch_execz .LBB50_246
; %bb.241:
	v_cmp_eq_u32_e32 vcc, 14, v61
	s_and_saveexec_b64 s[2:3], vcc
	s_cbranch_execz .LBB50_245
; %bb.242:
	v_cmp_ne_u32_e32 vcc, 14, v58
	s_xor_b64 s[14:15], s[6:7], -1
	s_and_b64 s[16:17], s[14:15], vcc
	s_and_saveexec_b64 s[14:15], s[16:17]
	s_cbranch_execz .LBB50_244
; %bb.243:
	v_ashrrev_i32_e32 v59, 31, v58
	v_lshlrev_b64 v[66:67], 2, v[58:59]
	v_add_co_u32_e32 v66, vcc, v4, v66
	v_addc_co_u32_e32 v67, vcc, v5, v67, vcc
	flat_load_dword v59, v[66:67]
	flat_load_dword v61, v[4:5] offset:56
	s_waitcnt vmcnt(0) lgkmcnt(0)
	flat_store_dword v[4:5], v59 offset:56
	flat_store_dword v[66:67], v61
.LBB50_244:
	s_or_b64 exec, exec, s[14:15]
	v_mov_b32_e32 v59, v58
	v_mov_b32_e32 v61, v58
.LBB50_245:
	s_or_b64 exec, exec, s[2:3]
.LBB50_246:
	s_andn2_saveexec_b64 s[0:1], s[0:1]
	s_cbranch_execz .LBB50_248
; %bb.247:
	v_mov_b32_e32 v61, 14
	ds_write2_b64 v60, v[16:17], v[26:27] offset0:15 offset1:16
	ds_write2_b64 v60, v[20:21], v[14:15] offset0:17 offset1:18
	;; [unrolled: 1-line block ×5, first 2 shown]
	ds_write_b64 v60, v[54:55] offset:200
.LBB50_248:
	s_or_b64 exec, exec, s[0:1]
	v_cmp_lt_i32_e32 vcc, 14, v61
	s_waitcnt lgkmcnt(0)
	s_barrier
	s_and_saveexec_b64 s[0:1], vcc
	s_cbranch_execz .LBB50_250
; %bb.249:
	ds_read2_b64 v[66:69], v60 offset0:15 offset1:16
	ds_read2_b64 v[70:73], v60 offset0:17 offset1:18
	v_mul_f64 v[22:23], v[56:57], v[22:23]
	ds_read2_b64 v[74:77], v60 offset0:19 offset1:20
	ds_read_b64 v[56:57], v60 offset:200
	s_waitcnt lgkmcnt(0)
	v_fma_f64 v[16:17], -v[22:23], v[66:67], v[16:17]
	v_fma_f64 v[26:27], -v[22:23], v[68:69], v[26:27]
	ds_read2_b64 v[66:69], v60 offset0:21 offset1:22
	v_fma_f64 v[20:21], -v[22:23], v[70:71], v[20:21]
	v_fma_f64 v[14:15], -v[22:23], v[72:73], v[14:15]
	ds_read2_b64 v[70:73], v60 offset0:23 offset1:24
	v_fma_f64 v[10:11], -v[22:23], v[74:75], v[10:11]
	v_fma_f64 v[18:19], -v[22:23], v[76:77], v[18:19]
	s_waitcnt lgkmcnt(0)
	v_fma_f64 v[12:13], -v[22:23], v[66:67], v[12:13]
	v_fma_f64 v[8:9], -v[22:23], v[68:69], v[8:9]
	v_fma_f64 v[0:1], -v[22:23], v[70:71], v[0:1]
	v_fma_f64 v[6:7], -v[22:23], v[72:73], v[6:7]
	v_fma_f64 v[54:55], -v[22:23], v[56:57], v[54:55]
.LBB50_250:
	s_or_b64 exec, exec, s[0:1]
	v_lshl_add_u32 v56, v61, 3, v60
	s_barrier
	ds_write_b64 v56, v[16:17]
	s_waitcnt lgkmcnt(0)
	s_barrier
	ds_read_b64 v[56:57], v60 offset:120
	s_cmp_lt_i32 s12, 17
	v_mov_b32_e32 v58, 15
	s_cbranch_scc1 .LBB50_253
; %bb.251:
	v_add_u32_e32 v65, 0x80, v60
	s_mov_b32 s0, 16
	v_mov_b32_e32 v58, 15
.LBB50_252:                             ; =>This Inner Loop Header: Depth=1
	ds_read_b64 v[66:67], v65
	v_mov_b32_e32 v68, s0
	s_add_i32 s0, s0, 1
	v_add_u32_e32 v65, 8, v65
	s_cmp_lg_u32 s12, s0
	s_waitcnt lgkmcnt(0)
	v_cmp_lt_f64_e64 vcc, |v[56:57]|, |v[66:67]|
	v_cndmask_b32_e32 v57, v57, v67, vcc
	v_cndmask_b32_e32 v56, v56, v66, vcc
	;; [unrolled: 1-line block ×3, first 2 shown]
	s_cbranch_scc1 .LBB50_252
.LBB50_253:
	s_waitcnt lgkmcnt(0)
	v_cmp_eq_f64_e32 vcc, 0, v[56:57]
	s_and_saveexec_b64 s[0:1], vcc
	s_xor_b64 s[0:1], exec, s[0:1]
; %bb.254:
	v_cmp_ne_u32_e32 vcc, 0, v64
	v_cndmask_b32_e32 v64, 16, v64, vcc
; %bb.255:
	s_andn2_saveexec_b64 s[0:1], s[0:1]
; %bb.256:
	v_div_scale_f64 v[66:67], s[2:3], v[56:57], v[56:57], 1.0
	v_rcp_f64_e32 v[68:69], v[66:67]
	v_div_scale_f64 v[70:71], vcc, 1.0, v[56:57], 1.0
	v_fma_f64 v[72:73], -v[66:67], v[68:69], 1.0
	v_fmac_f64_e32 v[68:69], v[68:69], v[72:73]
	v_fma_f64 v[72:73], -v[66:67], v[68:69], 1.0
	v_fmac_f64_e32 v[68:69], v[68:69], v[72:73]
	v_mul_f64 v[72:73], v[70:71], v[68:69]
	v_fma_f64 v[66:67], -v[66:67], v[72:73], v[70:71]
	v_div_fmas_f64 v[66:67], v[66:67], v[68:69], v[72:73]
	v_div_fixup_f64 v[56:57], v[66:67], v[56:57], 1.0
; %bb.257:
	s_or_b64 exec, exec, s[0:1]
	v_cmp_ne_u32_e32 vcc, v61, v58
	s_and_saveexec_b64 s[0:1], vcc
	s_xor_b64 s[0:1], exec, s[0:1]
	s_cbranch_execz .LBB50_263
; %bb.258:
	v_cmp_eq_u32_e32 vcc, 15, v61
	s_and_saveexec_b64 s[2:3], vcc
	s_cbranch_execz .LBB50_262
; %bb.259:
	v_cmp_ne_u32_e32 vcc, 15, v58
	s_xor_b64 s[14:15], s[6:7], -1
	s_and_b64 s[16:17], s[14:15], vcc
	s_and_saveexec_b64 s[14:15], s[16:17]
	s_cbranch_execz .LBB50_261
; %bb.260:
	v_ashrrev_i32_e32 v59, 31, v58
	v_lshlrev_b64 v[66:67], 2, v[58:59]
	v_add_co_u32_e32 v66, vcc, v4, v66
	v_addc_co_u32_e32 v67, vcc, v5, v67, vcc
	flat_load_dword v59, v[66:67]
	flat_load_dword v61, v[4:5] offset:60
	s_waitcnt vmcnt(0) lgkmcnt(0)
	flat_store_dword v[4:5], v59 offset:60
	flat_store_dword v[66:67], v61
.LBB50_261:
	s_or_b64 exec, exec, s[14:15]
	v_mov_b32_e32 v59, v58
	v_mov_b32_e32 v61, v58
.LBB50_262:
	s_or_b64 exec, exec, s[2:3]
.LBB50_263:
	s_andn2_saveexec_b64 s[0:1], s[0:1]
	s_cbranch_execz .LBB50_265
; %bb.264:
	v_mov_b32_e32 v66, v26
	v_mov_b32_e32 v67, v27
	v_mov_b32_e32 v68, v20
	v_mov_b32_e32 v69, v21
	ds_write2_b64 v60, v[66:67], v[68:69] offset0:16 offset1:17
	v_mov_b32_e32 v66, v14
	v_mov_b32_e32 v67, v15
	v_mov_b32_e32 v68, v10
	v_mov_b32_e32 v69, v11
	ds_write2_b64 v60, v[66:67], v[68:69] offset0:18 offset1:19
	;; [unrolled: 5-line block ×4, first 2 shown]
	v_mov_b32_e32 v66, v6
	v_mov_b32_e32 v67, v7
	;; [unrolled: 1-line block ×3, first 2 shown]
	ds_write2_b64 v60, v[66:67], v[54:55] offset0:24 offset1:25
.LBB50_265:
	s_or_b64 exec, exec, s[0:1]
	v_cmp_lt_i32_e32 vcc, 15, v61
	s_waitcnt lgkmcnt(0)
	s_barrier
	s_and_saveexec_b64 s[0:1], vcc
	s_cbranch_execz .LBB50_267
; %bb.266:
	ds_read2_b64 v[66:69], v60 offset0:16 offset1:17
	ds_read2_b64 v[70:73], v60 offset0:18 offset1:19
	v_mul_f64 v[16:17], v[56:57], v[16:17]
	ds_read2_b64 v[74:77], v60 offset0:22 offset1:23
	s_waitcnt lgkmcnt(0)
	v_fma_f64 v[26:27], -v[16:17], v[66:67], v[26:27]
	v_fma_f64 v[20:21], -v[16:17], v[68:69], v[20:21]
	ds_read2_b64 v[66:69], v60 offset0:20 offset1:21
	v_fma_f64 v[14:15], -v[16:17], v[70:71], v[14:15]
	v_fma_f64 v[10:11], -v[16:17], v[72:73], v[10:11]
	ds_read2_b64 v[70:73], v60 offset0:24 offset1:25
	v_fma_f64 v[8:9], -v[16:17], v[74:75], v[8:9]
	s_waitcnt lgkmcnt(0)
	v_fma_f64 v[18:19], -v[16:17], v[66:67], v[18:19]
	v_fma_f64 v[12:13], -v[16:17], v[68:69], v[12:13]
	;; [unrolled: 1-line block ×5, first 2 shown]
.LBB50_267:
	s_or_b64 exec, exec, s[0:1]
	v_lshl_add_u32 v56, v61, 3, v60
	s_barrier
	ds_write_b64 v56, v[26:27]
	s_waitcnt lgkmcnt(0)
	s_barrier
	ds_read_b64 v[56:57], v60 offset:128
	s_cmp_lt_i32 s12, 18
	v_mov_b32_e32 v58, 16
	s_cbranch_scc1 .LBB50_270
; %bb.268:
	v_add_u32_e32 v65, 0x88, v60
	s_mov_b32 s0, 17
	v_mov_b32_e32 v58, 16
.LBB50_269:                             ; =>This Inner Loop Header: Depth=1
	ds_read_b64 v[66:67], v65
	v_mov_b32_e32 v68, s0
	s_add_i32 s0, s0, 1
	v_add_u32_e32 v65, 8, v65
	s_cmp_lg_u32 s12, s0
	s_waitcnt lgkmcnt(0)
	v_cmp_lt_f64_e64 vcc, |v[56:57]|, |v[66:67]|
	v_cndmask_b32_e32 v57, v57, v67, vcc
	v_cndmask_b32_e32 v56, v56, v66, vcc
	;; [unrolled: 1-line block ×3, first 2 shown]
	s_cbranch_scc1 .LBB50_269
.LBB50_270:
	s_waitcnt lgkmcnt(0)
	v_cmp_eq_f64_e32 vcc, 0, v[56:57]
	s_and_saveexec_b64 s[0:1], vcc
	s_xor_b64 s[0:1], exec, s[0:1]
; %bb.271:
	v_cmp_ne_u32_e32 vcc, 0, v64
	v_cndmask_b32_e32 v64, 17, v64, vcc
; %bb.272:
	s_andn2_saveexec_b64 s[0:1], s[0:1]
; %bb.273:
	v_div_scale_f64 v[66:67], s[2:3], v[56:57], v[56:57], 1.0
	v_rcp_f64_e32 v[68:69], v[66:67]
	v_div_scale_f64 v[70:71], vcc, 1.0, v[56:57], 1.0
	v_fma_f64 v[72:73], -v[66:67], v[68:69], 1.0
	v_fmac_f64_e32 v[68:69], v[68:69], v[72:73]
	v_fma_f64 v[72:73], -v[66:67], v[68:69], 1.0
	v_fmac_f64_e32 v[68:69], v[68:69], v[72:73]
	v_mul_f64 v[72:73], v[70:71], v[68:69]
	v_fma_f64 v[66:67], -v[66:67], v[72:73], v[70:71]
	v_div_fmas_f64 v[66:67], v[66:67], v[68:69], v[72:73]
	v_div_fixup_f64 v[56:57], v[66:67], v[56:57], 1.0
; %bb.274:
	s_or_b64 exec, exec, s[0:1]
	v_cmp_ne_u32_e32 vcc, v61, v58
	s_and_saveexec_b64 s[0:1], vcc
	s_xor_b64 s[0:1], exec, s[0:1]
	s_cbranch_execz .LBB50_280
; %bb.275:
	v_cmp_eq_u32_e32 vcc, 16, v61
	s_and_saveexec_b64 s[2:3], vcc
	s_cbranch_execz .LBB50_279
; %bb.276:
	v_cmp_ne_u32_e32 vcc, 16, v58
	s_xor_b64 s[14:15], s[6:7], -1
	s_and_b64 s[16:17], s[14:15], vcc
	s_and_saveexec_b64 s[14:15], s[16:17]
	s_cbranch_execz .LBB50_278
; %bb.277:
	v_ashrrev_i32_e32 v59, 31, v58
	v_lshlrev_b64 v[66:67], 2, v[58:59]
	v_add_co_u32_e32 v66, vcc, v4, v66
	v_addc_co_u32_e32 v67, vcc, v5, v67, vcc
	flat_load_dword v59, v[66:67]
	flat_load_dword v61, v[4:5] offset:64
	s_waitcnt vmcnt(0) lgkmcnt(0)
	flat_store_dword v[4:5], v59 offset:64
	flat_store_dword v[66:67], v61
.LBB50_278:
	s_or_b64 exec, exec, s[14:15]
	v_mov_b32_e32 v59, v58
	v_mov_b32_e32 v61, v58
.LBB50_279:
	s_or_b64 exec, exec, s[2:3]
.LBB50_280:
	s_andn2_saveexec_b64 s[0:1], s[0:1]
	s_cbranch_execz .LBB50_282
; %bb.281:
	v_mov_b32_e32 v61, 16
	ds_write2_b64 v60, v[20:21], v[14:15] offset0:17 offset1:18
	ds_write2_b64 v60, v[10:11], v[18:19] offset0:19 offset1:20
	;; [unrolled: 1-line block ×4, first 2 shown]
	ds_write_b64 v60, v[54:55] offset:200
.LBB50_282:
	s_or_b64 exec, exec, s[0:1]
	v_cmp_lt_i32_e32 vcc, 16, v61
	s_waitcnt lgkmcnt(0)
	s_barrier
	s_and_saveexec_b64 s[0:1], vcc
	s_cbranch_execz .LBB50_284
; %bb.283:
	ds_read2_b64 v[66:69], v60 offset0:17 offset1:18
	ds_read2_b64 v[70:73], v60 offset0:19 offset1:20
	v_mul_f64 v[26:27], v[56:57], v[26:27]
	ds_read_b64 v[56:57], v60 offset:200
	ds_read2_b64 v[74:77], v60 offset0:23 offset1:24
	s_waitcnt lgkmcnt(0)
	v_fma_f64 v[20:21], -v[26:27], v[66:67], v[20:21]
	v_fma_f64 v[14:15], -v[26:27], v[68:69], v[14:15]
	ds_read2_b64 v[66:69], v60 offset0:21 offset1:22
	v_fma_f64 v[10:11], -v[26:27], v[70:71], v[10:11]
	v_fma_f64 v[18:19], -v[26:27], v[72:73], v[18:19]
	;; [unrolled: 1-line block ×4, first 2 shown]
	s_waitcnt lgkmcnt(0)
	v_fma_f64 v[12:13], -v[26:27], v[66:67], v[12:13]
	v_fma_f64 v[8:9], -v[26:27], v[68:69], v[8:9]
	;; [unrolled: 1-line block ×3, first 2 shown]
.LBB50_284:
	s_or_b64 exec, exec, s[0:1]
	v_lshl_add_u32 v56, v61, 3, v60
	s_barrier
	ds_write_b64 v56, v[20:21]
	s_waitcnt lgkmcnt(0)
	s_barrier
	ds_read_b64 v[56:57], v60 offset:136
	s_cmp_lt_i32 s12, 19
	v_mov_b32_e32 v58, 17
	s_cbranch_scc1 .LBB50_287
; %bb.285:
	v_add_u32_e32 v65, 0x90, v60
	s_mov_b32 s0, 18
	v_mov_b32_e32 v58, 17
.LBB50_286:                             ; =>This Inner Loop Header: Depth=1
	ds_read_b64 v[66:67], v65
	v_mov_b32_e32 v68, s0
	s_add_i32 s0, s0, 1
	v_add_u32_e32 v65, 8, v65
	s_cmp_lg_u32 s12, s0
	s_waitcnt lgkmcnt(0)
	v_cmp_lt_f64_e64 vcc, |v[56:57]|, |v[66:67]|
	v_cndmask_b32_e32 v57, v57, v67, vcc
	v_cndmask_b32_e32 v56, v56, v66, vcc
	v_cndmask_b32_e32 v58, v58, v68, vcc
	s_cbranch_scc1 .LBB50_286
.LBB50_287:
	s_waitcnt lgkmcnt(0)
	v_cmp_eq_f64_e32 vcc, 0, v[56:57]
	s_and_saveexec_b64 s[0:1], vcc
	s_xor_b64 s[0:1], exec, s[0:1]
; %bb.288:
	v_cmp_ne_u32_e32 vcc, 0, v64
	v_cndmask_b32_e32 v64, 18, v64, vcc
; %bb.289:
	s_andn2_saveexec_b64 s[0:1], s[0:1]
; %bb.290:
	v_div_scale_f64 v[66:67], s[2:3], v[56:57], v[56:57], 1.0
	v_rcp_f64_e32 v[68:69], v[66:67]
	v_div_scale_f64 v[70:71], vcc, 1.0, v[56:57], 1.0
	v_fma_f64 v[72:73], -v[66:67], v[68:69], 1.0
	v_fmac_f64_e32 v[68:69], v[68:69], v[72:73]
	v_fma_f64 v[72:73], -v[66:67], v[68:69], 1.0
	v_fmac_f64_e32 v[68:69], v[68:69], v[72:73]
	v_mul_f64 v[72:73], v[70:71], v[68:69]
	v_fma_f64 v[66:67], -v[66:67], v[72:73], v[70:71]
	v_div_fmas_f64 v[66:67], v[66:67], v[68:69], v[72:73]
	v_div_fixup_f64 v[56:57], v[66:67], v[56:57], 1.0
; %bb.291:
	s_or_b64 exec, exec, s[0:1]
	v_cmp_ne_u32_e32 vcc, v61, v58
	s_and_saveexec_b64 s[0:1], vcc
	s_xor_b64 s[0:1], exec, s[0:1]
	s_cbranch_execz .LBB50_297
; %bb.292:
	v_cmp_eq_u32_e32 vcc, 17, v61
	s_and_saveexec_b64 s[2:3], vcc
	s_cbranch_execz .LBB50_296
; %bb.293:
	v_cmp_ne_u32_e32 vcc, 17, v58
	s_xor_b64 s[14:15], s[6:7], -1
	s_and_b64 s[16:17], s[14:15], vcc
	s_and_saveexec_b64 s[14:15], s[16:17]
	s_cbranch_execz .LBB50_295
; %bb.294:
	v_ashrrev_i32_e32 v59, 31, v58
	v_lshlrev_b64 v[66:67], 2, v[58:59]
	v_add_co_u32_e32 v66, vcc, v4, v66
	v_addc_co_u32_e32 v67, vcc, v5, v67, vcc
	flat_load_dword v59, v[66:67]
	flat_load_dword v61, v[4:5] offset:68
	s_waitcnt vmcnt(0) lgkmcnt(0)
	flat_store_dword v[4:5], v59 offset:68
	flat_store_dword v[66:67], v61
.LBB50_295:
	s_or_b64 exec, exec, s[14:15]
	v_mov_b32_e32 v59, v58
	v_mov_b32_e32 v61, v58
.LBB50_296:
	s_or_b64 exec, exec, s[2:3]
.LBB50_297:
	s_andn2_saveexec_b64 s[0:1], s[0:1]
	s_cbranch_execz .LBB50_299
; %bb.298:
	v_mov_b32_e32 v66, v14
	v_mov_b32_e32 v67, v15
	v_mov_b32_e32 v68, v10
	v_mov_b32_e32 v69, v11
	ds_write2_b64 v60, v[66:67], v[68:69] offset0:18 offset1:19
	v_mov_b32_e32 v66, v18
	v_mov_b32_e32 v67, v19
	v_mov_b32_e32 v68, v12
	v_mov_b32_e32 v69, v13
	ds_write2_b64 v60, v[66:67], v[68:69] offset0:20 offset1:21
	;; [unrolled: 5-line block ×3, first 2 shown]
	v_mov_b32_e32 v66, v6
	v_mov_b32_e32 v67, v7
	;; [unrolled: 1-line block ×3, first 2 shown]
	ds_write2_b64 v60, v[66:67], v[54:55] offset0:24 offset1:25
.LBB50_299:
	s_or_b64 exec, exec, s[0:1]
	v_cmp_lt_i32_e32 vcc, 17, v61
	s_waitcnt lgkmcnt(0)
	s_barrier
	s_and_saveexec_b64 s[0:1], vcc
	s_cbranch_execz .LBB50_301
; %bb.300:
	ds_read2_b64 v[66:69], v60 offset0:18 offset1:19
	ds_read2_b64 v[70:73], v60 offset0:20 offset1:21
	v_mul_f64 v[20:21], v[56:57], v[20:21]
	ds_read2_b64 v[74:77], v60 offset0:22 offset1:23
	s_waitcnt lgkmcnt(0)
	v_fma_f64 v[14:15], -v[20:21], v[66:67], v[14:15]
	v_fma_f64 v[10:11], -v[20:21], v[68:69], v[10:11]
	ds_read2_b64 v[66:69], v60 offset0:24 offset1:25
	v_fma_f64 v[18:19], -v[20:21], v[70:71], v[18:19]
	v_fma_f64 v[12:13], -v[20:21], v[72:73], v[12:13]
	;; [unrolled: 1-line block ×4, first 2 shown]
	s_waitcnt lgkmcnt(0)
	v_fma_f64 v[6:7], -v[20:21], v[66:67], v[6:7]
	v_fma_f64 v[54:55], -v[20:21], v[68:69], v[54:55]
.LBB50_301:
	s_or_b64 exec, exec, s[0:1]
	v_lshl_add_u32 v56, v61, 3, v60
	s_barrier
	ds_write_b64 v56, v[14:15]
	s_waitcnt lgkmcnt(0)
	s_barrier
	ds_read_b64 v[56:57], v60 offset:144
	s_cmp_lt_i32 s12, 20
	v_mov_b32_e32 v58, 18
	s_cbranch_scc1 .LBB50_304
; %bb.302:
	v_add_u32_e32 v65, 0x98, v60
	s_mov_b32 s0, 19
	v_mov_b32_e32 v58, 18
.LBB50_303:                             ; =>This Inner Loop Header: Depth=1
	ds_read_b64 v[66:67], v65
	v_mov_b32_e32 v68, s0
	s_add_i32 s0, s0, 1
	v_add_u32_e32 v65, 8, v65
	s_cmp_lg_u32 s12, s0
	s_waitcnt lgkmcnt(0)
	v_cmp_lt_f64_e64 vcc, |v[56:57]|, |v[66:67]|
	v_cndmask_b32_e32 v57, v57, v67, vcc
	v_cndmask_b32_e32 v56, v56, v66, vcc
	;; [unrolled: 1-line block ×3, first 2 shown]
	s_cbranch_scc1 .LBB50_303
.LBB50_304:
	s_waitcnt lgkmcnt(0)
	v_cmp_eq_f64_e32 vcc, 0, v[56:57]
	s_and_saveexec_b64 s[0:1], vcc
	s_xor_b64 s[0:1], exec, s[0:1]
; %bb.305:
	v_cmp_ne_u32_e32 vcc, 0, v64
	v_cndmask_b32_e32 v64, 19, v64, vcc
; %bb.306:
	s_andn2_saveexec_b64 s[0:1], s[0:1]
; %bb.307:
	v_div_scale_f64 v[66:67], s[2:3], v[56:57], v[56:57], 1.0
	v_rcp_f64_e32 v[68:69], v[66:67]
	v_div_scale_f64 v[70:71], vcc, 1.0, v[56:57], 1.0
	v_fma_f64 v[72:73], -v[66:67], v[68:69], 1.0
	v_fmac_f64_e32 v[68:69], v[68:69], v[72:73]
	v_fma_f64 v[72:73], -v[66:67], v[68:69], 1.0
	v_fmac_f64_e32 v[68:69], v[68:69], v[72:73]
	v_mul_f64 v[72:73], v[70:71], v[68:69]
	v_fma_f64 v[66:67], -v[66:67], v[72:73], v[70:71]
	v_div_fmas_f64 v[66:67], v[66:67], v[68:69], v[72:73]
	v_div_fixup_f64 v[56:57], v[66:67], v[56:57], 1.0
; %bb.308:
	s_or_b64 exec, exec, s[0:1]
	v_cmp_ne_u32_e32 vcc, v61, v58
	s_and_saveexec_b64 s[0:1], vcc
	s_xor_b64 s[0:1], exec, s[0:1]
	s_cbranch_execz .LBB50_314
; %bb.309:
	v_cmp_eq_u32_e32 vcc, 18, v61
	s_and_saveexec_b64 s[2:3], vcc
	s_cbranch_execz .LBB50_313
; %bb.310:
	v_cmp_ne_u32_e32 vcc, 18, v58
	s_xor_b64 s[14:15], s[6:7], -1
	s_and_b64 s[16:17], s[14:15], vcc
	s_and_saveexec_b64 s[14:15], s[16:17]
	s_cbranch_execz .LBB50_312
; %bb.311:
	v_ashrrev_i32_e32 v59, 31, v58
	v_lshlrev_b64 v[66:67], 2, v[58:59]
	v_add_co_u32_e32 v66, vcc, v4, v66
	v_addc_co_u32_e32 v67, vcc, v5, v67, vcc
	flat_load_dword v59, v[66:67]
	flat_load_dword v61, v[4:5] offset:72
	s_waitcnt vmcnt(0) lgkmcnt(0)
	flat_store_dword v[4:5], v59 offset:72
	flat_store_dword v[66:67], v61
.LBB50_312:
	s_or_b64 exec, exec, s[14:15]
	v_mov_b32_e32 v59, v58
	v_mov_b32_e32 v61, v58
.LBB50_313:
	s_or_b64 exec, exec, s[2:3]
.LBB50_314:
	s_andn2_saveexec_b64 s[0:1], s[0:1]
	s_cbranch_execz .LBB50_316
; %bb.315:
	v_mov_b32_e32 v61, 18
	ds_write2_b64 v60, v[10:11], v[18:19] offset0:19 offset1:20
	ds_write2_b64 v60, v[12:13], v[8:9] offset0:21 offset1:22
	;; [unrolled: 1-line block ×3, first 2 shown]
	ds_write_b64 v60, v[54:55] offset:200
.LBB50_316:
	s_or_b64 exec, exec, s[0:1]
	v_cmp_lt_i32_e32 vcc, 18, v61
	s_waitcnt lgkmcnt(0)
	s_barrier
	s_and_saveexec_b64 s[0:1], vcc
	s_cbranch_execz .LBB50_318
; %bb.317:
	ds_read2_b64 v[66:69], v60 offset0:19 offset1:20
	ds_read2_b64 v[70:73], v60 offset0:21 offset1:22
	v_mul_f64 v[14:15], v[56:57], v[14:15]
	ds_read2_b64 v[74:77], v60 offset0:23 offset1:24
	ds_read_b64 v[56:57], v60 offset:200
	s_waitcnt lgkmcnt(0)
	v_fma_f64 v[10:11], -v[14:15], v[66:67], v[10:11]
	v_fma_f64 v[18:19], -v[14:15], v[68:69], v[18:19]
	;; [unrolled: 1-line block ×7, first 2 shown]
.LBB50_318:
	s_or_b64 exec, exec, s[0:1]
	v_lshl_add_u32 v56, v61, 3, v60
	s_barrier
	ds_write_b64 v56, v[10:11]
	s_waitcnt lgkmcnt(0)
	s_barrier
	ds_read_b64 v[56:57], v60 offset:152
	s_cmp_lt_i32 s12, 21
	v_mov_b32_e32 v58, 19
	s_cbranch_scc1 .LBB50_321
; %bb.319:
	v_add_u32_e32 v65, 0xa0, v60
	s_mov_b32 s0, 20
	v_mov_b32_e32 v58, 19
.LBB50_320:                             ; =>This Inner Loop Header: Depth=1
	ds_read_b64 v[66:67], v65
	v_mov_b32_e32 v68, s0
	s_add_i32 s0, s0, 1
	v_add_u32_e32 v65, 8, v65
	s_cmp_lg_u32 s12, s0
	s_waitcnt lgkmcnt(0)
	v_cmp_lt_f64_e64 vcc, |v[56:57]|, |v[66:67]|
	v_cndmask_b32_e32 v57, v57, v67, vcc
	v_cndmask_b32_e32 v56, v56, v66, vcc
	;; [unrolled: 1-line block ×3, first 2 shown]
	s_cbranch_scc1 .LBB50_320
.LBB50_321:
	s_waitcnt lgkmcnt(0)
	v_cmp_eq_f64_e32 vcc, 0, v[56:57]
	s_and_saveexec_b64 s[0:1], vcc
	s_xor_b64 s[0:1], exec, s[0:1]
; %bb.322:
	v_cmp_ne_u32_e32 vcc, 0, v64
	v_cndmask_b32_e32 v64, 20, v64, vcc
; %bb.323:
	s_andn2_saveexec_b64 s[0:1], s[0:1]
; %bb.324:
	v_div_scale_f64 v[66:67], s[2:3], v[56:57], v[56:57], 1.0
	v_rcp_f64_e32 v[68:69], v[66:67]
	v_div_scale_f64 v[70:71], vcc, 1.0, v[56:57], 1.0
	v_fma_f64 v[72:73], -v[66:67], v[68:69], 1.0
	v_fmac_f64_e32 v[68:69], v[68:69], v[72:73]
	v_fma_f64 v[72:73], -v[66:67], v[68:69], 1.0
	v_fmac_f64_e32 v[68:69], v[68:69], v[72:73]
	v_mul_f64 v[72:73], v[70:71], v[68:69]
	v_fma_f64 v[66:67], -v[66:67], v[72:73], v[70:71]
	v_div_fmas_f64 v[66:67], v[66:67], v[68:69], v[72:73]
	v_div_fixup_f64 v[56:57], v[66:67], v[56:57], 1.0
; %bb.325:
	s_or_b64 exec, exec, s[0:1]
	v_cmp_ne_u32_e32 vcc, v61, v58
	s_and_saveexec_b64 s[0:1], vcc
	s_xor_b64 s[0:1], exec, s[0:1]
	s_cbranch_execz .LBB50_331
; %bb.326:
	v_cmp_eq_u32_e32 vcc, 19, v61
	s_and_saveexec_b64 s[2:3], vcc
	s_cbranch_execz .LBB50_330
; %bb.327:
	v_cmp_ne_u32_e32 vcc, 19, v58
	s_xor_b64 s[14:15], s[6:7], -1
	s_and_b64 s[16:17], s[14:15], vcc
	s_and_saveexec_b64 s[14:15], s[16:17]
	s_cbranch_execz .LBB50_329
; %bb.328:
	v_ashrrev_i32_e32 v59, 31, v58
	v_lshlrev_b64 v[66:67], 2, v[58:59]
	v_add_co_u32_e32 v66, vcc, v4, v66
	v_addc_co_u32_e32 v67, vcc, v5, v67, vcc
	flat_load_dword v59, v[66:67]
	flat_load_dword v61, v[4:5] offset:76
	s_waitcnt vmcnt(0) lgkmcnt(0)
	flat_store_dword v[4:5], v59 offset:76
	flat_store_dword v[66:67], v61
.LBB50_329:
	s_or_b64 exec, exec, s[14:15]
	v_mov_b32_e32 v59, v58
	v_mov_b32_e32 v61, v58
.LBB50_330:
	s_or_b64 exec, exec, s[2:3]
.LBB50_331:
	s_andn2_saveexec_b64 s[0:1], s[0:1]
	s_cbranch_execz .LBB50_333
; %bb.332:
	v_mov_b32_e32 v66, v18
	v_mov_b32_e32 v67, v19
	;; [unrolled: 1-line block ×4, first 2 shown]
	ds_write2_b64 v60, v[66:67], v[68:69] offset0:20 offset1:21
	v_mov_b32_e32 v66, v8
	v_mov_b32_e32 v67, v9
	;; [unrolled: 1-line block ×4, first 2 shown]
	ds_write2_b64 v60, v[66:67], v[68:69] offset0:22 offset1:23
	v_mov_b32_e32 v66, v6
	v_mov_b32_e32 v67, v7
	v_mov_b32_e32 v61, 19
	ds_write2_b64 v60, v[66:67], v[54:55] offset0:24 offset1:25
.LBB50_333:
	s_or_b64 exec, exec, s[0:1]
	v_cmp_lt_i32_e32 vcc, 19, v61
	s_waitcnt lgkmcnt(0)
	s_barrier
	s_and_saveexec_b64 s[0:1], vcc
	s_cbranch_execz .LBB50_335
; %bb.334:
	ds_read2_b64 v[66:69], v60 offset0:20 offset1:21
	ds_read2_b64 v[70:73], v60 offset0:22 offset1:23
	;; [unrolled: 1-line block ×3, first 2 shown]
	v_mul_f64 v[10:11], v[56:57], v[10:11]
	s_waitcnt lgkmcnt(0)
	v_fma_f64 v[18:19], -v[10:11], v[66:67], v[18:19]
	v_fma_f64 v[12:13], -v[10:11], v[68:69], v[12:13]
	;; [unrolled: 1-line block ×6, first 2 shown]
.LBB50_335:
	s_or_b64 exec, exec, s[0:1]
	v_lshl_add_u32 v56, v61, 3, v60
	s_barrier
	ds_write_b64 v56, v[18:19]
	s_waitcnt lgkmcnt(0)
	s_barrier
	ds_read_b64 v[56:57], v60 offset:160
	s_cmp_lt_i32 s12, 22
	v_mov_b32_e32 v58, 20
	s_cbranch_scc1 .LBB50_338
; %bb.336:
	v_add_u32_e32 v65, 0xa8, v60
	s_mov_b32 s0, 21
	v_mov_b32_e32 v58, 20
.LBB50_337:                             ; =>This Inner Loop Header: Depth=1
	ds_read_b64 v[66:67], v65
	v_mov_b32_e32 v68, s0
	s_add_i32 s0, s0, 1
	v_add_u32_e32 v65, 8, v65
	s_cmp_lg_u32 s12, s0
	s_waitcnt lgkmcnt(0)
	v_cmp_lt_f64_e64 vcc, |v[56:57]|, |v[66:67]|
	v_cndmask_b32_e32 v57, v57, v67, vcc
	v_cndmask_b32_e32 v56, v56, v66, vcc
	;; [unrolled: 1-line block ×3, first 2 shown]
	s_cbranch_scc1 .LBB50_337
.LBB50_338:
	s_waitcnt lgkmcnt(0)
	v_cmp_eq_f64_e32 vcc, 0, v[56:57]
	s_and_saveexec_b64 s[0:1], vcc
	s_xor_b64 s[0:1], exec, s[0:1]
; %bb.339:
	v_cmp_ne_u32_e32 vcc, 0, v64
	v_cndmask_b32_e32 v64, 21, v64, vcc
; %bb.340:
	s_andn2_saveexec_b64 s[0:1], s[0:1]
; %bb.341:
	v_div_scale_f64 v[66:67], s[2:3], v[56:57], v[56:57], 1.0
	v_rcp_f64_e32 v[68:69], v[66:67]
	v_div_scale_f64 v[70:71], vcc, 1.0, v[56:57], 1.0
	v_fma_f64 v[72:73], -v[66:67], v[68:69], 1.0
	v_fmac_f64_e32 v[68:69], v[68:69], v[72:73]
	v_fma_f64 v[72:73], -v[66:67], v[68:69], 1.0
	v_fmac_f64_e32 v[68:69], v[68:69], v[72:73]
	v_mul_f64 v[72:73], v[70:71], v[68:69]
	v_fma_f64 v[66:67], -v[66:67], v[72:73], v[70:71]
	v_div_fmas_f64 v[66:67], v[66:67], v[68:69], v[72:73]
	v_div_fixup_f64 v[56:57], v[66:67], v[56:57], 1.0
; %bb.342:
	s_or_b64 exec, exec, s[0:1]
	v_cmp_ne_u32_e32 vcc, v61, v58
	s_and_saveexec_b64 s[0:1], vcc
	s_xor_b64 s[0:1], exec, s[0:1]
	s_cbranch_execz .LBB50_348
; %bb.343:
	v_cmp_eq_u32_e32 vcc, 20, v61
	s_and_saveexec_b64 s[2:3], vcc
	s_cbranch_execz .LBB50_347
; %bb.344:
	v_cmp_ne_u32_e32 vcc, 20, v58
	s_xor_b64 s[14:15], s[6:7], -1
	s_and_b64 s[16:17], s[14:15], vcc
	s_and_saveexec_b64 s[14:15], s[16:17]
	s_cbranch_execz .LBB50_346
; %bb.345:
	v_ashrrev_i32_e32 v59, 31, v58
	v_lshlrev_b64 v[66:67], 2, v[58:59]
	v_add_co_u32_e32 v66, vcc, v4, v66
	v_addc_co_u32_e32 v67, vcc, v5, v67, vcc
	flat_load_dword v59, v[66:67]
	flat_load_dword v61, v[4:5] offset:80
	s_waitcnt vmcnt(0) lgkmcnt(0)
	flat_store_dword v[4:5], v59 offset:80
	flat_store_dword v[66:67], v61
.LBB50_346:
	s_or_b64 exec, exec, s[14:15]
	v_mov_b32_e32 v59, v58
	v_mov_b32_e32 v61, v58
.LBB50_347:
	s_or_b64 exec, exec, s[2:3]
.LBB50_348:
	s_andn2_saveexec_b64 s[0:1], s[0:1]
	s_cbranch_execz .LBB50_350
; %bb.349:
	v_mov_b32_e32 v61, 20
	ds_write2_b64 v60, v[12:13], v[8:9] offset0:21 offset1:22
	ds_write2_b64 v60, v[0:1], v[6:7] offset0:23 offset1:24
	ds_write_b64 v60, v[54:55] offset:200
.LBB50_350:
	s_or_b64 exec, exec, s[0:1]
	v_cmp_lt_i32_e32 vcc, 20, v61
	s_waitcnt lgkmcnt(0)
	s_barrier
	s_and_saveexec_b64 s[0:1], vcc
	s_cbranch_execz .LBB50_352
; %bb.351:
	ds_read2_b64 v[66:69], v60 offset0:21 offset1:22
	ds_read2_b64 v[70:73], v60 offset0:23 offset1:24
	v_mul_f64 v[18:19], v[56:57], v[18:19]
	ds_read_b64 v[56:57], v60 offset:200
	s_waitcnt lgkmcnt(0)
	v_fma_f64 v[12:13], -v[18:19], v[66:67], v[12:13]
	v_fma_f64 v[8:9], -v[18:19], v[68:69], v[8:9]
	;; [unrolled: 1-line block ×5, first 2 shown]
.LBB50_352:
	s_or_b64 exec, exec, s[0:1]
	v_lshl_add_u32 v56, v61, 3, v60
	s_barrier
	ds_write_b64 v56, v[12:13]
	s_waitcnt lgkmcnt(0)
	s_barrier
	ds_read_b64 v[56:57], v60 offset:168
	s_cmp_lt_i32 s12, 23
	v_mov_b32_e32 v58, 21
	s_cbranch_scc1 .LBB50_355
; %bb.353:
	v_add_u32_e32 v65, 0xb0, v60
	s_mov_b32 s0, 22
	v_mov_b32_e32 v58, 21
.LBB50_354:                             ; =>This Inner Loop Header: Depth=1
	ds_read_b64 v[66:67], v65
	v_mov_b32_e32 v68, s0
	s_add_i32 s0, s0, 1
	v_add_u32_e32 v65, 8, v65
	s_cmp_lg_u32 s12, s0
	s_waitcnt lgkmcnt(0)
	v_cmp_lt_f64_e64 vcc, |v[56:57]|, |v[66:67]|
	v_cndmask_b32_e32 v57, v57, v67, vcc
	v_cndmask_b32_e32 v56, v56, v66, vcc
	;; [unrolled: 1-line block ×3, first 2 shown]
	s_cbranch_scc1 .LBB50_354
.LBB50_355:
	s_waitcnt lgkmcnt(0)
	v_cmp_eq_f64_e32 vcc, 0, v[56:57]
	s_and_saveexec_b64 s[0:1], vcc
	s_xor_b64 s[0:1], exec, s[0:1]
; %bb.356:
	v_cmp_ne_u32_e32 vcc, 0, v64
	v_cndmask_b32_e32 v64, 22, v64, vcc
; %bb.357:
	s_andn2_saveexec_b64 s[0:1], s[0:1]
; %bb.358:
	v_div_scale_f64 v[66:67], s[2:3], v[56:57], v[56:57], 1.0
	v_rcp_f64_e32 v[68:69], v[66:67]
	v_div_scale_f64 v[70:71], vcc, 1.0, v[56:57], 1.0
	v_fma_f64 v[72:73], -v[66:67], v[68:69], 1.0
	v_fmac_f64_e32 v[68:69], v[68:69], v[72:73]
	v_fma_f64 v[72:73], -v[66:67], v[68:69], 1.0
	v_fmac_f64_e32 v[68:69], v[68:69], v[72:73]
	v_mul_f64 v[72:73], v[70:71], v[68:69]
	v_fma_f64 v[66:67], -v[66:67], v[72:73], v[70:71]
	v_div_fmas_f64 v[66:67], v[66:67], v[68:69], v[72:73]
	v_div_fixup_f64 v[56:57], v[66:67], v[56:57], 1.0
; %bb.359:
	s_or_b64 exec, exec, s[0:1]
	v_cmp_ne_u32_e32 vcc, v61, v58
	s_and_saveexec_b64 s[0:1], vcc
	s_xor_b64 s[0:1], exec, s[0:1]
	s_cbranch_execz .LBB50_365
; %bb.360:
	v_cmp_eq_u32_e32 vcc, 21, v61
	s_and_saveexec_b64 s[2:3], vcc
	s_cbranch_execz .LBB50_364
; %bb.361:
	v_cmp_ne_u32_e32 vcc, 21, v58
	s_xor_b64 s[14:15], s[6:7], -1
	s_and_b64 s[16:17], s[14:15], vcc
	s_and_saveexec_b64 s[14:15], s[16:17]
	s_cbranch_execz .LBB50_363
; %bb.362:
	v_ashrrev_i32_e32 v59, 31, v58
	v_lshlrev_b64 v[66:67], 2, v[58:59]
	v_add_co_u32_e32 v66, vcc, v4, v66
	v_addc_co_u32_e32 v67, vcc, v5, v67, vcc
	flat_load_dword v59, v[66:67]
	flat_load_dword v61, v[4:5] offset:84
	s_waitcnt vmcnt(0) lgkmcnt(0)
	flat_store_dword v[4:5], v59 offset:84
	flat_store_dword v[66:67], v61
.LBB50_363:
	s_or_b64 exec, exec, s[14:15]
	v_mov_b32_e32 v59, v58
	v_mov_b32_e32 v61, v58
.LBB50_364:
	s_or_b64 exec, exec, s[2:3]
.LBB50_365:
	s_andn2_saveexec_b64 s[0:1], s[0:1]
	s_cbranch_execz .LBB50_367
; %bb.366:
	v_mov_b32_e32 v66, v8
	v_mov_b32_e32 v67, v9
	;; [unrolled: 1-line block ×4, first 2 shown]
	ds_write2_b64 v60, v[66:67], v[68:69] offset0:22 offset1:23
	v_mov_b32_e32 v66, v6
	v_mov_b32_e32 v67, v7
	;; [unrolled: 1-line block ×3, first 2 shown]
	ds_write2_b64 v60, v[66:67], v[54:55] offset0:24 offset1:25
.LBB50_367:
	s_or_b64 exec, exec, s[0:1]
	v_cmp_lt_i32_e32 vcc, 21, v61
	s_waitcnt lgkmcnt(0)
	s_barrier
	s_and_saveexec_b64 s[0:1], vcc
	s_cbranch_execz .LBB50_369
; %bb.368:
	ds_read2_b64 v[66:69], v60 offset0:22 offset1:23
	ds_read2_b64 v[70:73], v60 offset0:24 offset1:25
	v_mul_f64 v[12:13], v[56:57], v[12:13]
	s_waitcnt lgkmcnt(0)
	v_fma_f64 v[8:9], -v[12:13], v[66:67], v[8:9]
	v_fma_f64 v[0:1], -v[12:13], v[68:69], v[0:1]
	;; [unrolled: 1-line block ×4, first 2 shown]
.LBB50_369:
	s_or_b64 exec, exec, s[0:1]
	v_lshl_add_u32 v56, v61, 3, v60
	s_barrier
	ds_write_b64 v56, v[8:9]
	s_waitcnt lgkmcnt(0)
	s_barrier
	ds_read_b64 v[56:57], v60 offset:176
	s_cmp_lt_i32 s12, 24
	v_mov_b32_e32 v58, 22
	s_cbranch_scc1 .LBB50_372
; %bb.370:
	v_add_u32_e32 v65, 0xb8, v60
	s_mov_b32 s0, 23
	v_mov_b32_e32 v58, 22
.LBB50_371:                             ; =>This Inner Loop Header: Depth=1
	ds_read_b64 v[66:67], v65
	v_mov_b32_e32 v68, s0
	s_add_i32 s0, s0, 1
	v_add_u32_e32 v65, 8, v65
	s_cmp_lg_u32 s12, s0
	s_waitcnt lgkmcnt(0)
	v_cmp_lt_f64_e64 vcc, |v[56:57]|, |v[66:67]|
	v_cndmask_b32_e32 v57, v57, v67, vcc
	v_cndmask_b32_e32 v56, v56, v66, vcc
	;; [unrolled: 1-line block ×3, first 2 shown]
	s_cbranch_scc1 .LBB50_371
.LBB50_372:
	s_waitcnt lgkmcnt(0)
	v_cmp_eq_f64_e32 vcc, 0, v[56:57]
	s_and_saveexec_b64 s[0:1], vcc
	s_xor_b64 s[0:1], exec, s[0:1]
; %bb.373:
	v_cmp_ne_u32_e32 vcc, 0, v64
	v_cndmask_b32_e32 v64, 23, v64, vcc
; %bb.374:
	s_andn2_saveexec_b64 s[0:1], s[0:1]
; %bb.375:
	v_div_scale_f64 v[66:67], s[2:3], v[56:57], v[56:57], 1.0
	v_rcp_f64_e32 v[68:69], v[66:67]
	v_div_scale_f64 v[70:71], vcc, 1.0, v[56:57], 1.0
	v_fma_f64 v[72:73], -v[66:67], v[68:69], 1.0
	v_fmac_f64_e32 v[68:69], v[68:69], v[72:73]
	v_fma_f64 v[72:73], -v[66:67], v[68:69], 1.0
	v_fmac_f64_e32 v[68:69], v[68:69], v[72:73]
	v_mul_f64 v[72:73], v[70:71], v[68:69]
	v_fma_f64 v[66:67], -v[66:67], v[72:73], v[70:71]
	v_div_fmas_f64 v[66:67], v[66:67], v[68:69], v[72:73]
	v_div_fixup_f64 v[56:57], v[66:67], v[56:57], 1.0
; %bb.376:
	s_or_b64 exec, exec, s[0:1]
	v_cmp_ne_u32_e32 vcc, v61, v58
	s_and_saveexec_b64 s[0:1], vcc
	s_xor_b64 s[0:1], exec, s[0:1]
	s_cbranch_execz .LBB50_382
; %bb.377:
	v_cmp_eq_u32_e32 vcc, 22, v61
	s_and_saveexec_b64 s[2:3], vcc
	s_cbranch_execz .LBB50_381
; %bb.378:
	v_cmp_ne_u32_e32 vcc, 22, v58
	s_xor_b64 s[14:15], s[6:7], -1
	s_and_b64 s[16:17], s[14:15], vcc
	s_and_saveexec_b64 s[14:15], s[16:17]
	s_cbranch_execz .LBB50_380
; %bb.379:
	v_ashrrev_i32_e32 v59, 31, v58
	v_lshlrev_b64 v[66:67], 2, v[58:59]
	v_add_co_u32_e32 v66, vcc, v4, v66
	v_addc_co_u32_e32 v67, vcc, v5, v67, vcc
	flat_load_dword v59, v[66:67]
	flat_load_dword v61, v[4:5] offset:88
	s_waitcnt vmcnt(0) lgkmcnt(0)
	flat_store_dword v[4:5], v59 offset:88
	flat_store_dword v[66:67], v61
.LBB50_380:
	s_or_b64 exec, exec, s[14:15]
	v_mov_b32_e32 v59, v58
	v_mov_b32_e32 v61, v58
.LBB50_381:
	s_or_b64 exec, exec, s[2:3]
.LBB50_382:
	s_andn2_saveexec_b64 s[0:1], s[0:1]
	s_cbranch_execz .LBB50_384
; %bb.383:
	v_mov_b32_e32 v61, 22
	ds_write2_b64 v60, v[0:1], v[6:7] offset0:23 offset1:24
	ds_write_b64 v60, v[54:55] offset:200
.LBB50_384:
	s_or_b64 exec, exec, s[0:1]
	v_cmp_lt_i32_e32 vcc, 22, v61
	s_waitcnt lgkmcnt(0)
	s_barrier
	s_and_saveexec_b64 s[0:1], vcc
	s_cbranch_execz .LBB50_386
; %bb.385:
	ds_read2_b64 v[66:69], v60 offset0:23 offset1:24
	ds_read_b64 v[70:71], v60 offset:200
	v_mul_f64 v[8:9], v[56:57], v[8:9]
	s_waitcnt lgkmcnt(0)
	v_fma_f64 v[0:1], -v[8:9], v[66:67], v[0:1]
	v_fma_f64 v[6:7], -v[8:9], v[68:69], v[6:7]
	;; [unrolled: 1-line block ×3, first 2 shown]
.LBB50_386:
	s_or_b64 exec, exec, s[0:1]
	v_lshl_add_u32 v56, v61, 3, v60
	s_barrier
	ds_write_b64 v56, v[0:1]
	s_waitcnt lgkmcnt(0)
	s_barrier
	ds_read_b64 v[56:57], v60 offset:184
	s_cmp_lt_i32 s12, 25
	v_mov_b32_e32 v58, 23
	s_cbranch_scc1 .LBB50_389
; %bb.387:
	v_add_u32_e32 v65, 0xc0, v60
	s_mov_b32 s0, 24
	v_mov_b32_e32 v58, 23
.LBB50_388:                             ; =>This Inner Loop Header: Depth=1
	ds_read_b64 v[66:67], v65
	v_mov_b32_e32 v68, s0
	s_add_i32 s0, s0, 1
	v_add_u32_e32 v65, 8, v65
	s_cmp_lg_u32 s12, s0
	s_waitcnt lgkmcnt(0)
	v_cmp_lt_f64_e64 vcc, |v[56:57]|, |v[66:67]|
	v_cndmask_b32_e32 v57, v57, v67, vcc
	v_cndmask_b32_e32 v56, v56, v66, vcc
	;; [unrolled: 1-line block ×3, first 2 shown]
	s_cbranch_scc1 .LBB50_388
.LBB50_389:
	s_waitcnt lgkmcnt(0)
	v_cmp_eq_f64_e32 vcc, 0, v[56:57]
	s_and_saveexec_b64 s[0:1], vcc
	s_xor_b64 s[0:1], exec, s[0:1]
; %bb.390:
	v_cmp_ne_u32_e32 vcc, 0, v64
	v_cndmask_b32_e32 v64, 24, v64, vcc
; %bb.391:
	s_andn2_saveexec_b64 s[0:1], s[0:1]
; %bb.392:
	v_div_scale_f64 v[66:67], s[2:3], v[56:57], v[56:57], 1.0
	v_rcp_f64_e32 v[68:69], v[66:67]
	v_div_scale_f64 v[70:71], vcc, 1.0, v[56:57], 1.0
	v_fma_f64 v[72:73], -v[66:67], v[68:69], 1.0
	v_fmac_f64_e32 v[68:69], v[68:69], v[72:73]
	v_fma_f64 v[72:73], -v[66:67], v[68:69], 1.0
	v_fmac_f64_e32 v[68:69], v[68:69], v[72:73]
	v_mul_f64 v[72:73], v[70:71], v[68:69]
	v_fma_f64 v[66:67], -v[66:67], v[72:73], v[70:71]
	v_div_fmas_f64 v[66:67], v[66:67], v[68:69], v[72:73]
	v_div_fixup_f64 v[56:57], v[66:67], v[56:57], 1.0
; %bb.393:
	s_or_b64 exec, exec, s[0:1]
	v_cmp_ne_u32_e32 vcc, v61, v58
	s_and_saveexec_b64 s[0:1], vcc
	s_xor_b64 s[0:1], exec, s[0:1]
	s_cbranch_execz .LBB50_399
; %bb.394:
	v_cmp_eq_u32_e32 vcc, 23, v61
	s_and_saveexec_b64 s[2:3], vcc
	s_cbranch_execz .LBB50_398
; %bb.395:
	v_cmp_ne_u32_e32 vcc, 23, v58
	s_xor_b64 s[14:15], s[6:7], -1
	s_and_b64 s[16:17], s[14:15], vcc
	s_and_saveexec_b64 s[14:15], s[16:17]
	s_cbranch_execz .LBB50_397
; %bb.396:
	v_ashrrev_i32_e32 v59, 31, v58
	v_lshlrev_b64 v[66:67], 2, v[58:59]
	v_add_co_u32_e32 v66, vcc, v4, v66
	v_addc_co_u32_e32 v67, vcc, v5, v67, vcc
	flat_load_dword v59, v[66:67]
	flat_load_dword v61, v[4:5] offset:92
	s_waitcnt vmcnt(0) lgkmcnt(0)
	flat_store_dword v[4:5], v59 offset:92
	flat_store_dword v[66:67], v61
.LBB50_397:
	s_or_b64 exec, exec, s[14:15]
	v_mov_b32_e32 v59, v58
	v_mov_b32_e32 v61, v58
.LBB50_398:
	s_or_b64 exec, exec, s[2:3]
.LBB50_399:
	s_andn2_saveexec_b64 s[0:1], s[0:1]
	s_cbranch_execz .LBB50_401
; %bb.400:
	v_mov_b32_e32 v66, v6
	v_mov_b32_e32 v67, v7
	v_mov_b32_e32 v61, 23
	ds_write2_b64 v60, v[66:67], v[54:55] offset0:24 offset1:25
.LBB50_401:
	s_or_b64 exec, exec, s[0:1]
	v_cmp_lt_i32_e32 vcc, 23, v61
	s_waitcnt lgkmcnt(0)
	s_barrier
	s_and_saveexec_b64 s[0:1], vcc
	s_cbranch_execz .LBB50_403
; %bb.402:
	ds_read2_b64 v[66:69], v60 offset0:24 offset1:25
	v_mul_f64 v[0:1], v[56:57], v[0:1]
	s_waitcnt lgkmcnt(0)
	v_fma_f64 v[6:7], -v[0:1], v[66:67], v[6:7]
	v_fma_f64 v[54:55], -v[0:1], v[68:69], v[54:55]
.LBB50_403:
	s_or_b64 exec, exec, s[0:1]
	v_lshl_add_u32 v56, v61, 3, v60
	s_barrier
	ds_write_b64 v56, v[6:7]
	s_waitcnt lgkmcnt(0)
	s_barrier
	ds_read_b64 v[56:57], v60 offset:192
	s_cmp_lt_i32 s12, 26
	v_mov_b32_e32 v58, 24
	s_cbranch_scc1 .LBB50_406
; %bb.404:
	v_add_u32_e32 v65, 0xc8, v60
	s_mov_b32 s0, 25
	v_mov_b32_e32 v58, 24
.LBB50_405:                             ; =>This Inner Loop Header: Depth=1
	ds_read_b64 v[66:67], v65
	v_mov_b32_e32 v68, s0
	s_add_i32 s0, s0, 1
	v_add_u32_e32 v65, 8, v65
	s_cmp_lg_u32 s12, s0
	s_waitcnt lgkmcnt(0)
	v_cmp_lt_f64_e64 vcc, |v[56:57]|, |v[66:67]|
	v_cndmask_b32_e32 v57, v57, v67, vcc
	v_cndmask_b32_e32 v56, v56, v66, vcc
	;; [unrolled: 1-line block ×3, first 2 shown]
	s_cbranch_scc1 .LBB50_405
.LBB50_406:
	s_waitcnt lgkmcnt(0)
	v_cmp_eq_f64_e32 vcc, 0, v[56:57]
	s_and_saveexec_b64 s[0:1], vcc
	s_xor_b64 s[0:1], exec, s[0:1]
; %bb.407:
	v_cmp_ne_u32_e32 vcc, 0, v64
	v_cndmask_b32_e32 v64, 25, v64, vcc
; %bb.408:
	s_andn2_saveexec_b64 s[0:1], s[0:1]
; %bb.409:
	v_div_scale_f64 v[66:67], s[2:3], v[56:57], v[56:57], 1.0
	v_rcp_f64_e32 v[68:69], v[66:67]
	v_div_scale_f64 v[70:71], vcc, 1.0, v[56:57], 1.0
	v_fma_f64 v[72:73], -v[66:67], v[68:69], 1.0
	v_fmac_f64_e32 v[68:69], v[68:69], v[72:73]
	v_fma_f64 v[72:73], -v[66:67], v[68:69], 1.0
	v_fmac_f64_e32 v[68:69], v[68:69], v[72:73]
	v_mul_f64 v[72:73], v[70:71], v[68:69]
	v_fma_f64 v[66:67], -v[66:67], v[72:73], v[70:71]
	v_div_fmas_f64 v[66:67], v[66:67], v[68:69], v[72:73]
	v_div_fixup_f64 v[56:57], v[66:67], v[56:57], 1.0
; %bb.410:
	s_or_b64 exec, exec, s[0:1]
	v_cmp_ne_u32_e32 vcc, v61, v58
	s_and_saveexec_b64 s[0:1], vcc
	s_xor_b64 s[0:1], exec, s[0:1]
	s_cbranch_execz .LBB50_416
; %bb.411:
	v_cmp_eq_u32_e32 vcc, 24, v61
	s_and_saveexec_b64 s[2:3], vcc
	s_cbranch_execz .LBB50_415
; %bb.412:
	v_cmp_ne_u32_e32 vcc, 24, v58
	s_xor_b64 s[14:15], s[6:7], -1
	s_and_b64 s[16:17], s[14:15], vcc
	s_and_saveexec_b64 s[14:15], s[16:17]
	s_cbranch_execz .LBB50_414
; %bb.413:
	v_ashrrev_i32_e32 v59, 31, v58
	v_lshlrev_b64 v[66:67], 2, v[58:59]
	v_add_co_u32_e32 v66, vcc, v4, v66
	v_addc_co_u32_e32 v67, vcc, v5, v67, vcc
	flat_load_dword v59, v[66:67]
	flat_load_dword v61, v[4:5] offset:96
	s_waitcnt vmcnt(0) lgkmcnt(0)
	flat_store_dword v[4:5], v59 offset:96
	flat_store_dword v[66:67], v61
.LBB50_414:
	s_or_b64 exec, exec, s[14:15]
	v_mov_b32_e32 v59, v58
	v_mov_b32_e32 v61, v58
.LBB50_415:
	s_or_b64 exec, exec, s[2:3]
.LBB50_416:
	s_andn2_saveexec_b64 s[0:1], s[0:1]
	s_cbranch_execz .LBB50_418
; %bb.417:
	v_mov_b32_e32 v61, 24
	ds_write_b64 v60, v[54:55] offset:200
.LBB50_418:
	s_or_b64 exec, exec, s[0:1]
	v_cmp_lt_i32_e32 vcc, 24, v61
	s_waitcnt lgkmcnt(0)
	s_barrier
	s_and_saveexec_b64 s[0:1], vcc
	s_cbranch_execz .LBB50_420
; %bb.419:
	ds_read_b64 v[66:67], v60 offset:200
	v_mul_f64 v[6:7], v[56:57], v[6:7]
	s_waitcnt lgkmcnt(0)
	v_fma_f64 v[54:55], -v[6:7], v[66:67], v[54:55]
.LBB50_420:
	s_or_b64 exec, exec, s[0:1]
	v_lshl_add_u32 v56, v61, 3, v60
	s_barrier
	ds_write_b64 v56, v[54:55]
	s_waitcnt lgkmcnt(0)
	s_barrier
	ds_read_b64 v[56:57], v60 offset:200
	s_cmp_lt_i32 s12, 27
	v_mov_b32_e32 v58, 25
	s_cbranch_scc1 .LBB50_423
; %bb.421:
	v_add_u32_e32 v60, 0xd0, v60
	s_mov_b32 s0, 26
	v_mov_b32_e32 v58, 25
.LBB50_422:                             ; =>This Inner Loop Header: Depth=1
	ds_read_b64 v[66:67], v60
	v_mov_b32_e32 v65, s0
	s_add_i32 s0, s0, 1
	v_add_u32_e32 v60, 8, v60
	s_cmp_lg_u32 s12, s0
	s_waitcnt lgkmcnt(0)
	v_cmp_lt_f64_e64 vcc, |v[56:57]|, |v[66:67]|
	v_cndmask_b32_e32 v57, v57, v67, vcc
	v_cndmask_b32_e32 v56, v56, v66, vcc
	;; [unrolled: 1-line block ×3, first 2 shown]
	s_cbranch_scc1 .LBB50_422
.LBB50_423:
	s_waitcnt lgkmcnt(0)
	v_cmp_eq_f64_e32 vcc, 0, v[56:57]
	s_and_saveexec_b64 s[0:1], vcc
	s_xor_b64 s[0:1], exec, s[0:1]
; %bb.424:
	v_cmp_ne_u32_e32 vcc, 0, v64
	v_cndmask_b32_e32 v64, 26, v64, vcc
; %bb.425:
	s_andn2_saveexec_b64 s[0:1], s[0:1]
; %bb.426:
	v_div_scale_f64 v[66:67], s[2:3], v[56:57], v[56:57], 1.0
	v_rcp_f64_e32 v[68:69], v[66:67]
	v_div_scale_f64 v[70:71], vcc, 1.0, v[56:57], 1.0
	v_fma_f64 v[72:73], -v[66:67], v[68:69], 1.0
	v_fmac_f64_e32 v[68:69], v[68:69], v[72:73]
	v_fma_f64 v[72:73], -v[66:67], v[68:69], 1.0
	v_fmac_f64_e32 v[68:69], v[68:69], v[72:73]
	v_mul_f64 v[72:73], v[70:71], v[68:69]
	v_fma_f64 v[66:67], -v[66:67], v[72:73], v[70:71]
	v_div_fmas_f64 v[66:67], v[66:67], v[68:69], v[72:73]
	v_div_fixup_f64 v[56:57], v[66:67], v[56:57], 1.0
; %bb.427:
	s_or_b64 exec, exec, s[0:1]
	v_cmp_ne_u32_e32 vcc, v61, v58
	v_mov_b32_e32 v60, 25
	s_and_saveexec_b64 s[0:1], vcc
	s_cbranch_execz .LBB50_433
; %bb.428:
	v_cmp_eq_u32_e32 vcc, 25, v61
	s_and_saveexec_b64 s[2:3], vcc
	s_cbranch_execz .LBB50_432
; %bb.429:
	v_cmp_ne_u32_e32 vcc, 25, v58
	s_xor_b64 s[6:7], s[6:7], -1
	s_and_b64 s[14:15], s[6:7], vcc
	s_and_saveexec_b64 s[6:7], s[14:15]
	s_cbranch_execz .LBB50_431
; %bb.430:
	v_ashrrev_i32_e32 v59, 31, v58
	v_lshlrev_b64 v[60:61], 2, v[58:59]
	v_add_co_u32_e32 v60, vcc, v4, v60
	v_addc_co_u32_e32 v61, vcc, v5, v61, vcc
	flat_load_dword v59, v[60:61]
	flat_load_dword v65, v[4:5] offset:100
	s_waitcnt vmcnt(0) lgkmcnt(0)
	flat_store_dword v[4:5], v59 offset:100
	flat_store_dword v[60:61], v65
.LBB50_431:
	s_or_b64 exec, exec, s[6:7]
	v_mov_b32_e32 v59, v58
	v_mov_b32_e32 v61, v58
.LBB50_432:
	s_or_b64 exec, exec, s[2:3]
	v_mov_b32_e32 v60, v61
.LBB50_433:
	s_or_b64 exec, exec, s[0:1]
	s_load_dwordx8 s[0:7], s[4:5], 0x28
	v_cmp_gt_i32_e32 vcc, 26, v60
	v_ashrrev_i32_e32 v61, 31, v60
	s_waitcnt lgkmcnt(0)
	s_barrier
	s_barrier
	s_and_saveexec_b64 s[14:15], vcc
	s_cbranch_execz .LBB50_435
; %bb.434:
	v_mul_lo_u32 v58, v3, s4
	v_mul_lo_u32 v65, v2, s5
	v_mad_u64_u32 v[4:5], s[4:5], v2, s4, 0
	s_lshl_b64 s[2:3], s[2:3], 2
	v_add3_u32 v5, v5, v65, v58
	s_add_u32 s0, s2, s0
	v_lshlrev_b64 v[4:5], 2, v[4:5]
	s_addc_u32 s1, s3, s1
	v_mov_b32_e32 v58, s1
	v_add_co_u32_e32 v65, vcc, s0, v4
	v_addc_co_u32_e32 v58, vcc, v58, v5, vcc
	v_lshlrev_b64 v[4:5], 2, v[60:61]
	v_add_co_u32_e32 v4, vcc, v65, v4
	v_addc_co_u32_e32 v5, vcc, v58, v5, vcc
	v_add3_u32 v58, v59, s13, 1
	global_store_dword v[4:5], v58, off
.LBB50_435:
	s_or_b64 exec, exec, s[14:15]
	v_cmp_eq_u32_e32 vcc, 0, v60
	s_and_saveexec_b64 s[2:3], vcc
	s_cbranch_execz .LBB50_438
; %bb.436:
	v_lshlrev_b64 v[2:3], 2, v[2:3]
	v_mov_b32_e32 v4, s7
	v_add_co_u32_e32 v2, vcc, s6, v2
	v_addc_co_u32_e32 v3, vcc, v4, v3, vcc
	global_load_dword v4, v[2:3], off
	v_cmp_lt_i32_e64 s[0:1], 0, v64
	s_waitcnt vmcnt(0)
	v_cmp_eq_u32_e32 vcc, 0, v4
	s_and_b64 s[0:1], vcc, s[0:1]
	s_and_b64 exec, exec, s[0:1]
	s_cbranch_execz .LBB50_438
; %bb.437:
	v_add_u32_e32 v4, s13, v64
	global_store_dword v[2:3], v4, off
.LBB50_438:
	s_or_b64 exec, exec, s[2:3]
	v_mul_f64 v[2:3], v[56:57], v[54:55]
	v_cmp_lt_i32_e32 vcc, 25, v60
	v_lshlrev_b64 v[4:5], 3, v[60:61]
	v_cndmask_b32_e32 v3, v55, v3, vcc
	v_cndmask_b32_e32 v2, v54, v2, vcc
	v_add_co_u32_e32 v4, vcc, v62, v4
	v_addc_co_u32_e32 v5, vcc, v63, v5, vcc
	global_store_dwordx2 v[4:5], v[52:53], off
	v_mov_b32_e32 v52, s11
	v_add_co_u32_e32 v4, vcc, s10, v4
	v_addc_co_u32_e32 v5, vcc, v5, v52, vcc
	global_store_dwordx2 v[4:5], v[50:51], off
	v_add_u32_e32 v4, s9, v60
	v_ashrrev_i32_e32 v5, 31, v4
	v_lshlrev_b64 v[50:51], 3, v[4:5]
	v_add_co_u32_e32 v50, vcc, v62, v50
	v_add_u32_e32 v4, s8, v4
	v_addc_co_u32_e32 v51, vcc, v63, v51, vcc
	v_ashrrev_i32_e32 v5, 31, v4
	global_store_dwordx2 v[50:51], v[46:47], off
	v_lshlrev_b64 v[46:47], 3, v[4:5]
	v_add_co_u32_e32 v46, vcc, v62, v46
	v_add_u32_e32 v4, s8, v4
	v_addc_co_u32_e32 v47, vcc, v63, v47, vcc
	v_ashrrev_i32_e32 v5, 31, v4
	global_store_dwordx2 v[46:47], v[40:41], off
	;; [unrolled: 6-line block ×21, first 2 shown]
	v_lshlrev_b64 v[8:9], 3, v[4:5]
	v_add_co_u32_e32 v8, vcc, v62, v8
	v_addc_co_u32_e32 v9, vcc, v63, v9, vcc
	global_store_dwordx2 v[8:9], v[0:1], off
	v_add_u32_e32 v0, s8, v4
	v_ashrrev_i32_e32 v1, 31, v0
	v_lshlrev_b64 v[4:5], 3, v[0:1]
	v_add_u32_e32 v0, s8, v0
	v_add_co_u32_e32 v4, vcc, v62, v4
	v_ashrrev_i32_e32 v1, 31, v0
	v_addc_co_u32_e32 v5, vcc, v63, v5, vcc
	v_lshlrev_b64 v[0:1], 3, v[0:1]
	v_add_co_u32_e32 v0, vcc, v62, v0
	v_addc_co_u32_e32 v1, vcc, v63, v1, vcc
	global_store_dwordx2 v[4:5], v[6:7], off
	global_store_dwordx2 v[0:1], v[2:3], off
.LBB50_439:
	s_endpgm
	.section	.rodata,"a",@progbits
	.p2align	6, 0x0
	.amdhsa_kernel _ZN9rocsolver6v33100L18getf2_small_kernelILi26EdiiPKPdEEvT1_T3_lS5_lPS5_llPT2_S5_S5_S7_l
		.amdhsa_group_segment_fixed_size 0
		.amdhsa_private_segment_fixed_size 0
		.amdhsa_kernarg_size 352
		.amdhsa_user_sgpr_count 6
		.amdhsa_user_sgpr_private_segment_buffer 1
		.amdhsa_user_sgpr_dispatch_ptr 0
		.amdhsa_user_sgpr_queue_ptr 0
		.amdhsa_user_sgpr_kernarg_segment_ptr 1
		.amdhsa_user_sgpr_dispatch_id 0
		.amdhsa_user_sgpr_flat_scratch_init 0
		.amdhsa_user_sgpr_kernarg_preload_length 0
		.amdhsa_user_sgpr_kernarg_preload_offset 0
		.amdhsa_user_sgpr_private_segment_size 0
		.amdhsa_uses_dynamic_stack 0
		.amdhsa_system_sgpr_private_segment_wavefront_offset 0
		.amdhsa_system_sgpr_workgroup_id_x 1
		.amdhsa_system_sgpr_workgroup_id_y 1
		.amdhsa_system_sgpr_workgroup_id_z 0
		.amdhsa_system_sgpr_workgroup_info 0
		.amdhsa_system_vgpr_workitem_id 1
		.amdhsa_next_free_vgpr 78
		.amdhsa_next_free_sgpr 20
		.amdhsa_accum_offset 80
		.amdhsa_reserve_vcc 1
		.amdhsa_reserve_flat_scratch 0
		.amdhsa_float_round_mode_32 0
		.amdhsa_float_round_mode_16_64 0
		.amdhsa_float_denorm_mode_32 3
		.amdhsa_float_denorm_mode_16_64 3
		.amdhsa_dx10_clamp 1
		.amdhsa_ieee_mode 1
		.amdhsa_fp16_overflow 0
		.amdhsa_tg_split 0
		.amdhsa_exception_fp_ieee_invalid_op 0
		.amdhsa_exception_fp_denorm_src 0
		.amdhsa_exception_fp_ieee_div_zero 0
		.amdhsa_exception_fp_ieee_overflow 0
		.amdhsa_exception_fp_ieee_underflow 0
		.amdhsa_exception_fp_ieee_inexact 0
		.amdhsa_exception_int_div_zero 0
	.end_amdhsa_kernel
	.section	.text._ZN9rocsolver6v33100L18getf2_small_kernelILi26EdiiPKPdEEvT1_T3_lS5_lPS5_llPT2_S5_S5_S7_l,"axG",@progbits,_ZN9rocsolver6v33100L18getf2_small_kernelILi26EdiiPKPdEEvT1_T3_lS5_lPS5_llPT2_S5_S5_S7_l,comdat
.Lfunc_end50:
	.size	_ZN9rocsolver6v33100L18getf2_small_kernelILi26EdiiPKPdEEvT1_T3_lS5_lPS5_llPT2_S5_S5_S7_l, .Lfunc_end50-_ZN9rocsolver6v33100L18getf2_small_kernelILi26EdiiPKPdEEvT1_T3_lS5_lPS5_llPT2_S5_S5_S7_l
                                        ; -- End function
	.section	.AMDGPU.csdata,"",@progbits
; Kernel info:
; codeLenInByte = 19032
; NumSgprs: 24
; NumVgprs: 78
; NumAgprs: 0
; TotalNumVgprs: 78
; ScratchSize: 0
; MemoryBound: 0
; FloatMode: 240
; IeeeMode: 1
; LDSByteSize: 0 bytes/workgroup (compile time only)
; SGPRBlocks: 2
; VGPRBlocks: 9
; NumSGPRsForWavesPerEU: 24
; NumVGPRsForWavesPerEU: 78
; AccumOffset: 80
; Occupancy: 6
; WaveLimiterHint : 1
; COMPUTE_PGM_RSRC2:SCRATCH_EN: 0
; COMPUTE_PGM_RSRC2:USER_SGPR: 6
; COMPUTE_PGM_RSRC2:TRAP_HANDLER: 0
; COMPUTE_PGM_RSRC2:TGID_X_EN: 1
; COMPUTE_PGM_RSRC2:TGID_Y_EN: 1
; COMPUTE_PGM_RSRC2:TGID_Z_EN: 0
; COMPUTE_PGM_RSRC2:TIDIG_COMP_CNT: 1
; COMPUTE_PGM_RSRC3_GFX90A:ACCUM_OFFSET: 19
; COMPUTE_PGM_RSRC3_GFX90A:TG_SPLIT: 0
	.section	.text._ZN9rocsolver6v33100L23getf2_npvt_small_kernelILi26EdiiPKPdEEvT1_T3_lS5_lPT2_S5_S5_,"axG",@progbits,_ZN9rocsolver6v33100L23getf2_npvt_small_kernelILi26EdiiPKPdEEvT1_T3_lS5_lPT2_S5_S5_,comdat
	.globl	_ZN9rocsolver6v33100L23getf2_npvt_small_kernelILi26EdiiPKPdEEvT1_T3_lS5_lPT2_S5_S5_ ; -- Begin function _ZN9rocsolver6v33100L23getf2_npvt_small_kernelILi26EdiiPKPdEEvT1_T3_lS5_lPT2_S5_S5_
	.p2align	8
	.type	_ZN9rocsolver6v33100L23getf2_npvt_small_kernelILi26EdiiPKPdEEvT1_T3_lS5_lPT2_S5_S5_,@function
_ZN9rocsolver6v33100L23getf2_npvt_small_kernelILi26EdiiPKPdEEvT1_T3_lS5_lPT2_S5_S5_: ; @_ZN9rocsolver6v33100L23getf2_npvt_small_kernelILi26EdiiPKPdEEvT1_T3_lS5_lPT2_S5_S5_
; %bb.0:
	s_load_dword s0, s[4:5], 0x44
	s_load_dwordx2 s[8:9], s[4:5], 0x30
	v_bfe_u32 v106, v0, 10, 10
	s_waitcnt lgkmcnt(0)
	s_lshr_b32 s10, s0, 16
	s_mul_i32 s7, s7, s10
	v_add_u32_e32 v2, s7, v106
	v_cmp_gt_i32_e32 vcc, s8, v2
	s_and_saveexec_b64 s[0:1], vcc
	s_cbranch_execz .LBB51_133
; %bb.1:
	s_load_dwordx4 s[12:15], s[4:5], 0x8
	s_load_dword s0, s[4:5], 0x18
	v_ashrrev_i32_e32 v3, 31, v2
	v_lshlrev_b64 v[4:5], 3, v[2:3]
	v_and_b32_e32 v158, 0x3ff, v0
	s_waitcnt lgkmcnt(0)
	v_mov_b32_e32 v1, s13
	v_add_co_u32_e32 v4, vcc, s12, v4
	v_addc_co_u32_e32 v5, vcc, v1, v5, vcc
	global_load_dwordx2 v[4:5], v[4:5], off
	s_add_i32 s8, s0, s0
	v_add_u32_e32 v0, s8, v158
	v_ashrrev_i32_e32 v1, 31, v0
	v_add_u32_e32 v6, s0, v0
	v_lshlrev_b64 v[8:9], 3, v[0:1]
	v_add_u32_e32 v0, s0, v6
	v_ashrrev_i32_e32 v1, 31, v0
	v_add_u32_e32 v10, s0, v0
	v_lshlrev_b64 v[12:13], 3, v[0:1]
	v_add_u32_e32 v0, s0, v10
	s_lshl_b64 s[6:7], s[14:15], 3
	v_ashrrev_i32_e32 v1, 31, v0
	v_add_u32_e32 v14, s0, v0
	v_mov_b32_e32 v23, s7
	v_lshlrev_b64 v[16:17], 3, v[0:1]
	v_add_u32_e32 v0, s0, v14
	v_lshlrev_b32_e32 v22, 3, v158
	v_ashrrev_i32_e32 v1, 31, v0
	v_add_u32_e32 v18, s0, v0
	v_lshlrev_b64 v[20:21], 3, v[0:1]
	v_ashrrev_i32_e32 v7, 31, v6
	v_lshlrev_b64 v[6:7], 3, v[6:7]
	v_ashrrev_i32_e32 v11, 31, v10
	;; [unrolled: 2-line block ×4, first 2 shown]
	v_add_u32_e32 v24, s0, v18
	v_lshlrev_b64 v[18:19], 3, v[18:19]
	s_ashr_i32 s1, s0, 31
	s_lshl_b64 s[2:3], s[0:1], 3
	v_mov_b32_e32 v28, s3
	v_ashrrev_i32_e32 v25, 31, v24
	v_lshlrev_b64 v[26:27], 3, v[24:25]
	s_mulk_i32 s10, 0xd0
	s_add_i32 s1, s10, 0
	v_lshl_add_u32 v156, v106, 3, s1
	s_waitcnt vmcnt(0)
	v_add_co_u32_e32 v54, vcc, s6, v4
	v_addc_co_u32_e32 v55, vcc, v5, v23, vcc
	v_add_co_u32_e32 v0, vcc, v54, v22
	v_addc_co_u32_e32 v1, vcc, 0, v55, vcc
	;; [unrolled: 2-line block ×11, first 2 shown]
	v_add_co_u32_e32 v20, vcc, v54, v26
	v_add_u32_e32 v26, s0, v24
	v_addc_co_u32_e32 v21, vcc, v55, v27, vcc
	v_ashrrev_i32_e32 v27, 31, v26
	v_lshlrev_b64 v[24:25], 3, v[26:27]
	v_add_u32_e32 v28, s0, v26
	v_add_co_u32_e32 v24, vcc, v54, v24
	v_ashrrev_i32_e32 v29, 31, v28
	v_addc_co_u32_e32 v25, vcc, v55, v25, vcc
	v_lshlrev_b64 v[26:27], 3, v[28:29]
	v_add_u32_e32 v30, s0, v28
	v_add_co_u32_e32 v26, vcc, v54, v26
	v_ashrrev_i32_e32 v31, 31, v30
	v_addc_co_u32_e32 v27, vcc, v55, v27, vcc
	v_lshlrev_b64 v[28:29], 3, v[30:31]
	v_add_u32_e32 v32, s0, v30
	v_add_co_u32_e32 v28, vcc, v54, v28
	v_ashrrev_i32_e32 v33, 31, v32
	v_addc_co_u32_e32 v29, vcc, v55, v29, vcc
	v_lshlrev_b64 v[30:31], 3, v[32:33]
	v_add_u32_e32 v34, s0, v32
	v_add_co_u32_e32 v30, vcc, v54, v30
	v_ashrrev_i32_e32 v35, 31, v34
	v_addc_co_u32_e32 v31, vcc, v55, v31, vcc
	v_lshlrev_b64 v[32:33], 3, v[34:35]
	v_add_u32_e32 v36, s0, v34
	v_add_co_u32_e32 v32, vcc, v54, v32
	v_ashrrev_i32_e32 v37, 31, v36
	v_addc_co_u32_e32 v33, vcc, v55, v33, vcc
	v_lshlrev_b64 v[34:35], 3, v[36:37]
	v_add_u32_e32 v38, s0, v36
	v_add_co_u32_e32 v34, vcc, v54, v34
	v_ashrrev_i32_e32 v39, 31, v38
	v_addc_co_u32_e32 v35, vcc, v55, v35, vcc
	v_lshlrev_b64 v[36:37], 3, v[38:39]
	v_add_u32_e32 v40, s0, v38
	v_add_co_u32_e32 v36, vcc, v54, v36
	v_ashrrev_i32_e32 v41, 31, v40
	v_addc_co_u32_e32 v37, vcc, v55, v37, vcc
	v_lshlrev_b64 v[38:39], 3, v[40:41]
	v_add_u32_e32 v42, s0, v40
	v_add_co_u32_e32 v38, vcc, v54, v38
	v_ashrrev_i32_e32 v43, 31, v42
	v_addc_co_u32_e32 v39, vcc, v55, v39, vcc
	v_lshlrev_b64 v[40:41], 3, v[42:43]
	v_add_u32_e32 v44, s0, v42
	v_add_co_u32_e32 v40, vcc, v54, v40
	v_ashrrev_i32_e32 v45, 31, v44
	v_addc_co_u32_e32 v41, vcc, v55, v41, vcc
	v_lshlrev_b64 v[42:43], 3, v[44:45]
	v_add_u32_e32 v46, s0, v44
	v_add_co_u32_e32 v42, vcc, v54, v42
	v_ashrrev_i32_e32 v47, 31, v46
	v_addc_co_u32_e32 v43, vcc, v55, v43, vcc
	v_lshlrev_b64 v[44:45], 3, v[46:47]
	v_add_u32_e32 v48, s0, v46
	v_add_co_u32_e32 v44, vcc, v54, v44
	v_ashrrev_i32_e32 v49, 31, v48
	v_addc_co_u32_e32 v45, vcc, v55, v45, vcc
	v_lshlrev_b64 v[46:47], 3, v[48:49]
	v_add_u32_e32 v50, s0, v48
	v_add_co_u32_e32 v46, vcc, v54, v46
	v_ashrrev_i32_e32 v51, 31, v50
	v_addc_co_u32_e32 v47, vcc, v55, v47, vcc
	v_lshlrev_b64 v[48:49], 3, v[50:51]
	v_add_u32_e32 v52, s0, v50
	v_add_co_u32_e32 v48, vcc, v54, v48
	v_ashrrev_i32_e32 v53, 31, v52
	v_addc_co_u32_e32 v49, vcc, v55, v49, vcc
	v_lshlrev_b64 v[50:51], 3, v[52:53]
	v_add_u32_e32 v52, s0, v52
	v_add_co_u32_e32 v50, vcc, v54, v50
	v_ashrrev_i32_e32 v53, 31, v52
	v_addc_co_u32_e32 v51, vcc, v55, v51, vcc
	v_lshlrev_b64 v[52:53], 3, v[52:53]
	v_add_co_u32_e32 v52, vcc, v54, v52
	v_addc_co_u32_e32 v53, vcc, v55, v53, vcc
	global_load_dwordx2 v[54:55], v[0:1], off
	global_load_dwordx2 v[78:79], v[22:23], off
	global_load_dwordx2 v[102:103], v[4:5], off
	global_load_dwordx2 v[76:77], v[6:7], off
	global_load_dwordx2 v[100:101], v[8:9], off
	global_load_dwordx2 v[74:75], v[10:11], off
	global_load_dwordx2 v[98:99], v[12:13], off
	global_load_dwordx2 v[72:73], v[14:15], off
	global_load_dwordx2 v[96:97], v[16:17], off
	global_load_dwordx2 v[70:71], v[18:19], off
	global_load_dwordx2 v[94:95], v[20:21], off
	global_load_dwordx2 v[68:69], v[24:25], off
	global_load_dwordx2 v[92:93], v[26:27], off
	global_load_dwordx2 v[66:67], v[28:29], off
	global_load_dwordx2 v[90:91], v[30:31], off
	global_load_dwordx2 v[64:65], v[32:33], off
	global_load_dwordx2 v[88:89], v[34:35], off
	global_load_dwordx2 v[62:63], v[36:37], off
	global_load_dwordx2 v[86:87], v[38:39], off
	global_load_dwordx2 v[60:61], v[40:41], off
	global_load_dwordx2 v[84:85], v[42:43], off
	global_load_dwordx2 v[58:59], v[44:45], off
	global_load_dwordx2 v[82:83], v[46:47], off
	global_load_dwordx2 v[56:57], v[48:49], off
	global_load_dwordx2 v[80:81], v[50:51], off
	global_load_dwordx2 v[104:105], v[52:53], off
	s_movk_i32 s0, 0xd0
	v_mad_u32_u24 v157, v106, s0, 0
	v_cmp_ne_u32_e64 s[2:3], 0, v158
	v_cmp_eq_u32_e64 s[0:1], 0, v158
	s_and_saveexec_b64 s[6:7], s[0:1]
	s_cbranch_execz .LBB51_4
; %bb.2:
	s_waitcnt vmcnt(25)
	ds_write_b64 v156, v[54:55]
	s_waitcnt vmcnt(23)
	ds_write2_b64 v157, v[78:79], v[102:103] offset0:1 offset1:2
	s_waitcnt vmcnt(21)
	ds_write2_b64 v157, v[76:77], v[100:101] offset0:3 offset1:4
	;; [unrolled: 2-line block ×12, first 2 shown]
	s_waitcnt vmcnt(0)
	ds_write_b64 v157, v[104:105] offset:200
	ds_read_b64 v[106:107], v156
	s_waitcnt lgkmcnt(0)
	v_cmp_neq_f64_e32 vcc, 0, v[106:107]
	s_and_b64 exec, exec, vcc
	s_cbranch_execz .LBB51_4
; %bb.3:
	v_div_scale_f64 v[108:109], s[10:11], v[106:107], v[106:107], 1.0
	v_rcp_f64_e32 v[110:111], v[108:109]
	v_div_scale_f64 v[112:113], vcc, 1.0, v[106:107], 1.0
	v_fma_f64 v[114:115], -v[108:109], v[110:111], 1.0
	v_fmac_f64_e32 v[110:111], v[110:111], v[114:115]
	v_fma_f64 v[114:115], -v[108:109], v[110:111], 1.0
	v_fmac_f64_e32 v[110:111], v[110:111], v[114:115]
	v_mul_f64 v[114:115], v[112:113], v[110:111]
	v_fma_f64 v[108:109], -v[108:109], v[114:115], v[112:113]
	v_div_fmas_f64 v[108:109], v[108:109], v[110:111], v[114:115]
	v_div_fixup_f64 v[106:107], v[108:109], v[106:107], 1.0
	ds_write_b64 v156, v[106:107]
.LBB51_4:
	s_or_b64 exec, exec, s[6:7]
	s_waitcnt lgkmcnt(0)
	s_barrier
	ds_read_b64 v[106:107], v156
	s_and_saveexec_b64 s[6:7], s[2:3]
	s_cbranch_execz .LBB51_6
; %bb.5:
	ds_read2_b64 v[108:111], v157 offset0:1 offset1:2
	ds_read2_b64 v[112:115], v157 offset0:3 offset1:4
	s_waitcnt vmcnt(25) lgkmcnt(2)
	v_mul_f64 v[54:55], v[106:107], v[54:55]
	ds_read2_b64 v[116:119], v157 offset0:5 offset1:6
	s_waitcnt vmcnt(24) lgkmcnt(2)
	v_fma_f64 v[78:79], -v[54:55], v[108:109], v[78:79]
	s_waitcnt vmcnt(23)
	v_fma_f64 v[102:103], -v[54:55], v[110:111], v[102:103]
	ds_read2_b64 v[108:111], v157 offset0:7 offset1:8
	s_waitcnt vmcnt(22) lgkmcnt(2)
	v_fma_f64 v[76:77], -v[54:55], v[112:113], v[76:77]
	s_waitcnt vmcnt(21)
	v_fma_f64 v[100:101], -v[54:55], v[114:115], v[100:101]
	s_waitcnt vmcnt(20) lgkmcnt(1)
	v_fma_f64 v[74:75], -v[54:55], v[116:117], v[74:75]
	ds_read2_b64 v[112:115], v157 offset0:9 offset1:10
	s_waitcnt vmcnt(19)
	v_fma_f64 v[98:99], -v[54:55], v[118:119], v[98:99]
	ds_read2_b64 v[116:119], v157 offset0:11 offset1:12
	s_waitcnt vmcnt(18) lgkmcnt(2)
	v_fma_f64 v[72:73], -v[54:55], v[108:109], v[72:73]
	s_waitcnt vmcnt(17)
	v_fma_f64 v[96:97], -v[54:55], v[110:111], v[96:97]
	ds_read2_b64 v[108:111], v157 offset0:13 offset1:14
	s_waitcnt vmcnt(16) lgkmcnt(2)
	v_fma_f64 v[70:71], -v[54:55], v[112:113], v[70:71]
	;; [unrolled: 5-line block ×3, first 2 shown]
	s_waitcnt vmcnt(13)
	v_fma_f64 v[92:93], -v[54:55], v[118:119], v[92:93]
	s_waitcnt vmcnt(12) lgkmcnt(1)
	v_fma_f64 v[66:67], -v[54:55], v[108:109], v[66:67]
	ds_read2_b64 v[116:119], v157 offset0:17 offset1:18
	s_waitcnt vmcnt(11)
	v_fma_f64 v[90:91], -v[54:55], v[110:111], v[90:91]
	ds_read2_b64 v[108:111], v157 offset0:19 offset1:20
	s_waitcnt vmcnt(10) lgkmcnt(2)
	v_fma_f64 v[64:65], -v[54:55], v[112:113], v[64:65]
	s_waitcnt vmcnt(9)
	v_fma_f64 v[88:89], -v[54:55], v[114:115], v[88:89]
	s_waitcnt vmcnt(8) lgkmcnt(1)
	v_fma_f64 v[62:63], -v[54:55], v[116:117], v[62:63]
	s_waitcnt vmcnt(7)
	v_fma_f64 v[86:87], -v[54:55], v[118:119], v[86:87]
	ds_read2_b64 v[112:115], v157 offset0:21 offset1:22
	ds_read2_b64 v[116:119], v157 offset0:23 offset1:24
	s_waitcnt vmcnt(6) lgkmcnt(2)
	v_fma_f64 v[60:61], -v[54:55], v[108:109], v[60:61]
	ds_read_b64 v[108:109], v157 offset:200
	s_waitcnt vmcnt(5)
	v_fma_f64 v[84:85], -v[54:55], v[110:111], v[84:85]
	s_waitcnt vmcnt(4) lgkmcnt(2)
	v_fma_f64 v[58:59], -v[54:55], v[112:113], v[58:59]
	s_waitcnt vmcnt(3)
	v_fma_f64 v[82:83], -v[54:55], v[114:115], v[82:83]
	s_waitcnt vmcnt(2) lgkmcnt(1)
	v_fma_f64 v[56:57], -v[54:55], v[116:117], v[56:57]
	;; [unrolled: 4-line block ×3, first 2 shown]
.LBB51_6:
	s_or_b64 exec, exec, s[6:7]
	v_cmp_eq_u32_e32 vcc, 1, v158
	s_waitcnt lgkmcnt(0)
	s_barrier
	s_and_saveexec_b64 s[2:3], vcc
	s_cbranch_execz .LBB51_9
; %bb.7:
	s_waitcnt vmcnt(23)
	v_mov_b32_e32 v108, v102
	v_mov_b32_e32 v109, v103
	s_waitcnt vmcnt(22)
	v_mov_b32_e32 v110, v76
	v_mov_b32_e32 v111, v77
	ds_write_b64 v156, v[78:79]
	ds_write2_b64 v157, v[108:109], v[110:111] offset0:2 offset1:3
	s_waitcnt vmcnt(21)
	v_mov_b32_e32 v108, v100
	v_mov_b32_e32 v109, v101
	s_waitcnt vmcnt(20)
	v_mov_b32_e32 v110, v74
	v_mov_b32_e32 v111, v75
	ds_write2_b64 v157, v[108:109], v[110:111] offset0:4 offset1:5
	s_waitcnt vmcnt(19)
	v_mov_b32_e32 v108, v98
	v_mov_b32_e32 v109, v99
	s_waitcnt vmcnt(18)
	v_mov_b32_e32 v110, v72
	v_mov_b32_e32 v111, v73
	ds_write2_b64 v157, v[108:109], v[110:111] offset0:6 offset1:7
	s_waitcnt vmcnt(17)
	v_mov_b32_e32 v108, v96
	v_mov_b32_e32 v109, v97
	s_waitcnt vmcnt(16)
	v_mov_b32_e32 v110, v70
	v_mov_b32_e32 v111, v71
	ds_write2_b64 v157, v[108:109], v[110:111] offset0:8 offset1:9
	s_waitcnt vmcnt(15)
	v_mov_b32_e32 v108, v94
	v_mov_b32_e32 v109, v95
	s_waitcnt vmcnt(14)
	v_mov_b32_e32 v110, v68
	v_mov_b32_e32 v111, v69
	ds_write2_b64 v157, v[108:109], v[110:111] offset0:10 offset1:11
	s_waitcnt vmcnt(13)
	v_mov_b32_e32 v108, v92
	v_mov_b32_e32 v109, v93
	s_waitcnt vmcnt(12)
	v_mov_b32_e32 v110, v66
	v_mov_b32_e32 v111, v67
	ds_write2_b64 v157, v[108:109], v[110:111] offset0:12 offset1:13
	s_waitcnt vmcnt(11)
	v_mov_b32_e32 v108, v90
	v_mov_b32_e32 v109, v91
	s_waitcnt vmcnt(10)
	v_mov_b32_e32 v110, v64
	v_mov_b32_e32 v111, v65
	ds_write2_b64 v157, v[108:109], v[110:111] offset0:14 offset1:15
	s_waitcnt vmcnt(9)
	v_mov_b32_e32 v108, v88
	v_mov_b32_e32 v109, v89
	s_waitcnt vmcnt(8)
	v_mov_b32_e32 v110, v62
	v_mov_b32_e32 v111, v63
	ds_write2_b64 v157, v[108:109], v[110:111] offset0:16 offset1:17
	s_waitcnt vmcnt(7)
	v_mov_b32_e32 v108, v86
	v_mov_b32_e32 v109, v87
	s_waitcnt vmcnt(6)
	v_mov_b32_e32 v110, v60
	v_mov_b32_e32 v111, v61
	ds_write2_b64 v157, v[108:109], v[110:111] offset0:18 offset1:19
	s_waitcnt vmcnt(5)
	v_mov_b32_e32 v108, v84
	v_mov_b32_e32 v109, v85
	s_waitcnt vmcnt(4)
	v_mov_b32_e32 v110, v58
	v_mov_b32_e32 v111, v59
	ds_write2_b64 v157, v[108:109], v[110:111] offset0:20 offset1:21
	s_waitcnt vmcnt(3)
	v_mov_b32_e32 v108, v82
	v_mov_b32_e32 v109, v83
	s_waitcnt vmcnt(2)
	v_mov_b32_e32 v110, v56
	v_mov_b32_e32 v111, v57
	ds_write2_b64 v157, v[108:109], v[110:111] offset0:22 offset1:23
	s_waitcnt vmcnt(1)
	v_mov_b32_e32 v108, v80
	v_mov_b32_e32 v109, v81
	s_waitcnt vmcnt(0)
	ds_write2_b64 v157, v[108:109], v[104:105] offset0:24 offset1:25
	ds_read_b64 v[108:109], v156
	s_waitcnt lgkmcnt(0)
	v_cmp_neq_f64_e32 vcc, 0, v[108:109]
	s_and_b64 exec, exec, vcc
	s_cbranch_execz .LBB51_9
; %bb.8:
	v_div_scale_f64 v[110:111], s[6:7], v[108:109], v[108:109], 1.0
	v_rcp_f64_e32 v[112:113], v[110:111]
	v_div_scale_f64 v[114:115], vcc, 1.0, v[108:109], 1.0
	v_fma_f64 v[116:117], -v[110:111], v[112:113], 1.0
	v_fmac_f64_e32 v[112:113], v[112:113], v[116:117]
	v_fma_f64 v[116:117], -v[110:111], v[112:113], 1.0
	v_fmac_f64_e32 v[112:113], v[112:113], v[116:117]
	v_mul_f64 v[116:117], v[114:115], v[112:113]
	v_fma_f64 v[110:111], -v[110:111], v[116:117], v[114:115]
	v_div_fmas_f64 v[110:111], v[110:111], v[112:113], v[116:117]
	v_div_fixup_f64 v[108:109], v[110:111], v[108:109], 1.0
	ds_write_b64 v156, v[108:109]
.LBB51_9:
	s_or_b64 exec, exec, s[2:3]
	s_waitcnt lgkmcnt(0)
	s_barrier
	ds_read_b64 v[108:109], v156
	v_cmp_lt_u32_e32 vcc, 1, v158
	s_and_saveexec_b64 s[2:3], vcc
	s_cbranch_execz .LBB51_11
; %bb.10:
	ds_read2_b64 v[110:113], v157 offset0:2 offset1:3
	ds_read2_b64 v[114:117], v157 offset0:4 offset1:5
	;; [unrolled: 1-line block ×3, first 2 shown]
	s_waitcnt vmcnt(24) lgkmcnt(3)
	v_mul_f64 v[78:79], v[108:109], v[78:79]
	s_waitcnt vmcnt(23) lgkmcnt(2)
	v_fma_f64 v[102:103], -v[78:79], v[110:111], v[102:103]
	s_waitcnt vmcnt(22)
	v_fma_f64 v[76:77], -v[78:79], v[112:113], v[76:77]
	ds_read2_b64 v[110:113], v157 offset0:8 offset1:9
	s_waitcnt vmcnt(21) lgkmcnt(2)
	v_fma_f64 v[100:101], -v[78:79], v[114:115], v[100:101]
	s_waitcnt vmcnt(20)
	v_fma_f64 v[74:75], -v[78:79], v[116:117], v[74:75]
	s_waitcnt vmcnt(19) lgkmcnt(1)
	v_fma_f64 v[98:99], -v[78:79], v[118:119], v[98:99]
	ds_read2_b64 v[114:117], v157 offset0:10 offset1:11
	s_waitcnt vmcnt(18)
	v_fma_f64 v[72:73], -v[78:79], v[120:121], v[72:73]
	ds_read2_b64 v[118:121], v157 offset0:12 offset1:13
	s_waitcnt vmcnt(17) lgkmcnt(2)
	v_fma_f64 v[96:97], -v[78:79], v[110:111], v[96:97]
	s_waitcnt vmcnt(16)
	v_fma_f64 v[70:71], -v[78:79], v[112:113], v[70:71]
	s_waitcnt vmcnt(15) lgkmcnt(1)
	v_fma_f64 v[94:95], -v[78:79], v[114:115], v[94:95]
	ds_read2_b64 v[110:113], v157 offset0:14 offset1:15
	s_waitcnt vmcnt(14)
	v_fma_f64 v[68:69], -v[78:79], v[116:117], v[68:69]
	ds_read2_b64 v[114:117], v157 offset0:16 offset1:17
	s_waitcnt vmcnt(13) lgkmcnt(2)
	v_fma_f64 v[92:93], -v[78:79], v[118:119], v[92:93]
	s_waitcnt vmcnt(12)
	v_fma_f64 v[66:67], -v[78:79], v[120:121], v[66:67]
	ds_read2_b64 v[118:121], v157 offset0:18 offset1:19
	s_waitcnt vmcnt(11) lgkmcnt(2)
	v_fma_f64 v[90:91], -v[78:79], v[110:111], v[90:91]
	;; [unrolled: 5-line block ×3, first 2 shown]
	s_waitcnt vmcnt(8)
	v_fma_f64 v[62:63], -v[78:79], v[116:117], v[62:63]
	s_waitcnt vmcnt(7) lgkmcnt(1)
	v_fma_f64 v[86:87], -v[78:79], v[118:119], v[86:87]
	ds_read2_b64 v[114:117], v157 offset0:22 offset1:23
	s_waitcnt vmcnt(6)
	v_fma_f64 v[60:61], -v[78:79], v[120:121], v[60:61]
	ds_read2_b64 v[118:121], v157 offset0:24 offset1:25
	s_waitcnt vmcnt(5) lgkmcnt(2)
	v_fma_f64 v[84:85], -v[78:79], v[110:111], v[84:85]
	s_waitcnt vmcnt(4)
	v_fma_f64 v[58:59], -v[78:79], v[112:113], v[58:59]
	s_waitcnt vmcnt(3) lgkmcnt(1)
	v_fma_f64 v[82:83], -v[78:79], v[114:115], v[82:83]
	s_waitcnt vmcnt(2)
	v_fma_f64 v[56:57], -v[78:79], v[116:117], v[56:57]
	;; [unrolled: 4-line block ×3, first 2 shown]
.LBB51_11:
	s_or_b64 exec, exec, s[2:3]
	v_cmp_eq_u32_e32 vcc, 2, v158
	s_waitcnt lgkmcnt(0)
	s_barrier
	s_and_saveexec_b64 s[2:3], vcc
	s_cbranch_execz .LBB51_14
; %bb.12:
	s_waitcnt vmcnt(23)
	ds_write_b64 v156, v[102:103]
	s_waitcnt vmcnt(21)
	ds_write2_b64 v157, v[76:77], v[100:101] offset0:3 offset1:4
	s_waitcnt vmcnt(19)
	ds_write2_b64 v157, v[74:75], v[98:99] offset0:5 offset1:6
	;; [unrolled: 2-line block ×11, first 2 shown]
	s_waitcnt vmcnt(0)
	ds_write_b64 v157, v[104:105] offset:200
	ds_read_b64 v[110:111], v156
	s_waitcnt lgkmcnt(0)
	v_cmp_neq_f64_e32 vcc, 0, v[110:111]
	s_and_b64 exec, exec, vcc
	s_cbranch_execz .LBB51_14
; %bb.13:
	v_div_scale_f64 v[112:113], s[6:7], v[110:111], v[110:111], 1.0
	v_rcp_f64_e32 v[114:115], v[112:113]
	v_div_scale_f64 v[116:117], vcc, 1.0, v[110:111], 1.0
	v_fma_f64 v[118:119], -v[112:113], v[114:115], 1.0
	v_fmac_f64_e32 v[114:115], v[114:115], v[118:119]
	v_fma_f64 v[118:119], -v[112:113], v[114:115], 1.0
	v_fmac_f64_e32 v[114:115], v[114:115], v[118:119]
	v_mul_f64 v[118:119], v[116:117], v[114:115]
	v_fma_f64 v[112:113], -v[112:113], v[118:119], v[116:117]
	v_div_fmas_f64 v[112:113], v[112:113], v[114:115], v[118:119]
	v_div_fixup_f64 v[110:111], v[112:113], v[110:111], 1.0
	ds_write_b64 v156, v[110:111]
.LBB51_14:
	s_or_b64 exec, exec, s[2:3]
	s_waitcnt lgkmcnt(0)
	s_barrier
	ds_read_b64 v[110:111], v156
	v_cmp_lt_u32_e32 vcc, 2, v158
	s_and_saveexec_b64 s[2:3], vcc
	s_cbranch_execz .LBB51_16
; %bb.15:
	ds_read2_b64 v[112:115], v157 offset0:3 offset1:4
	ds_read2_b64 v[116:119], v157 offset0:5 offset1:6
	;; [unrolled: 1-line block ×3, first 2 shown]
	s_waitcnt vmcnt(23) lgkmcnt(3)
	v_mul_f64 v[102:103], v[110:111], v[102:103]
	s_waitcnt vmcnt(22) lgkmcnt(2)
	v_fma_f64 v[76:77], -v[102:103], v[112:113], v[76:77]
	s_waitcnt vmcnt(21)
	v_fma_f64 v[100:101], -v[102:103], v[114:115], v[100:101]
	ds_read2_b64 v[112:115], v157 offset0:9 offset1:10
	s_waitcnt vmcnt(20) lgkmcnt(2)
	v_fma_f64 v[74:75], -v[102:103], v[116:117], v[74:75]
	s_waitcnt vmcnt(19)
	v_fma_f64 v[98:99], -v[102:103], v[118:119], v[98:99]
	s_waitcnt vmcnt(18) lgkmcnt(1)
	v_fma_f64 v[72:73], -v[102:103], v[120:121], v[72:73]
	ds_read2_b64 v[116:119], v157 offset0:11 offset1:12
	s_waitcnt vmcnt(17)
	v_fma_f64 v[96:97], -v[102:103], v[122:123], v[96:97]
	ds_read2_b64 v[120:123], v157 offset0:13 offset1:14
	s_waitcnt vmcnt(16) lgkmcnt(2)
	v_fma_f64 v[70:71], -v[102:103], v[112:113], v[70:71]
	s_waitcnt vmcnt(15)
	v_fma_f64 v[94:95], -v[102:103], v[114:115], v[94:95]
	s_waitcnt vmcnt(14) lgkmcnt(1)
	v_fma_f64 v[68:69], -v[102:103], v[116:117], v[68:69]
	ds_read2_b64 v[112:115], v157 offset0:15 offset1:16
	s_waitcnt vmcnt(13)
	v_fma_f64 v[92:93], -v[102:103], v[118:119], v[92:93]
	ds_read2_b64 v[116:119], v157 offset0:17 offset1:18
	s_waitcnt vmcnt(12) lgkmcnt(2)
	v_fma_f64 v[66:67], -v[102:103], v[120:121], v[66:67]
	s_waitcnt vmcnt(11)
	v_fma_f64 v[90:91], -v[102:103], v[122:123], v[90:91]
	ds_read2_b64 v[120:123], v157 offset0:19 offset1:20
	s_waitcnt vmcnt(10) lgkmcnt(2)
	v_fma_f64 v[64:65], -v[102:103], v[112:113], v[64:65]
	;; [unrolled: 5-line block ×3, first 2 shown]
	s_waitcnt vmcnt(7)
	v_fma_f64 v[86:87], -v[102:103], v[118:119], v[86:87]
	s_waitcnt vmcnt(6) lgkmcnt(1)
	v_fma_f64 v[60:61], -v[102:103], v[120:121], v[60:61]
	ds_read2_b64 v[116:119], v157 offset0:23 offset1:24
	ds_read_b64 v[120:121], v157 offset:200
	s_waitcnt vmcnt(5)
	v_fma_f64 v[84:85], -v[102:103], v[122:123], v[84:85]
	s_waitcnt vmcnt(4) lgkmcnt(2)
	v_fma_f64 v[58:59], -v[102:103], v[112:113], v[58:59]
	s_waitcnt vmcnt(3)
	v_fma_f64 v[82:83], -v[102:103], v[114:115], v[82:83]
	s_waitcnt vmcnt(2) lgkmcnt(1)
	v_fma_f64 v[56:57], -v[102:103], v[116:117], v[56:57]
	;; [unrolled: 4-line block ×3, first 2 shown]
.LBB51_16:
	s_or_b64 exec, exec, s[2:3]
	v_cmp_eq_u32_e32 vcc, 3, v158
	s_waitcnt lgkmcnt(0)
	s_barrier
	s_and_saveexec_b64 s[2:3], vcc
	s_cbranch_execz .LBB51_19
; %bb.17:
	s_waitcnt vmcnt(21)
	v_mov_b32_e32 v112, v100
	v_mov_b32_e32 v113, v101
	s_waitcnt vmcnt(20)
	v_mov_b32_e32 v114, v74
	v_mov_b32_e32 v115, v75
	ds_write_b64 v156, v[76:77]
	ds_write2_b64 v157, v[112:113], v[114:115] offset0:4 offset1:5
	s_waitcnt vmcnt(19)
	v_mov_b32_e32 v112, v98
	v_mov_b32_e32 v113, v99
	s_waitcnt vmcnt(18)
	v_mov_b32_e32 v114, v72
	v_mov_b32_e32 v115, v73
	ds_write2_b64 v157, v[112:113], v[114:115] offset0:6 offset1:7
	s_waitcnt vmcnt(17)
	v_mov_b32_e32 v112, v96
	v_mov_b32_e32 v113, v97
	s_waitcnt vmcnt(16)
	v_mov_b32_e32 v114, v70
	v_mov_b32_e32 v115, v71
	;; [unrolled: 7-line block ×9, first 2 shown]
	ds_write2_b64 v157, v[112:113], v[114:115] offset0:22 offset1:23
	s_waitcnt vmcnt(1)
	v_mov_b32_e32 v112, v80
	v_mov_b32_e32 v113, v81
	s_waitcnt vmcnt(0)
	ds_write2_b64 v157, v[112:113], v[104:105] offset0:24 offset1:25
	ds_read_b64 v[112:113], v156
	s_waitcnt lgkmcnt(0)
	v_cmp_neq_f64_e32 vcc, 0, v[112:113]
	s_and_b64 exec, exec, vcc
	s_cbranch_execz .LBB51_19
; %bb.18:
	v_div_scale_f64 v[114:115], s[6:7], v[112:113], v[112:113], 1.0
	v_rcp_f64_e32 v[116:117], v[114:115]
	v_div_scale_f64 v[118:119], vcc, 1.0, v[112:113], 1.0
	v_fma_f64 v[120:121], -v[114:115], v[116:117], 1.0
	v_fmac_f64_e32 v[116:117], v[116:117], v[120:121]
	v_fma_f64 v[120:121], -v[114:115], v[116:117], 1.0
	v_fmac_f64_e32 v[116:117], v[116:117], v[120:121]
	v_mul_f64 v[120:121], v[118:119], v[116:117]
	v_fma_f64 v[114:115], -v[114:115], v[120:121], v[118:119]
	v_div_fmas_f64 v[114:115], v[114:115], v[116:117], v[120:121]
	v_div_fixup_f64 v[112:113], v[114:115], v[112:113], 1.0
	ds_write_b64 v156, v[112:113]
.LBB51_19:
	s_or_b64 exec, exec, s[2:3]
	s_waitcnt lgkmcnt(0)
	s_barrier
	ds_read_b64 v[112:113], v156
	v_cmp_lt_u32_e32 vcc, 3, v158
	s_and_saveexec_b64 s[2:3], vcc
	s_cbranch_execz .LBB51_21
; %bb.20:
	ds_read2_b64 v[114:117], v157 offset0:4 offset1:5
	s_waitcnt vmcnt(22) lgkmcnt(1)
	v_mul_f64 v[76:77], v[112:113], v[76:77]
	s_waitcnt vmcnt(21) lgkmcnt(0)
	v_fma_f64 v[100:101], -v[76:77], v[114:115], v[100:101]
	s_waitcnt vmcnt(20)
	v_fma_f64 v[74:75], -v[76:77], v[116:117], v[74:75]
	ds_read2_b64 v[114:117], v157 offset0:6 offset1:7
	s_waitcnt vmcnt(19) lgkmcnt(0)
	v_fma_f64 v[98:99], -v[76:77], v[114:115], v[98:99]
	s_waitcnt vmcnt(18)
	v_fma_f64 v[72:73], -v[76:77], v[116:117], v[72:73]
	ds_read2_b64 v[114:117], v157 offset0:8 offset1:9
	;; [unrolled: 5-line block ×10, first 2 shown]
	s_waitcnt vmcnt(1) lgkmcnt(0)
	v_fma_f64 v[80:81], -v[76:77], v[114:115], v[80:81]
	s_waitcnt vmcnt(0)
	v_fma_f64 v[104:105], -v[76:77], v[116:117], v[104:105]
.LBB51_21:
	s_or_b64 exec, exec, s[2:3]
	v_cmp_eq_u32_e32 vcc, 4, v158
	s_waitcnt lgkmcnt(0)
	s_barrier
	s_and_saveexec_b64 s[2:3], vcc
	s_cbranch_execz .LBB51_24
; %bb.22:
	s_waitcnt vmcnt(21)
	ds_write_b64 v156, v[100:101]
	s_waitcnt vmcnt(19)
	ds_write2_b64 v157, v[74:75], v[98:99] offset0:5 offset1:6
	s_waitcnt vmcnt(17)
	ds_write2_b64 v157, v[72:73], v[96:97] offset0:7 offset1:8
	;; [unrolled: 2-line block ×10, first 2 shown]
	s_waitcnt vmcnt(0)
	ds_write_b64 v157, v[104:105] offset:200
	ds_read_b64 v[114:115], v156
	s_waitcnt lgkmcnt(0)
	v_cmp_neq_f64_e32 vcc, 0, v[114:115]
	s_and_b64 exec, exec, vcc
	s_cbranch_execz .LBB51_24
; %bb.23:
	v_div_scale_f64 v[116:117], s[6:7], v[114:115], v[114:115], 1.0
	v_rcp_f64_e32 v[118:119], v[116:117]
	v_div_scale_f64 v[120:121], vcc, 1.0, v[114:115], 1.0
	v_fma_f64 v[122:123], -v[116:117], v[118:119], 1.0
	v_fmac_f64_e32 v[118:119], v[118:119], v[122:123]
	v_fma_f64 v[122:123], -v[116:117], v[118:119], 1.0
	v_fmac_f64_e32 v[118:119], v[118:119], v[122:123]
	v_mul_f64 v[122:123], v[120:121], v[118:119]
	v_fma_f64 v[116:117], -v[116:117], v[122:123], v[120:121]
	v_div_fmas_f64 v[116:117], v[116:117], v[118:119], v[122:123]
	v_div_fixup_f64 v[114:115], v[116:117], v[114:115], 1.0
	ds_write_b64 v156, v[114:115]
.LBB51_24:
	s_or_b64 exec, exec, s[2:3]
	s_waitcnt lgkmcnt(0)
	s_barrier
	ds_read_b64 v[114:115], v156
	v_cmp_lt_u32_e32 vcc, 4, v158
	s_and_saveexec_b64 s[2:3], vcc
	s_cbranch_execz .LBB51_26
; %bb.25:
	ds_read2_b64 v[116:119], v157 offset0:5 offset1:6
	ds_read2_b64 v[120:123], v157 offset0:7 offset1:8
	s_waitcnt vmcnt(21) lgkmcnt(2)
	v_mul_f64 v[100:101], v[114:115], v[100:101]
	ds_read2_b64 v[124:127], v157 offset0:9 offset1:10
	s_waitcnt vmcnt(20) lgkmcnt(2)
	v_fma_f64 v[74:75], -v[100:101], v[116:117], v[74:75]
	s_waitcnt vmcnt(19)
	v_fma_f64 v[98:99], -v[100:101], v[118:119], v[98:99]
	ds_read2_b64 v[116:119], v157 offset0:11 offset1:12
	s_waitcnt vmcnt(18) lgkmcnt(2)
	v_fma_f64 v[72:73], -v[100:101], v[120:121], v[72:73]
	s_waitcnt vmcnt(17)
	v_fma_f64 v[96:97], -v[100:101], v[122:123], v[96:97]
	;; [unrolled: 5-line block ×4, first 2 shown]
	s_waitcnt vmcnt(12) lgkmcnt(1)
	v_fma_f64 v[66:67], -v[100:101], v[120:121], v[66:67]
	ds_read2_b64 v[116:119], v157 offset0:17 offset1:18
	s_waitcnt vmcnt(11)
	v_fma_f64 v[90:91], -v[100:101], v[122:123], v[90:91]
	ds_read2_b64 v[120:123], v157 offset0:19 offset1:20
	s_waitcnt vmcnt(10) lgkmcnt(2)
	v_fma_f64 v[64:65], -v[100:101], v[124:125], v[64:65]
	s_waitcnt vmcnt(9)
	v_fma_f64 v[88:89], -v[100:101], v[126:127], v[88:89]
	s_waitcnt vmcnt(8) lgkmcnt(1)
	v_fma_f64 v[62:63], -v[100:101], v[116:117], v[62:63]
	s_waitcnt vmcnt(7)
	v_fma_f64 v[86:87], -v[100:101], v[118:119], v[86:87]
	ds_read2_b64 v[116:119], v157 offset0:21 offset1:22
	ds_read2_b64 v[124:127], v157 offset0:23 offset1:24
	s_waitcnt vmcnt(6) lgkmcnt(2)
	v_fma_f64 v[60:61], -v[100:101], v[120:121], v[60:61]
	ds_read_b64 v[120:121], v157 offset:200
	s_waitcnt vmcnt(5)
	v_fma_f64 v[84:85], -v[100:101], v[122:123], v[84:85]
	s_waitcnt vmcnt(4) lgkmcnt(2)
	v_fma_f64 v[58:59], -v[100:101], v[116:117], v[58:59]
	s_waitcnt vmcnt(3)
	v_fma_f64 v[82:83], -v[100:101], v[118:119], v[82:83]
	s_waitcnt vmcnt(2) lgkmcnt(1)
	v_fma_f64 v[56:57], -v[100:101], v[124:125], v[56:57]
	;; [unrolled: 4-line block ×3, first 2 shown]
.LBB51_26:
	s_or_b64 exec, exec, s[2:3]
	v_cmp_eq_u32_e32 vcc, 5, v158
	s_waitcnt lgkmcnt(0)
	s_barrier
	s_and_saveexec_b64 s[2:3], vcc
	s_cbranch_execz .LBB51_29
; %bb.27:
	s_waitcnt vmcnt(19)
	v_mov_b32_e32 v116, v98
	v_mov_b32_e32 v117, v99
	s_waitcnt vmcnt(18)
	v_mov_b32_e32 v118, v72
	v_mov_b32_e32 v119, v73
	ds_write_b64 v156, v[74:75]
	ds_write2_b64 v157, v[116:117], v[118:119] offset0:6 offset1:7
	s_waitcnt vmcnt(17)
	v_mov_b32_e32 v116, v96
	v_mov_b32_e32 v117, v97
	s_waitcnt vmcnt(16)
	v_mov_b32_e32 v118, v70
	v_mov_b32_e32 v119, v71
	ds_write2_b64 v157, v[116:117], v[118:119] offset0:8 offset1:9
	s_waitcnt vmcnt(15)
	v_mov_b32_e32 v116, v94
	v_mov_b32_e32 v117, v95
	s_waitcnt vmcnt(14)
	v_mov_b32_e32 v118, v68
	v_mov_b32_e32 v119, v69
	;; [unrolled: 7-line block ×8, first 2 shown]
	ds_write2_b64 v157, v[116:117], v[118:119] offset0:22 offset1:23
	s_waitcnt vmcnt(1)
	v_mov_b32_e32 v116, v80
	v_mov_b32_e32 v117, v81
	s_waitcnt vmcnt(0)
	ds_write2_b64 v157, v[116:117], v[104:105] offset0:24 offset1:25
	ds_read_b64 v[116:117], v156
	s_waitcnt lgkmcnt(0)
	v_cmp_neq_f64_e32 vcc, 0, v[116:117]
	s_and_b64 exec, exec, vcc
	s_cbranch_execz .LBB51_29
; %bb.28:
	v_div_scale_f64 v[118:119], s[6:7], v[116:117], v[116:117], 1.0
	v_rcp_f64_e32 v[120:121], v[118:119]
	v_div_scale_f64 v[122:123], vcc, 1.0, v[116:117], 1.0
	v_fma_f64 v[124:125], -v[118:119], v[120:121], 1.0
	v_fmac_f64_e32 v[120:121], v[120:121], v[124:125]
	v_fma_f64 v[124:125], -v[118:119], v[120:121], 1.0
	v_fmac_f64_e32 v[120:121], v[120:121], v[124:125]
	v_mul_f64 v[124:125], v[122:123], v[120:121]
	v_fma_f64 v[118:119], -v[118:119], v[124:125], v[122:123]
	v_div_fmas_f64 v[118:119], v[118:119], v[120:121], v[124:125]
	v_div_fixup_f64 v[116:117], v[118:119], v[116:117], 1.0
	ds_write_b64 v156, v[116:117]
.LBB51_29:
	s_or_b64 exec, exec, s[2:3]
	s_waitcnt lgkmcnt(0)
	s_barrier
	ds_read_b64 v[116:117], v156
	v_cmp_lt_u32_e32 vcc, 5, v158
	s_and_saveexec_b64 s[2:3], vcc
	s_cbranch_execz .LBB51_31
; %bb.30:
	ds_read2_b64 v[118:121], v157 offset0:6 offset1:7
	ds_read2_b64 v[122:125], v157 offset0:8 offset1:9
	s_waitcnt vmcnt(20) lgkmcnt(2)
	v_mul_f64 v[74:75], v[116:117], v[74:75]
	ds_read2_b64 v[126:129], v157 offset0:10 offset1:11
	s_waitcnt vmcnt(19) lgkmcnt(2)
	v_fma_f64 v[98:99], -v[74:75], v[118:119], v[98:99]
	s_waitcnt vmcnt(18)
	v_fma_f64 v[72:73], -v[74:75], v[120:121], v[72:73]
	ds_read2_b64 v[118:121], v157 offset0:12 offset1:13
	s_waitcnt vmcnt(17) lgkmcnt(2)
	v_fma_f64 v[96:97], -v[74:75], v[122:123], v[96:97]
	s_waitcnt vmcnt(16)
	v_fma_f64 v[70:71], -v[74:75], v[124:125], v[70:71]
	s_waitcnt vmcnt(15) lgkmcnt(1)
	v_fma_f64 v[94:95], -v[74:75], v[126:127], v[94:95]
	ds_read2_b64 v[122:125], v157 offset0:14 offset1:15
	s_waitcnt vmcnt(14)
	v_fma_f64 v[68:69], -v[74:75], v[128:129], v[68:69]
	ds_read2_b64 v[126:129], v157 offset0:16 offset1:17
	s_waitcnt vmcnt(13) lgkmcnt(2)
	v_fma_f64 v[92:93], -v[74:75], v[118:119], v[92:93]
	s_waitcnt vmcnt(12)
	v_fma_f64 v[66:67], -v[74:75], v[120:121], v[66:67]
	ds_read2_b64 v[118:121], v157 offset0:18 offset1:19
	s_waitcnt vmcnt(11) lgkmcnt(2)
	v_fma_f64 v[90:91], -v[74:75], v[122:123], v[90:91]
	;; [unrolled: 5-line block ×3, first 2 shown]
	s_waitcnt vmcnt(8)
	v_fma_f64 v[62:63], -v[74:75], v[128:129], v[62:63]
	s_waitcnt vmcnt(7) lgkmcnt(1)
	v_fma_f64 v[86:87], -v[74:75], v[118:119], v[86:87]
	ds_read2_b64 v[126:129], v157 offset0:22 offset1:23
	s_waitcnt vmcnt(6)
	v_fma_f64 v[60:61], -v[74:75], v[120:121], v[60:61]
	ds_read2_b64 v[118:121], v157 offset0:24 offset1:25
	s_waitcnt vmcnt(5) lgkmcnt(2)
	v_fma_f64 v[84:85], -v[74:75], v[122:123], v[84:85]
	s_waitcnt vmcnt(4)
	v_fma_f64 v[58:59], -v[74:75], v[124:125], v[58:59]
	s_waitcnt vmcnt(3) lgkmcnt(1)
	v_fma_f64 v[82:83], -v[74:75], v[126:127], v[82:83]
	s_waitcnt vmcnt(2)
	v_fma_f64 v[56:57], -v[74:75], v[128:129], v[56:57]
	s_waitcnt vmcnt(1) lgkmcnt(0)
	v_fma_f64 v[80:81], -v[74:75], v[118:119], v[80:81]
	s_waitcnt vmcnt(0)
	v_fma_f64 v[104:105], -v[74:75], v[120:121], v[104:105]
.LBB51_31:
	s_or_b64 exec, exec, s[2:3]
	v_cmp_eq_u32_e32 vcc, 6, v158
	s_waitcnt lgkmcnt(0)
	s_barrier
	s_and_saveexec_b64 s[2:3], vcc
	s_cbranch_execz .LBB51_34
; %bb.32:
	s_waitcnt vmcnt(19)
	ds_write_b64 v156, v[98:99]
	s_waitcnt vmcnt(17)
	ds_write2_b64 v157, v[72:73], v[96:97] offset0:7 offset1:8
	s_waitcnt vmcnt(15)
	ds_write2_b64 v157, v[70:71], v[94:95] offset0:9 offset1:10
	;; [unrolled: 2-line block ×9, first 2 shown]
	s_waitcnt vmcnt(0)
	ds_write_b64 v157, v[104:105] offset:200
	ds_read_b64 v[118:119], v156
	s_waitcnt lgkmcnt(0)
	v_cmp_neq_f64_e32 vcc, 0, v[118:119]
	s_and_b64 exec, exec, vcc
	s_cbranch_execz .LBB51_34
; %bb.33:
	v_div_scale_f64 v[120:121], s[6:7], v[118:119], v[118:119], 1.0
	v_rcp_f64_e32 v[122:123], v[120:121]
	v_div_scale_f64 v[124:125], vcc, 1.0, v[118:119], 1.0
	v_fma_f64 v[126:127], -v[120:121], v[122:123], 1.0
	v_fmac_f64_e32 v[122:123], v[122:123], v[126:127]
	v_fma_f64 v[126:127], -v[120:121], v[122:123], 1.0
	v_fmac_f64_e32 v[122:123], v[122:123], v[126:127]
	v_mul_f64 v[126:127], v[124:125], v[122:123]
	v_fma_f64 v[120:121], -v[120:121], v[126:127], v[124:125]
	v_div_fmas_f64 v[120:121], v[120:121], v[122:123], v[126:127]
	v_div_fixup_f64 v[118:119], v[120:121], v[118:119], 1.0
	ds_write_b64 v156, v[118:119]
.LBB51_34:
	s_or_b64 exec, exec, s[2:3]
	s_waitcnt lgkmcnt(0)
	s_barrier
	ds_read_b64 v[118:119], v156
	v_cmp_lt_u32_e32 vcc, 6, v158
	s_and_saveexec_b64 s[2:3], vcc
	s_cbranch_execz .LBB51_36
; %bb.35:
	ds_read2_b64 v[120:123], v157 offset0:7 offset1:8
	ds_read2_b64 v[124:127], v157 offset0:9 offset1:10
	s_waitcnt vmcnt(19) lgkmcnt(2)
	v_mul_f64 v[98:99], v[118:119], v[98:99]
	ds_read2_b64 v[128:131], v157 offset0:11 offset1:12
	s_waitcnt vmcnt(18) lgkmcnt(2)
	v_fma_f64 v[72:73], -v[98:99], v[120:121], v[72:73]
	s_waitcnt vmcnt(17)
	v_fma_f64 v[96:97], -v[98:99], v[122:123], v[96:97]
	ds_read2_b64 v[120:123], v157 offset0:13 offset1:14
	s_waitcnt vmcnt(16) lgkmcnt(2)
	v_fma_f64 v[70:71], -v[98:99], v[124:125], v[70:71]
	s_waitcnt vmcnt(15)
	v_fma_f64 v[94:95], -v[98:99], v[126:127], v[94:95]
	s_waitcnt vmcnt(14) lgkmcnt(1)
	v_fma_f64 v[68:69], -v[98:99], v[128:129], v[68:69]
	ds_read2_b64 v[124:127], v157 offset0:15 offset1:16
	s_waitcnt vmcnt(13)
	v_fma_f64 v[92:93], -v[98:99], v[130:131], v[92:93]
	ds_read2_b64 v[128:131], v157 offset0:17 offset1:18
	s_waitcnt vmcnt(12) lgkmcnt(2)
	v_fma_f64 v[66:67], -v[98:99], v[120:121], v[66:67]
	s_waitcnt vmcnt(11)
	v_fma_f64 v[90:91], -v[98:99], v[122:123], v[90:91]
	ds_read2_b64 v[120:123], v157 offset0:19 offset1:20
	s_waitcnt vmcnt(10) lgkmcnt(2)
	v_fma_f64 v[64:65], -v[98:99], v[124:125], v[64:65]
	;; [unrolled: 5-line block ×3, first 2 shown]
	s_waitcnt vmcnt(7)
	v_fma_f64 v[86:87], -v[98:99], v[130:131], v[86:87]
	s_waitcnt vmcnt(6) lgkmcnt(1)
	v_fma_f64 v[60:61], -v[98:99], v[120:121], v[60:61]
	ds_read2_b64 v[128:131], v157 offset0:23 offset1:24
	ds_read_b64 v[120:121], v157 offset:200
	s_waitcnt vmcnt(5)
	v_fma_f64 v[84:85], -v[98:99], v[122:123], v[84:85]
	s_waitcnt vmcnt(4) lgkmcnt(2)
	v_fma_f64 v[58:59], -v[98:99], v[124:125], v[58:59]
	s_waitcnt vmcnt(3)
	v_fma_f64 v[82:83], -v[98:99], v[126:127], v[82:83]
	s_waitcnt vmcnt(2) lgkmcnt(1)
	v_fma_f64 v[56:57], -v[98:99], v[128:129], v[56:57]
	;; [unrolled: 4-line block ×3, first 2 shown]
.LBB51_36:
	s_or_b64 exec, exec, s[2:3]
	v_cmp_eq_u32_e32 vcc, 7, v158
	s_waitcnt lgkmcnt(0)
	s_barrier
	s_and_saveexec_b64 s[2:3], vcc
	s_cbranch_execz .LBB51_39
; %bb.37:
	s_waitcnt vmcnt(17)
	v_mov_b32_e32 v120, v96
	v_mov_b32_e32 v121, v97
	s_waitcnt vmcnt(16)
	v_mov_b32_e32 v122, v70
	v_mov_b32_e32 v123, v71
	ds_write_b64 v156, v[72:73]
	ds_write2_b64 v157, v[120:121], v[122:123] offset0:8 offset1:9
	s_waitcnt vmcnt(15)
	v_mov_b32_e32 v120, v94
	v_mov_b32_e32 v121, v95
	s_waitcnt vmcnt(14)
	v_mov_b32_e32 v122, v68
	v_mov_b32_e32 v123, v69
	ds_write2_b64 v157, v[120:121], v[122:123] offset0:10 offset1:11
	s_waitcnt vmcnt(13)
	v_mov_b32_e32 v120, v92
	v_mov_b32_e32 v121, v93
	s_waitcnt vmcnt(12)
	v_mov_b32_e32 v122, v66
	v_mov_b32_e32 v123, v67
	;; [unrolled: 7-line block ×7, first 2 shown]
	ds_write2_b64 v157, v[120:121], v[122:123] offset0:22 offset1:23
	s_waitcnt vmcnt(1)
	v_mov_b32_e32 v120, v80
	v_mov_b32_e32 v121, v81
	s_waitcnt vmcnt(0)
	ds_write2_b64 v157, v[120:121], v[104:105] offset0:24 offset1:25
	ds_read_b64 v[120:121], v156
	s_waitcnt lgkmcnt(0)
	v_cmp_neq_f64_e32 vcc, 0, v[120:121]
	s_and_b64 exec, exec, vcc
	s_cbranch_execz .LBB51_39
; %bb.38:
	v_div_scale_f64 v[122:123], s[6:7], v[120:121], v[120:121], 1.0
	v_rcp_f64_e32 v[124:125], v[122:123]
	v_div_scale_f64 v[126:127], vcc, 1.0, v[120:121], 1.0
	v_fma_f64 v[128:129], -v[122:123], v[124:125], 1.0
	v_fmac_f64_e32 v[124:125], v[124:125], v[128:129]
	v_fma_f64 v[128:129], -v[122:123], v[124:125], 1.0
	v_fmac_f64_e32 v[124:125], v[124:125], v[128:129]
	v_mul_f64 v[128:129], v[126:127], v[124:125]
	v_fma_f64 v[122:123], -v[122:123], v[128:129], v[126:127]
	v_div_fmas_f64 v[122:123], v[122:123], v[124:125], v[128:129]
	v_div_fixup_f64 v[120:121], v[122:123], v[120:121], 1.0
	ds_write_b64 v156, v[120:121]
.LBB51_39:
	s_or_b64 exec, exec, s[2:3]
	s_waitcnt lgkmcnt(0)
	s_barrier
	ds_read_b64 v[120:121], v156
	v_cmp_lt_u32_e32 vcc, 7, v158
	s_and_saveexec_b64 s[2:3], vcc
	s_cbranch_execz .LBB51_41
; %bb.40:
	ds_read2_b64 v[122:125], v157 offset0:8 offset1:9
	ds_read2_b64 v[126:129], v157 offset0:10 offset1:11
	;; [unrolled: 1-line block ×3, first 2 shown]
	s_waitcnt vmcnt(18) lgkmcnt(3)
	v_mul_f64 v[72:73], v[120:121], v[72:73]
	s_waitcnt vmcnt(17) lgkmcnt(2)
	v_fma_f64 v[96:97], -v[72:73], v[122:123], v[96:97]
	s_waitcnt vmcnt(16)
	v_fma_f64 v[70:71], -v[72:73], v[124:125], v[70:71]
	ds_read2_b64 v[122:125], v157 offset0:14 offset1:15
	s_waitcnt vmcnt(15) lgkmcnt(2)
	v_fma_f64 v[94:95], -v[72:73], v[126:127], v[94:95]
	s_waitcnt vmcnt(14)
	v_fma_f64 v[68:69], -v[72:73], v[128:129], v[68:69]
	s_waitcnt vmcnt(13) lgkmcnt(1)
	v_fma_f64 v[92:93], -v[72:73], v[130:131], v[92:93]
	ds_read2_b64 v[126:129], v157 offset0:16 offset1:17
	s_waitcnt vmcnt(12)
	v_fma_f64 v[66:67], -v[72:73], v[132:133], v[66:67]
	ds_read2_b64 v[130:133], v157 offset0:18 offset1:19
	s_waitcnt vmcnt(11) lgkmcnt(2)
	v_fma_f64 v[90:91], -v[72:73], v[122:123], v[90:91]
	s_waitcnt vmcnt(10)
	v_fma_f64 v[64:65], -v[72:73], v[124:125], v[64:65]
	s_waitcnt vmcnt(9) lgkmcnt(1)
	v_fma_f64 v[88:89], -v[72:73], v[126:127], v[88:89]
	s_waitcnt vmcnt(8)
	v_fma_f64 v[62:63], -v[72:73], v[128:129], v[62:63]
	ds_read2_b64 v[122:125], v157 offset0:20 offset1:21
	ds_read2_b64 v[126:129], v157 offset0:22 offset1:23
	s_waitcnt vmcnt(7) lgkmcnt(2)
	v_fma_f64 v[86:87], -v[72:73], v[130:131], v[86:87]
	s_waitcnt vmcnt(6)
	v_fma_f64 v[60:61], -v[72:73], v[132:133], v[60:61]
	ds_read2_b64 v[130:133], v157 offset0:24 offset1:25
	s_waitcnt vmcnt(5) lgkmcnt(2)
	v_fma_f64 v[84:85], -v[72:73], v[122:123], v[84:85]
	s_waitcnt vmcnt(4)
	v_fma_f64 v[58:59], -v[72:73], v[124:125], v[58:59]
	s_waitcnt vmcnt(3) lgkmcnt(1)
	v_fma_f64 v[82:83], -v[72:73], v[126:127], v[82:83]
	s_waitcnt vmcnt(2)
	v_fma_f64 v[56:57], -v[72:73], v[128:129], v[56:57]
	;; [unrolled: 4-line block ×3, first 2 shown]
.LBB51_41:
	s_or_b64 exec, exec, s[2:3]
	v_cmp_eq_u32_e32 vcc, 8, v158
	s_waitcnt lgkmcnt(0)
	s_barrier
	s_and_saveexec_b64 s[2:3], vcc
	s_cbranch_execz .LBB51_44
; %bb.42:
	s_waitcnt vmcnt(17)
	ds_write_b64 v156, v[96:97]
	s_waitcnt vmcnt(15)
	ds_write2_b64 v157, v[70:71], v[94:95] offset0:9 offset1:10
	s_waitcnt vmcnt(13)
	ds_write2_b64 v157, v[68:69], v[92:93] offset0:11 offset1:12
	;; [unrolled: 2-line block ×8, first 2 shown]
	s_waitcnt vmcnt(0)
	ds_write_b64 v157, v[104:105] offset:200
	ds_read_b64 v[122:123], v156
	s_waitcnt lgkmcnt(0)
	v_cmp_neq_f64_e32 vcc, 0, v[122:123]
	s_and_b64 exec, exec, vcc
	s_cbranch_execz .LBB51_44
; %bb.43:
	v_div_scale_f64 v[124:125], s[6:7], v[122:123], v[122:123], 1.0
	v_rcp_f64_e32 v[126:127], v[124:125]
	v_div_scale_f64 v[128:129], vcc, 1.0, v[122:123], 1.0
	v_fma_f64 v[130:131], -v[124:125], v[126:127], 1.0
	v_fmac_f64_e32 v[126:127], v[126:127], v[130:131]
	v_fma_f64 v[130:131], -v[124:125], v[126:127], 1.0
	v_fmac_f64_e32 v[126:127], v[126:127], v[130:131]
	v_mul_f64 v[130:131], v[128:129], v[126:127]
	v_fma_f64 v[124:125], -v[124:125], v[130:131], v[128:129]
	v_div_fmas_f64 v[124:125], v[124:125], v[126:127], v[130:131]
	v_div_fixup_f64 v[122:123], v[124:125], v[122:123], 1.0
	ds_write_b64 v156, v[122:123]
.LBB51_44:
	s_or_b64 exec, exec, s[2:3]
	s_waitcnt lgkmcnt(0)
	s_barrier
	ds_read_b64 v[122:123], v156
	v_cmp_lt_u32_e32 vcc, 8, v158
	s_and_saveexec_b64 s[2:3], vcc
	s_cbranch_execz .LBB51_46
; %bb.45:
	ds_read2_b64 v[124:127], v157 offset0:9 offset1:10
	ds_read2_b64 v[128:131], v157 offset0:11 offset1:12
	;; [unrolled: 1-line block ×3, first 2 shown]
	s_waitcnt vmcnt(17) lgkmcnt(3)
	v_mul_f64 v[96:97], v[122:123], v[96:97]
	s_waitcnt vmcnt(16) lgkmcnt(2)
	v_fma_f64 v[70:71], -v[96:97], v[124:125], v[70:71]
	s_waitcnt vmcnt(15)
	v_fma_f64 v[94:95], -v[96:97], v[126:127], v[94:95]
	ds_read2_b64 v[124:127], v157 offset0:15 offset1:16
	s_waitcnt vmcnt(14) lgkmcnt(2)
	v_fma_f64 v[68:69], -v[96:97], v[128:129], v[68:69]
	s_waitcnt vmcnt(13)
	v_fma_f64 v[92:93], -v[96:97], v[130:131], v[92:93]
	s_waitcnt vmcnt(12) lgkmcnt(1)
	v_fma_f64 v[66:67], -v[96:97], v[132:133], v[66:67]
	ds_read2_b64 v[128:131], v157 offset0:17 offset1:18
	s_waitcnt vmcnt(11)
	v_fma_f64 v[90:91], -v[96:97], v[134:135], v[90:91]
	ds_read2_b64 v[132:135], v157 offset0:19 offset1:20
	s_waitcnt vmcnt(10) lgkmcnt(2)
	v_fma_f64 v[64:65], -v[96:97], v[124:125], v[64:65]
	s_waitcnt vmcnt(9)
	v_fma_f64 v[88:89], -v[96:97], v[126:127], v[88:89]
	s_waitcnt vmcnt(8) lgkmcnt(1)
	v_fma_f64 v[62:63], -v[96:97], v[128:129], v[62:63]
	s_waitcnt vmcnt(7)
	v_fma_f64 v[86:87], -v[96:97], v[130:131], v[86:87]
	ds_read2_b64 v[124:127], v157 offset0:21 offset1:22
	ds_read2_b64 v[128:131], v157 offset0:23 offset1:24
	s_waitcnt vmcnt(6) lgkmcnt(2)
	v_fma_f64 v[60:61], -v[96:97], v[132:133], v[60:61]
	ds_read_b64 v[132:133], v157 offset:200
	s_waitcnt vmcnt(5)
	v_fma_f64 v[84:85], -v[96:97], v[134:135], v[84:85]
	s_waitcnt vmcnt(4) lgkmcnt(2)
	v_fma_f64 v[58:59], -v[96:97], v[124:125], v[58:59]
	s_waitcnt vmcnt(3)
	v_fma_f64 v[82:83], -v[96:97], v[126:127], v[82:83]
	s_waitcnt vmcnt(2) lgkmcnt(1)
	v_fma_f64 v[56:57], -v[96:97], v[128:129], v[56:57]
	s_waitcnt vmcnt(1)
	v_fma_f64 v[80:81], -v[96:97], v[130:131], v[80:81]
	s_waitcnt vmcnt(0) lgkmcnt(0)
	v_fma_f64 v[104:105], -v[96:97], v[132:133], v[104:105]
.LBB51_46:
	s_or_b64 exec, exec, s[2:3]
	v_cmp_eq_u32_e32 vcc, 9, v158
	s_waitcnt lgkmcnt(0)
	s_barrier
	s_and_saveexec_b64 s[2:3], vcc
	s_cbranch_execz .LBB51_49
; %bb.47:
	s_waitcnt vmcnt(15)
	v_mov_b32_e32 v124, v94
	v_mov_b32_e32 v125, v95
	s_waitcnt vmcnt(14)
	v_mov_b32_e32 v126, v68
	v_mov_b32_e32 v127, v69
	ds_write_b64 v156, v[70:71]
	ds_write2_b64 v157, v[124:125], v[126:127] offset0:10 offset1:11
	s_waitcnt vmcnt(13)
	v_mov_b32_e32 v124, v92
	v_mov_b32_e32 v125, v93
	s_waitcnt vmcnt(12)
	v_mov_b32_e32 v126, v66
	v_mov_b32_e32 v127, v67
	ds_write2_b64 v157, v[124:125], v[126:127] offset0:12 offset1:13
	s_waitcnt vmcnt(11)
	v_mov_b32_e32 v124, v90
	v_mov_b32_e32 v125, v91
	s_waitcnt vmcnt(10)
	v_mov_b32_e32 v126, v64
	v_mov_b32_e32 v127, v65
	;; [unrolled: 7-line block ×6, first 2 shown]
	ds_write2_b64 v157, v[124:125], v[126:127] offset0:22 offset1:23
	s_waitcnt vmcnt(1)
	v_mov_b32_e32 v124, v80
	v_mov_b32_e32 v125, v81
	s_waitcnt vmcnt(0)
	ds_write2_b64 v157, v[124:125], v[104:105] offset0:24 offset1:25
	ds_read_b64 v[124:125], v156
	s_waitcnt lgkmcnt(0)
	v_cmp_neq_f64_e32 vcc, 0, v[124:125]
	s_and_b64 exec, exec, vcc
	s_cbranch_execz .LBB51_49
; %bb.48:
	v_div_scale_f64 v[126:127], s[6:7], v[124:125], v[124:125], 1.0
	v_rcp_f64_e32 v[128:129], v[126:127]
	v_div_scale_f64 v[130:131], vcc, 1.0, v[124:125], 1.0
	v_fma_f64 v[132:133], -v[126:127], v[128:129], 1.0
	v_fmac_f64_e32 v[128:129], v[128:129], v[132:133]
	v_fma_f64 v[132:133], -v[126:127], v[128:129], 1.0
	v_fmac_f64_e32 v[128:129], v[128:129], v[132:133]
	v_mul_f64 v[132:133], v[130:131], v[128:129]
	v_fma_f64 v[126:127], -v[126:127], v[132:133], v[130:131]
	v_div_fmas_f64 v[126:127], v[126:127], v[128:129], v[132:133]
	v_div_fixup_f64 v[124:125], v[126:127], v[124:125], 1.0
	ds_write_b64 v156, v[124:125]
.LBB51_49:
	s_or_b64 exec, exec, s[2:3]
	s_waitcnt lgkmcnt(0)
	s_barrier
	ds_read_b64 v[124:125], v156
	v_cmp_lt_u32_e32 vcc, 9, v158
	s_and_saveexec_b64 s[2:3], vcc
	s_cbranch_execz .LBB51_51
; %bb.50:
	ds_read2_b64 v[126:129], v157 offset0:10 offset1:11
	ds_read2_b64 v[130:133], v157 offset0:12 offset1:13
	s_waitcnt vmcnt(16) lgkmcnt(2)
	v_mul_f64 v[70:71], v[124:125], v[70:71]
	ds_read2_b64 v[134:137], v157 offset0:14 offset1:15
	s_waitcnt vmcnt(15) lgkmcnt(2)
	v_fma_f64 v[94:95], -v[70:71], v[126:127], v[94:95]
	s_waitcnt vmcnt(14)
	v_fma_f64 v[68:69], -v[70:71], v[128:129], v[68:69]
	ds_read2_b64 v[126:129], v157 offset0:16 offset1:17
	s_waitcnt vmcnt(13) lgkmcnt(2)
	v_fma_f64 v[92:93], -v[70:71], v[130:131], v[92:93]
	s_waitcnt vmcnt(12)
	v_fma_f64 v[66:67], -v[70:71], v[132:133], v[66:67]
	;; [unrolled: 5-line block ×3, first 2 shown]
	s_waitcnt vmcnt(9) lgkmcnt(1)
	v_fma_f64 v[88:89], -v[70:71], v[126:127], v[88:89]
	s_waitcnt vmcnt(8)
	v_fma_f64 v[62:63], -v[70:71], v[128:129], v[62:63]
	ds_read2_b64 v[126:129], v157 offset0:20 offset1:21
	s_waitcnt vmcnt(7) lgkmcnt(1)
	v_fma_f64 v[86:87], -v[70:71], v[130:131], v[86:87]
	ds_read2_b64 v[134:137], v157 offset0:22 offset1:23
	s_waitcnt vmcnt(6)
	v_fma_f64 v[60:61], -v[70:71], v[132:133], v[60:61]
	ds_read2_b64 v[130:133], v157 offset0:24 offset1:25
	s_waitcnt vmcnt(5) lgkmcnt(2)
	v_fma_f64 v[84:85], -v[70:71], v[126:127], v[84:85]
	s_waitcnt vmcnt(4)
	v_fma_f64 v[58:59], -v[70:71], v[128:129], v[58:59]
	s_waitcnt vmcnt(3) lgkmcnt(1)
	v_fma_f64 v[82:83], -v[70:71], v[134:135], v[82:83]
	s_waitcnt vmcnt(2)
	v_fma_f64 v[56:57], -v[70:71], v[136:137], v[56:57]
	;; [unrolled: 4-line block ×3, first 2 shown]
.LBB51_51:
	s_or_b64 exec, exec, s[2:3]
	v_cmp_eq_u32_e32 vcc, 10, v158
	s_waitcnt lgkmcnt(0)
	s_barrier
	s_and_saveexec_b64 s[2:3], vcc
	s_cbranch_execz .LBB51_54
; %bb.52:
	s_waitcnt vmcnt(15)
	ds_write_b64 v156, v[94:95]
	s_waitcnt vmcnt(13)
	ds_write2_b64 v157, v[68:69], v[92:93] offset0:11 offset1:12
	s_waitcnt vmcnt(11)
	ds_write2_b64 v157, v[66:67], v[90:91] offset0:13 offset1:14
	;; [unrolled: 2-line block ×7, first 2 shown]
	s_waitcnt vmcnt(0)
	ds_write_b64 v157, v[104:105] offset:200
	ds_read_b64 v[126:127], v156
	s_waitcnt lgkmcnt(0)
	v_cmp_neq_f64_e32 vcc, 0, v[126:127]
	s_and_b64 exec, exec, vcc
	s_cbranch_execz .LBB51_54
; %bb.53:
	v_div_scale_f64 v[128:129], s[6:7], v[126:127], v[126:127], 1.0
	v_rcp_f64_e32 v[130:131], v[128:129]
	v_div_scale_f64 v[132:133], vcc, 1.0, v[126:127], 1.0
	v_fma_f64 v[134:135], -v[128:129], v[130:131], 1.0
	v_fmac_f64_e32 v[130:131], v[130:131], v[134:135]
	v_fma_f64 v[134:135], -v[128:129], v[130:131], 1.0
	v_fmac_f64_e32 v[130:131], v[130:131], v[134:135]
	v_mul_f64 v[134:135], v[132:133], v[130:131]
	v_fma_f64 v[128:129], -v[128:129], v[134:135], v[132:133]
	v_div_fmas_f64 v[128:129], v[128:129], v[130:131], v[134:135]
	v_div_fixup_f64 v[126:127], v[128:129], v[126:127], 1.0
	ds_write_b64 v156, v[126:127]
.LBB51_54:
	s_or_b64 exec, exec, s[2:3]
	s_waitcnt lgkmcnt(0)
	s_barrier
	ds_read_b64 v[126:127], v156
	v_cmp_lt_u32_e32 vcc, 10, v158
	s_and_saveexec_b64 s[2:3], vcc
	s_cbranch_execz .LBB51_56
; %bb.55:
	ds_read2_b64 v[128:131], v157 offset0:11 offset1:12
	ds_read2_b64 v[132:135], v157 offset0:13 offset1:14
	s_waitcnt vmcnt(15) lgkmcnt(2)
	v_mul_f64 v[94:95], v[126:127], v[94:95]
	ds_read2_b64 v[136:139], v157 offset0:15 offset1:16
	s_waitcnt vmcnt(14) lgkmcnt(2)
	v_fma_f64 v[68:69], -v[94:95], v[128:129], v[68:69]
	s_waitcnt vmcnt(13)
	v_fma_f64 v[92:93], -v[94:95], v[130:131], v[92:93]
	ds_read2_b64 v[128:131], v157 offset0:17 offset1:18
	s_waitcnt vmcnt(12) lgkmcnt(2)
	v_fma_f64 v[66:67], -v[94:95], v[132:133], v[66:67]
	s_waitcnt vmcnt(11)
	v_fma_f64 v[90:91], -v[94:95], v[134:135], v[90:91]
	;; [unrolled: 5-line block ×3, first 2 shown]
	s_waitcnt vmcnt(8) lgkmcnt(1)
	v_fma_f64 v[62:63], -v[94:95], v[128:129], v[62:63]
	s_waitcnt vmcnt(7)
	v_fma_f64 v[86:87], -v[94:95], v[130:131], v[86:87]
	ds_read2_b64 v[128:131], v157 offset0:21 offset1:22
	s_waitcnt vmcnt(6) lgkmcnt(1)
	v_fma_f64 v[60:61], -v[94:95], v[132:133], v[60:61]
	ds_read2_b64 v[136:139], v157 offset0:23 offset1:24
	ds_read_b64 v[132:133], v157 offset:200
	s_waitcnt vmcnt(5)
	v_fma_f64 v[84:85], -v[94:95], v[134:135], v[84:85]
	s_waitcnt vmcnt(4) lgkmcnt(2)
	v_fma_f64 v[58:59], -v[94:95], v[128:129], v[58:59]
	s_waitcnt vmcnt(3)
	v_fma_f64 v[82:83], -v[94:95], v[130:131], v[82:83]
	s_waitcnt vmcnt(2) lgkmcnt(1)
	v_fma_f64 v[56:57], -v[94:95], v[136:137], v[56:57]
	;; [unrolled: 4-line block ×3, first 2 shown]
.LBB51_56:
	s_or_b64 exec, exec, s[2:3]
	v_cmp_eq_u32_e32 vcc, 11, v158
	s_waitcnt lgkmcnt(0)
	s_barrier
	s_and_saveexec_b64 s[2:3], vcc
	s_cbranch_execz .LBB51_59
; %bb.57:
	s_waitcnt vmcnt(13)
	v_mov_b32_e32 v128, v92
	v_mov_b32_e32 v129, v93
	s_waitcnt vmcnt(12)
	v_mov_b32_e32 v130, v66
	v_mov_b32_e32 v131, v67
	ds_write_b64 v156, v[68:69]
	ds_write2_b64 v157, v[128:129], v[130:131] offset0:12 offset1:13
	s_waitcnt vmcnt(11)
	v_mov_b32_e32 v128, v90
	v_mov_b32_e32 v129, v91
	s_waitcnt vmcnt(10)
	v_mov_b32_e32 v130, v64
	v_mov_b32_e32 v131, v65
	ds_write2_b64 v157, v[128:129], v[130:131] offset0:14 offset1:15
	s_waitcnt vmcnt(9)
	v_mov_b32_e32 v128, v88
	v_mov_b32_e32 v129, v89
	s_waitcnt vmcnt(8)
	v_mov_b32_e32 v130, v62
	v_mov_b32_e32 v131, v63
	ds_write2_b64 v157, v[128:129], v[130:131] offset0:16 offset1:17
	s_waitcnt vmcnt(7)
	v_mov_b32_e32 v128, v86
	v_mov_b32_e32 v129, v87
	s_waitcnt vmcnt(6)
	v_mov_b32_e32 v130, v60
	v_mov_b32_e32 v131, v61
	ds_write2_b64 v157, v[128:129], v[130:131] offset0:18 offset1:19
	s_waitcnt vmcnt(5)
	v_mov_b32_e32 v128, v84
	v_mov_b32_e32 v129, v85
	s_waitcnt vmcnt(4)
	v_mov_b32_e32 v130, v58
	v_mov_b32_e32 v131, v59
	ds_write2_b64 v157, v[128:129], v[130:131] offset0:20 offset1:21
	s_waitcnt vmcnt(3)
	v_mov_b32_e32 v128, v82
	v_mov_b32_e32 v129, v83
	s_waitcnt vmcnt(2)
	v_mov_b32_e32 v130, v56
	v_mov_b32_e32 v131, v57
	ds_write2_b64 v157, v[128:129], v[130:131] offset0:22 offset1:23
	s_waitcnt vmcnt(1)
	v_mov_b32_e32 v128, v80
	v_mov_b32_e32 v129, v81
	s_waitcnt vmcnt(0)
	ds_write2_b64 v157, v[128:129], v[104:105] offset0:24 offset1:25
	ds_read_b64 v[128:129], v156
	s_waitcnt lgkmcnt(0)
	v_cmp_neq_f64_e32 vcc, 0, v[128:129]
	s_and_b64 exec, exec, vcc
	s_cbranch_execz .LBB51_59
; %bb.58:
	v_div_scale_f64 v[130:131], s[6:7], v[128:129], v[128:129], 1.0
	v_rcp_f64_e32 v[132:133], v[130:131]
	v_div_scale_f64 v[134:135], vcc, 1.0, v[128:129], 1.0
	v_fma_f64 v[136:137], -v[130:131], v[132:133], 1.0
	v_fmac_f64_e32 v[132:133], v[132:133], v[136:137]
	v_fma_f64 v[136:137], -v[130:131], v[132:133], 1.0
	v_fmac_f64_e32 v[132:133], v[132:133], v[136:137]
	v_mul_f64 v[136:137], v[134:135], v[132:133]
	v_fma_f64 v[130:131], -v[130:131], v[136:137], v[134:135]
	v_div_fmas_f64 v[130:131], v[130:131], v[132:133], v[136:137]
	v_div_fixup_f64 v[128:129], v[130:131], v[128:129], 1.0
	ds_write_b64 v156, v[128:129]
.LBB51_59:
	s_or_b64 exec, exec, s[2:3]
	s_waitcnt lgkmcnt(0)
	s_barrier
	ds_read_b64 v[128:129], v156
	v_cmp_lt_u32_e32 vcc, 11, v158
	s_and_saveexec_b64 s[2:3], vcc
	s_cbranch_execz .LBB51_61
; %bb.60:
	ds_read2_b64 v[130:133], v157 offset0:12 offset1:13
	ds_read2_b64 v[134:137], v157 offset0:14 offset1:15
	s_waitcnt vmcnt(14) lgkmcnt(2)
	v_mul_f64 v[68:69], v[128:129], v[68:69]
	ds_read2_b64 v[138:141], v157 offset0:16 offset1:17
	s_waitcnt vmcnt(13) lgkmcnt(2)
	v_fma_f64 v[92:93], -v[68:69], v[130:131], v[92:93]
	s_waitcnt vmcnt(12)
	v_fma_f64 v[66:67], -v[68:69], v[132:133], v[66:67]
	ds_read2_b64 v[130:133], v157 offset0:18 offset1:19
	s_waitcnt vmcnt(11) lgkmcnt(2)
	v_fma_f64 v[90:91], -v[68:69], v[134:135], v[90:91]
	s_waitcnt vmcnt(10)
	v_fma_f64 v[64:65], -v[68:69], v[136:137], v[64:65]
	s_waitcnt vmcnt(9) lgkmcnt(1)
	v_fma_f64 v[88:89], -v[68:69], v[138:139], v[88:89]
	s_waitcnt vmcnt(8)
	v_fma_f64 v[62:63], -v[68:69], v[140:141], v[62:63]
	ds_read2_b64 v[134:137], v157 offset0:20 offset1:21
	ds_read2_b64 v[138:141], v157 offset0:22 offset1:23
	s_waitcnt vmcnt(7) lgkmcnt(2)
	v_fma_f64 v[86:87], -v[68:69], v[130:131], v[86:87]
	s_waitcnt vmcnt(6)
	v_fma_f64 v[60:61], -v[68:69], v[132:133], v[60:61]
	ds_read2_b64 v[130:133], v157 offset0:24 offset1:25
	s_waitcnt vmcnt(5) lgkmcnt(2)
	v_fma_f64 v[84:85], -v[68:69], v[134:135], v[84:85]
	s_waitcnt vmcnt(4)
	v_fma_f64 v[58:59], -v[68:69], v[136:137], v[58:59]
	s_waitcnt vmcnt(3) lgkmcnt(1)
	v_fma_f64 v[82:83], -v[68:69], v[138:139], v[82:83]
	s_waitcnt vmcnt(2)
	v_fma_f64 v[56:57], -v[68:69], v[140:141], v[56:57]
	;; [unrolled: 4-line block ×3, first 2 shown]
.LBB51_61:
	s_or_b64 exec, exec, s[2:3]
	v_cmp_eq_u32_e32 vcc, 12, v158
	s_waitcnt lgkmcnt(0)
	s_barrier
	s_and_saveexec_b64 s[2:3], vcc
	s_cbranch_execz .LBB51_64
; %bb.62:
	s_waitcnt vmcnt(13)
	ds_write_b64 v156, v[92:93]
	s_waitcnt vmcnt(11)
	ds_write2_b64 v157, v[66:67], v[90:91] offset0:13 offset1:14
	s_waitcnt vmcnt(9)
	ds_write2_b64 v157, v[64:65], v[88:89] offset0:15 offset1:16
	;; [unrolled: 2-line block ×6, first 2 shown]
	s_waitcnt vmcnt(0)
	ds_write_b64 v157, v[104:105] offset:200
	ds_read_b64 v[130:131], v156
	s_waitcnt lgkmcnt(0)
	v_cmp_neq_f64_e32 vcc, 0, v[130:131]
	s_and_b64 exec, exec, vcc
	s_cbranch_execz .LBB51_64
; %bb.63:
	v_div_scale_f64 v[132:133], s[6:7], v[130:131], v[130:131], 1.0
	v_rcp_f64_e32 v[134:135], v[132:133]
	v_div_scale_f64 v[136:137], vcc, 1.0, v[130:131], 1.0
	v_fma_f64 v[138:139], -v[132:133], v[134:135], 1.0
	v_fmac_f64_e32 v[134:135], v[134:135], v[138:139]
	v_fma_f64 v[138:139], -v[132:133], v[134:135], 1.0
	v_fmac_f64_e32 v[134:135], v[134:135], v[138:139]
	v_mul_f64 v[138:139], v[136:137], v[134:135]
	v_fma_f64 v[132:133], -v[132:133], v[138:139], v[136:137]
	v_div_fmas_f64 v[132:133], v[132:133], v[134:135], v[138:139]
	v_div_fixup_f64 v[130:131], v[132:133], v[130:131], 1.0
	ds_write_b64 v156, v[130:131]
.LBB51_64:
	s_or_b64 exec, exec, s[2:3]
	s_waitcnt lgkmcnt(0)
	s_barrier
	ds_read_b64 v[130:131], v156
	v_cmp_lt_u32_e32 vcc, 12, v158
	s_and_saveexec_b64 s[2:3], vcc
	s_cbranch_execz .LBB51_66
; %bb.65:
	ds_read2_b64 v[132:135], v157 offset0:13 offset1:14
	ds_read2_b64 v[136:139], v157 offset0:15 offset1:16
	s_waitcnt vmcnt(13) lgkmcnt(2)
	v_mul_f64 v[92:93], v[130:131], v[92:93]
	ds_read2_b64 v[140:143], v157 offset0:17 offset1:18
	s_waitcnt vmcnt(12) lgkmcnt(2)
	v_fma_f64 v[66:67], -v[92:93], v[132:133], v[66:67]
	s_waitcnt vmcnt(11)
	v_fma_f64 v[90:91], -v[92:93], v[134:135], v[90:91]
	ds_read2_b64 v[132:135], v157 offset0:19 offset1:20
	s_waitcnt vmcnt(10) lgkmcnt(2)
	v_fma_f64 v[64:65], -v[92:93], v[136:137], v[64:65]
	s_waitcnt vmcnt(9)
	v_fma_f64 v[88:89], -v[92:93], v[138:139], v[88:89]
	s_waitcnt vmcnt(8) lgkmcnt(1)
	v_fma_f64 v[62:63], -v[92:93], v[140:141], v[62:63]
	s_waitcnt vmcnt(7)
	v_fma_f64 v[86:87], -v[92:93], v[142:143], v[86:87]
	ds_read2_b64 v[136:139], v157 offset0:21 offset1:22
	ds_read2_b64 v[140:143], v157 offset0:23 offset1:24
	s_waitcnt vmcnt(6) lgkmcnt(2)
	v_fma_f64 v[60:61], -v[92:93], v[132:133], v[60:61]
	ds_read_b64 v[132:133], v157 offset:200
	s_waitcnt vmcnt(5)
	v_fma_f64 v[84:85], -v[92:93], v[134:135], v[84:85]
	s_waitcnt vmcnt(4) lgkmcnt(2)
	v_fma_f64 v[58:59], -v[92:93], v[136:137], v[58:59]
	s_waitcnt vmcnt(3)
	v_fma_f64 v[82:83], -v[92:93], v[138:139], v[82:83]
	s_waitcnt vmcnt(2) lgkmcnt(1)
	v_fma_f64 v[56:57], -v[92:93], v[140:141], v[56:57]
	;; [unrolled: 4-line block ×3, first 2 shown]
.LBB51_66:
	s_or_b64 exec, exec, s[2:3]
	v_cmp_eq_u32_e32 vcc, 13, v158
	s_waitcnt lgkmcnt(0)
	s_barrier
	s_and_saveexec_b64 s[2:3], vcc
	s_cbranch_execz .LBB51_69
; %bb.67:
	s_waitcnt vmcnt(11)
	v_mov_b32_e32 v132, v90
	v_mov_b32_e32 v133, v91
	s_waitcnt vmcnt(10)
	v_mov_b32_e32 v134, v64
	v_mov_b32_e32 v135, v65
	ds_write_b64 v156, v[66:67]
	ds_write2_b64 v157, v[132:133], v[134:135] offset0:14 offset1:15
	s_waitcnt vmcnt(9)
	v_mov_b32_e32 v132, v88
	v_mov_b32_e32 v133, v89
	s_waitcnt vmcnt(8)
	v_mov_b32_e32 v134, v62
	v_mov_b32_e32 v135, v63
	ds_write2_b64 v157, v[132:133], v[134:135] offset0:16 offset1:17
	s_waitcnt vmcnt(7)
	v_mov_b32_e32 v132, v86
	v_mov_b32_e32 v133, v87
	s_waitcnt vmcnt(6)
	v_mov_b32_e32 v134, v60
	v_mov_b32_e32 v135, v61
	;; [unrolled: 7-line block ×4, first 2 shown]
	ds_write2_b64 v157, v[132:133], v[134:135] offset0:22 offset1:23
	s_waitcnt vmcnt(1)
	v_mov_b32_e32 v132, v80
	v_mov_b32_e32 v133, v81
	s_waitcnt vmcnt(0)
	ds_write2_b64 v157, v[132:133], v[104:105] offset0:24 offset1:25
	ds_read_b64 v[132:133], v156
	s_waitcnt lgkmcnt(0)
	v_cmp_neq_f64_e32 vcc, 0, v[132:133]
	s_and_b64 exec, exec, vcc
	s_cbranch_execz .LBB51_69
; %bb.68:
	v_div_scale_f64 v[134:135], s[6:7], v[132:133], v[132:133], 1.0
	v_rcp_f64_e32 v[136:137], v[134:135]
	v_div_scale_f64 v[138:139], vcc, 1.0, v[132:133], 1.0
	v_fma_f64 v[140:141], -v[134:135], v[136:137], 1.0
	v_fmac_f64_e32 v[136:137], v[136:137], v[140:141]
	v_fma_f64 v[140:141], -v[134:135], v[136:137], 1.0
	v_fmac_f64_e32 v[136:137], v[136:137], v[140:141]
	v_mul_f64 v[140:141], v[138:139], v[136:137]
	v_fma_f64 v[134:135], -v[134:135], v[140:141], v[138:139]
	v_div_fmas_f64 v[134:135], v[134:135], v[136:137], v[140:141]
	v_div_fixup_f64 v[132:133], v[134:135], v[132:133], 1.0
	ds_write_b64 v156, v[132:133]
.LBB51_69:
	s_or_b64 exec, exec, s[2:3]
	s_waitcnt lgkmcnt(0)
	s_barrier
	ds_read_b64 v[132:133], v156
	v_cmp_lt_u32_e32 vcc, 13, v158
	s_and_saveexec_b64 s[2:3], vcc
	s_cbranch_execz .LBB51_71
; %bb.70:
	ds_read2_b64 v[134:137], v157 offset0:14 offset1:15
	ds_read2_b64 v[138:141], v157 offset0:16 offset1:17
	;; [unrolled: 1-line block ×3, first 2 shown]
	s_waitcnt vmcnt(12) lgkmcnt(3)
	v_mul_f64 v[66:67], v[132:133], v[66:67]
	s_waitcnt vmcnt(11) lgkmcnt(2)
	v_fma_f64 v[90:91], -v[66:67], v[134:135], v[90:91]
	s_waitcnt vmcnt(10)
	v_fma_f64 v[64:65], -v[66:67], v[136:137], v[64:65]
	ds_read2_b64 v[134:137], v157 offset0:20 offset1:21
	s_waitcnt vmcnt(9) lgkmcnt(2)
	v_fma_f64 v[88:89], -v[66:67], v[138:139], v[88:89]
	s_waitcnt vmcnt(8)
	v_fma_f64 v[62:63], -v[66:67], v[140:141], v[62:63]
	s_waitcnt vmcnt(7) lgkmcnt(1)
	v_fma_f64 v[86:87], -v[66:67], v[142:143], v[86:87]
	ds_read2_b64 v[138:141], v157 offset0:22 offset1:23
	s_waitcnt vmcnt(6)
	v_fma_f64 v[60:61], -v[66:67], v[144:145], v[60:61]
	ds_read2_b64 v[142:145], v157 offset0:24 offset1:25
	s_waitcnt vmcnt(5) lgkmcnt(2)
	v_fma_f64 v[84:85], -v[66:67], v[134:135], v[84:85]
	s_waitcnt vmcnt(4)
	v_fma_f64 v[58:59], -v[66:67], v[136:137], v[58:59]
	s_waitcnt vmcnt(3) lgkmcnt(1)
	v_fma_f64 v[82:83], -v[66:67], v[138:139], v[82:83]
	s_waitcnt vmcnt(2)
	v_fma_f64 v[56:57], -v[66:67], v[140:141], v[56:57]
	;; [unrolled: 4-line block ×3, first 2 shown]
.LBB51_71:
	s_or_b64 exec, exec, s[2:3]
	v_cmp_eq_u32_e32 vcc, 14, v158
	s_waitcnt lgkmcnt(0)
	s_barrier
	s_and_saveexec_b64 s[2:3], vcc
	s_cbranch_execz .LBB51_74
; %bb.72:
	s_waitcnt vmcnt(11)
	ds_write_b64 v156, v[90:91]
	s_waitcnt vmcnt(9)
	ds_write2_b64 v157, v[64:65], v[88:89] offset0:15 offset1:16
	s_waitcnt vmcnt(7)
	ds_write2_b64 v157, v[62:63], v[86:87] offset0:17 offset1:18
	;; [unrolled: 2-line block ×5, first 2 shown]
	s_waitcnt vmcnt(0)
	ds_write_b64 v157, v[104:105] offset:200
	ds_read_b64 v[134:135], v156
	s_waitcnt lgkmcnt(0)
	v_cmp_neq_f64_e32 vcc, 0, v[134:135]
	s_and_b64 exec, exec, vcc
	s_cbranch_execz .LBB51_74
; %bb.73:
	v_div_scale_f64 v[136:137], s[6:7], v[134:135], v[134:135], 1.0
	v_rcp_f64_e32 v[138:139], v[136:137]
	v_div_scale_f64 v[140:141], vcc, 1.0, v[134:135], 1.0
	v_fma_f64 v[142:143], -v[136:137], v[138:139], 1.0
	v_fmac_f64_e32 v[138:139], v[138:139], v[142:143]
	v_fma_f64 v[142:143], -v[136:137], v[138:139], 1.0
	v_fmac_f64_e32 v[138:139], v[138:139], v[142:143]
	v_mul_f64 v[142:143], v[140:141], v[138:139]
	v_fma_f64 v[136:137], -v[136:137], v[142:143], v[140:141]
	v_div_fmas_f64 v[136:137], v[136:137], v[138:139], v[142:143]
	v_div_fixup_f64 v[134:135], v[136:137], v[134:135], 1.0
	ds_write_b64 v156, v[134:135]
.LBB51_74:
	s_or_b64 exec, exec, s[2:3]
	s_waitcnt lgkmcnt(0)
	s_barrier
	ds_read_b64 v[134:135], v156
	v_cmp_lt_u32_e32 vcc, 14, v158
	s_and_saveexec_b64 s[2:3], vcc
	s_cbranch_execz .LBB51_76
; %bb.75:
	ds_read2_b64 v[136:139], v157 offset0:15 offset1:16
	ds_read2_b64 v[140:143], v157 offset0:17 offset1:18
	;; [unrolled: 1-line block ×3, first 2 shown]
	s_waitcnt vmcnt(11) lgkmcnt(3)
	v_mul_f64 v[90:91], v[134:135], v[90:91]
	s_waitcnt vmcnt(10) lgkmcnt(2)
	v_fma_f64 v[64:65], -v[90:91], v[136:137], v[64:65]
	s_waitcnt vmcnt(9)
	v_fma_f64 v[88:89], -v[90:91], v[138:139], v[88:89]
	ds_read2_b64 v[136:139], v157 offset0:21 offset1:22
	s_waitcnt vmcnt(8) lgkmcnt(2)
	v_fma_f64 v[62:63], -v[90:91], v[140:141], v[62:63]
	s_waitcnt vmcnt(7)
	v_fma_f64 v[86:87], -v[90:91], v[142:143], v[86:87]
	s_waitcnt vmcnt(6) lgkmcnt(1)
	v_fma_f64 v[60:61], -v[90:91], v[144:145], v[60:61]
	ds_read2_b64 v[140:143], v157 offset0:23 offset1:24
	ds_read_b64 v[144:145], v157 offset:200
	s_waitcnt vmcnt(5)
	v_fma_f64 v[84:85], -v[90:91], v[146:147], v[84:85]
	s_waitcnt vmcnt(4) lgkmcnt(2)
	v_fma_f64 v[58:59], -v[90:91], v[136:137], v[58:59]
	s_waitcnt vmcnt(3)
	v_fma_f64 v[82:83], -v[90:91], v[138:139], v[82:83]
	s_waitcnt vmcnt(2) lgkmcnt(1)
	v_fma_f64 v[56:57], -v[90:91], v[140:141], v[56:57]
	;; [unrolled: 4-line block ×3, first 2 shown]
.LBB51_76:
	s_or_b64 exec, exec, s[2:3]
	v_cmp_eq_u32_e32 vcc, 15, v158
	s_waitcnt lgkmcnt(0)
	s_barrier
	s_and_saveexec_b64 s[2:3], vcc
	s_cbranch_execz .LBB51_79
; %bb.77:
	s_waitcnt vmcnt(9)
	v_mov_b32_e32 v136, v88
	v_mov_b32_e32 v137, v89
	s_waitcnt vmcnt(8)
	v_mov_b32_e32 v138, v62
	v_mov_b32_e32 v139, v63
	ds_write_b64 v156, v[64:65]
	ds_write2_b64 v157, v[136:137], v[138:139] offset0:16 offset1:17
	s_waitcnt vmcnt(7)
	v_mov_b32_e32 v136, v86
	v_mov_b32_e32 v137, v87
	s_waitcnt vmcnt(6)
	v_mov_b32_e32 v138, v60
	v_mov_b32_e32 v139, v61
	ds_write2_b64 v157, v[136:137], v[138:139] offset0:18 offset1:19
	s_waitcnt vmcnt(5)
	v_mov_b32_e32 v136, v84
	v_mov_b32_e32 v137, v85
	s_waitcnt vmcnt(4)
	v_mov_b32_e32 v138, v58
	v_mov_b32_e32 v139, v59
	;; [unrolled: 7-line block ×3, first 2 shown]
	ds_write2_b64 v157, v[136:137], v[138:139] offset0:22 offset1:23
	s_waitcnt vmcnt(1)
	v_mov_b32_e32 v136, v80
	v_mov_b32_e32 v137, v81
	s_waitcnt vmcnt(0)
	ds_write2_b64 v157, v[136:137], v[104:105] offset0:24 offset1:25
	ds_read_b64 v[136:137], v156
	s_waitcnt lgkmcnt(0)
	v_cmp_neq_f64_e32 vcc, 0, v[136:137]
	s_and_b64 exec, exec, vcc
	s_cbranch_execz .LBB51_79
; %bb.78:
	v_div_scale_f64 v[138:139], s[6:7], v[136:137], v[136:137], 1.0
	v_rcp_f64_e32 v[140:141], v[138:139]
	v_div_scale_f64 v[142:143], vcc, 1.0, v[136:137], 1.0
	v_fma_f64 v[144:145], -v[138:139], v[140:141], 1.0
	v_fmac_f64_e32 v[140:141], v[140:141], v[144:145]
	v_fma_f64 v[144:145], -v[138:139], v[140:141], 1.0
	v_fmac_f64_e32 v[140:141], v[140:141], v[144:145]
	v_mul_f64 v[144:145], v[142:143], v[140:141]
	v_fma_f64 v[138:139], -v[138:139], v[144:145], v[142:143]
	v_div_fmas_f64 v[138:139], v[138:139], v[140:141], v[144:145]
	v_div_fixup_f64 v[136:137], v[138:139], v[136:137], 1.0
	ds_write_b64 v156, v[136:137]
.LBB51_79:
	s_or_b64 exec, exec, s[2:3]
	s_waitcnt lgkmcnt(0)
	s_barrier
	ds_read_b64 v[136:137], v156
	v_cmp_lt_u32_e32 vcc, 15, v158
	s_and_saveexec_b64 s[2:3], vcc
	s_cbranch_execz .LBB51_81
; %bb.80:
	ds_read2_b64 v[138:141], v157 offset0:16 offset1:17
	ds_read2_b64 v[142:145], v157 offset0:18 offset1:19
	s_waitcnt vmcnt(10) lgkmcnt(2)
	v_mul_f64 v[64:65], v[136:137], v[64:65]
	ds_read2_b64 v[146:149], v157 offset0:22 offset1:23
	s_waitcnt vmcnt(9) lgkmcnt(2)
	v_fma_f64 v[88:89], -v[64:65], v[138:139], v[88:89]
	s_waitcnt vmcnt(8)
	v_fma_f64 v[62:63], -v[64:65], v[140:141], v[62:63]
	ds_read2_b64 v[138:141], v157 offset0:20 offset1:21
	s_waitcnt vmcnt(7) lgkmcnt(2)
	v_fma_f64 v[86:87], -v[64:65], v[142:143], v[86:87]
	s_waitcnt vmcnt(6)
	v_fma_f64 v[60:61], -v[64:65], v[144:145], v[60:61]
	ds_read2_b64 v[142:145], v157 offset0:24 offset1:25
	s_waitcnt vmcnt(3) lgkmcnt(2)
	v_fma_f64 v[82:83], -v[64:65], v[146:147], v[82:83]
	s_waitcnt lgkmcnt(1)
	v_fma_f64 v[84:85], -v[64:65], v[138:139], v[84:85]
	v_fma_f64 v[58:59], -v[64:65], v[140:141], v[58:59]
	s_waitcnt vmcnt(2)
	v_fma_f64 v[56:57], -v[64:65], v[148:149], v[56:57]
	s_waitcnt vmcnt(1) lgkmcnt(0)
	v_fma_f64 v[80:81], -v[64:65], v[142:143], v[80:81]
	s_waitcnt vmcnt(0)
	v_fma_f64 v[104:105], -v[64:65], v[144:145], v[104:105]
.LBB51_81:
	s_or_b64 exec, exec, s[2:3]
	v_cmp_eq_u32_e32 vcc, 16, v158
	s_waitcnt lgkmcnt(0)
	s_barrier
	s_and_saveexec_b64 s[2:3], vcc
	s_cbranch_execz .LBB51_84
; %bb.82:
	s_waitcnt vmcnt(9)
	ds_write_b64 v156, v[88:89]
	s_waitcnt vmcnt(7)
	ds_write2_b64 v157, v[62:63], v[86:87] offset0:17 offset1:18
	s_waitcnt vmcnt(5)
	ds_write2_b64 v157, v[60:61], v[84:85] offset0:19 offset1:20
	;; [unrolled: 2-line block ×4, first 2 shown]
	s_waitcnt vmcnt(0)
	ds_write_b64 v157, v[104:105] offset:200
	ds_read_b64 v[138:139], v156
	s_waitcnt lgkmcnt(0)
	v_cmp_neq_f64_e32 vcc, 0, v[138:139]
	s_and_b64 exec, exec, vcc
	s_cbranch_execz .LBB51_84
; %bb.83:
	v_div_scale_f64 v[140:141], s[6:7], v[138:139], v[138:139], 1.0
	v_rcp_f64_e32 v[142:143], v[140:141]
	v_div_scale_f64 v[144:145], vcc, 1.0, v[138:139], 1.0
	v_fma_f64 v[146:147], -v[140:141], v[142:143], 1.0
	v_fmac_f64_e32 v[142:143], v[142:143], v[146:147]
	v_fma_f64 v[146:147], -v[140:141], v[142:143], 1.0
	v_fmac_f64_e32 v[142:143], v[142:143], v[146:147]
	v_mul_f64 v[146:147], v[144:145], v[142:143]
	v_fma_f64 v[140:141], -v[140:141], v[146:147], v[144:145]
	v_div_fmas_f64 v[140:141], v[140:141], v[142:143], v[146:147]
	v_div_fixup_f64 v[138:139], v[140:141], v[138:139], 1.0
	ds_write_b64 v156, v[138:139]
.LBB51_84:
	s_or_b64 exec, exec, s[2:3]
	s_waitcnt lgkmcnt(0)
	s_barrier
	ds_read_b64 v[138:139], v156
	v_cmp_lt_u32_e32 vcc, 16, v158
	s_and_saveexec_b64 s[2:3], vcc
	s_cbranch_execz .LBB51_86
; %bb.85:
	ds_read2_b64 v[140:143], v157 offset0:17 offset1:18
	ds_read2_b64 v[144:147], v157 offset0:19 offset1:20
	s_waitcnt vmcnt(9) lgkmcnt(2)
	v_mul_f64 v[88:89], v[138:139], v[88:89]
	ds_read2_b64 v[148:151], v157 offset0:23 offset1:24
	s_waitcnt vmcnt(8) lgkmcnt(2)
	v_fma_f64 v[62:63], -v[88:89], v[140:141], v[62:63]
	s_waitcnt vmcnt(7)
	v_fma_f64 v[86:87], -v[88:89], v[142:143], v[86:87]
	ds_read2_b64 v[140:143], v157 offset0:21 offset1:22
	s_waitcnt vmcnt(6) lgkmcnt(2)
	v_fma_f64 v[60:61], -v[88:89], v[144:145], v[60:61]
	ds_read_b64 v[144:145], v157 offset:200
	s_waitcnt vmcnt(5)
	v_fma_f64 v[84:85], -v[88:89], v[146:147], v[84:85]
	s_waitcnt vmcnt(2) lgkmcnt(2)
	v_fma_f64 v[56:57], -v[88:89], v[148:149], v[56:57]
	s_waitcnt lgkmcnt(1)
	v_fma_f64 v[58:59], -v[88:89], v[140:141], v[58:59]
	v_fma_f64 v[82:83], -v[88:89], v[142:143], v[82:83]
	s_waitcnt vmcnt(1)
	v_fma_f64 v[80:81], -v[88:89], v[150:151], v[80:81]
	s_waitcnt vmcnt(0) lgkmcnt(0)
	v_fma_f64 v[104:105], -v[88:89], v[144:145], v[104:105]
.LBB51_86:
	s_or_b64 exec, exec, s[2:3]
	v_cmp_eq_u32_e32 vcc, 17, v158
	s_waitcnt lgkmcnt(0)
	s_barrier
	s_and_saveexec_b64 s[2:3], vcc
	s_cbranch_execz .LBB51_89
; %bb.87:
	s_waitcnt vmcnt(7)
	v_mov_b32_e32 v140, v86
	v_mov_b32_e32 v141, v87
	s_waitcnt vmcnt(6)
	v_mov_b32_e32 v142, v60
	v_mov_b32_e32 v143, v61
	ds_write_b64 v156, v[62:63]
	ds_write2_b64 v157, v[140:141], v[142:143] offset0:18 offset1:19
	s_waitcnt vmcnt(5)
	v_mov_b32_e32 v140, v84
	v_mov_b32_e32 v141, v85
	s_waitcnt vmcnt(4)
	v_mov_b32_e32 v142, v58
	v_mov_b32_e32 v143, v59
	ds_write2_b64 v157, v[140:141], v[142:143] offset0:20 offset1:21
	s_waitcnt vmcnt(3)
	v_mov_b32_e32 v140, v82
	v_mov_b32_e32 v141, v83
	s_waitcnt vmcnt(2)
	v_mov_b32_e32 v142, v56
	v_mov_b32_e32 v143, v57
	ds_write2_b64 v157, v[140:141], v[142:143] offset0:22 offset1:23
	s_waitcnt vmcnt(1)
	v_mov_b32_e32 v140, v80
	v_mov_b32_e32 v141, v81
	s_waitcnt vmcnt(0)
	ds_write2_b64 v157, v[140:141], v[104:105] offset0:24 offset1:25
	ds_read_b64 v[140:141], v156
	s_waitcnt lgkmcnt(0)
	v_cmp_neq_f64_e32 vcc, 0, v[140:141]
	s_and_b64 exec, exec, vcc
	s_cbranch_execz .LBB51_89
; %bb.88:
	v_div_scale_f64 v[142:143], s[6:7], v[140:141], v[140:141], 1.0
	v_rcp_f64_e32 v[144:145], v[142:143]
	v_div_scale_f64 v[146:147], vcc, 1.0, v[140:141], 1.0
	v_fma_f64 v[148:149], -v[142:143], v[144:145], 1.0
	v_fmac_f64_e32 v[144:145], v[144:145], v[148:149]
	v_fma_f64 v[148:149], -v[142:143], v[144:145], 1.0
	v_fmac_f64_e32 v[144:145], v[144:145], v[148:149]
	v_mul_f64 v[148:149], v[146:147], v[144:145]
	v_fma_f64 v[142:143], -v[142:143], v[148:149], v[146:147]
	v_div_fmas_f64 v[142:143], v[142:143], v[144:145], v[148:149]
	v_div_fixup_f64 v[140:141], v[142:143], v[140:141], 1.0
	ds_write_b64 v156, v[140:141]
.LBB51_89:
	s_or_b64 exec, exec, s[2:3]
	s_waitcnt lgkmcnt(0)
	s_barrier
	ds_read_b64 v[140:141], v156
	v_cmp_lt_u32_e32 vcc, 17, v158
	s_and_saveexec_b64 s[2:3], vcc
	s_cbranch_execz .LBB51_91
; %bb.90:
	ds_read2_b64 v[142:145], v157 offset0:18 offset1:19
	ds_read2_b64 v[146:149], v157 offset0:20 offset1:21
	s_waitcnt vmcnt(8) lgkmcnt(2)
	v_mul_f64 v[62:63], v[140:141], v[62:63]
	ds_read2_b64 v[150:153], v157 offset0:22 offset1:23
	s_waitcnt vmcnt(7) lgkmcnt(2)
	v_fma_f64 v[86:87], -v[62:63], v[142:143], v[86:87]
	s_waitcnt vmcnt(6)
	v_fma_f64 v[60:61], -v[62:63], v[144:145], v[60:61]
	ds_read2_b64 v[142:145], v157 offset0:24 offset1:25
	s_waitcnt vmcnt(5) lgkmcnt(2)
	v_fma_f64 v[84:85], -v[62:63], v[146:147], v[84:85]
	s_waitcnt vmcnt(4)
	v_fma_f64 v[58:59], -v[62:63], v[148:149], v[58:59]
	s_waitcnt vmcnt(3) lgkmcnt(1)
	v_fma_f64 v[82:83], -v[62:63], v[150:151], v[82:83]
	s_waitcnt vmcnt(2)
	v_fma_f64 v[56:57], -v[62:63], v[152:153], v[56:57]
	;; [unrolled: 4-line block ×3, first 2 shown]
.LBB51_91:
	s_or_b64 exec, exec, s[2:3]
	v_cmp_eq_u32_e32 vcc, 18, v158
	s_waitcnt lgkmcnt(0)
	s_barrier
	s_and_saveexec_b64 s[2:3], vcc
	s_cbranch_execz .LBB51_94
; %bb.92:
	s_waitcnt vmcnt(7)
	ds_write_b64 v156, v[86:87]
	s_waitcnt vmcnt(5)
	ds_write2_b64 v157, v[60:61], v[84:85] offset0:19 offset1:20
	s_waitcnt vmcnt(3)
	ds_write2_b64 v157, v[58:59], v[82:83] offset0:21 offset1:22
	;; [unrolled: 2-line block ×3, first 2 shown]
	s_waitcnt vmcnt(0)
	ds_write_b64 v157, v[104:105] offset:200
	ds_read_b64 v[142:143], v156
	s_waitcnt lgkmcnt(0)
	v_cmp_neq_f64_e32 vcc, 0, v[142:143]
	s_and_b64 exec, exec, vcc
	s_cbranch_execz .LBB51_94
; %bb.93:
	v_div_scale_f64 v[144:145], s[6:7], v[142:143], v[142:143], 1.0
	v_rcp_f64_e32 v[146:147], v[144:145]
	v_div_scale_f64 v[148:149], vcc, 1.0, v[142:143], 1.0
	v_fma_f64 v[150:151], -v[144:145], v[146:147], 1.0
	v_fmac_f64_e32 v[146:147], v[146:147], v[150:151]
	v_fma_f64 v[150:151], -v[144:145], v[146:147], 1.0
	v_fmac_f64_e32 v[146:147], v[146:147], v[150:151]
	v_mul_f64 v[150:151], v[148:149], v[146:147]
	v_fma_f64 v[144:145], -v[144:145], v[150:151], v[148:149]
	v_div_fmas_f64 v[144:145], v[144:145], v[146:147], v[150:151]
	v_div_fixup_f64 v[142:143], v[144:145], v[142:143], 1.0
	ds_write_b64 v156, v[142:143]
.LBB51_94:
	s_or_b64 exec, exec, s[2:3]
	s_waitcnt lgkmcnt(0)
	s_barrier
	ds_read_b64 v[142:143], v156
	v_cmp_lt_u32_e32 vcc, 18, v158
	s_and_saveexec_b64 s[2:3], vcc
	s_cbranch_execz .LBB51_96
; %bb.95:
	ds_read2_b64 v[144:147], v157 offset0:19 offset1:20
	ds_read2_b64 v[148:151], v157 offset0:21 offset1:22
	s_waitcnt vmcnt(7) lgkmcnt(2)
	v_mul_f64 v[86:87], v[142:143], v[86:87]
	ds_read2_b64 v[152:155], v157 offset0:23 offset1:24
	s_waitcnt vmcnt(6) lgkmcnt(2)
	v_fma_f64 v[60:61], -v[86:87], v[144:145], v[60:61]
	ds_read_b64 v[144:145], v157 offset:200
	s_waitcnt vmcnt(5)
	v_fma_f64 v[84:85], -v[86:87], v[146:147], v[84:85]
	s_waitcnt vmcnt(4) lgkmcnt(2)
	v_fma_f64 v[58:59], -v[86:87], v[148:149], v[58:59]
	s_waitcnt vmcnt(3)
	v_fma_f64 v[82:83], -v[86:87], v[150:151], v[82:83]
	s_waitcnt vmcnt(2) lgkmcnt(1)
	v_fma_f64 v[56:57], -v[86:87], v[152:153], v[56:57]
	;; [unrolled: 4-line block ×3, first 2 shown]
.LBB51_96:
	s_or_b64 exec, exec, s[2:3]
	v_cmp_eq_u32_e32 vcc, 19, v158
	s_waitcnt lgkmcnt(0)
	s_barrier
	s_and_saveexec_b64 s[2:3], vcc
	s_cbranch_execz .LBB51_99
; %bb.97:
	s_waitcnt vmcnt(5)
	v_mov_b32_e32 v144, v84
	v_mov_b32_e32 v145, v85
	s_waitcnt vmcnt(4)
	v_mov_b32_e32 v146, v58
	v_mov_b32_e32 v147, v59
	ds_write_b64 v156, v[60:61]
	ds_write2_b64 v157, v[144:145], v[146:147] offset0:20 offset1:21
	s_waitcnt vmcnt(3)
	v_mov_b32_e32 v144, v82
	v_mov_b32_e32 v145, v83
	s_waitcnt vmcnt(2)
	v_mov_b32_e32 v146, v56
	v_mov_b32_e32 v147, v57
	ds_write2_b64 v157, v[144:145], v[146:147] offset0:22 offset1:23
	s_waitcnt vmcnt(1)
	v_mov_b32_e32 v144, v80
	v_mov_b32_e32 v145, v81
	s_waitcnt vmcnt(0)
	ds_write2_b64 v157, v[144:145], v[104:105] offset0:24 offset1:25
	ds_read_b64 v[144:145], v156
	s_waitcnt lgkmcnt(0)
	v_cmp_neq_f64_e32 vcc, 0, v[144:145]
	s_and_b64 exec, exec, vcc
	s_cbranch_execz .LBB51_99
; %bb.98:
	v_div_scale_f64 v[146:147], s[6:7], v[144:145], v[144:145], 1.0
	v_rcp_f64_e32 v[148:149], v[146:147]
	v_div_scale_f64 v[150:151], vcc, 1.0, v[144:145], 1.0
	v_fma_f64 v[152:153], -v[146:147], v[148:149], 1.0
	v_fmac_f64_e32 v[148:149], v[148:149], v[152:153]
	v_fma_f64 v[152:153], -v[146:147], v[148:149], 1.0
	v_fmac_f64_e32 v[148:149], v[148:149], v[152:153]
	v_mul_f64 v[152:153], v[150:151], v[148:149]
	v_fma_f64 v[146:147], -v[146:147], v[152:153], v[150:151]
	v_div_fmas_f64 v[146:147], v[146:147], v[148:149], v[152:153]
	v_div_fixup_f64 v[144:145], v[146:147], v[144:145], 1.0
	ds_write_b64 v156, v[144:145]
.LBB51_99:
	s_or_b64 exec, exec, s[2:3]
	s_waitcnt lgkmcnt(0)
	s_barrier
	ds_read_b64 v[144:145], v156
	v_cmp_lt_u32_e32 vcc, 19, v158
	s_and_saveexec_b64 s[2:3], vcc
	s_cbranch_execz .LBB51_101
; %bb.100:
	ds_read2_b64 v[146:149], v157 offset0:20 offset1:21
	ds_read2_b64 v[150:153], v157 offset0:22 offset1:23
	;; [unrolled: 1-line block ×3, first 2 shown]
	s_waitcnt vmcnt(6) lgkmcnt(3)
	v_mul_f64 v[60:61], v[144:145], v[60:61]
	s_waitcnt vmcnt(5) lgkmcnt(2)
	v_fma_f64 v[84:85], -v[60:61], v[146:147], v[84:85]
	s_waitcnt vmcnt(4)
	v_fma_f64 v[58:59], -v[60:61], v[148:149], v[58:59]
	s_waitcnt vmcnt(3) lgkmcnt(1)
	v_fma_f64 v[82:83], -v[60:61], v[150:151], v[82:83]
	s_waitcnt vmcnt(2)
	v_fma_f64 v[56:57], -v[60:61], v[152:153], v[56:57]
	;; [unrolled: 4-line block ×3, first 2 shown]
.LBB51_101:
	s_or_b64 exec, exec, s[2:3]
	v_cmp_eq_u32_e32 vcc, 20, v158
	s_waitcnt lgkmcnt(0)
	s_barrier
	s_and_saveexec_b64 s[2:3], vcc
	s_cbranch_execz .LBB51_104
; %bb.102:
	s_waitcnt vmcnt(5)
	ds_write_b64 v156, v[84:85]
	s_waitcnt vmcnt(3)
	ds_write2_b64 v157, v[58:59], v[82:83] offset0:21 offset1:22
	s_waitcnt vmcnt(1)
	ds_write2_b64 v157, v[56:57], v[80:81] offset0:23 offset1:24
	s_waitcnt vmcnt(0)
	ds_write_b64 v157, v[104:105] offset:200
	ds_read_b64 v[146:147], v156
	s_waitcnt lgkmcnt(0)
	v_cmp_neq_f64_e32 vcc, 0, v[146:147]
	s_and_b64 exec, exec, vcc
	s_cbranch_execz .LBB51_104
; %bb.103:
	v_div_scale_f64 v[148:149], s[6:7], v[146:147], v[146:147], 1.0
	v_rcp_f64_e32 v[150:151], v[148:149]
	v_div_scale_f64 v[152:153], vcc, 1.0, v[146:147], 1.0
	v_fma_f64 v[154:155], -v[148:149], v[150:151], 1.0
	v_fmac_f64_e32 v[150:151], v[150:151], v[154:155]
	v_fma_f64 v[154:155], -v[148:149], v[150:151], 1.0
	v_fmac_f64_e32 v[150:151], v[150:151], v[154:155]
	v_mul_f64 v[154:155], v[152:153], v[150:151]
	v_fma_f64 v[148:149], -v[148:149], v[154:155], v[152:153]
	v_div_fmas_f64 v[148:149], v[148:149], v[150:151], v[154:155]
	v_div_fixup_f64 v[146:147], v[148:149], v[146:147], 1.0
	ds_write_b64 v156, v[146:147]
.LBB51_104:
	s_or_b64 exec, exec, s[2:3]
	s_waitcnt lgkmcnt(0)
	s_barrier
	ds_read_b64 v[146:147], v156
	v_cmp_lt_u32_e32 vcc, 20, v158
	s_and_saveexec_b64 s[2:3], vcc
	s_cbranch_execz .LBB51_106
; %bb.105:
	ds_read2_b64 v[148:151], v157 offset0:21 offset1:22
	ds_read2_b64 v[152:155], v157 offset0:23 offset1:24
	ds_read_b64 v[160:161], v157 offset:200
	s_waitcnt vmcnt(5) lgkmcnt(3)
	v_mul_f64 v[84:85], v[146:147], v[84:85]
	s_waitcnt vmcnt(4) lgkmcnt(2)
	v_fma_f64 v[58:59], -v[84:85], v[148:149], v[58:59]
	s_waitcnt vmcnt(3)
	v_fma_f64 v[82:83], -v[84:85], v[150:151], v[82:83]
	s_waitcnt vmcnt(2) lgkmcnt(1)
	v_fma_f64 v[56:57], -v[84:85], v[152:153], v[56:57]
	s_waitcnt vmcnt(1)
	v_fma_f64 v[80:81], -v[84:85], v[154:155], v[80:81]
	s_waitcnt vmcnt(0) lgkmcnt(0)
	v_fma_f64 v[104:105], -v[84:85], v[160:161], v[104:105]
.LBB51_106:
	s_or_b64 exec, exec, s[2:3]
	v_cmp_eq_u32_e32 vcc, 21, v158
	s_waitcnt lgkmcnt(0)
	s_barrier
	s_and_saveexec_b64 s[2:3], vcc
	s_cbranch_execz .LBB51_109
; %bb.107:
	s_waitcnt vmcnt(3)
	v_mov_b32_e32 v148, v82
	v_mov_b32_e32 v149, v83
	s_waitcnt vmcnt(2)
	v_mov_b32_e32 v150, v56
	v_mov_b32_e32 v151, v57
	ds_write_b64 v156, v[58:59]
	ds_write2_b64 v157, v[148:149], v[150:151] offset0:22 offset1:23
	s_waitcnt vmcnt(1)
	v_mov_b32_e32 v148, v80
	v_mov_b32_e32 v149, v81
	s_waitcnt vmcnt(0)
	ds_write2_b64 v157, v[148:149], v[104:105] offset0:24 offset1:25
	ds_read_b64 v[148:149], v156
	s_waitcnt lgkmcnt(0)
	v_cmp_neq_f64_e32 vcc, 0, v[148:149]
	s_and_b64 exec, exec, vcc
	s_cbranch_execz .LBB51_109
; %bb.108:
	v_div_scale_f64 v[150:151], s[6:7], v[148:149], v[148:149], 1.0
	v_rcp_f64_e32 v[152:153], v[150:151]
	v_div_scale_f64 v[154:155], vcc, 1.0, v[148:149], 1.0
	v_fma_f64 v[160:161], -v[150:151], v[152:153], 1.0
	v_fmac_f64_e32 v[152:153], v[152:153], v[160:161]
	v_fma_f64 v[160:161], -v[150:151], v[152:153], 1.0
	v_fmac_f64_e32 v[152:153], v[152:153], v[160:161]
	v_mul_f64 v[160:161], v[154:155], v[152:153]
	v_fma_f64 v[150:151], -v[150:151], v[160:161], v[154:155]
	v_div_fmas_f64 v[150:151], v[150:151], v[152:153], v[160:161]
	v_div_fixup_f64 v[148:149], v[150:151], v[148:149], 1.0
	ds_write_b64 v156, v[148:149]
.LBB51_109:
	s_or_b64 exec, exec, s[2:3]
	s_waitcnt lgkmcnt(0)
	s_barrier
	ds_read_b64 v[148:149], v156
	v_cmp_lt_u32_e32 vcc, 21, v158
	s_and_saveexec_b64 s[2:3], vcc
	s_cbranch_execz .LBB51_111
; %bb.110:
	ds_read2_b64 v[150:153], v157 offset0:22 offset1:23
	ds_read2_b64 v[160:163], v157 offset0:24 offset1:25
	s_waitcnt vmcnt(4) lgkmcnt(2)
	v_mul_f64 v[58:59], v[148:149], v[58:59]
	s_waitcnt vmcnt(3) lgkmcnt(1)
	v_fma_f64 v[82:83], -v[58:59], v[150:151], v[82:83]
	s_waitcnt vmcnt(2)
	v_fma_f64 v[56:57], -v[58:59], v[152:153], v[56:57]
	s_waitcnt vmcnt(1) lgkmcnt(0)
	v_fma_f64 v[80:81], -v[58:59], v[160:161], v[80:81]
	s_waitcnt vmcnt(0)
	v_fma_f64 v[104:105], -v[58:59], v[162:163], v[104:105]
.LBB51_111:
	s_or_b64 exec, exec, s[2:3]
	v_cmp_eq_u32_e32 vcc, 22, v158
	s_waitcnt lgkmcnt(0)
	s_barrier
	s_and_saveexec_b64 s[2:3], vcc
	s_cbranch_execz .LBB51_114
; %bb.112:
	s_waitcnt vmcnt(3)
	ds_write_b64 v156, v[82:83]
	s_waitcnt vmcnt(1)
	ds_write2_b64 v157, v[56:57], v[80:81] offset0:23 offset1:24
	s_waitcnt vmcnt(0)
	ds_write_b64 v157, v[104:105] offset:200
	ds_read_b64 v[150:151], v156
	s_waitcnt lgkmcnt(0)
	v_cmp_neq_f64_e32 vcc, 0, v[150:151]
	s_and_b64 exec, exec, vcc
	s_cbranch_execz .LBB51_114
; %bb.113:
	v_div_scale_f64 v[152:153], s[6:7], v[150:151], v[150:151], 1.0
	v_rcp_f64_e32 v[154:155], v[152:153]
	v_div_scale_f64 v[160:161], vcc, 1.0, v[150:151], 1.0
	v_fma_f64 v[162:163], -v[152:153], v[154:155], 1.0
	v_fmac_f64_e32 v[154:155], v[154:155], v[162:163]
	v_fma_f64 v[162:163], -v[152:153], v[154:155], 1.0
	v_fmac_f64_e32 v[154:155], v[154:155], v[162:163]
	v_mul_f64 v[162:163], v[160:161], v[154:155]
	v_fma_f64 v[152:153], -v[152:153], v[162:163], v[160:161]
	v_div_fmas_f64 v[152:153], v[152:153], v[154:155], v[162:163]
	v_div_fixup_f64 v[150:151], v[152:153], v[150:151], 1.0
	ds_write_b64 v156, v[150:151]
.LBB51_114:
	s_or_b64 exec, exec, s[2:3]
	s_waitcnt lgkmcnt(0)
	s_barrier
	ds_read_b64 v[150:151], v156
	v_cmp_lt_u32_e32 vcc, 22, v158
	s_and_saveexec_b64 s[2:3], vcc
	s_cbranch_execz .LBB51_116
; %bb.115:
	ds_read2_b64 v[152:155], v157 offset0:23 offset1:24
	ds_read_b64 v[160:161], v157 offset:200
	s_waitcnt vmcnt(3) lgkmcnt(2)
	v_mul_f64 v[82:83], v[150:151], v[82:83]
	s_waitcnt vmcnt(2) lgkmcnt(1)
	v_fma_f64 v[56:57], -v[82:83], v[152:153], v[56:57]
	s_waitcnt vmcnt(1)
	v_fma_f64 v[80:81], -v[82:83], v[154:155], v[80:81]
	s_waitcnt vmcnt(0) lgkmcnt(0)
	v_fma_f64 v[104:105], -v[82:83], v[160:161], v[104:105]
.LBB51_116:
	s_or_b64 exec, exec, s[2:3]
	v_cmp_eq_u32_e32 vcc, 23, v158
	s_waitcnt lgkmcnt(0)
	s_barrier
	s_and_saveexec_b64 s[2:3], vcc
	s_cbranch_execz .LBB51_119
; %bb.117:
	s_waitcnt vmcnt(1)
	v_mov_b32_e32 v152, v80
	v_mov_b32_e32 v153, v81
	ds_write_b64 v156, v[56:57]
	s_waitcnt vmcnt(0)
	ds_write2_b64 v157, v[152:153], v[104:105] offset0:24 offset1:25
	ds_read_b64 v[152:153], v156
	s_waitcnt lgkmcnt(0)
	v_cmp_neq_f64_e32 vcc, 0, v[152:153]
	s_and_b64 exec, exec, vcc
	s_cbranch_execz .LBB51_119
; %bb.118:
	v_div_scale_f64 v[154:155], s[6:7], v[152:153], v[152:153], 1.0
	v_rcp_f64_e32 v[160:161], v[154:155]
	v_div_scale_f64 v[162:163], vcc, 1.0, v[152:153], 1.0
	v_fma_f64 v[164:165], -v[154:155], v[160:161], 1.0
	v_fmac_f64_e32 v[160:161], v[160:161], v[164:165]
	v_fma_f64 v[164:165], -v[154:155], v[160:161], 1.0
	v_fmac_f64_e32 v[160:161], v[160:161], v[164:165]
	v_mul_f64 v[164:165], v[162:163], v[160:161]
	v_fma_f64 v[154:155], -v[154:155], v[164:165], v[162:163]
	v_div_fmas_f64 v[154:155], v[154:155], v[160:161], v[164:165]
	v_div_fixup_f64 v[152:153], v[154:155], v[152:153], 1.0
	ds_write_b64 v156, v[152:153]
.LBB51_119:
	s_or_b64 exec, exec, s[2:3]
	s_waitcnt lgkmcnt(0)
	s_barrier
	ds_read_b64 v[152:153], v156
	v_cmp_lt_u32_e32 vcc, 23, v158
	s_and_saveexec_b64 s[2:3], vcc
	s_cbranch_execz .LBB51_121
; %bb.120:
	ds_read2_b64 v[160:163], v157 offset0:24 offset1:25
	s_waitcnt vmcnt(2) lgkmcnt(1)
	v_mul_f64 v[56:57], v[152:153], v[56:57]
	s_waitcnt vmcnt(1) lgkmcnt(0)
	v_fma_f64 v[80:81], -v[56:57], v[160:161], v[80:81]
	s_waitcnt vmcnt(0)
	v_fma_f64 v[104:105], -v[56:57], v[162:163], v[104:105]
.LBB51_121:
	s_or_b64 exec, exec, s[2:3]
	v_cmp_eq_u32_e32 vcc, 24, v158
	s_waitcnt lgkmcnt(0)
	s_barrier
	s_and_saveexec_b64 s[2:3], vcc
	s_cbranch_execz .LBB51_124
; %bb.122:
	s_waitcnt vmcnt(1)
	ds_write_b64 v156, v[80:81]
	s_waitcnt vmcnt(0)
	ds_write_b64 v157, v[104:105] offset:200
	ds_read_b64 v[154:155], v156
	s_waitcnt lgkmcnt(0)
	v_cmp_neq_f64_e32 vcc, 0, v[154:155]
	s_and_b64 exec, exec, vcc
	s_cbranch_execz .LBB51_124
; %bb.123:
	v_div_scale_f64 v[160:161], s[6:7], v[154:155], v[154:155], 1.0
	v_rcp_f64_e32 v[162:163], v[160:161]
	v_div_scale_f64 v[164:165], vcc, 1.0, v[154:155], 1.0
	v_fma_f64 v[166:167], -v[160:161], v[162:163], 1.0
	v_fmac_f64_e32 v[162:163], v[162:163], v[166:167]
	v_fma_f64 v[166:167], -v[160:161], v[162:163], 1.0
	v_fmac_f64_e32 v[162:163], v[162:163], v[166:167]
	v_mul_f64 v[166:167], v[164:165], v[162:163]
	v_fma_f64 v[160:161], -v[160:161], v[166:167], v[164:165]
	v_div_fmas_f64 v[160:161], v[160:161], v[162:163], v[166:167]
	v_div_fixup_f64 v[154:155], v[160:161], v[154:155], 1.0
	ds_write_b64 v156, v[154:155]
.LBB51_124:
	s_or_b64 exec, exec, s[2:3]
	s_waitcnt lgkmcnt(0)
	s_barrier
	ds_read_b64 v[154:155], v156
	v_cmp_lt_u32_e32 vcc, 24, v158
	s_and_saveexec_b64 s[2:3], vcc
	s_cbranch_execz .LBB51_126
; %bb.125:
	ds_read_b64 v[160:161], v157 offset:200
	s_waitcnt vmcnt(1) lgkmcnt(1)
	v_mul_f64 v[80:81], v[154:155], v[80:81]
	s_waitcnt vmcnt(0) lgkmcnt(0)
	v_fma_f64 v[104:105], -v[80:81], v[160:161], v[104:105]
.LBB51_126:
	s_or_b64 exec, exec, s[2:3]
	v_cmp_eq_u32_e32 vcc, 25, v158
	s_waitcnt lgkmcnt(0)
	s_barrier
	s_and_saveexec_b64 s[2:3], vcc
	s_cbranch_execz .LBB51_129
; %bb.127:
	s_waitcnt vmcnt(0)
	v_cmp_neq_f64_e32 vcc, 0, v[104:105]
	ds_write_b64 v156, v[104:105]
	s_and_b64 exec, exec, vcc
	s_cbranch_execz .LBB51_129
; %bb.128:
	v_div_scale_f64 v[160:161], s[6:7], v[104:105], v[104:105], 1.0
	v_rcp_f64_e32 v[162:163], v[160:161]
	v_div_scale_f64 v[164:165], vcc, 1.0, v[104:105], 1.0
	v_fma_f64 v[166:167], -v[160:161], v[162:163], 1.0
	v_fmac_f64_e32 v[162:163], v[162:163], v[166:167]
	v_fma_f64 v[166:167], -v[160:161], v[162:163], 1.0
	v_fmac_f64_e32 v[162:163], v[162:163], v[166:167]
	v_mul_f64 v[166:167], v[164:165], v[162:163]
	v_fma_f64 v[160:161], -v[160:161], v[166:167], v[164:165]
	v_div_fmas_f64 v[160:161], v[160:161], v[162:163], v[166:167]
	v_div_fixup_f64 v[160:161], v[160:161], v[104:105], 1.0
	ds_write_b64 v156, v[160:161]
.LBB51_129:
	s_or_b64 exec, exec, s[2:3]
	s_waitcnt lgkmcnt(0)
	s_barrier
	ds_read_b64 v[156:157], v156
	s_waitcnt lgkmcnt(0)
	s_barrier
	s_and_saveexec_b64 s[2:3], s[0:1]
	s_cbranch_execz .LBB51_132
; %bb.130:
	v_cmp_eq_f64_e32 vcc, 0, v[106:107]
	v_cmp_neq_f64_e64 s[0:1], 0, v[108:109]
	v_cndmask_b32_e64 v106, 0, 1, vcc
	s_or_b64 vcc, s[0:1], vcc
	v_cndmask_b32_e32 v106, 2, v106, vcc
	v_cmp_eq_f64_e32 vcc, 0, v[110:111]
	v_cmp_eq_u32_e64 s[0:1], 0, v106
	s_and_b64 s[0:1], vcc, s[0:1]
	v_cndmask_b32_e64 v106, v106, 3, s[0:1]
	v_cmp_eq_f64_e32 vcc, 0, v[112:113]
	v_cmp_eq_u32_e64 s[0:1], 0, v106
	s_and_b64 s[0:1], vcc, s[0:1]
	v_cndmask_b32_e64 v106, v106, 4, s[0:1]
	v_cmp_eq_f64_e32 vcc, 0, v[114:115]
	v_cmp_eq_u32_e64 s[0:1], 0, v106
	s_load_dwordx2 s[4:5], s[4:5], 0x28
	s_and_b64 s[0:1], vcc, s[0:1]
	v_cndmask_b32_e64 v106, v106, 5, s[0:1]
	v_cmp_eq_f64_e32 vcc, 0, v[116:117]
	v_cmp_eq_u32_e64 s[0:1], 0, v106
	s_and_b64 s[0:1], vcc, s[0:1]
	v_lshlrev_b64 v[2:3], 2, v[2:3]
	v_cndmask_b32_e64 v106, v106, 6, s[0:1]
	s_waitcnt lgkmcnt(0)
	v_mov_b32_e32 v107, s5
	v_add_co_u32_e64 v2, s[0:1], s4, v2
	v_addc_co_u32_e64 v3, s[0:1], v107, v3, s[0:1]
	global_load_dword v107, v[2:3], off
	v_cmp_eq_f64_e32 vcc, 0, v[118:119]
	v_cmp_eq_u32_e64 s[0:1], 0, v106
	s_and_b64 s[0:1], vcc, s[0:1]
	v_cndmask_b32_e64 v106, v106, 7, s[0:1]
	v_cmp_eq_f64_e32 vcc, 0, v[120:121]
	v_cmp_eq_u32_e64 s[0:1], 0, v106
	s_and_b64 s[0:1], vcc, s[0:1]
	v_cndmask_b32_e64 v106, v106, 8, s[0:1]
	;; [unrolled: 4-line block ×20, first 2 shown]
	s_waitcnt vmcnt(0)
	v_cmp_eq_u32_e32 vcc, 0, v107
	v_cmp_ne_u32_e64 s[0:1], 0, v106
	s_and_b64 s[0:1], vcc, s[0:1]
	s_and_b64 exec, exec, s[0:1]
	s_cbranch_execz .LBB51_132
; %bb.131:
	v_add_u32_e32 v106, s9, v106
	global_store_dword v[2:3], v106, off
.LBB51_132:
	s_or_b64 exec, exec, s[2:3]
	s_waitcnt vmcnt(0)
	v_mul_f64 v[2:3], v[156:157], v[104:105]
	v_cmp_lt_u32_e32 vcc, 25, v158
	v_cndmask_b32_e32 v3, v105, v3, vcc
	v_cndmask_b32_e32 v2, v104, v2, vcc
	global_store_dwordx2 v[0:1], v[54:55], off
	global_store_dwordx2 v[22:23], v[78:79], off
	;; [unrolled: 1-line block ×26, first 2 shown]
.LBB51_133:
	s_endpgm
	.section	.rodata,"a",@progbits
	.p2align	6, 0x0
	.amdhsa_kernel _ZN9rocsolver6v33100L23getf2_npvt_small_kernelILi26EdiiPKPdEEvT1_T3_lS5_lPT2_S5_S5_
		.amdhsa_group_segment_fixed_size 0
		.amdhsa_private_segment_fixed_size 0
		.amdhsa_kernarg_size 312
		.amdhsa_user_sgpr_count 6
		.amdhsa_user_sgpr_private_segment_buffer 1
		.amdhsa_user_sgpr_dispatch_ptr 0
		.amdhsa_user_sgpr_queue_ptr 0
		.amdhsa_user_sgpr_kernarg_segment_ptr 1
		.amdhsa_user_sgpr_dispatch_id 0
		.amdhsa_user_sgpr_flat_scratch_init 0
		.amdhsa_user_sgpr_kernarg_preload_length 0
		.amdhsa_user_sgpr_kernarg_preload_offset 0
		.amdhsa_user_sgpr_private_segment_size 0
		.amdhsa_uses_dynamic_stack 0
		.amdhsa_system_sgpr_private_segment_wavefront_offset 0
		.amdhsa_system_sgpr_workgroup_id_x 1
		.amdhsa_system_sgpr_workgroup_id_y 1
		.amdhsa_system_sgpr_workgroup_id_z 0
		.amdhsa_system_sgpr_workgroup_info 0
		.amdhsa_system_vgpr_workitem_id 1
		.amdhsa_next_free_vgpr 168
		.amdhsa_next_free_sgpr 16
		.amdhsa_accum_offset 168
		.amdhsa_reserve_vcc 1
		.amdhsa_reserve_flat_scratch 0
		.amdhsa_float_round_mode_32 0
		.amdhsa_float_round_mode_16_64 0
		.amdhsa_float_denorm_mode_32 3
		.amdhsa_float_denorm_mode_16_64 3
		.amdhsa_dx10_clamp 1
		.amdhsa_ieee_mode 1
		.amdhsa_fp16_overflow 0
		.amdhsa_tg_split 0
		.amdhsa_exception_fp_ieee_invalid_op 0
		.amdhsa_exception_fp_denorm_src 0
		.amdhsa_exception_fp_ieee_div_zero 0
		.amdhsa_exception_fp_ieee_overflow 0
		.amdhsa_exception_fp_ieee_underflow 0
		.amdhsa_exception_fp_ieee_inexact 0
		.amdhsa_exception_int_div_zero 0
	.end_amdhsa_kernel
	.section	.text._ZN9rocsolver6v33100L23getf2_npvt_small_kernelILi26EdiiPKPdEEvT1_T3_lS5_lPT2_S5_S5_,"axG",@progbits,_ZN9rocsolver6v33100L23getf2_npvt_small_kernelILi26EdiiPKPdEEvT1_T3_lS5_lPT2_S5_S5_,comdat
.Lfunc_end51:
	.size	_ZN9rocsolver6v33100L23getf2_npvt_small_kernelILi26EdiiPKPdEEvT1_T3_lS5_lPT2_S5_S5_, .Lfunc_end51-_ZN9rocsolver6v33100L23getf2_npvt_small_kernelILi26EdiiPKPdEEvT1_T3_lS5_lPT2_S5_S5_
                                        ; -- End function
	.section	.AMDGPU.csdata,"",@progbits
; Kernel info:
; codeLenInByte = 15464
; NumSgprs: 20
; NumVgprs: 168
; NumAgprs: 0
; TotalNumVgprs: 168
; ScratchSize: 0
; MemoryBound: 0
; FloatMode: 240
; IeeeMode: 1
; LDSByteSize: 0 bytes/workgroup (compile time only)
; SGPRBlocks: 2
; VGPRBlocks: 20
; NumSGPRsForWavesPerEU: 20
; NumVGPRsForWavesPerEU: 168
; AccumOffset: 168
; Occupancy: 3
; WaveLimiterHint : 1
; COMPUTE_PGM_RSRC2:SCRATCH_EN: 0
; COMPUTE_PGM_RSRC2:USER_SGPR: 6
; COMPUTE_PGM_RSRC2:TRAP_HANDLER: 0
; COMPUTE_PGM_RSRC2:TGID_X_EN: 1
; COMPUTE_PGM_RSRC2:TGID_Y_EN: 1
; COMPUTE_PGM_RSRC2:TGID_Z_EN: 0
; COMPUTE_PGM_RSRC2:TIDIG_COMP_CNT: 1
; COMPUTE_PGM_RSRC3_GFX90A:ACCUM_OFFSET: 41
; COMPUTE_PGM_RSRC3_GFX90A:TG_SPLIT: 0
	.section	.text._ZN9rocsolver6v33100L18getf2_small_kernelILi27EdiiPKPdEEvT1_T3_lS5_lPS5_llPT2_S5_S5_S7_l,"axG",@progbits,_ZN9rocsolver6v33100L18getf2_small_kernelILi27EdiiPKPdEEvT1_T3_lS5_lPS5_llPT2_S5_S5_S7_l,comdat
	.globl	_ZN9rocsolver6v33100L18getf2_small_kernelILi27EdiiPKPdEEvT1_T3_lS5_lPS5_llPT2_S5_S5_S7_l ; -- Begin function _ZN9rocsolver6v33100L18getf2_small_kernelILi27EdiiPKPdEEvT1_T3_lS5_lPS5_llPT2_S5_S5_S7_l
	.p2align	8
	.type	_ZN9rocsolver6v33100L18getf2_small_kernelILi27EdiiPKPdEEvT1_T3_lS5_lPS5_llPT2_S5_S5_S7_l,@function
_ZN9rocsolver6v33100L18getf2_small_kernelILi27EdiiPKPdEEvT1_T3_lS5_lPS5_llPT2_S5_S5_S7_l: ; @_ZN9rocsolver6v33100L18getf2_small_kernelILi27EdiiPKPdEEvT1_T3_lS5_lPS5_llPT2_S5_S5_S7_l
; %bb.0:
	s_load_dword s0, s[4:5], 0x6c
	s_load_dwordx2 s[12:13], s[4:5], 0x48
	v_bfe_u32 v58, v0, 10, 10
	s_waitcnt lgkmcnt(0)
	s_lshr_b32 s0, s0, 16
	s_mul_i32 s7, s7, s0
	v_add_u32_e32 v2, s7, v58
	v_cmp_gt_i32_e32 vcc, s12, v2
	s_and_saveexec_b64 s[0:1], vcc
	s_cbranch_execz .LBB52_456
; %bb.1:
	s_load_dwordx4 s[0:3], s[4:5], 0x8
	s_load_dwordx4 s[8:11], s[4:5], 0x50
	v_ashrrev_i32_e32 v3, 31, v2
	v_lshlrev_b64 v[4:5], 3, v[2:3]
	s_waitcnt lgkmcnt(0)
	v_mov_b32_e32 v1, s1
	v_add_co_u32_e32 v4, vcc, s0, v4
	v_addc_co_u32_e32 v5, vcc, v1, v5, vcc
	global_load_dwordx2 v[6:7], v[4:5], off
	s_cmp_eq_u64 s[8:9], 0
	s_cselect_b64 s[6:7], -1, 0
	s_and_b64 vcc, exec, s[6:7]
	v_pk_mov_b32 v[4:5], 0, 0
	s_cbranch_vccnz .LBB52_3
; %bb.2:
	v_mul_lo_u32 v1, v3, s10
	v_mul_lo_u32 v8, v2, s11
	v_mad_u64_u32 v[4:5], s[0:1], v2, s10, 0
	v_add3_u32 v5, v5, v8, v1
	v_lshlrev_b64 v[4:5], 2, v[4:5]
	v_mov_b32_e32 v1, s9
	v_add_co_u32_e32 v4, vcc, s8, v4
	v_addc_co_u32_e32 v5, vcc, v1, v5, vcc
.LBB52_3:
	s_load_dword s8, s[4:5], 0x18
	s_load_dword s12, s[4:5], 0x0
	s_lshl_b64 s[0:1], s[2:3], 3
	v_mov_b32_e32 v1, s1
	s_waitcnt vmcnt(0)
	v_add_co_u32_e32 v64, vcc, s0, v6
	s_waitcnt lgkmcnt(0)
	s_ashr_i32 s9, s8, 31
	v_and_b32_e32 v66, 0x3ff, v0
	s_lshl_b64 s[10:11], s[8:9], 3
	s_add_i32 s9, s8, s8
	v_addc_co_u32_e32 v65, vcc, v7, v1, vcc
	v_lshlrev_b32_e32 v59, 3, v66
	v_add_u32_e32 v6, s9, v66
	v_add_co_u32_e32 v0, vcc, v64, v59
	v_ashrrev_i32_e32 v7, 31, v6
	v_addc_co_u32_e32 v1, vcc, 0, v65, vcc
	v_lshlrev_b64 v[8:9], 3, v[6:7]
	v_add_u32_e32 v6, s8, v6
	v_add_co_u32_e32 v8, vcc, v64, v8
	v_ashrrev_i32_e32 v7, 31, v6
	v_addc_co_u32_e32 v9, vcc, v65, v9, vcc
	v_lshlrev_b64 v[10:11], 3, v[6:7]
	;; [unrolled: 5-line block ×25, first 2 shown]
	v_add_co_u32_e32 v92, vcc, v64, v6
	v_addc_co_u32_e32 v93, vcc, v65, v7, vcc
	v_mov_b32_e32 v28, s11
	v_add_co_u32_e32 v6, vcc, s10, v0
	v_addc_co_u32_e32 v7, vcc, v1, v28, vcc
	global_load_dwordx2 v[54:55], v[0:1], off
	global_load_dwordx2 v[52:53], v[6:7], off
	;; [unrolled: 1-line block ×15, first 2 shown]
                                        ; kill: killed $vgpr56 killed $vgpr57
                                        ; kill: killed $vgpr62 killed $vgpr63
                                        ; kill: killed $vgpr0 killed $vgpr1
                                        ; kill: killed $vgpr8 killed $vgpr9
                                        ; kill: killed $vgpr6 killed $vgpr7
                                        ; kill: killed $vgpr12 killed $vgpr13
                                        ; kill: killed $vgpr16 killed $vgpr17
                                        ; kill: killed $vgpr20 killed $vgpr21
                                        ; kill: killed $vgpr26 killed $vgpr27
                                        ; kill: killed $vgpr60 killed $vgpr61
                                        ; kill: killed $vgpr68 killed $vgpr69
                                        ; kill: killed $vgpr10 killed $vgpr11
                                        ; kill: killed $vgpr14 killed $vgpr15
                                        ; kill: killed $vgpr18 killed $vgpr19
                                        ; kill: killed $vgpr22 killed $vgpr23
	s_nop 0
	global_load_dwordx2 v[26:27], v[70:71], off
	global_load_dwordx2 v[22:23], v[72:73], off
	;; [unrolled: 1-line block ×12, first 2 shown]
	s_max_i32 s0, s12, 27
	v_mul_lo_u32 v60, s0, v58
	v_lshl_add_u32 v62, v60, 3, 0
	v_add_u32_e32 v58, v62, v59
	s_cmp_lt_i32 s12, 2
	v_lshlrev_b32_e32 v67, 3, v60
	v_mov_b32_e32 v60, 0
	s_waitcnt vmcnt(26)
	ds_write_b64 v58, v[54:55]
	s_waitcnt lgkmcnt(0)
	s_barrier
	ds_read_b64 v[58:59], v62
	s_cbranch_scc1 .LBB52_6
; %bb.4:
	v_add3_u32 v61, v67, 0, 8
	s_mov_b32 s0, 1
	v_mov_b32_e32 v60, 0
.LBB52_5:                               ; =>This Inner Loop Header: Depth=1
	ds_read_b64 v[68:69], v61
	v_mov_b32_e32 v63, s0
	s_add_i32 s0, s0, 1
	v_add_u32_e32 v61, 8, v61
	s_cmp_eq_u32 s12, s0
	s_waitcnt lgkmcnt(0)
	v_cmp_lt_f64_e64 vcc, |v[58:59]|, |v[68:69]|
	v_cndmask_b32_e32 v59, v59, v69, vcc
	v_cndmask_b32_e32 v58, v58, v68, vcc
	;; [unrolled: 1-line block ×3, first 2 shown]
	s_cbranch_scc0 .LBB52_5
.LBB52_6:
	v_cmp_ne_u32_e32 vcc, v66, v60
                                        ; implicit-def: $vgpr63
	s_and_saveexec_b64 s[0:1], vcc
	s_xor_b64 s[0:1], exec, s[0:1]
	s_cbranch_execz .LBB52_12
; %bb.7:
	v_cmp_eq_u32_e32 vcc, 0, v66
	s_and_saveexec_b64 s[2:3], vcc
	s_cbranch_execz .LBB52_11
; %bb.8:
	v_cmp_ne_u32_e32 vcc, 0, v60
	s_xor_b64 s[14:15], s[6:7], -1
	s_and_b64 s[16:17], s[14:15], vcc
	s_and_saveexec_b64 s[14:15], s[16:17]
	s_cbranch_execz .LBB52_10
; %bb.9:
	v_ashrrev_i32_e32 v61, 31, v60
	v_lshlrev_b64 v[68:69], 2, v[60:61]
	v_add_co_u32_e32 v68, vcc, v4, v68
	v_addc_co_u32_e32 v69, vcc, v5, v69, vcc
	flat_load_dword v61, v[68:69]
	flat_load_dword v63, v[4:5]
	s_waitcnt vmcnt(0) lgkmcnt(0)
	flat_store_dword v[4:5], v61
	flat_store_dword v[68:69], v63
.LBB52_10:
	s_or_b64 exec, exec, s[14:15]
	v_mov_b32_e32 v66, v60
.LBB52_11:
	s_or_b64 exec, exec, s[2:3]
	v_mov_b32_e32 v63, v66
                                        ; implicit-def: $vgpr66
.LBB52_12:
	s_or_saveexec_b64 s[0:1], s[0:1]
	v_mov_b32_e32 v61, v63
	s_xor_b64 exec, exec, s[0:1]
	s_cbranch_execz .LBB52_14
; %bb.13:
	v_mov_b32_e32 v63, 0
	v_mov_b32_e32 v61, v66
	s_waitcnt vmcnt(0)
	ds_write2_b64 v62, v[52:53], v[50:51] offset0:1 offset1:2
	ds_write2_b64 v62, v[48:49], v[46:47] offset0:3 offset1:4
	;; [unrolled: 1-line block ×13, first 2 shown]
.LBB52_14:
	s_or_b64 exec, exec, s[0:1]
	s_waitcnt lgkmcnt(0)
	v_cmp_eq_f64_e64 s[0:1], 0, v[58:59]
	v_cmp_lt_i32_e32 vcc, 0, v63
	s_barrier
	s_and_saveexec_b64 s[2:3], vcc
	s_cbranch_execz .LBB52_16
; %bb.15:
	v_div_scale_f64 v[68:69], s[14:15], v[58:59], v[58:59], 1.0
	v_rcp_f64_e32 v[70:71], v[68:69]
	v_div_scale_f64 v[72:73], vcc, 1.0, v[58:59], 1.0
	ds_read2_b64 v[76:79], v62 offset0:5 offset1:6
	v_fma_f64 v[74:75], -v[68:69], v[70:71], 1.0
	v_fmac_f64_e32 v[70:71], v[70:71], v[74:75]
	v_fma_f64 v[74:75], -v[68:69], v[70:71], 1.0
	v_fmac_f64_e32 v[70:71], v[70:71], v[74:75]
	v_mul_f64 v[74:75], v[72:73], v[70:71]
	v_fma_f64 v[68:69], -v[68:69], v[74:75], v[72:73]
	v_div_fmas_f64 v[68:69], v[68:69], v[70:71], v[74:75]
	v_div_fixup_f64 v[72:73], v[68:69], v[58:59], 1.0
	ds_read2_b64 v[68:71], v62 offset0:1 offset1:2
	v_cndmask_b32_e64 v59, v73, v59, s[0:1]
	v_cndmask_b32_e64 v58, v72, v58, s[0:1]
	ds_read2_b64 v[72:75], v62 offset0:3 offset1:4
	v_mul_f64 v[54:55], v[58:59], v[54:55]
	s_waitcnt vmcnt(0) lgkmcnt(0)
	v_fma_f64 v[52:53], -v[54:55], v[68:69], v[52:53]
	v_fma_f64 v[50:51], -v[54:55], v[70:71], v[50:51]
	ds_read2_b64 v[68:71], v62 offset0:7 offset1:8
	v_fma_f64 v[48:49], -v[54:55], v[72:73], v[48:49]
	v_fma_f64 v[46:47], -v[54:55], v[74:75], v[46:47]
	;; [unrolled: 1-line block ×3, first 2 shown]
	ds_read2_b64 v[72:75], v62 offset0:9 offset1:10
	v_fma_f64 v[42:43], -v[54:55], v[78:79], v[42:43]
	ds_read2_b64 v[76:79], v62 offset0:11 offset1:12
	s_waitcnt lgkmcnt(2)
	v_fma_f64 v[40:41], -v[54:55], v[68:69], v[40:41]
	v_fma_f64 v[38:39], -v[54:55], v[70:71], v[38:39]
	ds_read2_b64 v[68:71], v62 offset0:13 offset1:14
	s_waitcnt lgkmcnt(2)
	v_fma_f64 v[36:37], -v[54:55], v[72:73], v[36:37]
	;; [unrolled: 4-line block ×3, first 2 shown]
	v_fma_f64 v[30:31], -v[54:55], v[78:79], v[30:31]
	s_waitcnt lgkmcnt(1)
	v_fma_f64 v[28:29], -v[54:55], v[68:69], v[28:29]
	ds_read2_b64 v[76:79], v62 offset0:17 offset1:18
	v_fma_f64 v[24:25], -v[54:55], v[70:71], v[24:25]
	ds_read2_b64 v[68:71], v62 offset0:19 offset1:20
	s_waitcnt lgkmcnt(2)
	v_fma_f64 v[26:27], -v[54:55], v[72:73], v[26:27]
	v_fma_f64 v[22:23], -v[54:55], v[74:75], v[22:23]
	s_waitcnt lgkmcnt(1)
	v_fma_f64 v[20:21], -v[54:55], v[76:77], v[20:21]
	v_fma_f64 v[18:19], -v[54:55], v[78:79], v[18:19]
	ds_read2_b64 v[72:75], v62 offset0:21 offset1:22
	ds_read2_b64 v[76:79], v62 offset0:23 offset1:24
	s_waitcnt lgkmcnt(2)
	v_fma_f64 v[16:17], -v[54:55], v[68:69], v[16:17]
	v_fma_f64 v[14:15], -v[54:55], v[70:71], v[14:15]
	ds_read2_b64 v[68:71], v62 offset0:25 offset1:26
	s_waitcnt lgkmcnt(2)
	v_fma_f64 v[12:13], -v[54:55], v[72:73], v[12:13]
	v_fma_f64 v[10:11], -v[54:55], v[74:75], v[10:11]
	s_waitcnt lgkmcnt(1)
	v_fma_f64 v[8:9], -v[54:55], v[76:77], v[8:9]
	v_fma_f64 v[6:7], -v[54:55], v[78:79], v[6:7]
	s_waitcnt lgkmcnt(0)
	v_fma_f64 v[0:1], -v[54:55], v[68:69], v[0:1]
	v_fma_f64 v[56:57], -v[54:55], v[70:71], v[56:57]
.LBB52_16:
	s_or_b64 exec, exec, s[2:3]
	v_lshl_add_u32 v58, v63, 3, v62
	s_barrier
	s_waitcnt vmcnt(0)
	ds_write_b64 v58, v[52:53]
	s_waitcnt lgkmcnt(0)
	s_barrier
	ds_read_b64 v[58:59], v62 offset:8
	s_cmp_lt_i32 s12, 3
	v_mov_b32_e32 v60, 1
	s_cbranch_scc1 .LBB52_19
; %bb.17:
	v_add3_u32 v66, v67, 0, 16
	s_mov_b32 s2, 2
	v_mov_b32_e32 v60, 1
.LBB52_18:                              ; =>This Inner Loop Header: Depth=1
	ds_read_b64 v[68:69], v66
	v_mov_b32_e32 v70, s2
	s_add_i32 s2, s2, 1
	v_add_u32_e32 v66, 8, v66
	s_cmp_lg_u32 s12, s2
	s_waitcnt lgkmcnt(0)
	v_cmp_lt_f64_e64 vcc, |v[58:59]|, |v[68:69]|
	v_cndmask_b32_e32 v59, v59, v69, vcc
	v_cndmask_b32_e32 v58, v58, v68, vcc
	;; [unrolled: 1-line block ×3, first 2 shown]
	s_cbranch_scc1 .LBB52_18
.LBB52_19:
	v_cmp_ne_u32_e32 vcc, v63, v60
	s_and_saveexec_b64 s[2:3], vcc
	s_xor_b64 s[2:3], exec, s[2:3]
	s_cbranch_execz .LBB52_25
; %bb.20:
	v_cmp_eq_u32_e32 vcc, 1, v63
	s_and_saveexec_b64 s[14:15], vcc
	s_cbranch_execz .LBB52_24
; %bb.21:
	v_cmp_ne_u32_e32 vcc, 1, v60
	s_xor_b64 s[16:17], s[6:7], -1
	s_and_b64 s[18:19], s[16:17], vcc
	s_and_saveexec_b64 s[16:17], s[18:19]
	s_cbranch_execz .LBB52_23
; %bb.22:
	v_ashrrev_i32_e32 v61, 31, v60
	v_lshlrev_b64 v[68:69], 2, v[60:61]
	v_add_co_u32_e32 v68, vcc, v4, v68
	v_addc_co_u32_e32 v69, vcc, v5, v69, vcc
	flat_load_dword v61, v[68:69]
	flat_load_dword v63, v[4:5] offset:4
	s_waitcnt vmcnt(0) lgkmcnt(0)
	flat_store_dword v[4:5], v61 offset:4
	flat_store_dword v[68:69], v63
.LBB52_23:
	s_or_b64 exec, exec, s[16:17]
	v_mov_b32_e32 v61, v60
	v_mov_b32_e32 v63, v60
.LBB52_24:
	s_or_b64 exec, exec, s[14:15]
.LBB52_25:
	s_andn2_saveexec_b64 s[2:3], s[2:3]
	s_cbranch_execz .LBB52_27
; %bb.26:
	v_mov_b32_e32 v68, v50
	v_mov_b32_e32 v69, v51
	v_mov_b32_e32 v70, v48
	v_mov_b32_e32 v71, v49
	ds_write2_b64 v62, v[68:69], v[70:71] offset0:2 offset1:3
	v_mov_b32_e32 v68, v46
	v_mov_b32_e32 v69, v47
	v_mov_b32_e32 v70, v44
	v_mov_b32_e32 v71, v45
	ds_write2_b64 v62, v[68:69], v[70:71] offset0:4 offset1:5
	v_mov_b32_e32 v68, v42
	v_mov_b32_e32 v69, v43
	v_mov_b32_e32 v70, v40
	v_mov_b32_e32 v71, v41
	ds_write2_b64 v62, v[68:69], v[70:71] offset0:6 offset1:7
	v_mov_b32_e32 v68, v38
	v_mov_b32_e32 v69, v39
	v_mov_b32_e32 v70, v36
	v_mov_b32_e32 v71, v37
	ds_write2_b64 v62, v[68:69], v[70:71] offset0:8 offset1:9
	v_mov_b32_e32 v68, v34
	v_mov_b32_e32 v69, v35
	v_mov_b32_e32 v70, v32
	v_mov_b32_e32 v71, v33
	ds_write2_b64 v62, v[68:69], v[70:71] offset0:10 offset1:11
	v_mov_b32_e32 v68, v30
	v_mov_b32_e32 v69, v31
	v_mov_b32_e32 v70, v28
	v_mov_b32_e32 v71, v29
	ds_write2_b64 v62, v[68:69], v[70:71] offset0:12 offset1:13
	v_mov_b32_e32 v68, v24
	v_mov_b32_e32 v69, v25
	v_mov_b32_e32 v70, v26
	v_mov_b32_e32 v71, v27
	ds_write2_b64 v62, v[68:69], v[70:71] offset0:14 offset1:15
	v_mov_b32_e32 v68, v22
	v_mov_b32_e32 v69, v23
	v_mov_b32_e32 v70, v20
	v_mov_b32_e32 v71, v21
	ds_write2_b64 v62, v[68:69], v[70:71] offset0:16 offset1:17
	v_mov_b32_e32 v68, v18
	v_mov_b32_e32 v69, v19
	v_mov_b32_e32 v70, v16
	v_mov_b32_e32 v71, v17
	ds_write2_b64 v62, v[68:69], v[70:71] offset0:18 offset1:19
	v_mov_b32_e32 v68, v14
	v_mov_b32_e32 v69, v15
	v_mov_b32_e32 v70, v12
	v_mov_b32_e32 v71, v13
	ds_write2_b64 v62, v[68:69], v[70:71] offset0:20 offset1:21
	v_mov_b32_e32 v68, v10
	v_mov_b32_e32 v69, v11
	v_mov_b32_e32 v70, v8
	v_mov_b32_e32 v71, v9
	ds_write2_b64 v62, v[68:69], v[70:71] offset0:22 offset1:23
	v_mov_b32_e32 v68, v6
	v_mov_b32_e32 v69, v7
	;; [unrolled: 1-line block ×5, first 2 shown]
	ds_write2_b64 v62, v[68:69], v[70:71] offset0:24 offset1:25
	ds_write_b64 v62, v[56:57] offset:208
.LBB52_27:
	s_or_b64 exec, exec, s[2:3]
	s_waitcnt lgkmcnt(0)
	v_cmp_neq_f64_e64 s[2:3], 0, v[58:59]
	v_cmp_lt_i32_e32 vcc, 1, v63
	s_barrier
	s_and_saveexec_b64 s[14:15], vcc
	s_cbranch_execz .LBB52_29
; %bb.28:
	v_div_scale_f64 v[68:69], s[16:17], v[58:59], v[58:59], 1.0
	v_rcp_f64_e32 v[70:71], v[68:69]
	v_div_scale_f64 v[72:73], vcc, 1.0, v[58:59], 1.0
	ds_read2_b64 v[76:79], v62 offset0:6 offset1:7
	v_fma_f64 v[74:75], -v[68:69], v[70:71], 1.0
	v_fmac_f64_e32 v[70:71], v[70:71], v[74:75]
	v_fma_f64 v[74:75], -v[68:69], v[70:71], 1.0
	v_fmac_f64_e32 v[70:71], v[70:71], v[74:75]
	v_mul_f64 v[74:75], v[72:73], v[70:71]
	v_fma_f64 v[68:69], -v[68:69], v[74:75], v[72:73]
	v_div_fmas_f64 v[68:69], v[68:69], v[70:71], v[74:75]
	v_div_fixup_f64 v[72:73], v[68:69], v[58:59], 1.0
	ds_read2_b64 v[68:71], v62 offset0:2 offset1:3
	v_cndmask_b32_e64 v59, v59, v73, s[2:3]
	v_cndmask_b32_e64 v58, v58, v72, s[2:3]
	ds_read2_b64 v[72:75], v62 offset0:4 offset1:5
	v_mul_f64 v[52:53], v[58:59], v[52:53]
	s_waitcnt lgkmcnt(0)
	v_fma_f64 v[50:51], -v[52:53], v[68:69], v[50:51]
	v_fma_f64 v[48:49], -v[52:53], v[70:71], v[48:49]
	ds_read2_b64 v[68:71], v62 offset0:8 offset1:9
	v_fma_f64 v[46:47], -v[52:53], v[72:73], v[46:47]
	v_fma_f64 v[44:45], -v[52:53], v[74:75], v[44:45]
	;; [unrolled: 1-line block ×3, first 2 shown]
	ds_read2_b64 v[72:75], v62 offset0:10 offset1:11
	v_fma_f64 v[40:41], -v[52:53], v[78:79], v[40:41]
	ds_read2_b64 v[76:79], v62 offset0:12 offset1:13
	s_waitcnt lgkmcnt(0)
	v_fma_f64 v[38:39], -v[52:53], v[68:69], v[38:39]
	v_fma_f64 v[36:37], -v[52:53], v[70:71], v[36:37]
	;; [unrolled: 1-line block ×3, first 2 shown]
	ds_read2_b64 v[68:71], v62 offset0:14 offset1:15
	v_fma_f64 v[32:33], -v[52:53], v[74:75], v[32:33]
	ds_read2_b64 v[72:75], v62 offset0:16 offset1:17
	v_fma_f64 v[30:31], -v[52:53], v[76:77], v[30:31]
	v_fma_f64 v[28:29], -v[52:53], v[78:79], v[28:29]
	ds_read2_b64 v[76:79], v62 offset0:18 offset1:19
	s_waitcnt lgkmcnt(0)
	v_fma_f64 v[24:25], -v[52:53], v[68:69], v[24:25]
	v_fma_f64 v[26:27], -v[52:53], v[70:71], v[26:27]
	ds_read2_b64 v[68:71], v62 offset0:20 offset1:21
	v_fma_f64 v[22:23], -v[52:53], v[72:73], v[22:23]
	v_fma_f64 v[20:21], -v[52:53], v[74:75], v[20:21]
	v_fma_f64 v[18:19], -v[52:53], v[76:77], v[18:19]
	v_fma_f64 v[16:17], -v[52:53], v[78:79], v[16:17]
	ds_read2_b64 v[72:75], v62 offset0:22 offset1:23
	ds_read2_b64 v[76:79], v62 offset0:24 offset1:25
	ds_read_b64 v[58:59], v62 offset:208
	s_waitcnt lgkmcnt(0)
	v_fma_f64 v[14:15], -v[52:53], v[68:69], v[14:15]
	v_fma_f64 v[12:13], -v[52:53], v[70:71], v[12:13]
	;; [unrolled: 1-line block ×7, first 2 shown]
.LBB52_29:
	s_or_b64 exec, exec, s[14:15]
	v_lshl_add_u32 v58, v63, 3, v62
	s_barrier
	ds_write_b64 v58, v[50:51]
	s_waitcnt lgkmcnt(0)
	s_barrier
	ds_read_b64 v[58:59], v62 offset:16
	s_mov_b32 s14, 3
	s_cmp_lt_i32 s12, 4
	v_mov_b32_e32 v60, 2
	s_cbranch_scc1 .LBB52_32
; %bb.30:
	v_add3_u32 v66, v67, 0, 24
	v_mov_b32_e32 v60, 2
.LBB52_31:                              ; =>This Inner Loop Header: Depth=1
	ds_read_b64 v[68:69], v66
	v_mov_b32_e32 v70, s14
	s_add_i32 s14, s14, 1
	v_add_u32_e32 v66, 8, v66
	s_cmp_lg_u32 s12, s14
	s_waitcnt lgkmcnt(0)
	v_cmp_lt_f64_e64 vcc, |v[58:59]|, |v[68:69]|
	v_cndmask_b32_e32 v59, v59, v69, vcc
	v_cndmask_b32_e32 v58, v58, v68, vcc
	;; [unrolled: 1-line block ×3, first 2 shown]
	s_cbranch_scc1 .LBB52_31
.LBB52_32:
	v_cndmask_b32_e64 v66, 2, 1, s[0:1]
	v_cndmask_b32_e64 v68, 0, 1, s[0:1]
	;; [unrolled: 1-line block ×3, first 2 shown]
	s_waitcnt lgkmcnt(0)
	v_cmp_eq_f64_e32 vcc, 0, v[58:59]
	s_and_saveexec_b64 s[0:1], vcc
	s_xor_b64 s[0:1], exec, s[0:1]
; %bb.33:
	v_cmp_ne_u32_e32 vcc, 0, v66
	v_cndmask_b32_e32 v66, 3, v66, vcc
; %bb.34:
	s_andn2_saveexec_b64 s[0:1], s[0:1]
; %bb.35:
	v_div_scale_f64 v[68:69], s[2:3], v[58:59], v[58:59], 1.0
	v_rcp_f64_e32 v[70:71], v[68:69]
	v_div_scale_f64 v[72:73], vcc, 1.0, v[58:59], 1.0
	v_fma_f64 v[74:75], -v[68:69], v[70:71], 1.0
	v_fmac_f64_e32 v[70:71], v[70:71], v[74:75]
	v_fma_f64 v[74:75], -v[68:69], v[70:71], 1.0
	v_fmac_f64_e32 v[70:71], v[70:71], v[74:75]
	v_mul_f64 v[74:75], v[72:73], v[70:71]
	v_fma_f64 v[68:69], -v[68:69], v[74:75], v[72:73]
	v_div_fmas_f64 v[68:69], v[68:69], v[70:71], v[74:75]
	v_div_fixup_f64 v[58:59], v[68:69], v[58:59], 1.0
; %bb.36:
	s_or_b64 exec, exec, s[0:1]
	v_cmp_ne_u32_e32 vcc, v63, v60
	s_and_saveexec_b64 s[0:1], vcc
	s_xor_b64 s[0:1], exec, s[0:1]
	s_cbranch_execz .LBB52_42
; %bb.37:
	v_cmp_eq_u32_e32 vcc, 2, v63
	s_and_saveexec_b64 s[2:3], vcc
	s_cbranch_execz .LBB52_41
; %bb.38:
	v_cmp_ne_u32_e32 vcc, 2, v60
	s_xor_b64 s[14:15], s[6:7], -1
	s_and_b64 s[16:17], s[14:15], vcc
	s_and_saveexec_b64 s[14:15], s[16:17]
	s_cbranch_execz .LBB52_40
; %bb.39:
	v_ashrrev_i32_e32 v61, 31, v60
	v_lshlrev_b64 v[68:69], 2, v[60:61]
	v_add_co_u32_e32 v68, vcc, v4, v68
	v_addc_co_u32_e32 v69, vcc, v5, v69, vcc
	flat_load_dword v61, v[68:69]
	flat_load_dword v63, v[4:5] offset:8
	s_waitcnt vmcnt(0) lgkmcnt(0)
	flat_store_dword v[4:5], v61 offset:8
	flat_store_dword v[68:69], v63
.LBB52_40:
	s_or_b64 exec, exec, s[14:15]
	v_mov_b32_e32 v61, v60
	v_mov_b32_e32 v63, v60
.LBB52_41:
	s_or_b64 exec, exec, s[2:3]
.LBB52_42:
	s_andn2_saveexec_b64 s[0:1], s[0:1]
	s_cbranch_execz .LBB52_44
; %bb.43:
	v_mov_b32_e32 v63, 2
	ds_write2_b64 v62, v[48:49], v[46:47] offset0:3 offset1:4
	ds_write2_b64 v62, v[44:45], v[42:43] offset0:5 offset1:6
	;; [unrolled: 1-line block ×12, first 2 shown]
.LBB52_44:
	s_or_b64 exec, exec, s[0:1]
	v_cmp_lt_i32_e32 vcc, 2, v63
	s_waitcnt lgkmcnt(0)
	s_barrier
	s_and_saveexec_b64 s[0:1], vcc
	s_cbranch_execz .LBB52_46
; %bb.45:
	ds_read2_b64 v[68:71], v62 offset0:3 offset1:4
	ds_read2_b64 v[72:75], v62 offset0:5 offset1:6
	;; [unrolled: 1-line block ×3, first 2 shown]
	v_mul_f64 v[50:51], v[58:59], v[50:51]
	s_waitcnt lgkmcnt(0)
	v_fma_f64 v[48:49], -v[50:51], v[68:69], v[48:49]
	v_fma_f64 v[46:47], -v[50:51], v[70:71], v[46:47]
	ds_read2_b64 v[68:71], v62 offset0:9 offset1:10
	v_fma_f64 v[44:45], -v[50:51], v[72:73], v[44:45]
	v_fma_f64 v[42:43], -v[50:51], v[74:75], v[42:43]
	v_fma_f64 v[40:41], -v[50:51], v[76:77], v[40:41]
	ds_read2_b64 v[72:75], v62 offset0:11 offset1:12
	v_fma_f64 v[38:39], -v[50:51], v[78:79], v[38:39]
	ds_read2_b64 v[76:79], v62 offset0:13 offset1:14
	s_waitcnt lgkmcnt(0)
	v_fma_f64 v[36:37], -v[50:51], v[68:69], v[36:37]
	v_fma_f64 v[34:35], -v[50:51], v[70:71], v[34:35]
	;; [unrolled: 1-line block ×3, first 2 shown]
	ds_read2_b64 v[68:71], v62 offset0:15 offset1:16
	v_fma_f64 v[30:31], -v[50:51], v[74:75], v[30:31]
	ds_read2_b64 v[72:75], v62 offset0:17 offset1:18
	v_fma_f64 v[28:29], -v[50:51], v[76:77], v[28:29]
	v_fma_f64 v[24:25], -v[50:51], v[78:79], v[24:25]
	ds_read2_b64 v[76:79], v62 offset0:19 offset1:20
	s_waitcnt lgkmcnt(0)
	v_fma_f64 v[26:27], -v[50:51], v[68:69], v[26:27]
	v_fma_f64 v[22:23], -v[50:51], v[70:71], v[22:23]
	ds_read2_b64 v[68:71], v62 offset0:21 offset1:22
	v_fma_f64 v[20:21], -v[50:51], v[72:73], v[20:21]
	v_fma_f64 v[18:19], -v[50:51], v[74:75], v[18:19]
	;; [unrolled: 1-line block ×3, first 2 shown]
	ds_read2_b64 v[72:75], v62 offset0:23 offset1:24
	v_fma_f64 v[14:15], -v[50:51], v[78:79], v[14:15]
	ds_read2_b64 v[76:79], v62 offset0:25 offset1:26
	s_waitcnt lgkmcnt(0)
	v_fma_f64 v[12:13], -v[50:51], v[68:69], v[12:13]
	v_fma_f64 v[10:11], -v[50:51], v[70:71], v[10:11]
	;; [unrolled: 1-line block ×6, first 2 shown]
.LBB52_46:
	s_or_b64 exec, exec, s[0:1]
	v_lshl_add_u32 v58, v63, 3, v62
	s_barrier
	ds_write_b64 v58, v[48:49]
	s_waitcnt lgkmcnt(0)
	s_barrier
	ds_read_b64 v[58:59], v62 offset:24
	s_cmp_lt_i32 s12, 5
	v_mov_b32_e32 v60, 3
	s_cbranch_scc1 .LBB52_49
; %bb.47:
	v_add3_u32 v68, v67, 0, 32
	s_mov_b32 s0, 4
	v_mov_b32_e32 v60, 3
.LBB52_48:                              ; =>This Inner Loop Header: Depth=1
	ds_read_b64 v[70:71], v68
	v_mov_b32_e32 v69, s0
	s_add_i32 s0, s0, 1
	v_add_u32_e32 v68, 8, v68
	s_cmp_lg_u32 s12, s0
	s_waitcnt lgkmcnt(0)
	v_cmp_lt_f64_e64 vcc, |v[58:59]|, |v[70:71]|
	v_cndmask_b32_e32 v59, v59, v71, vcc
	v_cndmask_b32_e32 v58, v58, v70, vcc
	;; [unrolled: 1-line block ×3, first 2 shown]
	s_cbranch_scc1 .LBB52_48
.LBB52_49:
	s_waitcnt lgkmcnt(0)
	v_cmp_eq_f64_e32 vcc, 0, v[58:59]
	s_and_saveexec_b64 s[0:1], vcc
	s_xor_b64 s[0:1], exec, s[0:1]
; %bb.50:
	v_cmp_ne_u32_e32 vcc, 0, v66
	v_cndmask_b32_e32 v66, 4, v66, vcc
; %bb.51:
	s_andn2_saveexec_b64 s[0:1], s[0:1]
; %bb.52:
	v_div_scale_f64 v[68:69], s[2:3], v[58:59], v[58:59], 1.0
	v_rcp_f64_e32 v[70:71], v[68:69]
	v_div_scale_f64 v[72:73], vcc, 1.0, v[58:59], 1.0
	v_fma_f64 v[74:75], -v[68:69], v[70:71], 1.0
	v_fmac_f64_e32 v[70:71], v[70:71], v[74:75]
	v_fma_f64 v[74:75], -v[68:69], v[70:71], 1.0
	v_fmac_f64_e32 v[70:71], v[70:71], v[74:75]
	v_mul_f64 v[74:75], v[72:73], v[70:71]
	v_fma_f64 v[68:69], -v[68:69], v[74:75], v[72:73]
	v_div_fmas_f64 v[68:69], v[68:69], v[70:71], v[74:75]
	v_div_fixup_f64 v[58:59], v[68:69], v[58:59], 1.0
; %bb.53:
	s_or_b64 exec, exec, s[0:1]
	v_cmp_ne_u32_e32 vcc, v63, v60
	s_and_saveexec_b64 s[0:1], vcc
	s_xor_b64 s[0:1], exec, s[0:1]
	s_cbranch_execz .LBB52_59
; %bb.54:
	v_cmp_eq_u32_e32 vcc, 3, v63
	s_and_saveexec_b64 s[2:3], vcc
	s_cbranch_execz .LBB52_58
; %bb.55:
	v_cmp_ne_u32_e32 vcc, 3, v60
	s_xor_b64 s[14:15], s[6:7], -1
	s_and_b64 s[16:17], s[14:15], vcc
	s_and_saveexec_b64 s[14:15], s[16:17]
	s_cbranch_execz .LBB52_57
; %bb.56:
	v_ashrrev_i32_e32 v61, 31, v60
	v_lshlrev_b64 v[68:69], 2, v[60:61]
	v_add_co_u32_e32 v68, vcc, v4, v68
	v_addc_co_u32_e32 v69, vcc, v5, v69, vcc
	flat_load_dword v61, v[68:69]
	flat_load_dword v63, v[4:5] offset:12
	s_waitcnt vmcnt(0) lgkmcnt(0)
	flat_store_dword v[4:5], v61 offset:12
	flat_store_dword v[68:69], v63
.LBB52_57:
	s_or_b64 exec, exec, s[14:15]
	v_mov_b32_e32 v61, v60
	v_mov_b32_e32 v63, v60
.LBB52_58:
	s_or_b64 exec, exec, s[2:3]
.LBB52_59:
	s_andn2_saveexec_b64 s[0:1], s[0:1]
	s_cbranch_execz .LBB52_61
; %bb.60:
	v_mov_b32_e32 v68, v46
	v_mov_b32_e32 v69, v47
	v_mov_b32_e32 v70, v44
	v_mov_b32_e32 v71, v45
	ds_write2_b64 v62, v[68:69], v[70:71] offset0:4 offset1:5
	v_mov_b32_e32 v68, v42
	v_mov_b32_e32 v69, v43
	v_mov_b32_e32 v70, v40
	v_mov_b32_e32 v71, v41
	ds_write2_b64 v62, v[68:69], v[70:71] offset0:6 offset1:7
	;; [unrolled: 5-line block ×10, first 2 shown]
	v_mov_b32_e32 v68, v6
	v_mov_b32_e32 v69, v7
	;; [unrolled: 1-line block ×5, first 2 shown]
	ds_write2_b64 v62, v[68:69], v[70:71] offset0:24 offset1:25
	ds_write_b64 v62, v[56:57] offset:208
.LBB52_61:
	s_or_b64 exec, exec, s[0:1]
	v_cmp_lt_i32_e32 vcc, 3, v63
	s_waitcnt lgkmcnt(0)
	s_barrier
	s_and_saveexec_b64 s[0:1], vcc
	s_cbranch_execz .LBB52_63
; %bb.62:
	ds_read2_b64 v[68:71], v62 offset0:4 offset1:5
	ds_read2_b64 v[72:75], v62 offset0:6 offset1:7
	v_mul_f64 v[48:49], v[58:59], v[48:49]
	ds_read2_b64 v[76:79], v62 offset0:8 offset1:9
	ds_read_b64 v[58:59], v62 offset:208
	s_waitcnt lgkmcnt(0)
	v_fma_f64 v[46:47], -v[48:49], v[68:69], v[46:47]
	v_fma_f64 v[44:45], -v[48:49], v[70:71], v[44:45]
	ds_read2_b64 v[68:71], v62 offset0:10 offset1:11
	v_fma_f64 v[42:43], -v[48:49], v[72:73], v[42:43]
	v_fma_f64 v[40:41], -v[48:49], v[74:75], v[40:41]
	ds_read2_b64 v[72:75], v62 offset0:12 offset1:13
	;; [unrolled: 3-line block ×3, first 2 shown]
	s_waitcnt lgkmcnt(0)
	v_fma_f64 v[34:35], -v[48:49], v[68:69], v[34:35]
	v_fma_f64 v[32:33], -v[48:49], v[70:71], v[32:33]
	;; [unrolled: 1-line block ×3, first 2 shown]
	ds_read2_b64 v[68:71], v62 offset0:16 offset1:17
	v_fma_f64 v[28:29], -v[48:49], v[74:75], v[28:29]
	ds_read2_b64 v[72:75], v62 offset0:18 offset1:19
	v_fma_f64 v[24:25], -v[48:49], v[76:77], v[24:25]
	v_fma_f64 v[26:27], -v[48:49], v[78:79], v[26:27]
	s_waitcnt lgkmcnt(0)
	v_fma_f64 v[22:23], -v[48:49], v[68:69], v[22:23]
	ds_read2_b64 v[76:79], v62 offset0:20 offset1:21
	v_fma_f64 v[20:21], -v[48:49], v[70:71], v[20:21]
	ds_read2_b64 v[68:71], v62 offset0:22 offset1:23
	v_fma_f64 v[18:19], -v[48:49], v[72:73], v[18:19]
	v_fma_f64 v[16:17], -v[48:49], v[74:75], v[16:17]
	ds_read2_b64 v[72:75], v62 offset0:24 offset1:25
	s_waitcnt lgkmcnt(0)
	v_fma_f64 v[14:15], -v[48:49], v[76:77], v[14:15]
	v_fma_f64 v[12:13], -v[48:49], v[78:79], v[12:13]
	;; [unrolled: 1-line block ×7, first 2 shown]
.LBB52_63:
	s_or_b64 exec, exec, s[0:1]
	v_lshl_add_u32 v58, v63, 3, v62
	s_barrier
	ds_write_b64 v58, v[46:47]
	s_waitcnt lgkmcnt(0)
	s_barrier
	ds_read_b64 v[58:59], v62 offset:32
	s_cmp_lt_i32 s12, 6
	v_mov_b32_e32 v60, 4
	s_cbranch_scc1 .LBB52_66
; %bb.64:
	v_add3_u32 v68, v67, 0, 40
	s_mov_b32 s0, 5
	v_mov_b32_e32 v60, 4
.LBB52_65:                              ; =>This Inner Loop Header: Depth=1
	ds_read_b64 v[70:71], v68
	v_mov_b32_e32 v69, s0
	s_add_i32 s0, s0, 1
	v_add_u32_e32 v68, 8, v68
	s_cmp_lg_u32 s12, s0
	s_waitcnt lgkmcnt(0)
	v_cmp_lt_f64_e64 vcc, |v[58:59]|, |v[70:71]|
	v_cndmask_b32_e32 v59, v59, v71, vcc
	v_cndmask_b32_e32 v58, v58, v70, vcc
	;; [unrolled: 1-line block ×3, first 2 shown]
	s_cbranch_scc1 .LBB52_65
.LBB52_66:
	s_waitcnt lgkmcnt(0)
	v_cmp_eq_f64_e32 vcc, 0, v[58:59]
	s_and_saveexec_b64 s[0:1], vcc
	s_xor_b64 s[0:1], exec, s[0:1]
; %bb.67:
	v_cmp_ne_u32_e32 vcc, 0, v66
	v_cndmask_b32_e32 v66, 5, v66, vcc
; %bb.68:
	s_andn2_saveexec_b64 s[0:1], s[0:1]
; %bb.69:
	v_div_scale_f64 v[68:69], s[2:3], v[58:59], v[58:59], 1.0
	v_rcp_f64_e32 v[70:71], v[68:69]
	v_div_scale_f64 v[72:73], vcc, 1.0, v[58:59], 1.0
	v_fma_f64 v[74:75], -v[68:69], v[70:71], 1.0
	v_fmac_f64_e32 v[70:71], v[70:71], v[74:75]
	v_fma_f64 v[74:75], -v[68:69], v[70:71], 1.0
	v_fmac_f64_e32 v[70:71], v[70:71], v[74:75]
	v_mul_f64 v[74:75], v[72:73], v[70:71]
	v_fma_f64 v[68:69], -v[68:69], v[74:75], v[72:73]
	v_div_fmas_f64 v[68:69], v[68:69], v[70:71], v[74:75]
	v_div_fixup_f64 v[58:59], v[68:69], v[58:59], 1.0
; %bb.70:
	s_or_b64 exec, exec, s[0:1]
	v_cmp_ne_u32_e32 vcc, v63, v60
	s_and_saveexec_b64 s[0:1], vcc
	s_xor_b64 s[0:1], exec, s[0:1]
	s_cbranch_execz .LBB52_76
; %bb.71:
	v_cmp_eq_u32_e32 vcc, 4, v63
	s_and_saveexec_b64 s[2:3], vcc
	s_cbranch_execz .LBB52_75
; %bb.72:
	v_cmp_ne_u32_e32 vcc, 4, v60
	s_xor_b64 s[14:15], s[6:7], -1
	s_and_b64 s[16:17], s[14:15], vcc
	s_and_saveexec_b64 s[14:15], s[16:17]
	s_cbranch_execz .LBB52_74
; %bb.73:
	v_ashrrev_i32_e32 v61, 31, v60
	v_lshlrev_b64 v[68:69], 2, v[60:61]
	v_add_co_u32_e32 v68, vcc, v4, v68
	v_addc_co_u32_e32 v69, vcc, v5, v69, vcc
	flat_load_dword v61, v[68:69]
	flat_load_dword v63, v[4:5] offset:16
	s_waitcnt vmcnt(0) lgkmcnt(0)
	flat_store_dword v[4:5], v61 offset:16
	flat_store_dword v[68:69], v63
.LBB52_74:
	s_or_b64 exec, exec, s[14:15]
	v_mov_b32_e32 v61, v60
	v_mov_b32_e32 v63, v60
.LBB52_75:
	s_or_b64 exec, exec, s[2:3]
.LBB52_76:
	s_andn2_saveexec_b64 s[0:1], s[0:1]
	s_cbranch_execz .LBB52_78
; %bb.77:
	v_mov_b32_e32 v63, 4
	ds_write2_b64 v62, v[44:45], v[42:43] offset0:5 offset1:6
	ds_write2_b64 v62, v[40:41], v[38:39] offset0:7 offset1:8
	;; [unrolled: 1-line block ×11, first 2 shown]
.LBB52_78:
	s_or_b64 exec, exec, s[0:1]
	v_cmp_lt_i32_e32 vcc, 4, v63
	s_waitcnt lgkmcnt(0)
	s_barrier
	s_and_saveexec_b64 s[0:1], vcc
	s_cbranch_execz .LBB52_80
; %bb.79:
	ds_read2_b64 v[68:71], v62 offset0:5 offset1:6
	ds_read2_b64 v[72:75], v62 offset0:7 offset1:8
	v_mul_f64 v[46:47], v[58:59], v[46:47]
	ds_read2_b64 v[76:79], v62 offset0:9 offset1:10
	s_waitcnt lgkmcnt(0)
	v_fma_f64 v[44:45], -v[46:47], v[68:69], v[44:45]
	v_fma_f64 v[42:43], -v[46:47], v[70:71], v[42:43]
	ds_read2_b64 v[68:71], v62 offset0:11 offset1:12
	v_fma_f64 v[40:41], -v[46:47], v[72:73], v[40:41]
	v_fma_f64 v[38:39], -v[46:47], v[74:75], v[38:39]
	ds_read2_b64 v[72:75], v62 offset0:13 offset1:14
	;; [unrolled: 3-line block ×3, first 2 shown]
	s_waitcnt lgkmcnt(0)
	v_fma_f64 v[32:33], -v[46:47], v[68:69], v[32:33]
	v_fma_f64 v[30:31], -v[46:47], v[70:71], v[30:31]
	;; [unrolled: 1-line block ×3, first 2 shown]
	ds_read2_b64 v[68:71], v62 offset0:17 offset1:18
	v_fma_f64 v[24:25], -v[46:47], v[74:75], v[24:25]
	ds_read2_b64 v[72:75], v62 offset0:19 offset1:20
	v_fma_f64 v[26:27], -v[46:47], v[76:77], v[26:27]
	v_fma_f64 v[22:23], -v[46:47], v[78:79], v[22:23]
	s_waitcnt lgkmcnt(0)
	v_fma_f64 v[20:21], -v[46:47], v[68:69], v[20:21]
	v_fma_f64 v[18:19], -v[46:47], v[70:71], v[18:19]
	ds_read2_b64 v[68:71], v62 offset0:21 offset1:22
	ds_read2_b64 v[76:79], v62 offset0:23 offset1:24
	v_fma_f64 v[16:17], -v[46:47], v[72:73], v[16:17]
	v_fma_f64 v[14:15], -v[46:47], v[74:75], v[14:15]
	ds_read2_b64 v[72:75], v62 offset0:25 offset1:26
	s_waitcnt lgkmcnt(0)
	v_fma_f64 v[12:13], -v[46:47], v[68:69], v[12:13]
	v_fma_f64 v[10:11], -v[46:47], v[70:71], v[10:11]
	;; [unrolled: 1-line block ×6, first 2 shown]
.LBB52_80:
	s_or_b64 exec, exec, s[0:1]
	v_lshl_add_u32 v58, v63, 3, v62
	s_barrier
	ds_write_b64 v58, v[44:45]
	s_waitcnt lgkmcnt(0)
	s_barrier
	ds_read_b64 v[58:59], v62 offset:40
	s_cmp_lt_i32 s12, 7
	v_mov_b32_e32 v60, 5
	s_cbranch_scc1 .LBB52_83
; %bb.81:
	v_add3_u32 v68, v67, 0, 48
	s_mov_b32 s0, 6
	v_mov_b32_e32 v60, 5
.LBB52_82:                              ; =>This Inner Loop Header: Depth=1
	ds_read_b64 v[70:71], v68
	v_mov_b32_e32 v69, s0
	s_add_i32 s0, s0, 1
	v_add_u32_e32 v68, 8, v68
	s_cmp_lg_u32 s12, s0
	s_waitcnt lgkmcnt(0)
	v_cmp_lt_f64_e64 vcc, |v[58:59]|, |v[70:71]|
	v_cndmask_b32_e32 v59, v59, v71, vcc
	v_cndmask_b32_e32 v58, v58, v70, vcc
	;; [unrolled: 1-line block ×3, first 2 shown]
	s_cbranch_scc1 .LBB52_82
.LBB52_83:
	s_waitcnt lgkmcnt(0)
	v_cmp_eq_f64_e32 vcc, 0, v[58:59]
	s_and_saveexec_b64 s[0:1], vcc
	s_xor_b64 s[0:1], exec, s[0:1]
; %bb.84:
	v_cmp_ne_u32_e32 vcc, 0, v66
	v_cndmask_b32_e32 v66, 6, v66, vcc
; %bb.85:
	s_andn2_saveexec_b64 s[0:1], s[0:1]
; %bb.86:
	v_div_scale_f64 v[68:69], s[2:3], v[58:59], v[58:59], 1.0
	v_rcp_f64_e32 v[70:71], v[68:69]
	v_div_scale_f64 v[72:73], vcc, 1.0, v[58:59], 1.0
	v_fma_f64 v[74:75], -v[68:69], v[70:71], 1.0
	v_fmac_f64_e32 v[70:71], v[70:71], v[74:75]
	v_fma_f64 v[74:75], -v[68:69], v[70:71], 1.0
	v_fmac_f64_e32 v[70:71], v[70:71], v[74:75]
	v_mul_f64 v[74:75], v[72:73], v[70:71]
	v_fma_f64 v[68:69], -v[68:69], v[74:75], v[72:73]
	v_div_fmas_f64 v[68:69], v[68:69], v[70:71], v[74:75]
	v_div_fixup_f64 v[58:59], v[68:69], v[58:59], 1.0
; %bb.87:
	s_or_b64 exec, exec, s[0:1]
	v_cmp_ne_u32_e32 vcc, v63, v60
	s_and_saveexec_b64 s[0:1], vcc
	s_xor_b64 s[0:1], exec, s[0:1]
	s_cbranch_execz .LBB52_93
; %bb.88:
	v_cmp_eq_u32_e32 vcc, 5, v63
	s_and_saveexec_b64 s[2:3], vcc
	s_cbranch_execz .LBB52_92
; %bb.89:
	v_cmp_ne_u32_e32 vcc, 5, v60
	s_xor_b64 s[14:15], s[6:7], -1
	s_and_b64 s[16:17], s[14:15], vcc
	s_and_saveexec_b64 s[14:15], s[16:17]
	s_cbranch_execz .LBB52_91
; %bb.90:
	v_ashrrev_i32_e32 v61, 31, v60
	v_lshlrev_b64 v[68:69], 2, v[60:61]
	v_add_co_u32_e32 v68, vcc, v4, v68
	v_addc_co_u32_e32 v69, vcc, v5, v69, vcc
	flat_load_dword v61, v[68:69]
	flat_load_dword v63, v[4:5] offset:20
	s_waitcnt vmcnt(0) lgkmcnt(0)
	flat_store_dword v[4:5], v61 offset:20
	flat_store_dword v[68:69], v63
.LBB52_91:
	s_or_b64 exec, exec, s[14:15]
	v_mov_b32_e32 v61, v60
	v_mov_b32_e32 v63, v60
.LBB52_92:
	s_or_b64 exec, exec, s[2:3]
.LBB52_93:
	s_andn2_saveexec_b64 s[0:1], s[0:1]
	s_cbranch_execz .LBB52_95
; %bb.94:
	v_mov_b32_e32 v68, v42
	v_mov_b32_e32 v69, v43
	v_mov_b32_e32 v70, v40
	v_mov_b32_e32 v71, v41
	ds_write2_b64 v62, v[68:69], v[70:71] offset0:6 offset1:7
	v_mov_b32_e32 v68, v38
	v_mov_b32_e32 v69, v39
	v_mov_b32_e32 v70, v36
	v_mov_b32_e32 v71, v37
	ds_write2_b64 v62, v[68:69], v[70:71] offset0:8 offset1:9
	;; [unrolled: 5-line block ×9, first 2 shown]
	v_mov_b32_e32 v68, v6
	v_mov_b32_e32 v69, v7
	;; [unrolled: 1-line block ×5, first 2 shown]
	ds_write2_b64 v62, v[68:69], v[70:71] offset0:24 offset1:25
	ds_write_b64 v62, v[56:57] offset:208
.LBB52_95:
	s_or_b64 exec, exec, s[0:1]
	v_cmp_lt_i32_e32 vcc, 5, v63
	s_waitcnt lgkmcnt(0)
	s_barrier
	s_and_saveexec_b64 s[0:1], vcc
	s_cbranch_execz .LBB52_97
; %bb.96:
	ds_read2_b64 v[68:71], v62 offset0:6 offset1:7
	ds_read2_b64 v[72:75], v62 offset0:8 offset1:9
	v_mul_f64 v[44:45], v[58:59], v[44:45]
	ds_read2_b64 v[76:79], v62 offset0:10 offset1:11
	ds_read_b64 v[58:59], v62 offset:208
	s_waitcnt lgkmcnt(0)
	v_fma_f64 v[42:43], -v[44:45], v[68:69], v[42:43]
	v_fma_f64 v[40:41], -v[44:45], v[70:71], v[40:41]
	ds_read2_b64 v[68:71], v62 offset0:12 offset1:13
	v_fma_f64 v[38:39], -v[44:45], v[72:73], v[38:39]
	v_fma_f64 v[36:37], -v[44:45], v[74:75], v[36:37]
	;; [unrolled: 1-line block ×3, first 2 shown]
	ds_read2_b64 v[72:75], v62 offset0:14 offset1:15
	v_fma_f64 v[32:33], -v[44:45], v[78:79], v[32:33]
	ds_read2_b64 v[76:79], v62 offset0:16 offset1:17
	s_waitcnt lgkmcnt(0)
	v_fma_f64 v[30:31], -v[44:45], v[68:69], v[30:31]
	v_fma_f64 v[28:29], -v[44:45], v[70:71], v[28:29]
	ds_read2_b64 v[68:71], v62 offset0:18 offset1:19
	v_fma_f64 v[24:25], -v[44:45], v[72:73], v[24:25]
	v_fma_f64 v[26:27], -v[44:45], v[74:75], v[26:27]
	ds_read2_b64 v[72:75], v62 offset0:20 offset1:21
	v_fma_f64 v[22:23], -v[44:45], v[76:77], v[22:23]
	v_fma_f64 v[20:21], -v[44:45], v[78:79], v[20:21]
	s_waitcnt lgkmcnt(0)
	v_fma_f64 v[18:19], -v[44:45], v[68:69], v[18:19]
	v_fma_f64 v[16:17], -v[44:45], v[70:71], v[16:17]
	ds_read2_b64 v[68:71], v62 offset0:22 offset1:23
	ds_read2_b64 v[76:79], v62 offset0:24 offset1:25
	v_fma_f64 v[14:15], -v[44:45], v[72:73], v[14:15]
	v_fma_f64 v[12:13], -v[44:45], v[74:75], v[12:13]
	;; [unrolled: 1-line block ×3, first 2 shown]
	s_waitcnt lgkmcnt(0)
	v_fma_f64 v[10:11], -v[44:45], v[68:69], v[10:11]
	v_fma_f64 v[8:9], -v[44:45], v[70:71], v[8:9]
	;; [unrolled: 1-line block ×4, first 2 shown]
.LBB52_97:
	s_or_b64 exec, exec, s[0:1]
	v_lshl_add_u32 v58, v63, 3, v62
	s_barrier
	ds_write_b64 v58, v[42:43]
	s_waitcnt lgkmcnt(0)
	s_barrier
	ds_read_b64 v[58:59], v62 offset:48
	s_cmp_lt_i32 s12, 8
	v_mov_b32_e32 v60, 6
	s_cbranch_scc1 .LBB52_100
; %bb.98:
	v_add3_u32 v68, v67, 0, 56
	s_mov_b32 s0, 7
	v_mov_b32_e32 v60, 6
.LBB52_99:                              ; =>This Inner Loop Header: Depth=1
	ds_read_b64 v[70:71], v68
	v_mov_b32_e32 v69, s0
	s_add_i32 s0, s0, 1
	v_add_u32_e32 v68, 8, v68
	s_cmp_lg_u32 s12, s0
	s_waitcnt lgkmcnt(0)
	v_cmp_lt_f64_e64 vcc, |v[58:59]|, |v[70:71]|
	v_cndmask_b32_e32 v59, v59, v71, vcc
	v_cndmask_b32_e32 v58, v58, v70, vcc
	v_cndmask_b32_e32 v60, v60, v69, vcc
	s_cbranch_scc1 .LBB52_99
.LBB52_100:
	s_waitcnt lgkmcnt(0)
	v_cmp_eq_f64_e32 vcc, 0, v[58:59]
	s_and_saveexec_b64 s[0:1], vcc
	s_xor_b64 s[0:1], exec, s[0:1]
; %bb.101:
	v_cmp_ne_u32_e32 vcc, 0, v66
	v_cndmask_b32_e32 v66, 7, v66, vcc
; %bb.102:
	s_andn2_saveexec_b64 s[0:1], s[0:1]
; %bb.103:
	v_div_scale_f64 v[68:69], s[2:3], v[58:59], v[58:59], 1.0
	v_rcp_f64_e32 v[70:71], v[68:69]
	v_div_scale_f64 v[72:73], vcc, 1.0, v[58:59], 1.0
	v_fma_f64 v[74:75], -v[68:69], v[70:71], 1.0
	v_fmac_f64_e32 v[70:71], v[70:71], v[74:75]
	v_fma_f64 v[74:75], -v[68:69], v[70:71], 1.0
	v_fmac_f64_e32 v[70:71], v[70:71], v[74:75]
	v_mul_f64 v[74:75], v[72:73], v[70:71]
	v_fma_f64 v[68:69], -v[68:69], v[74:75], v[72:73]
	v_div_fmas_f64 v[68:69], v[68:69], v[70:71], v[74:75]
	v_div_fixup_f64 v[58:59], v[68:69], v[58:59], 1.0
; %bb.104:
	s_or_b64 exec, exec, s[0:1]
	v_cmp_ne_u32_e32 vcc, v63, v60
	s_and_saveexec_b64 s[0:1], vcc
	s_xor_b64 s[0:1], exec, s[0:1]
	s_cbranch_execz .LBB52_110
; %bb.105:
	v_cmp_eq_u32_e32 vcc, 6, v63
	s_and_saveexec_b64 s[2:3], vcc
	s_cbranch_execz .LBB52_109
; %bb.106:
	v_cmp_ne_u32_e32 vcc, 6, v60
	s_xor_b64 s[14:15], s[6:7], -1
	s_and_b64 s[16:17], s[14:15], vcc
	s_and_saveexec_b64 s[14:15], s[16:17]
	s_cbranch_execz .LBB52_108
; %bb.107:
	v_ashrrev_i32_e32 v61, 31, v60
	v_lshlrev_b64 v[68:69], 2, v[60:61]
	v_add_co_u32_e32 v68, vcc, v4, v68
	v_addc_co_u32_e32 v69, vcc, v5, v69, vcc
	flat_load_dword v61, v[68:69]
	flat_load_dword v63, v[4:5] offset:24
	s_waitcnt vmcnt(0) lgkmcnt(0)
	flat_store_dword v[4:5], v61 offset:24
	flat_store_dword v[68:69], v63
.LBB52_108:
	s_or_b64 exec, exec, s[14:15]
	v_mov_b32_e32 v61, v60
	v_mov_b32_e32 v63, v60
.LBB52_109:
	s_or_b64 exec, exec, s[2:3]
.LBB52_110:
	s_andn2_saveexec_b64 s[0:1], s[0:1]
	s_cbranch_execz .LBB52_112
; %bb.111:
	v_mov_b32_e32 v63, 6
	ds_write2_b64 v62, v[40:41], v[38:39] offset0:7 offset1:8
	ds_write2_b64 v62, v[36:37], v[34:35] offset0:9 offset1:10
	;; [unrolled: 1-line block ×10, first 2 shown]
.LBB52_112:
	s_or_b64 exec, exec, s[0:1]
	v_cmp_lt_i32_e32 vcc, 6, v63
	s_waitcnt lgkmcnt(0)
	s_barrier
	s_and_saveexec_b64 s[0:1], vcc
	s_cbranch_execz .LBB52_114
; %bb.113:
	ds_read2_b64 v[68:71], v62 offset0:7 offset1:8
	ds_read2_b64 v[72:75], v62 offset0:9 offset1:10
	v_mul_f64 v[42:43], v[58:59], v[42:43]
	ds_read2_b64 v[76:79], v62 offset0:11 offset1:12
	s_waitcnt lgkmcnt(0)
	v_fma_f64 v[40:41], -v[42:43], v[68:69], v[40:41]
	v_fma_f64 v[38:39], -v[42:43], v[70:71], v[38:39]
	ds_read2_b64 v[68:71], v62 offset0:13 offset1:14
	v_fma_f64 v[36:37], -v[42:43], v[72:73], v[36:37]
	v_fma_f64 v[34:35], -v[42:43], v[74:75], v[34:35]
	;; [unrolled: 1-line block ×3, first 2 shown]
	ds_read2_b64 v[72:75], v62 offset0:15 offset1:16
	v_fma_f64 v[30:31], -v[42:43], v[78:79], v[30:31]
	ds_read2_b64 v[76:79], v62 offset0:17 offset1:18
	s_waitcnt lgkmcnt(0)
	v_fma_f64 v[28:29], -v[42:43], v[68:69], v[28:29]
	v_fma_f64 v[24:25], -v[42:43], v[70:71], v[24:25]
	ds_read2_b64 v[68:71], v62 offset0:19 offset1:20
	v_fma_f64 v[26:27], -v[42:43], v[72:73], v[26:27]
	v_fma_f64 v[22:23], -v[42:43], v[74:75], v[22:23]
	ds_read2_b64 v[72:75], v62 offset0:21 offset1:22
	v_fma_f64 v[20:21], -v[42:43], v[76:77], v[20:21]
	v_fma_f64 v[18:19], -v[42:43], v[78:79], v[18:19]
	s_waitcnt lgkmcnt(0)
	v_fma_f64 v[16:17], -v[42:43], v[68:69], v[16:17]
	ds_read2_b64 v[76:79], v62 offset0:23 offset1:24
	v_fma_f64 v[14:15], -v[42:43], v[70:71], v[14:15]
	ds_read2_b64 v[68:71], v62 offset0:25 offset1:26
	v_fma_f64 v[12:13], -v[42:43], v[72:73], v[12:13]
	v_fma_f64 v[10:11], -v[42:43], v[74:75], v[10:11]
	s_waitcnt lgkmcnt(0)
	v_fma_f64 v[8:9], -v[42:43], v[76:77], v[8:9]
	v_fma_f64 v[6:7], -v[42:43], v[78:79], v[6:7]
	;; [unrolled: 1-line block ×4, first 2 shown]
.LBB52_114:
	s_or_b64 exec, exec, s[0:1]
	v_lshl_add_u32 v58, v63, 3, v62
	s_barrier
	ds_write_b64 v58, v[40:41]
	s_waitcnt lgkmcnt(0)
	s_barrier
	ds_read_b64 v[58:59], v62 offset:56
	s_cmp_lt_i32 s12, 9
	v_mov_b32_e32 v60, 7
	s_cbranch_scc1 .LBB52_117
; %bb.115:
	v_add3_u32 v67, v67, 0, 64
	s_mov_b32 s0, 8
	v_mov_b32_e32 v60, 7
.LBB52_116:                             ; =>This Inner Loop Header: Depth=1
	ds_read_b64 v[68:69], v67
	v_mov_b32_e32 v70, s0
	s_add_i32 s0, s0, 1
	v_add_u32_e32 v67, 8, v67
	s_cmp_lg_u32 s12, s0
	s_waitcnt lgkmcnt(0)
	v_cmp_lt_f64_e64 vcc, |v[58:59]|, |v[68:69]|
	v_cndmask_b32_e32 v59, v59, v69, vcc
	v_cndmask_b32_e32 v58, v58, v68, vcc
	;; [unrolled: 1-line block ×3, first 2 shown]
	s_cbranch_scc1 .LBB52_116
.LBB52_117:
	s_waitcnt lgkmcnt(0)
	v_cmp_eq_f64_e32 vcc, 0, v[58:59]
	s_and_saveexec_b64 s[0:1], vcc
	s_xor_b64 s[0:1], exec, s[0:1]
; %bb.118:
	v_cmp_ne_u32_e32 vcc, 0, v66
	v_cndmask_b32_e32 v66, 8, v66, vcc
; %bb.119:
	s_andn2_saveexec_b64 s[0:1], s[0:1]
; %bb.120:
	v_div_scale_f64 v[68:69], s[2:3], v[58:59], v[58:59], 1.0
	v_rcp_f64_e32 v[70:71], v[68:69]
	v_div_scale_f64 v[72:73], vcc, 1.0, v[58:59], 1.0
	v_fma_f64 v[74:75], -v[68:69], v[70:71], 1.0
	v_fmac_f64_e32 v[70:71], v[70:71], v[74:75]
	v_fma_f64 v[74:75], -v[68:69], v[70:71], 1.0
	v_fmac_f64_e32 v[70:71], v[70:71], v[74:75]
	v_mul_f64 v[74:75], v[72:73], v[70:71]
	v_fma_f64 v[68:69], -v[68:69], v[74:75], v[72:73]
	v_div_fmas_f64 v[68:69], v[68:69], v[70:71], v[74:75]
	v_div_fixup_f64 v[58:59], v[68:69], v[58:59], 1.0
; %bb.121:
	s_or_b64 exec, exec, s[0:1]
	v_cmp_ne_u32_e32 vcc, v63, v60
	s_and_saveexec_b64 s[0:1], vcc
	s_xor_b64 s[0:1], exec, s[0:1]
	s_cbranch_execz .LBB52_127
; %bb.122:
	v_cmp_eq_u32_e32 vcc, 7, v63
	s_and_saveexec_b64 s[2:3], vcc
	s_cbranch_execz .LBB52_126
; %bb.123:
	v_cmp_ne_u32_e32 vcc, 7, v60
	s_xor_b64 s[14:15], s[6:7], -1
	s_and_b64 s[16:17], s[14:15], vcc
	s_and_saveexec_b64 s[14:15], s[16:17]
	s_cbranch_execz .LBB52_125
; %bb.124:
	v_ashrrev_i32_e32 v61, 31, v60
	v_lshlrev_b64 v[68:69], 2, v[60:61]
	v_add_co_u32_e32 v68, vcc, v4, v68
	v_addc_co_u32_e32 v69, vcc, v5, v69, vcc
	flat_load_dword v61, v[68:69]
	flat_load_dword v63, v[4:5] offset:28
	s_waitcnt vmcnt(0) lgkmcnt(0)
	flat_store_dword v[4:5], v61 offset:28
	flat_store_dword v[68:69], v63
.LBB52_125:
	s_or_b64 exec, exec, s[14:15]
	v_mov_b32_e32 v61, v60
	v_mov_b32_e32 v63, v60
.LBB52_126:
	s_or_b64 exec, exec, s[2:3]
.LBB52_127:
	s_andn2_saveexec_b64 s[0:1], s[0:1]
	s_cbranch_execz .LBB52_129
; %bb.128:
	v_mov_b32_e32 v68, v38
	v_mov_b32_e32 v69, v39
	v_mov_b32_e32 v70, v36
	v_mov_b32_e32 v71, v37
	ds_write2_b64 v62, v[68:69], v[70:71] offset0:8 offset1:9
	v_mov_b32_e32 v68, v34
	v_mov_b32_e32 v69, v35
	v_mov_b32_e32 v70, v32
	v_mov_b32_e32 v71, v33
	ds_write2_b64 v62, v[68:69], v[70:71] offset0:10 offset1:11
	;; [unrolled: 5-line block ×8, first 2 shown]
	v_mov_b32_e32 v68, v6
	v_mov_b32_e32 v69, v7
	v_mov_b32_e32 v70, v0
	v_mov_b32_e32 v71, v1
	v_mov_b32_e32 v63, 7
	ds_write2_b64 v62, v[68:69], v[70:71] offset0:24 offset1:25
	ds_write_b64 v62, v[56:57] offset:208
.LBB52_129:
	s_or_b64 exec, exec, s[0:1]
	v_cmp_lt_i32_e32 vcc, 7, v63
	s_waitcnt lgkmcnt(0)
	s_barrier
	s_and_saveexec_b64 s[0:1], vcc
	s_cbranch_execz .LBB52_131
; %bb.130:
	ds_read2_b64 v[68:71], v62 offset0:8 offset1:9
	ds_read2_b64 v[72:75], v62 offset0:10 offset1:11
	;; [unrolled: 1-line block ×3, first 2 shown]
	v_mul_f64 v[40:41], v[58:59], v[40:41]
	ds_read_b64 v[58:59], v62 offset:208
	s_waitcnt lgkmcnt(0)
	v_fma_f64 v[38:39], -v[40:41], v[68:69], v[38:39]
	v_fma_f64 v[36:37], -v[40:41], v[70:71], v[36:37]
	ds_read2_b64 v[68:71], v62 offset0:14 offset1:15
	v_fma_f64 v[34:35], -v[40:41], v[72:73], v[34:35]
	v_fma_f64 v[32:33], -v[40:41], v[74:75], v[32:33]
	;; [unrolled: 1-line block ×3, first 2 shown]
	ds_read2_b64 v[72:75], v62 offset0:16 offset1:17
	v_fma_f64 v[28:29], -v[40:41], v[78:79], v[28:29]
	ds_read2_b64 v[76:79], v62 offset0:18 offset1:19
	s_waitcnt lgkmcnt(0)
	v_fma_f64 v[24:25], -v[40:41], v[68:69], v[24:25]
	v_fma_f64 v[26:27], -v[40:41], v[70:71], v[26:27]
	;; [unrolled: 1-line block ×3, first 2 shown]
	ds_read2_b64 v[68:71], v62 offset0:20 offset1:21
	v_fma_f64 v[20:21], -v[40:41], v[74:75], v[20:21]
	ds_read2_b64 v[72:75], v62 offset0:22 offset1:23
	v_fma_f64 v[18:19], -v[40:41], v[76:77], v[18:19]
	v_fma_f64 v[16:17], -v[40:41], v[78:79], v[16:17]
	ds_read2_b64 v[76:79], v62 offset0:24 offset1:25
	s_waitcnt lgkmcnt(0)
	v_fma_f64 v[14:15], -v[40:41], v[68:69], v[14:15]
	v_fma_f64 v[12:13], -v[40:41], v[70:71], v[12:13]
	;; [unrolled: 1-line block ×7, first 2 shown]
.LBB52_131:
	s_or_b64 exec, exec, s[0:1]
	v_lshl_add_u32 v58, v63, 3, v62
	s_barrier
	ds_write_b64 v58, v[38:39]
	s_waitcnt lgkmcnt(0)
	s_barrier
	ds_read_b64 v[58:59], v62 offset:64
	s_cmp_lt_i32 s12, 10
	v_mov_b32_e32 v60, 8
	s_cbranch_scc1 .LBB52_134
; %bb.132:
	v_add_u32_e32 v67, 0x48, v62
	s_mov_b32 s0, 9
	v_mov_b32_e32 v60, 8
.LBB52_133:                             ; =>This Inner Loop Header: Depth=1
	ds_read_b64 v[68:69], v67
	v_mov_b32_e32 v70, s0
	s_add_i32 s0, s0, 1
	v_add_u32_e32 v67, 8, v67
	s_cmp_lg_u32 s12, s0
	s_waitcnt lgkmcnt(0)
	v_cmp_lt_f64_e64 vcc, |v[58:59]|, |v[68:69]|
	v_cndmask_b32_e32 v59, v59, v69, vcc
	v_cndmask_b32_e32 v58, v58, v68, vcc
	;; [unrolled: 1-line block ×3, first 2 shown]
	s_cbranch_scc1 .LBB52_133
.LBB52_134:
	s_waitcnt lgkmcnt(0)
	v_cmp_eq_f64_e32 vcc, 0, v[58:59]
	s_and_saveexec_b64 s[0:1], vcc
	s_xor_b64 s[0:1], exec, s[0:1]
; %bb.135:
	v_cmp_ne_u32_e32 vcc, 0, v66
	v_cndmask_b32_e32 v66, 9, v66, vcc
; %bb.136:
	s_andn2_saveexec_b64 s[0:1], s[0:1]
; %bb.137:
	v_div_scale_f64 v[68:69], s[2:3], v[58:59], v[58:59], 1.0
	v_rcp_f64_e32 v[70:71], v[68:69]
	v_div_scale_f64 v[72:73], vcc, 1.0, v[58:59], 1.0
	v_fma_f64 v[74:75], -v[68:69], v[70:71], 1.0
	v_fmac_f64_e32 v[70:71], v[70:71], v[74:75]
	v_fma_f64 v[74:75], -v[68:69], v[70:71], 1.0
	v_fmac_f64_e32 v[70:71], v[70:71], v[74:75]
	v_mul_f64 v[74:75], v[72:73], v[70:71]
	v_fma_f64 v[68:69], -v[68:69], v[74:75], v[72:73]
	v_div_fmas_f64 v[68:69], v[68:69], v[70:71], v[74:75]
	v_div_fixup_f64 v[58:59], v[68:69], v[58:59], 1.0
; %bb.138:
	s_or_b64 exec, exec, s[0:1]
	v_cmp_ne_u32_e32 vcc, v63, v60
	s_and_saveexec_b64 s[0:1], vcc
	s_xor_b64 s[0:1], exec, s[0:1]
	s_cbranch_execz .LBB52_144
; %bb.139:
	v_cmp_eq_u32_e32 vcc, 8, v63
	s_and_saveexec_b64 s[2:3], vcc
	s_cbranch_execz .LBB52_143
; %bb.140:
	v_cmp_ne_u32_e32 vcc, 8, v60
	s_xor_b64 s[14:15], s[6:7], -1
	s_and_b64 s[16:17], s[14:15], vcc
	s_and_saveexec_b64 s[14:15], s[16:17]
	s_cbranch_execz .LBB52_142
; %bb.141:
	v_ashrrev_i32_e32 v61, 31, v60
	v_lshlrev_b64 v[68:69], 2, v[60:61]
	v_add_co_u32_e32 v68, vcc, v4, v68
	v_addc_co_u32_e32 v69, vcc, v5, v69, vcc
	flat_load_dword v61, v[68:69]
	flat_load_dword v63, v[4:5] offset:32
	s_waitcnt vmcnt(0) lgkmcnt(0)
	flat_store_dword v[4:5], v61 offset:32
	flat_store_dword v[68:69], v63
.LBB52_142:
	s_or_b64 exec, exec, s[14:15]
	v_mov_b32_e32 v61, v60
	v_mov_b32_e32 v63, v60
.LBB52_143:
	s_or_b64 exec, exec, s[2:3]
.LBB52_144:
	s_andn2_saveexec_b64 s[0:1], s[0:1]
	s_cbranch_execz .LBB52_146
; %bb.145:
	v_mov_b32_e32 v63, 8
	ds_write2_b64 v62, v[36:37], v[34:35] offset0:9 offset1:10
	ds_write2_b64 v62, v[32:33], v[30:31] offset0:11 offset1:12
	;; [unrolled: 1-line block ×9, first 2 shown]
.LBB52_146:
	s_or_b64 exec, exec, s[0:1]
	v_cmp_lt_i32_e32 vcc, 8, v63
	s_waitcnt lgkmcnt(0)
	s_barrier
	s_and_saveexec_b64 s[0:1], vcc
	s_cbranch_execz .LBB52_148
; %bb.147:
	ds_read2_b64 v[68:71], v62 offset0:9 offset1:10
	ds_read2_b64 v[72:75], v62 offset0:11 offset1:12
	;; [unrolled: 1-line block ×3, first 2 shown]
	v_mul_f64 v[38:39], v[58:59], v[38:39]
	s_waitcnt lgkmcnt(0)
	v_fma_f64 v[36:37], -v[38:39], v[68:69], v[36:37]
	v_fma_f64 v[34:35], -v[38:39], v[70:71], v[34:35]
	ds_read2_b64 v[68:71], v62 offset0:15 offset1:16
	v_fma_f64 v[32:33], -v[38:39], v[72:73], v[32:33]
	v_fma_f64 v[30:31], -v[38:39], v[74:75], v[30:31]
	v_fma_f64 v[28:29], -v[38:39], v[76:77], v[28:29]
	ds_read2_b64 v[72:75], v62 offset0:17 offset1:18
	v_fma_f64 v[24:25], -v[38:39], v[78:79], v[24:25]
	ds_read2_b64 v[76:79], v62 offset0:19 offset1:20
	s_waitcnt lgkmcnt(0)
	v_fma_f64 v[26:27], -v[38:39], v[68:69], v[26:27]
	v_fma_f64 v[22:23], -v[38:39], v[70:71], v[22:23]
	;; [unrolled: 1-line block ×4, first 2 shown]
	ds_read2_b64 v[68:71], v62 offset0:21 offset1:22
	ds_read2_b64 v[72:75], v62 offset0:23 offset1:24
	v_fma_f64 v[16:17], -v[38:39], v[76:77], v[16:17]
	v_fma_f64 v[14:15], -v[38:39], v[78:79], v[14:15]
	ds_read2_b64 v[76:79], v62 offset0:25 offset1:26
	s_waitcnt lgkmcnt(0)
	v_fma_f64 v[12:13], -v[38:39], v[68:69], v[12:13]
	v_fma_f64 v[10:11], -v[38:39], v[70:71], v[10:11]
	;; [unrolled: 1-line block ×6, first 2 shown]
.LBB52_148:
	s_or_b64 exec, exec, s[0:1]
	v_lshl_add_u32 v58, v63, 3, v62
	s_barrier
	ds_write_b64 v58, v[36:37]
	s_waitcnt lgkmcnt(0)
	s_barrier
	ds_read_b64 v[58:59], v62 offset:72
	s_cmp_lt_i32 s12, 11
	v_mov_b32_e32 v60, 9
	s_cbranch_scc1 .LBB52_151
; %bb.149:
	v_add_u32_e32 v67, 0x50, v62
	s_mov_b32 s0, 10
	v_mov_b32_e32 v60, 9
.LBB52_150:                             ; =>This Inner Loop Header: Depth=1
	ds_read_b64 v[68:69], v67
	v_mov_b32_e32 v70, s0
	s_add_i32 s0, s0, 1
	v_add_u32_e32 v67, 8, v67
	s_cmp_lg_u32 s12, s0
	s_waitcnt lgkmcnt(0)
	v_cmp_lt_f64_e64 vcc, |v[58:59]|, |v[68:69]|
	v_cndmask_b32_e32 v59, v59, v69, vcc
	v_cndmask_b32_e32 v58, v58, v68, vcc
	;; [unrolled: 1-line block ×3, first 2 shown]
	s_cbranch_scc1 .LBB52_150
.LBB52_151:
	s_waitcnt lgkmcnt(0)
	v_cmp_eq_f64_e32 vcc, 0, v[58:59]
	s_and_saveexec_b64 s[0:1], vcc
	s_xor_b64 s[0:1], exec, s[0:1]
; %bb.152:
	v_cmp_ne_u32_e32 vcc, 0, v66
	v_cndmask_b32_e32 v66, 10, v66, vcc
; %bb.153:
	s_andn2_saveexec_b64 s[0:1], s[0:1]
; %bb.154:
	v_div_scale_f64 v[68:69], s[2:3], v[58:59], v[58:59], 1.0
	v_rcp_f64_e32 v[70:71], v[68:69]
	v_div_scale_f64 v[72:73], vcc, 1.0, v[58:59], 1.0
	v_fma_f64 v[74:75], -v[68:69], v[70:71], 1.0
	v_fmac_f64_e32 v[70:71], v[70:71], v[74:75]
	v_fma_f64 v[74:75], -v[68:69], v[70:71], 1.0
	v_fmac_f64_e32 v[70:71], v[70:71], v[74:75]
	v_mul_f64 v[74:75], v[72:73], v[70:71]
	v_fma_f64 v[68:69], -v[68:69], v[74:75], v[72:73]
	v_div_fmas_f64 v[68:69], v[68:69], v[70:71], v[74:75]
	v_div_fixup_f64 v[58:59], v[68:69], v[58:59], 1.0
; %bb.155:
	s_or_b64 exec, exec, s[0:1]
	v_cmp_ne_u32_e32 vcc, v63, v60
	s_and_saveexec_b64 s[0:1], vcc
	s_xor_b64 s[0:1], exec, s[0:1]
	s_cbranch_execz .LBB52_161
; %bb.156:
	v_cmp_eq_u32_e32 vcc, 9, v63
	s_and_saveexec_b64 s[2:3], vcc
	s_cbranch_execz .LBB52_160
; %bb.157:
	v_cmp_ne_u32_e32 vcc, 9, v60
	s_xor_b64 s[14:15], s[6:7], -1
	s_and_b64 s[16:17], s[14:15], vcc
	s_and_saveexec_b64 s[14:15], s[16:17]
	s_cbranch_execz .LBB52_159
; %bb.158:
	v_ashrrev_i32_e32 v61, 31, v60
	v_lshlrev_b64 v[68:69], 2, v[60:61]
	v_add_co_u32_e32 v68, vcc, v4, v68
	v_addc_co_u32_e32 v69, vcc, v5, v69, vcc
	flat_load_dword v61, v[68:69]
	flat_load_dword v63, v[4:5] offset:36
	s_waitcnt vmcnt(0) lgkmcnt(0)
	flat_store_dword v[4:5], v61 offset:36
	flat_store_dword v[68:69], v63
.LBB52_159:
	s_or_b64 exec, exec, s[14:15]
	v_mov_b32_e32 v61, v60
	v_mov_b32_e32 v63, v60
.LBB52_160:
	s_or_b64 exec, exec, s[2:3]
.LBB52_161:
	s_andn2_saveexec_b64 s[0:1], s[0:1]
	s_cbranch_execz .LBB52_163
; %bb.162:
	v_mov_b32_e32 v68, v34
	v_mov_b32_e32 v69, v35
	v_mov_b32_e32 v70, v32
	v_mov_b32_e32 v71, v33
	ds_write2_b64 v62, v[68:69], v[70:71] offset0:10 offset1:11
	v_mov_b32_e32 v68, v30
	v_mov_b32_e32 v69, v31
	v_mov_b32_e32 v70, v28
	v_mov_b32_e32 v71, v29
	ds_write2_b64 v62, v[68:69], v[70:71] offset0:12 offset1:13
	;; [unrolled: 5-line block ×7, first 2 shown]
	v_mov_b32_e32 v68, v6
	v_mov_b32_e32 v69, v7
	;; [unrolled: 1-line block ×5, first 2 shown]
	ds_write2_b64 v62, v[68:69], v[70:71] offset0:24 offset1:25
	ds_write_b64 v62, v[56:57] offset:208
.LBB52_163:
	s_or_b64 exec, exec, s[0:1]
	v_cmp_lt_i32_e32 vcc, 9, v63
	s_waitcnt lgkmcnt(0)
	s_barrier
	s_and_saveexec_b64 s[0:1], vcc
	s_cbranch_execz .LBB52_165
; %bb.164:
	ds_read2_b64 v[68:71], v62 offset0:10 offset1:11
	ds_read2_b64 v[72:75], v62 offset0:12 offset1:13
	v_mul_f64 v[36:37], v[58:59], v[36:37]
	ds_read2_b64 v[76:79], v62 offset0:14 offset1:15
	ds_read_b64 v[58:59], v62 offset:208
	s_waitcnt lgkmcnt(0)
	v_fma_f64 v[34:35], -v[36:37], v[68:69], v[34:35]
	v_fma_f64 v[32:33], -v[36:37], v[70:71], v[32:33]
	ds_read2_b64 v[68:71], v62 offset0:16 offset1:17
	v_fma_f64 v[30:31], -v[36:37], v[72:73], v[30:31]
	v_fma_f64 v[28:29], -v[36:37], v[74:75], v[28:29]
	ds_read2_b64 v[72:75], v62 offset0:18 offset1:19
	;; [unrolled: 3-line block ×3, first 2 shown]
	s_waitcnt lgkmcnt(0)
	v_fma_f64 v[22:23], -v[36:37], v[68:69], v[22:23]
	v_fma_f64 v[20:21], -v[36:37], v[70:71], v[20:21]
	;; [unrolled: 1-line block ×4, first 2 shown]
	ds_read2_b64 v[68:71], v62 offset0:22 offset1:23
	ds_read2_b64 v[72:75], v62 offset0:24 offset1:25
	v_fma_f64 v[14:15], -v[36:37], v[76:77], v[14:15]
	v_fma_f64 v[12:13], -v[36:37], v[78:79], v[12:13]
	v_fma_f64 v[56:57], -v[36:37], v[58:59], v[56:57]
	s_waitcnt lgkmcnt(0)
	v_fma_f64 v[10:11], -v[36:37], v[68:69], v[10:11]
	v_fma_f64 v[8:9], -v[36:37], v[70:71], v[8:9]
	;; [unrolled: 1-line block ×4, first 2 shown]
.LBB52_165:
	s_or_b64 exec, exec, s[0:1]
	v_lshl_add_u32 v58, v63, 3, v62
	s_barrier
	ds_write_b64 v58, v[34:35]
	s_waitcnt lgkmcnt(0)
	s_barrier
	ds_read_b64 v[58:59], v62 offset:80
	s_cmp_lt_i32 s12, 12
	v_mov_b32_e32 v60, 10
	s_cbranch_scc1 .LBB52_168
; %bb.166:
	v_add_u32_e32 v67, 0x58, v62
	s_mov_b32 s0, 11
	v_mov_b32_e32 v60, 10
.LBB52_167:                             ; =>This Inner Loop Header: Depth=1
	ds_read_b64 v[68:69], v67
	v_mov_b32_e32 v70, s0
	s_add_i32 s0, s0, 1
	v_add_u32_e32 v67, 8, v67
	s_cmp_lg_u32 s12, s0
	s_waitcnt lgkmcnt(0)
	v_cmp_lt_f64_e64 vcc, |v[58:59]|, |v[68:69]|
	v_cndmask_b32_e32 v59, v59, v69, vcc
	v_cndmask_b32_e32 v58, v58, v68, vcc
	;; [unrolled: 1-line block ×3, first 2 shown]
	s_cbranch_scc1 .LBB52_167
.LBB52_168:
	s_waitcnt lgkmcnt(0)
	v_cmp_eq_f64_e32 vcc, 0, v[58:59]
	s_and_saveexec_b64 s[0:1], vcc
	s_xor_b64 s[0:1], exec, s[0:1]
; %bb.169:
	v_cmp_ne_u32_e32 vcc, 0, v66
	v_cndmask_b32_e32 v66, 11, v66, vcc
; %bb.170:
	s_andn2_saveexec_b64 s[0:1], s[0:1]
; %bb.171:
	v_div_scale_f64 v[68:69], s[2:3], v[58:59], v[58:59], 1.0
	v_rcp_f64_e32 v[70:71], v[68:69]
	v_div_scale_f64 v[72:73], vcc, 1.0, v[58:59], 1.0
	v_fma_f64 v[74:75], -v[68:69], v[70:71], 1.0
	v_fmac_f64_e32 v[70:71], v[70:71], v[74:75]
	v_fma_f64 v[74:75], -v[68:69], v[70:71], 1.0
	v_fmac_f64_e32 v[70:71], v[70:71], v[74:75]
	v_mul_f64 v[74:75], v[72:73], v[70:71]
	v_fma_f64 v[68:69], -v[68:69], v[74:75], v[72:73]
	v_div_fmas_f64 v[68:69], v[68:69], v[70:71], v[74:75]
	v_div_fixup_f64 v[58:59], v[68:69], v[58:59], 1.0
; %bb.172:
	s_or_b64 exec, exec, s[0:1]
	v_cmp_ne_u32_e32 vcc, v63, v60
	s_and_saveexec_b64 s[0:1], vcc
	s_xor_b64 s[0:1], exec, s[0:1]
	s_cbranch_execz .LBB52_178
; %bb.173:
	v_cmp_eq_u32_e32 vcc, 10, v63
	s_and_saveexec_b64 s[2:3], vcc
	s_cbranch_execz .LBB52_177
; %bb.174:
	v_cmp_ne_u32_e32 vcc, 10, v60
	s_xor_b64 s[14:15], s[6:7], -1
	s_and_b64 s[16:17], s[14:15], vcc
	s_and_saveexec_b64 s[14:15], s[16:17]
	s_cbranch_execz .LBB52_176
; %bb.175:
	v_ashrrev_i32_e32 v61, 31, v60
	v_lshlrev_b64 v[68:69], 2, v[60:61]
	v_add_co_u32_e32 v68, vcc, v4, v68
	v_addc_co_u32_e32 v69, vcc, v5, v69, vcc
	flat_load_dword v61, v[68:69]
	flat_load_dword v63, v[4:5] offset:40
	s_waitcnt vmcnt(0) lgkmcnt(0)
	flat_store_dword v[4:5], v61 offset:40
	flat_store_dword v[68:69], v63
.LBB52_176:
	s_or_b64 exec, exec, s[14:15]
	v_mov_b32_e32 v61, v60
	v_mov_b32_e32 v63, v60
.LBB52_177:
	s_or_b64 exec, exec, s[2:3]
.LBB52_178:
	s_andn2_saveexec_b64 s[0:1], s[0:1]
	s_cbranch_execz .LBB52_180
; %bb.179:
	v_mov_b32_e32 v63, 10
	ds_write2_b64 v62, v[32:33], v[30:31] offset0:11 offset1:12
	ds_write2_b64 v62, v[28:29], v[24:25] offset0:13 offset1:14
	;; [unrolled: 1-line block ×8, first 2 shown]
.LBB52_180:
	s_or_b64 exec, exec, s[0:1]
	v_cmp_lt_i32_e32 vcc, 10, v63
	s_waitcnt lgkmcnt(0)
	s_barrier
	s_and_saveexec_b64 s[0:1], vcc
	s_cbranch_execz .LBB52_182
; %bb.181:
	ds_read2_b64 v[68:71], v62 offset0:11 offset1:12
	ds_read2_b64 v[72:75], v62 offset0:13 offset1:14
	v_mul_f64 v[34:35], v[58:59], v[34:35]
	ds_read2_b64 v[76:79], v62 offset0:15 offset1:16
	s_waitcnt lgkmcnt(0)
	v_fma_f64 v[32:33], -v[34:35], v[68:69], v[32:33]
	v_fma_f64 v[30:31], -v[34:35], v[70:71], v[30:31]
	ds_read2_b64 v[68:71], v62 offset0:17 offset1:18
	v_fma_f64 v[28:29], -v[34:35], v[72:73], v[28:29]
	v_fma_f64 v[24:25], -v[34:35], v[74:75], v[24:25]
	ds_read2_b64 v[72:75], v62 offset0:19 offset1:20
	v_fma_f64 v[26:27], -v[34:35], v[76:77], v[26:27]
	v_fma_f64 v[22:23], -v[34:35], v[78:79], v[22:23]
	s_waitcnt lgkmcnt(0)
	v_fma_f64 v[20:21], -v[34:35], v[68:69], v[20:21]
	v_fma_f64 v[18:19], -v[34:35], v[70:71], v[18:19]
	ds_read2_b64 v[68:71], v62 offset0:21 offset1:22
	v_fma_f64 v[16:17], -v[34:35], v[72:73], v[16:17]
	ds_read2_b64 v[76:79], v62 offset0:23 offset1:24
	;; [unrolled: 2-line block ×3, first 2 shown]
	s_waitcnt lgkmcnt(0)
	v_fma_f64 v[12:13], -v[34:35], v[68:69], v[12:13]
	v_fma_f64 v[10:11], -v[34:35], v[70:71], v[10:11]
	;; [unrolled: 1-line block ×6, first 2 shown]
.LBB52_182:
	s_or_b64 exec, exec, s[0:1]
	v_lshl_add_u32 v58, v63, 3, v62
	s_barrier
	ds_write_b64 v58, v[32:33]
	s_waitcnt lgkmcnt(0)
	s_barrier
	ds_read_b64 v[58:59], v62 offset:88
	s_cmp_lt_i32 s12, 13
	v_mov_b32_e32 v60, 11
	s_cbranch_scc1 .LBB52_185
; %bb.183:
	v_add_u32_e32 v67, 0x60, v62
	s_mov_b32 s0, 12
	v_mov_b32_e32 v60, 11
.LBB52_184:                             ; =>This Inner Loop Header: Depth=1
	ds_read_b64 v[68:69], v67
	v_mov_b32_e32 v70, s0
	s_add_i32 s0, s0, 1
	v_add_u32_e32 v67, 8, v67
	s_cmp_lg_u32 s12, s0
	s_waitcnt lgkmcnt(0)
	v_cmp_lt_f64_e64 vcc, |v[58:59]|, |v[68:69]|
	v_cndmask_b32_e32 v59, v59, v69, vcc
	v_cndmask_b32_e32 v58, v58, v68, vcc
	;; [unrolled: 1-line block ×3, first 2 shown]
	s_cbranch_scc1 .LBB52_184
.LBB52_185:
	s_waitcnt lgkmcnt(0)
	v_cmp_eq_f64_e32 vcc, 0, v[58:59]
	s_and_saveexec_b64 s[0:1], vcc
	s_xor_b64 s[0:1], exec, s[0:1]
; %bb.186:
	v_cmp_ne_u32_e32 vcc, 0, v66
	v_cndmask_b32_e32 v66, 12, v66, vcc
; %bb.187:
	s_andn2_saveexec_b64 s[0:1], s[0:1]
; %bb.188:
	v_div_scale_f64 v[68:69], s[2:3], v[58:59], v[58:59], 1.0
	v_rcp_f64_e32 v[70:71], v[68:69]
	v_div_scale_f64 v[72:73], vcc, 1.0, v[58:59], 1.0
	v_fma_f64 v[74:75], -v[68:69], v[70:71], 1.0
	v_fmac_f64_e32 v[70:71], v[70:71], v[74:75]
	v_fma_f64 v[74:75], -v[68:69], v[70:71], 1.0
	v_fmac_f64_e32 v[70:71], v[70:71], v[74:75]
	v_mul_f64 v[74:75], v[72:73], v[70:71]
	v_fma_f64 v[68:69], -v[68:69], v[74:75], v[72:73]
	v_div_fmas_f64 v[68:69], v[68:69], v[70:71], v[74:75]
	v_div_fixup_f64 v[58:59], v[68:69], v[58:59], 1.0
; %bb.189:
	s_or_b64 exec, exec, s[0:1]
	v_cmp_ne_u32_e32 vcc, v63, v60
	s_and_saveexec_b64 s[0:1], vcc
	s_xor_b64 s[0:1], exec, s[0:1]
	s_cbranch_execz .LBB52_195
; %bb.190:
	v_cmp_eq_u32_e32 vcc, 11, v63
	s_and_saveexec_b64 s[2:3], vcc
	s_cbranch_execz .LBB52_194
; %bb.191:
	v_cmp_ne_u32_e32 vcc, 11, v60
	s_xor_b64 s[14:15], s[6:7], -1
	s_and_b64 s[16:17], s[14:15], vcc
	s_and_saveexec_b64 s[14:15], s[16:17]
	s_cbranch_execz .LBB52_193
; %bb.192:
	v_ashrrev_i32_e32 v61, 31, v60
	v_lshlrev_b64 v[68:69], 2, v[60:61]
	v_add_co_u32_e32 v68, vcc, v4, v68
	v_addc_co_u32_e32 v69, vcc, v5, v69, vcc
	flat_load_dword v61, v[68:69]
	flat_load_dword v63, v[4:5] offset:44
	s_waitcnt vmcnt(0) lgkmcnt(0)
	flat_store_dword v[4:5], v61 offset:44
	flat_store_dword v[68:69], v63
.LBB52_193:
	s_or_b64 exec, exec, s[14:15]
	v_mov_b32_e32 v61, v60
	v_mov_b32_e32 v63, v60
.LBB52_194:
	s_or_b64 exec, exec, s[2:3]
.LBB52_195:
	s_andn2_saveexec_b64 s[0:1], s[0:1]
	s_cbranch_execz .LBB52_197
; %bb.196:
	v_mov_b32_e32 v68, v30
	v_mov_b32_e32 v69, v31
	v_mov_b32_e32 v70, v28
	v_mov_b32_e32 v71, v29
	ds_write2_b64 v62, v[68:69], v[70:71] offset0:12 offset1:13
	v_mov_b32_e32 v68, v24
	v_mov_b32_e32 v69, v25
	v_mov_b32_e32 v70, v26
	v_mov_b32_e32 v71, v27
	ds_write2_b64 v62, v[68:69], v[70:71] offset0:14 offset1:15
	;; [unrolled: 5-line block ×6, first 2 shown]
	v_mov_b32_e32 v68, v6
	v_mov_b32_e32 v69, v7
	;; [unrolled: 1-line block ×5, first 2 shown]
	ds_write2_b64 v62, v[68:69], v[70:71] offset0:24 offset1:25
	ds_write_b64 v62, v[56:57] offset:208
.LBB52_197:
	s_or_b64 exec, exec, s[0:1]
	v_cmp_lt_i32_e32 vcc, 11, v63
	s_waitcnt lgkmcnt(0)
	s_barrier
	s_and_saveexec_b64 s[0:1], vcc
	s_cbranch_execz .LBB52_199
; %bb.198:
	ds_read2_b64 v[68:71], v62 offset0:12 offset1:13
	ds_read2_b64 v[72:75], v62 offset0:14 offset1:15
	v_mul_f64 v[32:33], v[58:59], v[32:33]
	ds_read2_b64 v[76:79], v62 offset0:16 offset1:17
	ds_read_b64 v[58:59], v62 offset:208
	s_waitcnt lgkmcnt(0)
	v_fma_f64 v[30:31], -v[32:33], v[68:69], v[30:31]
	v_fma_f64 v[28:29], -v[32:33], v[70:71], v[28:29]
	ds_read2_b64 v[68:71], v62 offset0:18 offset1:19
	v_fma_f64 v[24:25], -v[32:33], v[72:73], v[24:25]
	v_fma_f64 v[26:27], -v[32:33], v[74:75], v[26:27]
	;; [unrolled: 1-line block ×3, first 2 shown]
	ds_read2_b64 v[72:75], v62 offset0:20 offset1:21
	v_fma_f64 v[20:21], -v[32:33], v[78:79], v[20:21]
	s_waitcnt lgkmcnt(0)
	v_fma_f64 v[18:19], -v[32:33], v[68:69], v[18:19]
	v_fma_f64 v[16:17], -v[32:33], v[70:71], v[16:17]
	ds_read2_b64 v[68:71], v62 offset0:22 offset1:23
	ds_read2_b64 v[76:79], v62 offset0:24 offset1:25
	v_fma_f64 v[14:15], -v[32:33], v[72:73], v[14:15]
	v_fma_f64 v[12:13], -v[32:33], v[74:75], v[12:13]
	;; [unrolled: 1-line block ×3, first 2 shown]
	s_waitcnt lgkmcnt(0)
	v_fma_f64 v[10:11], -v[32:33], v[68:69], v[10:11]
	v_fma_f64 v[8:9], -v[32:33], v[70:71], v[8:9]
	;; [unrolled: 1-line block ×4, first 2 shown]
.LBB52_199:
	s_or_b64 exec, exec, s[0:1]
	v_lshl_add_u32 v58, v63, 3, v62
	s_barrier
	ds_write_b64 v58, v[30:31]
	s_waitcnt lgkmcnt(0)
	s_barrier
	ds_read_b64 v[58:59], v62 offset:96
	s_cmp_lt_i32 s12, 14
	v_mov_b32_e32 v60, 12
	s_cbranch_scc1 .LBB52_202
; %bb.200:
	v_add_u32_e32 v67, 0x68, v62
	s_mov_b32 s0, 13
	v_mov_b32_e32 v60, 12
.LBB52_201:                             ; =>This Inner Loop Header: Depth=1
	ds_read_b64 v[68:69], v67
	v_mov_b32_e32 v70, s0
	s_add_i32 s0, s0, 1
	v_add_u32_e32 v67, 8, v67
	s_cmp_lg_u32 s12, s0
	s_waitcnt lgkmcnt(0)
	v_cmp_lt_f64_e64 vcc, |v[58:59]|, |v[68:69]|
	v_cndmask_b32_e32 v59, v59, v69, vcc
	v_cndmask_b32_e32 v58, v58, v68, vcc
	;; [unrolled: 1-line block ×3, first 2 shown]
	s_cbranch_scc1 .LBB52_201
.LBB52_202:
	s_waitcnt lgkmcnt(0)
	v_cmp_eq_f64_e32 vcc, 0, v[58:59]
	s_and_saveexec_b64 s[0:1], vcc
	s_xor_b64 s[0:1], exec, s[0:1]
; %bb.203:
	v_cmp_ne_u32_e32 vcc, 0, v66
	v_cndmask_b32_e32 v66, 13, v66, vcc
; %bb.204:
	s_andn2_saveexec_b64 s[0:1], s[0:1]
; %bb.205:
	v_div_scale_f64 v[68:69], s[2:3], v[58:59], v[58:59], 1.0
	v_rcp_f64_e32 v[70:71], v[68:69]
	v_div_scale_f64 v[72:73], vcc, 1.0, v[58:59], 1.0
	v_fma_f64 v[74:75], -v[68:69], v[70:71], 1.0
	v_fmac_f64_e32 v[70:71], v[70:71], v[74:75]
	v_fma_f64 v[74:75], -v[68:69], v[70:71], 1.0
	v_fmac_f64_e32 v[70:71], v[70:71], v[74:75]
	v_mul_f64 v[74:75], v[72:73], v[70:71]
	v_fma_f64 v[68:69], -v[68:69], v[74:75], v[72:73]
	v_div_fmas_f64 v[68:69], v[68:69], v[70:71], v[74:75]
	v_div_fixup_f64 v[58:59], v[68:69], v[58:59], 1.0
; %bb.206:
	s_or_b64 exec, exec, s[0:1]
	v_cmp_ne_u32_e32 vcc, v63, v60
	s_and_saveexec_b64 s[0:1], vcc
	s_xor_b64 s[0:1], exec, s[0:1]
	s_cbranch_execz .LBB52_212
; %bb.207:
	v_cmp_eq_u32_e32 vcc, 12, v63
	s_and_saveexec_b64 s[2:3], vcc
	s_cbranch_execz .LBB52_211
; %bb.208:
	v_cmp_ne_u32_e32 vcc, 12, v60
	s_xor_b64 s[14:15], s[6:7], -1
	s_and_b64 s[16:17], s[14:15], vcc
	s_and_saveexec_b64 s[14:15], s[16:17]
	s_cbranch_execz .LBB52_210
; %bb.209:
	v_ashrrev_i32_e32 v61, 31, v60
	v_lshlrev_b64 v[68:69], 2, v[60:61]
	v_add_co_u32_e32 v68, vcc, v4, v68
	v_addc_co_u32_e32 v69, vcc, v5, v69, vcc
	flat_load_dword v61, v[68:69]
	flat_load_dword v63, v[4:5] offset:48
	s_waitcnt vmcnt(0) lgkmcnt(0)
	flat_store_dword v[4:5], v61 offset:48
	flat_store_dword v[68:69], v63
.LBB52_210:
	s_or_b64 exec, exec, s[14:15]
	v_mov_b32_e32 v61, v60
	v_mov_b32_e32 v63, v60
.LBB52_211:
	s_or_b64 exec, exec, s[2:3]
.LBB52_212:
	s_andn2_saveexec_b64 s[0:1], s[0:1]
	s_cbranch_execz .LBB52_214
; %bb.213:
	v_mov_b32_e32 v63, 12
	ds_write2_b64 v62, v[28:29], v[24:25] offset0:13 offset1:14
	ds_write2_b64 v62, v[26:27], v[22:23] offset0:15 offset1:16
	;; [unrolled: 1-line block ×7, first 2 shown]
.LBB52_214:
	s_or_b64 exec, exec, s[0:1]
	v_cmp_lt_i32_e32 vcc, 12, v63
	s_waitcnt lgkmcnt(0)
	s_barrier
	s_and_saveexec_b64 s[0:1], vcc
	s_cbranch_execz .LBB52_216
; %bb.215:
	ds_read2_b64 v[68:71], v62 offset0:13 offset1:14
	ds_read2_b64 v[72:75], v62 offset0:15 offset1:16
	v_mul_f64 v[30:31], v[58:59], v[30:31]
	ds_read2_b64 v[76:79], v62 offset0:17 offset1:18
	s_waitcnt lgkmcnt(0)
	v_fma_f64 v[28:29], -v[30:31], v[68:69], v[28:29]
	v_fma_f64 v[24:25], -v[30:31], v[70:71], v[24:25]
	ds_read2_b64 v[68:71], v62 offset0:19 offset1:20
	v_fma_f64 v[26:27], -v[30:31], v[72:73], v[26:27]
	v_fma_f64 v[22:23], -v[30:31], v[74:75], v[22:23]
	;; [unrolled: 1-line block ×4, first 2 shown]
	ds_read2_b64 v[72:75], v62 offset0:21 offset1:22
	ds_read2_b64 v[76:79], v62 offset0:23 offset1:24
	s_waitcnt lgkmcnt(0)
	v_fma_f64 v[16:17], -v[30:31], v[68:69], v[16:17]
	v_fma_f64 v[14:15], -v[30:31], v[70:71], v[14:15]
	ds_read2_b64 v[68:71], v62 offset0:25 offset1:26
	v_fma_f64 v[12:13], -v[30:31], v[72:73], v[12:13]
	v_fma_f64 v[10:11], -v[30:31], v[74:75], v[10:11]
	;; [unrolled: 1-line block ×4, first 2 shown]
	s_waitcnt lgkmcnt(0)
	v_fma_f64 v[0:1], -v[30:31], v[68:69], v[0:1]
	v_fma_f64 v[56:57], -v[30:31], v[70:71], v[56:57]
.LBB52_216:
	s_or_b64 exec, exec, s[0:1]
	v_lshl_add_u32 v58, v63, 3, v62
	s_barrier
	ds_write_b64 v58, v[28:29]
	s_waitcnt lgkmcnt(0)
	s_barrier
	ds_read_b64 v[58:59], v62 offset:104
	s_cmp_lt_i32 s12, 15
	v_mov_b32_e32 v60, 13
	s_cbranch_scc1 .LBB52_219
; %bb.217:
	v_add_u32_e32 v67, 0x70, v62
	s_mov_b32 s0, 14
	v_mov_b32_e32 v60, 13
.LBB52_218:                             ; =>This Inner Loop Header: Depth=1
	ds_read_b64 v[68:69], v67
	v_mov_b32_e32 v70, s0
	s_add_i32 s0, s0, 1
	v_add_u32_e32 v67, 8, v67
	s_cmp_lg_u32 s12, s0
	s_waitcnt lgkmcnt(0)
	v_cmp_lt_f64_e64 vcc, |v[58:59]|, |v[68:69]|
	v_cndmask_b32_e32 v59, v59, v69, vcc
	v_cndmask_b32_e32 v58, v58, v68, vcc
	;; [unrolled: 1-line block ×3, first 2 shown]
	s_cbranch_scc1 .LBB52_218
.LBB52_219:
	s_waitcnt lgkmcnt(0)
	v_cmp_eq_f64_e32 vcc, 0, v[58:59]
	s_and_saveexec_b64 s[0:1], vcc
	s_xor_b64 s[0:1], exec, s[0:1]
; %bb.220:
	v_cmp_ne_u32_e32 vcc, 0, v66
	v_cndmask_b32_e32 v66, 14, v66, vcc
; %bb.221:
	s_andn2_saveexec_b64 s[0:1], s[0:1]
; %bb.222:
	v_div_scale_f64 v[68:69], s[2:3], v[58:59], v[58:59], 1.0
	v_rcp_f64_e32 v[70:71], v[68:69]
	v_div_scale_f64 v[72:73], vcc, 1.0, v[58:59], 1.0
	v_fma_f64 v[74:75], -v[68:69], v[70:71], 1.0
	v_fmac_f64_e32 v[70:71], v[70:71], v[74:75]
	v_fma_f64 v[74:75], -v[68:69], v[70:71], 1.0
	v_fmac_f64_e32 v[70:71], v[70:71], v[74:75]
	v_mul_f64 v[74:75], v[72:73], v[70:71]
	v_fma_f64 v[68:69], -v[68:69], v[74:75], v[72:73]
	v_div_fmas_f64 v[68:69], v[68:69], v[70:71], v[74:75]
	v_div_fixup_f64 v[58:59], v[68:69], v[58:59], 1.0
; %bb.223:
	s_or_b64 exec, exec, s[0:1]
	v_cmp_ne_u32_e32 vcc, v63, v60
	s_and_saveexec_b64 s[0:1], vcc
	s_xor_b64 s[0:1], exec, s[0:1]
	s_cbranch_execz .LBB52_229
; %bb.224:
	v_cmp_eq_u32_e32 vcc, 13, v63
	s_and_saveexec_b64 s[2:3], vcc
	s_cbranch_execz .LBB52_228
; %bb.225:
	v_cmp_ne_u32_e32 vcc, 13, v60
	s_xor_b64 s[14:15], s[6:7], -1
	s_and_b64 s[16:17], s[14:15], vcc
	s_and_saveexec_b64 s[14:15], s[16:17]
	s_cbranch_execz .LBB52_227
; %bb.226:
	v_ashrrev_i32_e32 v61, 31, v60
	v_lshlrev_b64 v[68:69], 2, v[60:61]
	v_add_co_u32_e32 v68, vcc, v4, v68
	v_addc_co_u32_e32 v69, vcc, v5, v69, vcc
	flat_load_dword v61, v[68:69]
	flat_load_dword v63, v[4:5] offset:52
	s_waitcnt vmcnt(0) lgkmcnt(0)
	flat_store_dword v[4:5], v61 offset:52
	flat_store_dword v[68:69], v63
.LBB52_227:
	s_or_b64 exec, exec, s[14:15]
	v_mov_b32_e32 v61, v60
	v_mov_b32_e32 v63, v60
.LBB52_228:
	s_or_b64 exec, exec, s[2:3]
.LBB52_229:
	s_andn2_saveexec_b64 s[0:1], s[0:1]
	s_cbranch_execz .LBB52_231
; %bb.230:
	v_mov_b32_e32 v68, v24
	v_mov_b32_e32 v69, v25
	v_mov_b32_e32 v70, v26
	v_mov_b32_e32 v71, v27
	ds_write2_b64 v62, v[68:69], v[70:71] offset0:14 offset1:15
	v_mov_b32_e32 v68, v22
	v_mov_b32_e32 v69, v23
	v_mov_b32_e32 v70, v20
	v_mov_b32_e32 v71, v21
	ds_write2_b64 v62, v[68:69], v[70:71] offset0:16 offset1:17
	;; [unrolled: 5-line block ×5, first 2 shown]
	v_mov_b32_e32 v68, v6
	v_mov_b32_e32 v69, v7
	;; [unrolled: 1-line block ×5, first 2 shown]
	ds_write2_b64 v62, v[68:69], v[70:71] offset0:24 offset1:25
	ds_write_b64 v62, v[56:57] offset:208
.LBB52_231:
	s_or_b64 exec, exec, s[0:1]
	v_cmp_lt_i32_e32 vcc, 13, v63
	s_waitcnt lgkmcnt(0)
	s_barrier
	s_and_saveexec_b64 s[0:1], vcc
	s_cbranch_execz .LBB52_233
; %bb.232:
	ds_read2_b64 v[68:71], v62 offset0:14 offset1:15
	ds_read2_b64 v[72:75], v62 offset0:16 offset1:17
	;; [unrolled: 1-line block ×3, first 2 shown]
	v_mul_f64 v[28:29], v[58:59], v[28:29]
	ds_read_b64 v[58:59], v62 offset:208
	s_waitcnt lgkmcnt(0)
	v_fma_f64 v[24:25], -v[28:29], v[68:69], v[24:25]
	v_fma_f64 v[26:27], -v[28:29], v[70:71], v[26:27]
	ds_read2_b64 v[68:71], v62 offset0:20 offset1:21
	v_fma_f64 v[22:23], -v[28:29], v[72:73], v[22:23]
	v_fma_f64 v[20:21], -v[28:29], v[74:75], v[20:21]
	v_fma_f64 v[18:19], -v[28:29], v[76:77], v[18:19]
	v_fma_f64 v[16:17], -v[28:29], v[78:79], v[16:17]
	ds_read2_b64 v[72:75], v62 offset0:22 offset1:23
	ds_read2_b64 v[76:79], v62 offset0:24 offset1:25
	s_waitcnt lgkmcnt(0)
	v_fma_f64 v[14:15], -v[28:29], v[68:69], v[14:15]
	v_fma_f64 v[12:13], -v[28:29], v[70:71], v[12:13]
	;; [unrolled: 1-line block ×7, first 2 shown]
.LBB52_233:
	s_or_b64 exec, exec, s[0:1]
	v_lshl_add_u32 v58, v63, 3, v62
	s_barrier
	ds_write_b64 v58, v[24:25]
	s_waitcnt lgkmcnt(0)
	s_barrier
	ds_read_b64 v[58:59], v62 offset:112
	s_cmp_lt_i32 s12, 16
	v_mov_b32_e32 v60, 14
	s_cbranch_scc1 .LBB52_236
; %bb.234:
	v_add_u32_e32 v67, 0x78, v62
	s_mov_b32 s0, 15
	v_mov_b32_e32 v60, 14
.LBB52_235:                             ; =>This Inner Loop Header: Depth=1
	ds_read_b64 v[68:69], v67
	v_mov_b32_e32 v70, s0
	s_add_i32 s0, s0, 1
	v_add_u32_e32 v67, 8, v67
	s_cmp_lg_u32 s12, s0
	s_waitcnt lgkmcnt(0)
	v_cmp_lt_f64_e64 vcc, |v[58:59]|, |v[68:69]|
	v_cndmask_b32_e32 v59, v59, v69, vcc
	v_cndmask_b32_e32 v58, v58, v68, vcc
	;; [unrolled: 1-line block ×3, first 2 shown]
	s_cbranch_scc1 .LBB52_235
.LBB52_236:
	s_waitcnt lgkmcnt(0)
	v_cmp_eq_f64_e32 vcc, 0, v[58:59]
	s_and_saveexec_b64 s[0:1], vcc
	s_xor_b64 s[0:1], exec, s[0:1]
; %bb.237:
	v_cmp_ne_u32_e32 vcc, 0, v66
	v_cndmask_b32_e32 v66, 15, v66, vcc
; %bb.238:
	s_andn2_saveexec_b64 s[0:1], s[0:1]
; %bb.239:
	v_div_scale_f64 v[68:69], s[2:3], v[58:59], v[58:59], 1.0
	v_rcp_f64_e32 v[70:71], v[68:69]
	v_div_scale_f64 v[72:73], vcc, 1.0, v[58:59], 1.0
	v_fma_f64 v[74:75], -v[68:69], v[70:71], 1.0
	v_fmac_f64_e32 v[70:71], v[70:71], v[74:75]
	v_fma_f64 v[74:75], -v[68:69], v[70:71], 1.0
	v_fmac_f64_e32 v[70:71], v[70:71], v[74:75]
	v_mul_f64 v[74:75], v[72:73], v[70:71]
	v_fma_f64 v[68:69], -v[68:69], v[74:75], v[72:73]
	v_div_fmas_f64 v[68:69], v[68:69], v[70:71], v[74:75]
	v_div_fixup_f64 v[58:59], v[68:69], v[58:59], 1.0
; %bb.240:
	s_or_b64 exec, exec, s[0:1]
	v_cmp_ne_u32_e32 vcc, v63, v60
	s_and_saveexec_b64 s[0:1], vcc
	s_xor_b64 s[0:1], exec, s[0:1]
	s_cbranch_execz .LBB52_246
; %bb.241:
	v_cmp_eq_u32_e32 vcc, 14, v63
	s_and_saveexec_b64 s[2:3], vcc
	s_cbranch_execz .LBB52_245
; %bb.242:
	v_cmp_ne_u32_e32 vcc, 14, v60
	s_xor_b64 s[14:15], s[6:7], -1
	s_and_b64 s[16:17], s[14:15], vcc
	s_and_saveexec_b64 s[14:15], s[16:17]
	s_cbranch_execz .LBB52_244
; %bb.243:
	v_ashrrev_i32_e32 v61, 31, v60
	v_lshlrev_b64 v[68:69], 2, v[60:61]
	v_add_co_u32_e32 v68, vcc, v4, v68
	v_addc_co_u32_e32 v69, vcc, v5, v69, vcc
	flat_load_dword v61, v[68:69]
	flat_load_dword v63, v[4:5] offset:56
	s_waitcnt vmcnt(0) lgkmcnt(0)
	flat_store_dword v[4:5], v61 offset:56
	flat_store_dword v[68:69], v63
.LBB52_244:
	s_or_b64 exec, exec, s[14:15]
	v_mov_b32_e32 v61, v60
	v_mov_b32_e32 v63, v60
.LBB52_245:
	s_or_b64 exec, exec, s[2:3]
.LBB52_246:
	s_andn2_saveexec_b64 s[0:1], s[0:1]
	s_cbranch_execz .LBB52_248
; %bb.247:
	v_mov_b32_e32 v63, 14
	ds_write2_b64 v62, v[26:27], v[22:23] offset0:15 offset1:16
	ds_write2_b64 v62, v[20:21], v[18:19] offset0:17 offset1:18
	;; [unrolled: 1-line block ×6, first 2 shown]
.LBB52_248:
	s_or_b64 exec, exec, s[0:1]
	v_cmp_lt_i32_e32 vcc, 14, v63
	s_waitcnt lgkmcnt(0)
	s_barrier
	s_and_saveexec_b64 s[0:1], vcc
	s_cbranch_execz .LBB52_250
; %bb.249:
	ds_read2_b64 v[68:71], v62 offset0:15 offset1:16
	ds_read2_b64 v[72:75], v62 offset0:17 offset1:18
	;; [unrolled: 1-line block ×3, first 2 shown]
	v_mul_f64 v[24:25], v[58:59], v[24:25]
	s_waitcnt lgkmcnt(0)
	v_fma_f64 v[26:27], -v[24:25], v[68:69], v[26:27]
	v_fma_f64 v[22:23], -v[24:25], v[70:71], v[22:23]
	ds_read2_b64 v[68:71], v62 offset0:21 offset1:22
	v_fma_f64 v[20:21], -v[24:25], v[72:73], v[20:21]
	v_fma_f64 v[18:19], -v[24:25], v[74:75], v[18:19]
	;; [unrolled: 1-line block ×3, first 2 shown]
	ds_read2_b64 v[72:75], v62 offset0:23 offset1:24
	v_fma_f64 v[14:15], -v[24:25], v[78:79], v[14:15]
	ds_read2_b64 v[76:79], v62 offset0:25 offset1:26
	s_waitcnt lgkmcnt(0)
	v_fma_f64 v[12:13], -v[24:25], v[68:69], v[12:13]
	v_fma_f64 v[10:11], -v[24:25], v[70:71], v[10:11]
	;; [unrolled: 1-line block ×6, first 2 shown]
.LBB52_250:
	s_or_b64 exec, exec, s[0:1]
	v_lshl_add_u32 v58, v63, 3, v62
	s_barrier
	ds_write_b64 v58, v[26:27]
	s_waitcnt lgkmcnt(0)
	s_barrier
	ds_read_b64 v[58:59], v62 offset:120
	s_cmp_lt_i32 s12, 17
	v_mov_b32_e32 v60, 15
	s_cbranch_scc1 .LBB52_253
; %bb.251:
	v_add_u32_e32 v67, 0x80, v62
	s_mov_b32 s0, 16
	v_mov_b32_e32 v60, 15
.LBB52_252:                             ; =>This Inner Loop Header: Depth=1
	ds_read_b64 v[68:69], v67
	v_mov_b32_e32 v70, s0
	s_add_i32 s0, s0, 1
	v_add_u32_e32 v67, 8, v67
	s_cmp_lg_u32 s12, s0
	s_waitcnt lgkmcnt(0)
	v_cmp_lt_f64_e64 vcc, |v[58:59]|, |v[68:69]|
	v_cndmask_b32_e32 v59, v59, v69, vcc
	v_cndmask_b32_e32 v58, v58, v68, vcc
	;; [unrolled: 1-line block ×3, first 2 shown]
	s_cbranch_scc1 .LBB52_252
.LBB52_253:
	s_waitcnt lgkmcnt(0)
	v_cmp_eq_f64_e32 vcc, 0, v[58:59]
	s_and_saveexec_b64 s[0:1], vcc
	s_xor_b64 s[0:1], exec, s[0:1]
; %bb.254:
	v_cmp_ne_u32_e32 vcc, 0, v66
	v_cndmask_b32_e32 v66, 16, v66, vcc
; %bb.255:
	s_andn2_saveexec_b64 s[0:1], s[0:1]
; %bb.256:
	v_div_scale_f64 v[68:69], s[2:3], v[58:59], v[58:59], 1.0
	v_rcp_f64_e32 v[70:71], v[68:69]
	v_div_scale_f64 v[72:73], vcc, 1.0, v[58:59], 1.0
	v_fma_f64 v[74:75], -v[68:69], v[70:71], 1.0
	v_fmac_f64_e32 v[70:71], v[70:71], v[74:75]
	v_fma_f64 v[74:75], -v[68:69], v[70:71], 1.0
	v_fmac_f64_e32 v[70:71], v[70:71], v[74:75]
	v_mul_f64 v[74:75], v[72:73], v[70:71]
	v_fma_f64 v[68:69], -v[68:69], v[74:75], v[72:73]
	v_div_fmas_f64 v[68:69], v[68:69], v[70:71], v[74:75]
	v_div_fixup_f64 v[58:59], v[68:69], v[58:59], 1.0
; %bb.257:
	s_or_b64 exec, exec, s[0:1]
	v_cmp_ne_u32_e32 vcc, v63, v60
	s_and_saveexec_b64 s[0:1], vcc
	s_xor_b64 s[0:1], exec, s[0:1]
	s_cbranch_execz .LBB52_263
; %bb.258:
	v_cmp_eq_u32_e32 vcc, 15, v63
	s_and_saveexec_b64 s[2:3], vcc
	s_cbranch_execz .LBB52_262
; %bb.259:
	v_cmp_ne_u32_e32 vcc, 15, v60
	s_xor_b64 s[14:15], s[6:7], -1
	s_and_b64 s[16:17], s[14:15], vcc
	s_and_saveexec_b64 s[14:15], s[16:17]
	s_cbranch_execz .LBB52_261
; %bb.260:
	v_ashrrev_i32_e32 v61, 31, v60
	v_lshlrev_b64 v[68:69], 2, v[60:61]
	v_add_co_u32_e32 v68, vcc, v4, v68
	v_addc_co_u32_e32 v69, vcc, v5, v69, vcc
	flat_load_dword v61, v[68:69]
	flat_load_dword v63, v[4:5] offset:60
	s_waitcnt vmcnt(0) lgkmcnt(0)
	flat_store_dword v[4:5], v61 offset:60
	flat_store_dword v[68:69], v63
.LBB52_261:
	s_or_b64 exec, exec, s[14:15]
	v_mov_b32_e32 v61, v60
	v_mov_b32_e32 v63, v60
.LBB52_262:
	s_or_b64 exec, exec, s[2:3]
.LBB52_263:
	s_andn2_saveexec_b64 s[0:1], s[0:1]
	s_cbranch_execz .LBB52_265
; %bb.264:
	v_mov_b32_e32 v68, v22
	v_mov_b32_e32 v69, v23
	v_mov_b32_e32 v70, v20
	v_mov_b32_e32 v71, v21
	ds_write2_b64 v62, v[68:69], v[70:71] offset0:16 offset1:17
	v_mov_b32_e32 v68, v18
	v_mov_b32_e32 v69, v19
	v_mov_b32_e32 v70, v16
	v_mov_b32_e32 v71, v17
	ds_write2_b64 v62, v[68:69], v[70:71] offset0:18 offset1:19
	;; [unrolled: 5-line block ×4, first 2 shown]
	v_mov_b32_e32 v68, v6
	v_mov_b32_e32 v69, v7
	v_mov_b32_e32 v70, v0
	v_mov_b32_e32 v71, v1
	v_mov_b32_e32 v63, 15
	ds_write2_b64 v62, v[68:69], v[70:71] offset0:24 offset1:25
	ds_write_b64 v62, v[56:57] offset:208
.LBB52_265:
	s_or_b64 exec, exec, s[0:1]
	v_cmp_lt_i32_e32 vcc, 15, v63
	s_waitcnt lgkmcnt(0)
	s_barrier
	s_and_saveexec_b64 s[0:1], vcc
	s_cbranch_execz .LBB52_267
; %bb.266:
	ds_read2_b64 v[68:71], v62 offset0:16 offset1:17
	ds_read2_b64 v[72:75], v62 offset0:18 offset1:19
	v_mul_f64 v[26:27], v[58:59], v[26:27]
	ds_read2_b64 v[76:79], v62 offset0:20 offset1:21
	ds_read_b64 v[58:59], v62 offset:208
	s_waitcnt lgkmcnt(0)
	v_fma_f64 v[22:23], -v[26:27], v[68:69], v[22:23]
	v_fma_f64 v[20:21], -v[26:27], v[70:71], v[20:21]
	ds_read2_b64 v[68:71], v62 offset0:22 offset1:23
	v_fma_f64 v[18:19], -v[26:27], v[72:73], v[18:19]
	v_fma_f64 v[16:17], -v[26:27], v[74:75], v[16:17]
	ds_read2_b64 v[72:75], v62 offset0:24 offset1:25
	v_fma_f64 v[14:15], -v[26:27], v[76:77], v[14:15]
	v_fma_f64 v[12:13], -v[26:27], v[78:79], v[12:13]
	s_waitcnt lgkmcnt(0)
	v_fma_f64 v[10:11], -v[26:27], v[68:69], v[10:11]
	v_fma_f64 v[8:9], -v[26:27], v[70:71], v[8:9]
	;; [unrolled: 1-line block ×5, first 2 shown]
.LBB52_267:
	s_or_b64 exec, exec, s[0:1]
	v_lshl_add_u32 v58, v63, 3, v62
	s_barrier
	ds_write_b64 v58, v[22:23]
	s_waitcnt lgkmcnt(0)
	s_barrier
	ds_read_b64 v[58:59], v62 offset:128
	s_cmp_lt_i32 s12, 18
	v_mov_b32_e32 v60, 16
	s_cbranch_scc1 .LBB52_270
; %bb.268:
	v_add_u32_e32 v67, 0x88, v62
	s_mov_b32 s0, 17
	v_mov_b32_e32 v60, 16
.LBB52_269:                             ; =>This Inner Loop Header: Depth=1
	ds_read_b64 v[68:69], v67
	v_mov_b32_e32 v70, s0
	s_add_i32 s0, s0, 1
	v_add_u32_e32 v67, 8, v67
	s_cmp_lg_u32 s12, s0
	s_waitcnt lgkmcnt(0)
	v_cmp_lt_f64_e64 vcc, |v[58:59]|, |v[68:69]|
	v_cndmask_b32_e32 v59, v59, v69, vcc
	v_cndmask_b32_e32 v58, v58, v68, vcc
	;; [unrolled: 1-line block ×3, first 2 shown]
	s_cbranch_scc1 .LBB52_269
.LBB52_270:
	s_waitcnt lgkmcnt(0)
	v_cmp_eq_f64_e32 vcc, 0, v[58:59]
	s_and_saveexec_b64 s[0:1], vcc
	s_xor_b64 s[0:1], exec, s[0:1]
; %bb.271:
	v_cmp_ne_u32_e32 vcc, 0, v66
	v_cndmask_b32_e32 v66, 17, v66, vcc
; %bb.272:
	s_andn2_saveexec_b64 s[0:1], s[0:1]
; %bb.273:
	v_div_scale_f64 v[68:69], s[2:3], v[58:59], v[58:59], 1.0
	v_rcp_f64_e32 v[70:71], v[68:69]
	v_div_scale_f64 v[72:73], vcc, 1.0, v[58:59], 1.0
	v_fma_f64 v[74:75], -v[68:69], v[70:71], 1.0
	v_fmac_f64_e32 v[70:71], v[70:71], v[74:75]
	v_fma_f64 v[74:75], -v[68:69], v[70:71], 1.0
	v_fmac_f64_e32 v[70:71], v[70:71], v[74:75]
	v_mul_f64 v[74:75], v[72:73], v[70:71]
	v_fma_f64 v[68:69], -v[68:69], v[74:75], v[72:73]
	v_div_fmas_f64 v[68:69], v[68:69], v[70:71], v[74:75]
	v_div_fixup_f64 v[58:59], v[68:69], v[58:59], 1.0
; %bb.274:
	s_or_b64 exec, exec, s[0:1]
	v_cmp_ne_u32_e32 vcc, v63, v60
	s_and_saveexec_b64 s[0:1], vcc
	s_xor_b64 s[0:1], exec, s[0:1]
	s_cbranch_execz .LBB52_280
; %bb.275:
	v_cmp_eq_u32_e32 vcc, 16, v63
	s_and_saveexec_b64 s[2:3], vcc
	s_cbranch_execz .LBB52_279
; %bb.276:
	v_cmp_ne_u32_e32 vcc, 16, v60
	s_xor_b64 s[14:15], s[6:7], -1
	s_and_b64 s[16:17], s[14:15], vcc
	s_and_saveexec_b64 s[14:15], s[16:17]
	s_cbranch_execz .LBB52_278
; %bb.277:
	v_ashrrev_i32_e32 v61, 31, v60
	v_lshlrev_b64 v[68:69], 2, v[60:61]
	v_add_co_u32_e32 v68, vcc, v4, v68
	v_addc_co_u32_e32 v69, vcc, v5, v69, vcc
	flat_load_dword v61, v[68:69]
	flat_load_dword v63, v[4:5] offset:64
	s_waitcnt vmcnt(0) lgkmcnt(0)
	flat_store_dword v[4:5], v61 offset:64
	flat_store_dword v[68:69], v63
.LBB52_278:
	s_or_b64 exec, exec, s[14:15]
	v_mov_b32_e32 v61, v60
	v_mov_b32_e32 v63, v60
.LBB52_279:
	s_or_b64 exec, exec, s[2:3]
.LBB52_280:
	s_andn2_saveexec_b64 s[0:1], s[0:1]
	s_cbranch_execz .LBB52_282
; %bb.281:
	v_mov_b32_e32 v63, 16
	ds_write2_b64 v62, v[20:21], v[18:19] offset0:17 offset1:18
	ds_write2_b64 v62, v[16:17], v[14:15] offset0:19 offset1:20
	ds_write2_b64 v62, v[12:13], v[10:11] offset0:21 offset1:22
	ds_write2_b64 v62, v[8:9], v[6:7] offset0:23 offset1:24
	ds_write2_b64 v62, v[0:1], v[56:57] offset0:25 offset1:26
.LBB52_282:
	s_or_b64 exec, exec, s[0:1]
	v_cmp_lt_i32_e32 vcc, 16, v63
	s_waitcnt lgkmcnt(0)
	s_barrier
	s_and_saveexec_b64 s[0:1], vcc
	s_cbranch_execz .LBB52_284
; %bb.283:
	ds_read2_b64 v[68:71], v62 offset0:17 offset1:18
	ds_read2_b64 v[72:75], v62 offset0:19 offset1:20
	v_mul_f64 v[22:23], v[58:59], v[22:23]
	ds_read2_b64 v[76:79], v62 offset0:23 offset1:24
	s_waitcnt lgkmcnt(0)
	v_fma_f64 v[20:21], -v[22:23], v[68:69], v[20:21]
	v_fma_f64 v[18:19], -v[22:23], v[70:71], v[18:19]
	ds_read2_b64 v[68:71], v62 offset0:21 offset1:22
	v_fma_f64 v[16:17], -v[22:23], v[72:73], v[16:17]
	v_fma_f64 v[14:15], -v[22:23], v[74:75], v[14:15]
	ds_read2_b64 v[72:75], v62 offset0:25 offset1:26
	v_fma_f64 v[8:9], -v[22:23], v[76:77], v[8:9]
	s_waitcnt lgkmcnt(0)
	v_fma_f64 v[12:13], -v[22:23], v[68:69], v[12:13]
	v_fma_f64 v[10:11], -v[22:23], v[70:71], v[10:11]
	v_fma_f64 v[6:7], -v[22:23], v[78:79], v[6:7]
	v_fma_f64 v[0:1], -v[22:23], v[72:73], v[0:1]
	v_fma_f64 v[56:57], -v[22:23], v[74:75], v[56:57]
.LBB52_284:
	s_or_b64 exec, exec, s[0:1]
	v_lshl_add_u32 v58, v63, 3, v62
	s_barrier
	ds_write_b64 v58, v[20:21]
	s_waitcnt lgkmcnt(0)
	s_barrier
	ds_read_b64 v[58:59], v62 offset:136
	s_cmp_lt_i32 s12, 19
	v_mov_b32_e32 v60, 17
	s_cbranch_scc1 .LBB52_287
; %bb.285:
	v_add_u32_e32 v67, 0x90, v62
	s_mov_b32 s0, 18
	v_mov_b32_e32 v60, 17
.LBB52_286:                             ; =>This Inner Loop Header: Depth=1
	ds_read_b64 v[68:69], v67
	v_mov_b32_e32 v70, s0
	s_add_i32 s0, s0, 1
	v_add_u32_e32 v67, 8, v67
	s_cmp_lg_u32 s12, s0
	s_waitcnt lgkmcnt(0)
	v_cmp_lt_f64_e64 vcc, |v[58:59]|, |v[68:69]|
	v_cndmask_b32_e32 v59, v59, v69, vcc
	v_cndmask_b32_e32 v58, v58, v68, vcc
	;; [unrolled: 1-line block ×3, first 2 shown]
	s_cbranch_scc1 .LBB52_286
.LBB52_287:
	s_waitcnt lgkmcnt(0)
	v_cmp_eq_f64_e32 vcc, 0, v[58:59]
	s_and_saveexec_b64 s[0:1], vcc
	s_xor_b64 s[0:1], exec, s[0:1]
; %bb.288:
	v_cmp_ne_u32_e32 vcc, 0, v66
	v_cndmask_b32_e32 v66, 18, v66, vcc
; %bb.289:
	s_andn2_saveexec_b64 s[0:1], s[0:1]
; %bb.290:
	v_div_scale_f64 v[68:69], s[2:3], v[58:59], v[58:59], 1.0
	v_rcp_f64_e32 v[70:71], v[68:69]
	v_div_scale_f64 v[72:73], vcc, 1.0, v[58:59], 1.0
	v_fma_f64 v[74:75], -v[68:69], v[70:71], 1.0
	v_fmac_f64_e32 v[70:71], v[70:71], v[74:75]
	v_fma_f64 v[74:75], -v[68:69], v[70:71], 1.0
	v_fmac_f64_e32 v[70:71], v[70:71], v[74:75]
	v_mul_f64 v[74:75], v[72:73], v[70:71]
	v_fma_f64 v[68:69], -v[68:69], v[74:75], v[72:73]
	v_div_fmas_f64 v[68:69], v[68:69], v[70:71], v[74:75]
	v_div_fixup_f64 v[58:59], v[68:69], v[58:59], 1.0
; %bb.291:
	s_or_b64 exec, exec, s[0:1]
	v_cmp_ne_u32_e32 vcc, v63, v60
	s_and_saveexec_b64 s[0:1], vcc
	s_xor_b64 s[0:1], exec, s[0:1]
	s_cbranch_execz .LBB52_297
; %bb.292:
	v_cmp_eq_u32_e32 vcc, 17, v63
	s_and_saveexec_b64 s[2:3], vcc
	s_cbranch_execz .LBB52_296
; %bb.293:
	v_cmp_ne_u32_e32 vcc, 17, v60
	s_xor_b64 s[14:15], s[6:7], -1
	s_and_b64 s[16:17], s[14:15], vcc
	s_and_saveexec_b64 s[14:15], s[16:17]
	s_cbranch_execz .LBB52_295
; %bb.294:
	v_ashrrev_i32_e32 v61, 31, v60
	v_lshlrev_b64 v[68:69], 2, v[60:61]
	v_add_co_u32_e32 v68, vcc, v4, v68
	v_addc_co_u32_e32 v69, vcc, v5, v69, vcc
	flat_load_dword v61, v[68:69]
	flat_load_dword v63, v[4:5] offset:68
	s_waitcnt vmcnt(0) lgkmcnt(0)
	flat_store_dword v[4:5], v61 offset:68
	flat_store_dword v[68:69], v63
.LBB52_295:
	s_or_b64 exec, exec, s[14:15]
	v_mov_b32_e32 v61, v60
	v_mov_b32_e32 v63, v60
.LBB52_296:
	s_or_b64 exec, exec, s[2:3]
.LBB52_297:
	s_andn2_saveexec_b64 s[0:1], s[0:1]
	s_cbranch_execz .LBB52_299
; %bb.298:
	v_mov_b32_e32 v68, v18
	v_mov_b32_e32 v69, v19
	v_mov_b32_e32 v70, v16
	v_mov_b32_e32 v71, v17
	ds_write2_b64 v62, v[68:69], v[70:71] offset0:18 offset1:19
	v_mov_b32_e32 v68, v14
	v_mov_b32_e32 v69, v15
	v_mov_b32_e32 v70, v12
	v_mov_b32_e32 v71, v13
	ds_write2_b64 v62, v[68:69], v[70:71] offset0:20 offset1:21
	;; [unrolled: 5-line block ×3, first 2 shown]
	v_mov_b32_e32 v68, v6
	v_mov_b32_e32 v69, v7
	;; [unrolled: 1-line block ×5, first 2 shown]
	ds_write2_b64 v62, v[68:69], v[70:71] offset0:24 offset1:25
	ds_write_b64 v62, v[56:57] offset:208
.LBB52_299:
	s_or_b64 exec, exec, s[0:1]
	v_cmp_lt_i32_e32 vcc, 17, v63
	s_waitcnt lgkmcnt(0)
	s_barrier
	s_and_saveexec_b64 s[0:1], vcc
	s_cbranch_execz .LBB52_301
; %bb.300:
	ds_read2_b64 v[68:71], v62 offset0:18 offset1:19
	ds_read2_b64 v[72:75], v62 offset0:20 offset1:21
	v_mul_f64 v[20:21], v[58:59], v[20:21]
	ds_read_b64 v[58:59], v62 offset:208
	ds_read2_b64 v[76:79], v62 offset0:24 offset1:25
	s_waitcnt lgkmcnt(0)
	v_fma_f64 v[18:19], -v[20:21], v[68:69], v[18:19]
	v_fma_f64 v[16:17], -v[20:21], v[70:71], v[16:17]
	ds_read2_b64 v[68:71], v62 offset0:22 offset1:23
	v_fma_f64 v[14:15], -v[20:21], v[72:73], v[14:15]
	v_fma_f64 v[12:13], -v[20:21], v[74:75], v[12:13]
	;; [unrolled: 1-line block ×4, first 2 shown]
	s_waitcnt lgkmcnt(0)
	v_fma_f64 v[10:11], -v[20:21], v[68:69], v[10:11]
	v_fma_f64 v[8:9], -v[20:21], v[70:71], v[8:9]
	;; [unrolled: 1-line block ×3, first 2 shown]
.LBB52_301:
	s_or_b64 exec, exec, s[0:1]
	v_lshl_add_u32 v58, v63, 3, v62
	s_barrier
	ds_write_b64 v58, v[18:19]
	s_waitcnt lgkmcnt(0)
	s_barrier
	ds_read_b64 v[58:59], v62 offset:144
	s_cmp_lt_i32 s12, 20
	v_mov_b32_e32 v60, 18
	s_cbranch_scc1 .LBB52_304
; %bb.302:
	v_add_u32_e32 v67, 0x98, v62
	s_mov_b32 s0, 19
	v_mov_b32_e32 v60, 18
.LBB52_303:                             ; =>This Inner Loop Header: Depth=1
	ds_read_b64 v[68:69], v67
	v_mov_b32_e32 v70, s0
	s_add_i32 s0, s0, 1
	v_add_u32_e32 v67, 8, v67
	s_cmp_lg_u32 s12, s0
	s_waitcnt lgkmcnt(0)
	v_cmp_lt_f64_e64 vcc, |v[58:59]|, |v[68:69]|
	v_cndmask_b32_e32 v59, v59, v69, vcc
	v_cndmask_b32_e32 v58, v58, v68, vcc
	;; [unrolled: 1-line block ×3, first 2 shown]
	s_cbranch_scc1 .LBB52_303
.LBB52_304:
	s_waitcnt lgkmcnt(0)
	v_cmp_eq_f64_e32 vcc, 0, v[58:59]
	s_and_saveexec_b64 s[0:1], vcc
	s_xor_b64 s[0:1], exec, s[0:1]
; %bb.305:
	v_cmp_ne_u32_e32 vcc, 0, v66
	v_cndmask_b32_e32 v66, 19, v66, vcc
; %bb.306:
	s_andn2_saveexec_b64 s[0:1], s[0:1]
; %bb.307:
	v_div_scale_f64 v[68:69], s[2:3], v[58:59], v[58:59], 1.0
	v_rcp_f64_e32 v[70:71], v[68:69]
	v_div_scale_f64 v[72:73], vcc, 1.0, v[58:59], 1.0
	v_fma_f64 v[74:75], -v[68:69], v[70:71], 1.0
	v_fmac_f64_e32 v[70:71], v[70:71], v[74:75]
	v_fma_f64 v[74:75], -v[68:69], v[70:71], 1.0
	v_fmac_f64_e32 v[70:71], v[70:71], v[74:75]
	v_mul_f64 v[74:75], v[72:73], v[70:71]
	v_fma_f64 v[68:69], -v[68:69], v[74:75], v[72:73]
	v_div_fmas_f64 v[68:69], v[68:69], v[70:71], v[74:75]
	v_div_fixup_f64 v[58:59], v[68:69], v[58:59], 1.0
; %bb.308:
	s_or_b64 exec, exec, s[0:1]
	v_cmp_ne_u32_e32 vcc, v63, v60
	s_and_saveexec_b64 s[0:1], vcc
	s_xor_b64 s[0:1], exec, s[0:1]
	s_cbranch_execz .LBB52_314
; %bb.309:
	v_cmp_eq_u32_e32 vcc, 18, v63
	s_and_saveexec_b64 s[2:3], vcc
	s_cbranch_execz .LBB52_313
; %bb.310:
	v_cmp_ne_u32_e32 vcc, 18, v60
	s_xor_b64 s[14:15], s[6:7], -1
	s_and_b64 s[16:17], s[14:15], vcc
	s_and_saveexec_b64 s[14:15], s[16:17]
	s_cbranch_execz .LBB52_312
; %bb.311:
	v_ashrrev_i32_e32 v61, 31, v60
	v_lshlrev_b64 v[68:69], 2, v[60:61]
	v_add_co_u32_e32 v68, vcc, v4, v68
	v_addc_co_u32_e32 v69, vcc, v5, v69, vcc
	flat_load_dword v61, v[68:69]
	flat_load_dword v63, v[4:5] offset:72
	s_waitcnt vmcnt(0) lgkmcnt(0)
	flat_store_dword v[4:5], v61 offset:72
	flat_store_dword v[68:69], v63
.LBB52_312:
	s_or_b64 exec, exec, s[14:15]
	v_mov_b32_e32 v61, v60
	v_mov_b32_e32 v63, v60
.LBB52_313:
	s_or_b64 exec, exec, s[2:3]
.LBB52_314:
	s_andn2_saveexec_b64 s[0:1], s[0:1]
	s_cbranch_execz .LBB52_316
; %bb.315:
	v_mov_b32_e32 v63, 18
	ds_write2_b64 v62, v[16:17], v[14:15] offset0:19 offset1:20
	ds_write2_b64 v62, v[12:13], v[10:11] offset0:21 offset1:22
	;; [unrolled: 1-line block ×4, first 2 shown]
.LBB52_316:
	s_or_b64 exec, exec, s[0:1]
	v_cmp_lt_i32_e32 vcc, 18, v63
	s_waitcnt lgkmcnt(0)
	s_barrier
	s_and_saveexec_b64 s[0:1], vcc
	s_cbranch_execz .LBB52_318
; %bb.317:
	ds_read2_b64 v[68:71], v62 offset0:19 offset1:20
	ds_read2_b64 v[72:75], v62 offset0:21 offset1:22
	v_mul_f64 v[18:19], v[58:59], v[18:19]
	ds_read2_b64 v[76:79], v62 offset0:23 offset1:24
	s_waitcnt lgkmcnt(0)
	v_fma_f64 v[16:17], -v[18:19], v[68:69], v[16:17]
	v_fma_f64 v[14:15], -v[18:19], v[70:71], v[14:15]
	ds_read2_b64 v[68:71], v62 offset0:25 offset1:26
	v_fma_f64 v[12:13], -v[18:19], v[72:73], v[12:13]
	v_fma_f64 v[10:11], -v[18:19], v[74:75], v[10:11]
	;; [unrolled: 1-line block ×4, first 2 shown]
	s_waitcnt lgkmcnt(0)
	v_fma_f64 v[0:1], -v[18:19], v[68:69], v[0:1]
	v_fma_f64 v[56:57], -v[18:19], v[70:71], v[56:57]
.LBB52_318:
	s_or_b64 exec, exec, s[0:1]
	v_lshl_add_u32 v58, v63, 3, v62
	s_barrier
	ds_write_b64 v58, v[16:17]
	s_waitcnt lgkmcnt(0)
	s_barrier
	ds_read_b64 v[58:59], v62 offset:152
	s_cmp_lt_i32 s12, 21
	v_mov_b32_e32 v60, 19
	s_cbranch_scc1 .LBB52_321
; %bb.319:
	v_add_u32_e32 v67, 0xa0, v62
	s_mov_b32 s0, 20
	v_mov_b32_e32 v60, 19
.LBB52_320:                             ; =>This Inner Loop Header: Depth=1
	ds_read_b64 v[68:69], v67
	v_mov_b32_e32 v70, s0
	s_add_i32 s0, s0, 1
	v_add_u32_e32 v67, 8, v67
	s_cmp_lg_u32 s12, s0
	s_waitcnt lgkmcnt(0)
	v_cmp_lt_f64_e64 vcc, |v[58:59]|, |v[68:69]|
	v_cndmask_b32_e32 v59, v59, v69, vcc
	v_cndmask_b32_e32 v58, v58, v68, vcc
	;; [unrolled: 1-line block ×3, first 2 shown]
	s_cbranch_scc1 .LBB52_320
.LBB52_321:
	s_waitcnt lgkmcnt(0)
	v_cmp_eq_f64_e32 vcc, 0, v[58:59]
	s_and_saveexec_b64 s[0:1], vcc
	s_xor_b64 s[0:1], exec, s[0:1]
; %bb.322:
	v_cmp_ne_u32_e32 vcc, 0, v66
	v_cndmask_b32_e32 v66, 20, v66, vcc
; %bb.323:
	s_andn2_saveexec_b64 s[0:1], s[0:1]
; %bb.324:
	v_div_scale_f64 v[68:69], s[2:3], v[58:59], v[58:59], 1.0
	v_rcp_f64_e32 v[70:71], v[68:69]
	v_div_scale_f64 v[72:73], vcc, 1.0, v[58:59], 1.0
	v_fma_f64 v[74:75], -v[68:69], v[70:71], 1.0
	v_fmac_f64_e32 v[70:71], v[70:71], v[74:75]
	v_fma_f64 v[74:75], -v[68:69], v[70:71], 1.0
	v_fmac_f64_e32 v[70:71], v[70:71], v[74:75]
	v_mul_f64 v[74:75], v[72:73], v[70:71]
	v_fma_f64 v[68:69], -v[68:69], v[74:75], v[72:73]
	v_div_fmas_f64 v[68:69], v[68:69], v[70:71], v[74:75]
	v_div_fixup_f64 v[58:59], v[68:69], v[58:59], 1.0
; %bb.325:
	s_or_b64 exec, exec, s[0:1]
	v_cmp_ne_u32_e32 vcc, v63, v60
	s_and_saveexec_b64 s[0:1], vcc
	s_xor_b64 s[0:1], exec, s[0:1]
	s_cbranch_execz .LBB52_331
; %bb.326:
	v_cmp_eq_u32_e32 vcc, 19, v63
	s_and_saveexec_b64 s[2:3], vcc
	s_cbranch_execz .LBB52_330
; %bb.327:
	v_cmp_ne_u32_e32 vcc, 19, v60
	s_xor_b64 s[14:15], s[6:7], -1
	s_and_b64 s[16:17], s[14:15], vcc
	s_and_saveexec_b64 s[14:15], s[16:17]
	s_cbranch_execz .LBB52_329
; %bb.328:
	v_ashrrev_i32_e32 v61, 31, v60
	v_lshlrev_b64 v[68:69], 2, v[60:61]
	v_add_co_u32_e32 v68, vcc, v4, v68
	v_addc_co_u32_e32 v69, vcc, v5, v69, vcc
	flat_load_dword v61, v[68:69]
	flat_load_dword v63, v[4:5] offset:76
	s_waitcnt vmcnt(0) lgkmcnt(0)
	flat_store_dword v[4:5], v61 offset:76
	flat_store_dword v[68:69], v63
.LBB52_329:
	s_or_b64 exec, exec, s[14:15]
	v_mov_b32_e32 v61, v60
	v_mov_b32_e32 v63, v60
.LBB52_330:
	s_or_b64 exec, exec, s[2:3]
.LBB52_331:
	s_andn2_saveexec_b64 s[0:1], s[0:1]
	s_cbranch_execz .LBB52_333
; %bb.332:
	v_mov_b32_e32 v68, v14
	v_mov_b32_e32 v69, v15
	v_mov_b32_e32 v70, v12
	v_mov_b32_e32 v71, v13
	ds_write2_b64 v62, v[68:69], v[70:71] offset0:20 offset1:21
	v_mov_b32_e32 v68, v10
	v_mov_b32_e32 v69, v11
	;; [unrolled: 1-line block ×4, first 2 shown]
	ds_write2_b64 v62, v[68:69], v[70:71] offset0:22 offset1:23
	v_mov_b32_e32 v68, v6
	v_mov_b32_e32 v69, v7
	;; [unrolled: 1-line block ×5, first 2 shown]
	ds_write2_b64 v62, v[68:69], v[70:71] offset0:24 offset1:25
	ds_write_b64 v62, v[56:57] offset:208
.LBB52_333:
	s_or_b64 exec, exec, s[0:1]
	v_cmp_lt_i32_e32 vcc, 19, v63
	s_waitcnt lgkmcnt(0)
	s_barrier
	s_and_saveexec_b64 s[0:1], vcc
	s_cbranch_execz .LBB52_335
; %bb.334:
	ds_read2_b64 v[68:71], v62 offset0:20 offset1:21
	ds_read2_b64 v[72:75], v62 offset0:22 offset1:23
	v_mul_f64 v[16:17], v[58:59], v[16:17]
	ds_read2_b64 v[76:79], v62 offset0:24 offset1:25
	ds_read_b64 v[58:59], v62 offset:208
	s_waitcnt lgkmcnt(0)
	v_fma_f64 v[14:15], -v[16:17], v[68:69], v[14:15]
	v_fma_f64 v[12:13], -v[16:17], v[70:71], v[12:13]
	;; [unrolled: 1-line block ×7, first 2 shown]
.LBB52_335:
	s_or_b64 exec, exec, s[0:1]
	v_lshl_add_u32 v58, v63, 3, v62
	s_barrier
	ds_write_b64 v58, v[14:15]
	s_waitcnt lgkmcnt(0)
	s_barrier
	ds_read_b64 v[58:59], v62 offset:160
	s_cmp_lt_i32 s12, 22
	v_mov_b32_e32 v60, 20
	s_cbranch_scc1 .LBB52_338
; %bb.336:
	v_add_u32_e32 v67, 0xa8, v62
	s_mov_b32 s0, 21
	v_mov_b32_e32 v60, 20
.LBB52_337:                             ; =>This Inner Loop Header: Depth=1
	ds_read_b64 v[68:69], v67
	v_mov_b32_e32 v70, s0
	s_add_i32 s0, s0, 1
	v_add_u32_e32 v67, 8, v67
	s_cmp_lg_u32 s12, s0
	s_waitcnt lgkmcnt(0)
	v_cmp_lt_f64_e64 vcc, |v[58:59]|, |v[68:69]|
	v_cndmask_b32_e32 v59, v59, v69, vcc
	v_cndmask_b32_e32 v58, v58, v68, vcc
	;; [unrolled: 1-line block ×3, first 2 shown]
	s_cbranch_scc1 .LBB52_337
.LBB52_338:
	s_waitcnt lgkmcnt(0)
	v_cmp_eq_f64_e32 vcc, 0, v[58:59]
	s_and_saveexec_b64 s[0:1], vcc
	s_xor_b64 s[0:1], exec, s[0:1]
; %bb.339:
	v_cmp_ne_u32_e32 vcc, 0, v66
	v_cndmask_b32_e32 v66, 21, v66, vcc
; %bb.340:
	s_andn2_saveexec_b64 s[0:1], s[0:1]
; %bb.341:
	v_div_scale_f64 v[68:69], s[2:3], v[58:59], v[58:59], 1.0
	v_rcp_f64_e32 v[70:71], v[68:69]
	v_div_scale_f64 v[72:73], vcc, 1.0, v[58:59], 1.0
	v_fma_f64 v[74:75], -v[68:69], v[70:71], 1.0
	v_fmac_f64_e32 v[70:71], v[70:71], v[74:75]
	v_fma_f64 v[74:75], -v[68:69], v[70:71], 1.0
	v_fmac_f64_e32 v[70:71], v[70:71], v[74:75]
	v_mul_f64 v[74:75], v[72:73], v[70:71]
	v_fma_f64 v[68:69], -v[68:69], v[74:75], v[72:73]
	v_div_fmas_f64 v[68:69], v[68:69], v[70:71], v[74:75]
	v_div_fixup_f64 v[58:59], v[68:69], v[58:59], 1.0
; %bb.342:
	s_or_b64 exec, exec, s[0:1]
	v_cmp_ne_u32_e32 vcc, v63, v60
	s_and_saveexec_b64 s[0:1], vcc
	s_xor_b64 s[0:1], exec, s[0:1]
	s_cbranch_execz .LBB52_348
; %bb.343:
	v_cmp_eq_u32_e32 vcc, 20, v63
	s_and_saveexec_b64 s[2:3], vcc
	s_cbranch_execz .LBB52_347
; %bb.344:
	v_cmp_ne_u32_e32 vcc, 20, v60
	s_xor_b64 s[14:15], s[6:7], -1
	s_and_b64 s[16:17], s[14:15], vcc
	s_and_saveexec_b64 s[14:15], s[16:17]
	s_cbranch_execz .LBB52_346
; %bb.345:
	v_ashrrev_i32_e32 v61, 31, v60
	v_lshlrev_b64 v[68:69], 2, v[60:61]
	v_add_co_u32_e32 v68, vcc, v4, v68
	v_addc_co_u32_e32 v69, vcc, v5, v69, vcc
	flat_load_dword v61, v[68:69]
	flat_load_dword v63, v[4:5] offset:80
	s_waitcnt vmcnt(0) lgkmcnt(0)
	flat_store_dword v[4:5], v61 offset:80
	flat_store_dword v[68:69], v63
.LBB52_346:
	s_or_b64 exec, exec, s[14:15]
	v_mov_b32_e32 v61, v60
	v_mov_b32_e32 v63, v60
.LBB52_347:
	s_or_b64 exec, exec, s[2:3]
.LBB52_348:
	s_andn2_saveexec_b64 s[0:1], s[0:1]
	s_cbranch_execz .LBB52_350
; %bb.349:
	v_mov_b32_e32 v63, 20
	ds_write2_b64 v62, v[12:13], v[10:11] offset0:21 offset1:22
	ds_write2_b64 v62, v[8:9], v[6:7] offset0:23 offset1:24
	;; [unrolled: 1-line block ×3, first 2 shown]
.LBB52_350:
	s_or_b64 exec, exec, s[0:1]
	v_cmp_lt_i32_e32 vcc, 20, v63
	s_waitcnt lgkmcnt(0)
	s_barrier
	s_and_saveexec_b64 s[0:1], vcc
	s_cbranch_execz .LBB52_352
; %bb.351:
	ds_read2_b64 v[68:71], v62 offset0:21 offset1:22
	ds_read2_b64 v[72:75], v62 offset0:23 offset1:24
	;; [unrolled: 1-line block ×3, first 2 shown]
	v_mul_f64 v[14:15], v[58:59], v[14:15]
	s_waitcnt lgkmcnt(0)
	v_fma_f64 v[12:13], -v[14:15], v[68:69], v[12:13]
	v_fma_f64 v[10:11], -v[14:15], v[70:71], v[10:11]
	;; [unrolled: 1-line block ×6, first 2 shown]
.LBB52_352:
	s_or_b64 exec, exec, s[0:1]
	v_lshl_add_u32 v58, v63, 3, v62
	s_barrier
	ds_write_b64 v58, v[12:13]
	s_waitcnt lgkmcnt(0)
	s_barrier
	ds_read_b64 v[58:59], v62 offset:168
	s_cmp_lt_i32 s12, 23
	v_mov_b32_e32 v60, 21
	s_cbranch_scc1 .LBB52_355
; %bb.353:
	v_add_u32_e32 v67, 0xb0, v62
	s_mov_b32 s0, 22
	v_mov_b32_e32 v60, 21
.LBB52_354:                             ; =>This Inner Loop Header: Depth=1
	ds_read_b64 v[68:69], v67
	v_mov_b32_e32 v70, s0
	s_add_i32 s0, s0, 1
	v_add_u32_e32 v67, 8, v67
	s_cmp_lg_u32 s12, s0
	s_waitcnt lgkmcnt(0)
	v_cmp_lt_f64_e64 vcc, |v[58:59]|, |v[68:69]|
	v_cndmask_b32_e32 v59, v59, v69, vcc
	v_cndmask_b32_e32 v58, v58, v68, vcc
	;; [unrolled: 1-line block ×3, first 2 shown]
	s_cbranch_scc1 .LBB52_354
.LBB52_355:
	s_waitcnt lgkmcnt(0)
	v_cmp_eq_f64_e32 vcc, 0, v[58:59]
	s_and_saveexec_b64 s[0:1], vcc
	s_xor_b64 s[0:1], exec, s[0:1]
; %bb.356:
	v_cmp_ne_u32_e32 vcc, 0, v66
	v_cndmask_b32_e32 v66, 22, v66, vcc
; %bb.357:
	s_andn2_saveexec_b64 s[0:1], s[0:1]
; %bb.358:
	v_div_scale_f64 v[68:69], s[2:3], v[58:59], v[58:59], 1.0
	v_rcp_f64_e32 v[70:71], v[68:69]
	v_div_scale_f64 v[72:73], vcc, 1.0, v[58:59], 1.0
	v_fma_f64 v[74:75], -v[68:69], v[70:71], 1.0
	v_fmac_f64_e32 v[70:71], v[70:71], v[74:75]
	v_fma_f64 v[74:75], -v[68:69], v[70:71], 1.0
	v_fmac_f64_e32 v[70:71], v[70:71], v[74:75]
	v_mul_f64 v[74:75], v[72:73], v[70:71]
	v_fma_f64 v[68:69], -v[68:69], v[74:75], v[72:73]
	v_div_fmas_f64 v[68:69], v[68:69], v[70:71], v[74:75]
	v_div_fixup_f64 v[58:59], v[68:69], v[58:59], 1.0
; %bb.359:
	s_or_b64 exec, exec, s[0:1]
	v_cmp_ne_u32_e32 vcc, v63, v60
	s_and_saveexec_b64 s[0:1], vcc
	s_xor_b64 s[0:1], exec, s[0:1]
	s_cbranch_execz .LBB52_365
; %bb.360:
	v_cmp_eq_u32_e32 vcc, 21, v63
	s_and_saveexec_b64 s[2:3], vcc
	s_cbranch_execz .LBB52_364
; %bb.361:
	v_cmp_ne_u32_e32 vcc, 21, v60
	s_xor_b64 s[14:15], s[6:7], -1
	s_and_b64 s[16:17], s[14:15], vcc
	s_and_saveexec_b64 s[14:15], s[16:17]
	s_cbranch_execz .LBB52_363
; %bb.362:
	v_ashrrev_i32_e32 v61, 31, v60
	v_lshlrev_b64 v[68:69], 2, v[60:61]
	v_add_co_u32_e32 v68, vcc, v4, v68
	v_addc_co_u32_e32 v69, vcc, v5, v69, vcc
	flat_load_dword v61, v[68:69]
	flat_load_dword v63, v[4:5] offset:84
	s_waitcnt vmcnt(0) lgkmcnt(0)
	flat_store_dword v[4:5], v61 offset:84
	flat_store_dword v[68:69], v63
.LBB52_363:
	s_or_b64 exec, exec, s[14:15]
	v_mov_b32_e32 v61, v60
	v_mov_b32_e32 v63, v60
.LBB52_364:
	s_or_b64 exec, exec, s[2:3]
.LBB52_365:
	s_andn2_saveexec_b64 s[0:1], s[0:1]
	s_cbranch_execz .LBB52_367
; %bb.366:
	v_mov_b32_e32 v68, v10
	v_mov_b32_e32 v69, v11
	;; [unrolled: 1-line block ×4, first 2 shown]
	ds_write2_b64 v62, v[68:69], v[70:71] offset0:22 offset1:23
	v_mov_b32_e32 v68, v6
	v_mov_b32_e32 v69, v7
	;; [unrolled: 1-line block ×5, first 2 shown]
	ds_write2_b64 v62, v[68:69], v[70:71] offset0:24 offset1:25
	ds_write_b64 v62, v[56:57] offset:208
.LBB52_367:
	s_or_b64 exec, exec, s[0:1]
	v_cmp_lt_i32_e32 vcc, 21, v63
	s_waitcnt lgkmcnt(0)
	s_barrier
	s_and_saveexec_b64 s[0:1], vcc
	s_cbranch_execz .LBB52_369
; %bb.368:
	ds_read2_b64 v[68:71], v62 offset0:22 offset1:23
	ds_read2_b64 v[72:75], v62 offset0:24 offset1:25
	v_mul_f64 v[12:13], v[58:59], v[12:13]
	ds_read_b64 v[58:59], v62 offset:208
	s_waitcnt lgkmcnt(0)
	v_fma_f64 v[10:11], -v[12:13], v[68:69], v[10:11]
	v_fma_f64 v[8:9], -v[12:13], v[70:71], v[8:9]
	;; [unrolled: 1-line block ×5, first 2 shown]
.LBB52_369:
	s_or_b64 exec, exec, s[0:1]
	v_lshl_add_u32 v58, v63, 3, v62
	s_barrier
	ds_write_b64 v58, v[10:11]
	s_waitcnt lgkmcnt(0)
	s_barrier
	ds_read_b64 v[58:59], v62 offset:176
	s_cmp_lt_i32 s12, 24
	v_mov_b32_e32 v60, 22
	s_cbranch_scc1 .LBB52_372
; %bb.370:
	v_add_u32_e32 v67, 0xb8, v62
	s_mov_b32 s0, 23
	v_mov_b32_e32 v60, 22
.LBB52_371:                             ; =>This Inner Loop Header: Depth=1
	ds_read_b64 v[68:69], v67
	v_mov_b32_e32 v70, s0
	s_add_i32 s0, s0, 1
	v_add_u32_e32 v67, 8, v67
	s_cmp_lg_u32 s12, s0
	s_waitcnt lgkmcnt(0)
	v_cmp_lt_f64_e64 vcc, |v[58:59]|, |v[68:69]|
	v_cndmask_b32_e32 v59, v59, v69, vcc
	v_cndmask_b32_e32 v58, v58, v68, vcc
	;; [unrolled: 1-line block ×3, first 2 shown]
	s_cbranch_scc1 .LBB52_371
.LBB52_372:
	s_waitcnt lgkmcnt(0)
	v_cmp_eq_f64_e32 vcc, 0, v[58:59]
	s_and_saveexec_b64 s[0:1], vcc
	s_xor_b64 s[0:1], exec, s[0:1]
; %bb.373:
	v_cmp_ne_u32_e32 vcc, 0, v66
	v_cndmask_b32_e32 v66, 23, v66, vcc
; %bb.374:
	s_andn2_saveexec_b64 s[0:1], s[0:1]
; %bb.375:
	v_div_scale_f64 v[68:69], s[2:3], v[58:59], v[58:59], 1.0
	v_rcp_f64_e32 v[70:71], v[68:69]
	v_div_scale_f64 v[72:73], vcc, 1.0, v[58:59], 1.0
	v_fma_f64 v[74:75], -v[68:69], v[70:71], 1.0
	v_fmac_f64_e32 v[70:71], v[70:71], v[74:75]
	v_fma_f64 v[74:75], -v[68:69], v[70:71], 1.0
	v_fmac_f64_e32 v[70:71], v[70:71], v[74:75]
	v_mul_f64 v[74:75], v[72:73], v[70:71]
	v_fma_f64 v[68:69], -v[68:69], v[74:75], v[72:73]
	v_div_fmas_f64 v[68:69], v[68:69], v[70:71], v[74:75]
	v_div_fixup_f64 v[58:59], v[68:69], v[58:59], 1.0
; %bb.376:
	s_or_b64 exec, exec, s[0:1]
	v_cmp_ne_u32_e32 vcc, v63, v60
	s_and_saveexec_b64 s[0:1], vcc
	s_xor_b64 s[0:1], exec, s[0:1]
	s_cbranch_execz .LBB52_382
; %bb.377:
	v_cmp_eq_u32_e32 vcc, 22, v63
	s_and_saveexec_b64 s[2:3], vcc
	s_cbranch_execz .LBB52_381
; %bb.378:
	v_cmp_ne_u32_e32 vcc, 22, v60
	s_xor_b64 s[14:15], s[6:7], -1
	s_and_b64 s[16:17], s[14:15], vcc
	s_and_saveexec_b64 s[14:15], s[16:17]
	s_cbranch_execz .LBB52_380
; %bb.379:
	v_ashrrev_i32_e32 v61, 31, v60
	v_lshlrev_b64 v[68:69], 2, v[60:61]
	v_add_co_u32_e32 v68, vcc, v4, v68
	v_addc_co_u32_e32 v69, vcc, v5, v69, vcc
	flat_load_dword v61, v[68:69]
	flat_load_dword v63, v[4:5] offset:88
	s_waitcnt vmcnt(0) lgkmcnt(0)
	flat_store_dword v[4:5], v61 offset:88
	flat_store_dword v[68:69], v63
.LBB52_380:
	s_or_b64 exec, exec, s[14:15]
	v_mov_b32_e32 v61, v60
	v_mov_b32_e32 v63, v60
.LBB52_381:
	s_or_b64 exec, exec, s[2:3]
.LBB52_382:
	s_andn2_saveexec_b64 s[0:1], s[0:1]
	s_cbranch_execz .LBB52_384
; %bb.383:
	v_mov_b32_e32 v63, 22
	ds_write2_b64 v62, v[8:9], v[6:7] offset0:23 offset1:24
	ds_write2_b64 v62, v[0:1], v[56:57] offset0:25 offset1:26
.LBB52_384:
	s_or_b64 exec, exec, s[0:1]
	v_cmp_lt_i32_e32 vcc, 22, v63
	s_waitcnt lgkmcnt(0)
	s_barrier
	s_and_saveexec_b64 s[0:1], vcc
	s_cbranch_execz .LBB52_386
; %bb.385:
	ds_read2_b64 v[68:71], v62 offset0:23 offset1:24
	ds_read2_b64 v[72:75], v62 offset0:25 offset1:26
	v_mul_f64 v[10:11], v[58:59], v[10:11]
	s_waitcnt lgkmcnt(0)
	v_fma_f64 v[8:9], -v[10:11], v[68:69], v[8:9]
	v_fma_f64 v[6:7], -v[10:11], v[70:71], v[6:7]
	;; [unrolled: 1-line block ×4, first 2 shown]
.LBB52_386:
	s_or_b64 exec, exec, s[0:1]
	v_lshl_add_u32 v58, v63, 3, v62
	s_barrier
	ds_write_b64 v58, v[8:9]
	s_waitcnt lgkmcnt(0)
	s_barrier
	ds_read_b64 v[58:59], v62 offset:184
	s_cmp_lt_i32 s12, 25
	v_mov_b32_e32 v60, 23
	s_cbranch_scc1 .LBB52_389
; %bb.387:
	v_add_u32_e32 v67, 0xc0, v62
	s_mov_b32 s0, 24
	v_mov_b32_e32 v60, 23
.LBB52_388:                             ; =>This Inner Loop Header: Depth=1
	ds_read_b64 v[68:69], v67
	v_mov_b32_e32 v70, s0
	s_add_i32 s0, s0, 1
	v_add_u32_e32 v67, 8, v67
	s_cmp_lg_u32 s12, s0
	s_waitcnt lgkmcnt(0)
	v_cmp_lt_f64_e64 vcc, |v[58:59]|, |v[68:69]|
	v_cndmask_b32_e32 v59, v59, v69, vcc
	v_cndmask_b32_e32 v58, v58, v68, vcc
	;; [unrolled: 1-line block ×3, first 2 shown]
	s_cbranch_scc1 .LBB52_388
.LBB52_389:
	s_waitcnt lgkmcnt(0)
	v_cmp_eq_f64_e32 vcc, 0, v[58:59]
	s_and_saveexec_b64 s[0:1], vcc
	s_xor_b64 s[0:1], exec, s[0:1]
; %bb.390:
	v_cmp_ne_u32_e32 vcc, 0, v66
	v_cndmask_b32_e32 v66, 24, v66, vcc
; %bb.391:
	s_andn2_saveexec_b64 s[0:1], s[0:1]
; %bb.392:
	v_div_scale_f64 v[68:69], s[2:3], v[58:59], v[58:59], 1.0
	v_rcp_f64_e32 v[70:71], v[68:69]
	v_div_scale_f64 v[72:73], vcc, 1.0, v[58:59], 1.0
	v_fma_f64 v[74:75], -v[68:69], v[70:71], 1.0
	v_fmac_f64_e32 v[70:71], v[70:71], v[74:75]
	v_fma_f64 v[74:75], -v[68:69], v[70:71], 1.0
	v_fmac_f64_e32 v[70:71], v[70:71], v[74:75]
	v_mul_f64 v[74:75], v[72:73], v[70:71]
	v_fma_f64 v[68:69], -v[68:69], v[74:75], v[72:73]
	v_div_fmas_f64 v[68:69], v[68:69], v[70:71], v[74:75]
	v_div_fixup_f64 v[58:59], v[68:69], v[58:59], 1.0
; %bb.393:
	s_or_b64 exec, exec, s[0:1]
	v_cmp_ne_u32_e32 vcc, v63, v60
	s_and_saveexec_b64 s[0:1], vcc
	s_xor_b64 s[0:1], exec, s[0:1]
	s_cbranch_execz .LBB52_399
; %bb.394:
	v_cmp_eq_u32_e32 vcc, 23, v63
	s_and_saveexec_b64 s[2:3], vcc
	s_cbranch_execz .LBB52_398
; %bb.395:
	v_cmp_ne_u32_e32 vcc, 23, v60
	s_xor_b64 s[14:15], s[6:7], -1
	s_and_b64 s[16:17], s[14:15], vcc
	s_and_saveexec_b64 s[14:15], s[16:17]
	s_cbranch_execz .LBB52_397
; %bb.396:
	v_ashrrev_i32_e32 v61, 31, v60
	v_lshlrev_b64 v[68:69], 2, v[60:61]
	v_add_co_u32_e32 v68, vcc, v4, v68
	v_addc_co_u32_e32 v69, vcc, v5, v69, vcc
	flat_load_dword v61, v[68:69]
	flat_load_dword v63, v[4:5] offset:92
	s_waitcnt vmcnt(0) lgkmcnt(0)
	flat_store_dword v[4:5], v61 offset:92
	flat_store_dword v[68:69], v63
.LBB52_397:
	s_or_b64 exec, exec, s[14:15]
	v_mov_b32_e32 v61, v60
	v_mov_b32_e32 v63, v60
.LBB52_398:
	s_or_b64 exec, exec, s[2:3]
.LBB52_399:
	s_andn2_saveexec_b64 s[0:1], s[0:1]
	s_cbranch_execz .LBB52_401
; %bb.400:
	v_mov_b32_e32 v68, v6
	v_mov_b32_e32 v69, v7
	;; [unrolled: 1-line block ×5, first 2 shown]
	ds_write2_b64 v62, v[68:69], v[70:71] offset0:24 offset1:25
	ds_write_b64 v62, v[56:57] offset:208
.LBB52_401:
	s_or_b64 exec, exec, s[0:1]
	v_cmp_lt_i32_e32 vcc, 23, v63
	s_waitcnt lgkmcnt(0)
	s_barrier
	s_and_saveexec_b64 s[0:1], vcc
	s_cbranch_execz .LBB52_403
; %bb.402:
	ds_read2_b64 v[68:71], v62 offset0:24 offset1:25
	ds_read_b64 v[72:73], v62 offset:208
	v_mul_f64 v[8:9], v[58:59], v[8:9]
	s_waitcnt lgkmcnt(0)
	v_fma_f64 v[6:7], -v[8:9], v[68:69], v[6:7]
	v_fma_f64 v[0:1], -v[8:9], v[70:71], v[0:1]
	;; [unrolled: 1-line block ×3, first 2 shown]
.LBB52_403:
	s_or_b64 exec, exec, s[0:1]
	v_lshl_add_u32 v58, v63, 3, v62
	s_barrier
	ds_write_b64 v58, v[6:7]
	s_waitcnt lgkmcnt(0)
	s_barrier
	ds_read_b64 v[58:59], v62 offset:192
	s_cmp_lt_i32 s12, 26
	v_mov_b32_e32 v60, 24
	s_cbranch_scc1 .LBB52_406
; %bb.404:
	v_add_u32_e32 v67, 0xc8, v62
	s_mov_b32 s0, 25
	v_mov_b32_e32 v60, 24
.LBB52_405:                             ; =>This Inner Loop Header: Depth=1
	ds_read_b64 v[68:69], v67
	v_mov_b32_e32 v70, s0
	s_add_i32 s0, s0, 1
	v_add_u32_e32 v67, 8, v67
	s_cmp_lg_u32 s12, s0
	s_waitcnt lgkmcnt(0)
	v_cmp_lt_f64_e64 vcc, |v[58:59]|, |v[68:69]|
	v_cndmask_b32_e32 v59, v59, v69, vcc
	v_cndmask_b32_e32 v58, v58, v68, vcc
	;; [unrolled: 1-line block ×3, first 2 shown]
	s_cbranch_scc1 .LBB52_405
.LBB52_406:
	s_waitcnt lgkmcnt(0)
	v_cmp_eq_f64_e32 vcc, 0, v[58:59]
	s_and_saveexec_b64 s[0:1], vcc
	s_xor_b64 s[0:1], exec, s[0:1]
; %bb.407:
	v_cmp_ne_u32_e32 vcc, 0, v66
	v_cndmask_b32_e32 v66, 25, v66, vcc
; %bb.408:
	s_andn2_saveexec_b64 s[0:1], s[0:1]
; %bb.409:
	v_div_scale_f64 v[68:69], s[2:3], v[58:59], v[58:59], 1.0
	v_rcp_f64_e32 v[70:71], v[68:69]
	v_div_scale_f64 v[72:73], vcc, 1.0, v[58:59], 1.0
	v_fma_f64 v[74:75], -v[68:69], v[70:71], 1.0
	v_fmac_f64_e32 v[70:71], v[70:71], v[74:75]
	v_fma_f64 v[74:75], -v[68:69], v[70:71], 1.0
	v_fmac_f64_e32 v[70:71], v[70:71], v[74:75]
	v_mul_f64 v[74:75], v[72:73], v[70:71]
	v_fma_f64 v[68:69], -v[68:69], v[74:75], v[72:73]
	v_div_fmas_f64 v[68:69], v[68:69], v[70:71], v[74:75]
	v_div_fixup_f64 v[58:59], v[68:69], v[58:59], 1.0
; %bb.410:
	s_or_b64 exec, exec, s[0:1]
	v_cmp_ne_u32_e32 vcc, v63, v60
	s_and_saveexec_b64 s[0:1], vcc
	s_xor_b64 s[0:1], exec, s[0:1]
	s_cbranch_execz .LBB52_416
; %bb.411:
	v_cmp_eq_u32_e32 vcc, 24, v63
	s_and_saveexec_b64 s[2:3], vcc
	s_cbranch_execz .LBB52_415
; %bb.412:
	v_cmp_ne_u32_e32 vcc, 24, v60
	s_xor_b64 s[14:15], s[6:7], -1
	s_and_b64 s[16:17], s[14:15], vcc
	s_and_saveexec_b64 s[14:15], s[16:17]
	s_cbranch_execz .LBB52_414
; %bb.413:
	v_ashrrev_i32_e32 v61, 31, v60
	v_lshlrev_b64 v[68:69], 2, v[60:61]
	v_add_co_u32_e32 v68, vcc, v4, v68
	v_addc_co_u32_e32 v69, vcc, v5, v69, vcc
	flat_load_dword v61, v[68:69]
	flat_load_dword v63, v[4:5] offset:96
	s_waitcnt vmcnt(0) lgkmcnt(0)
	flat_store_dword v[4:5], v61 offset:96
	flat_store_dword v[68:69], v63
.LBB52_414:
	s_or_b64 exec, exec, s[14:15]
	v_mov_b32_e32 v61, v60
	v_mov_b32_e32 v63, v60
.LBB52_415:
	s_or_b64 exec, exec, s[2:3]
.LBB52_416:
	s_andn2_saveexec_b64 s[0:1], s[0:1]
	s_cbranch_execz .LBB52_418
; %bb.417:
	v_mov_b32_e32 v63, 24
	ds_write2_b64 v62, v[0:1], v[56:57] offset0:25 offset1:26
.LBB52_418:
	s_or_b64 exec, exec, s[0:1]
	v_cmp_lt_i32_e32 vcc, 24, v63
	s_waitcnt lgkmcnt(0)
	s_barrier
	s_and_saveexec_b64 s[0:1], vcc
	s_cbranch_execz .LBB52_420
; %bb.419:
	ds_read2_b64 v[68:71], v62 offset0:25 offset1:26
	v_mul_f64 v[6:7], v[58:59], v[6:7]
	s_waitcnt lgkmcnt(0)
	v_fma_f64 v[0:1], -v[6:7], v[68:69], v[0:1]
	v_fma_f64 v[56:57], -v[6:7], v[70:71], v[56:57]
.LBB52_420:
	s_or_b64 exec, exec, s[0:1]
	v_lshl_add_u32 v58, v63, 3, v62
	s_barrier
	ds_write_b64 v58, v[0:1]
	s_waitcnt lgkmcnt(0)
	s_barrier
	ds_read_b64 v[58:59], v62 offset:200
	s_cmp_lt_i32 s12, 27
	v_mov_b32_e32 v60, 25
	s_cbranch_scc1 .LBB52_423
; %bb.421:
	v_add_u32_e32 v67, 0xd0, v62
	s_mov_b32 s0, 26
	v_mov_b32_e32 v60, 25
.LBB52_422:                             ; =>This Inner Loop Header: Depth=1
	ds_read_b64 v[68:69], v67
	v_mov_b32_e32 v70, s0
	s_add_i32 s0, s0, 1
	v_add_u32_e32 v67, 8, v67
	s_cmp_lg_u32 s12, s0
	s_waitcnt lgkmcnt(0)
	v_cmp_lt_f64_e64 vcc, |v[58:59]|, |v[68:69]|
	v_cndmask_b32_e32 v59, v59, v69, vcc
	v_cndmask_b32_e32 v58, v58, v68, vcc
	;; [unrolled: 1-line block ×3, first 2 shown]
	s_cbranch_scc1 .LBB52_422
.LBB52_423:
	s_waitcnt lgkmcnt(0)
	v_cmp_eq_f64_e32 vcc, 0, v[58:59]
	s_and_saveexec_b64 s[0:1], vcc
	s_xor_b64 s[0:1], exec, s[0:1]
; %bb.424:
	v_cmp_ne_u32_e32 vcc, 0, v66
	v_cndmask_b32_e32 v66, 26, v66, vcc
; %bb.425:
	s_andn2_saveexec_b64 s[0:1], s[0:1]
; %bb.426:
	v_div_scale_f64 v[68:69], s[2:3], v[58:59], v[58:59], 1.0
	v_rcp_f64_e32 v[70:71], v[68:69]
	v_div_scale_f64 v[72:73], vcc, 1.0, v[58:59], 1.0
	v_fma_f64 v[74:75], -v[68:69], v[70:71], 1.0
	v_fmac_f64_e32 v[70:71], v[70:71], v[74:75]
	v_fma_f64 v[74:75], -v[68:69], v[70:71], 1.0
	v_fmac_f64_e32 v[70:71], v[70:71], v[74:75]
	v_mul_f64 v[74:75], v[72:73], v[70:71]
	v_fma_f64 v[68:69], -v[68:69], v[74:75], v[72:73]
	v_div_fmas_f64 v[68:69], v[68:69], v[70:71], v[74:75]
	v_div_fixup_f64 v[58:59], v[68:69], v[58:59], 1.0
; %bb.427:
	s_or_b64 exec, exec, s[0:1]
	v_cmp_ne_u32_e32 vcc, v63, v60
	s_and_saveexec_b64 s[0:1], vcc
	s_xor_b64 s[0:1], exec, s[0:1]
	s_cbranch_execz .LBB52_433
; %bb.428:
	v_cmp_eq_u32_e32 vcc, 25, v63
	s_and_saveexec_b64 s[2:3], vcc
	s_cbranch_execz .LBB52_432
; %bb.429:
	v_cmp_ne_u32_e32 vcc, 25, v60
	s_xor_b64 s[14:15], s[6:7], -1
	s_and_b64 s[16:17], s[14:15], vcc
	s_and_saveexec_b64 s[14:15], s[16:17]
	s_cbranch_execz .LBB52_431
; %bb.430:
	v_ashrrev_i32_e32 v61, 31, v60
	v_lshlrev_b64 v[68:69], 2, v[60:61]
	v_add_co_u32_e32 v68, vcc, v4, v68
	v_addc_co_u32_e32 v69, vcc, v5, v69, vcc
	flat_load_dword v61, v[68:69]
	flat_load_dword v63, v[4:5] offset:100
	s_waitcnt vmcnt(0) lgkmcnt(0)
	flat_store_dword v[4:5], v61 offset:100
	flat_store_dword v[68:69], v63
.LBB52_431:
	s_or_b64 exec, exec, s[14:15]
	v_mov_b32_e32 v61, v60
	v_mov_b32_e32 v63, v60
.LBB52_432:
	s_or_b64 exec, exec, s[2:3]
.LBB52_433:
	s_andn2_saveexec_b64 s[0:1], s[0:1]
	s_cbranch_execz .LBB52_435
; %bb.434:
	v_mov_b32_e32 v63, 25
	ds_write_b64 v62, v[56:57] offset:208
.LBB52_435:
	s_or_b64 exec, exec, s[0:1]
	v_cmp_lt_i32_e32 vcc, 25, v63
	s_waitcnt lgkmcnt(0)
	s_barrier
	s_and_saveexec_b64 s[0:1], vcc
	s_cbranch_execz .LBB52_437
; %bb.436:
	ds_read_b64 v[68:69], v62 offset:208
	v_mul_f64 v[0:1], v[58:59], v[0:1]
	s_waitcnt lgkmcnt(0)
	v_fma_f64 v[56:57], -v[0:1], v[68:69], v[56:57]
.LBB52_437:
	s_or_b64 exec, exec, s[0:1]
	v_lshl_add_u32 v58, v63, 3, v62
	s_barrier
	ds_write_b64 v58, v[56:57]
	s_waitcnt lgkmcnt(0)
	s_barrier
	ds_read_b64 v[58:59], v62 offset:208
	s_cmp_lt_i32 s12, 28
	v_mov_b32_e32 v60, 26
	s_cbranch_scc1 .LBB52_440
; %bb.438:
	v_add_u32_e32 v62, 0xd8, v62
	s_mov_b32 s0, 27
	v_mov_b32_e32 v60, 26
.LBB52_439:                             ; =>This Inner Loop Header: Depth=1
	ds_read_b64 v[68:69], v62
	v_mov_b32_e32 v67, s0
	s_add_i32 s0, s0, 1
	v_add_u32_e32 v62, 8, v62
	s_cmp_lg_u32 s12, s0
	s_waitcnt lgkmcnt(0)
	v_cmp_lt_f64_e64 vcc, |v[58:59]|, |v[68:69]|
	v_cndmask_b32_e32 v59, v59, v69, vcc
	v_cndmask_b32_e32 v58, v58, v68, vcc
	;; [unrolled: 1-line block ×3, first 2 shown]
	s_cbranch_scc1 .LBB52_439
.LBB52_440:
	s_waitcnt lgkmcnt(0)
	v_cmp_eq_f64_e32 vcc, 0, v[58:59]
	s_and_saveexec_b64 s[0:1], vcc
	s_xor_b64 s[0:1], exec, s[0:1]
; %bb.441:
	v_cmp_ne_u32_e32 vcc, 0, v66
	v_cndmask_b32_e32 v66, 27, v66, vcc
; %bb.442:
	s_andn2_saveexec_b64 s[0:1], s[0:1]
; %bb.443:
	v_div_scale_f64 v[68:69], s[2:3], v[58:59], v[58:59], 1.0
	v_rcp_f64_e32 v[70:71], v[68:69]
	v_div_scale_f64 v[72:73], vcc, 1.0, v[58:59], 1.0
	v_fma_f64 v[74:75], -v[68:69], v[70:71], 1.0
	v_fmac_f64_e32 v[70:71], v[70:71], v[74:75]
	v_fma_f64 v[74:75], -v[68:69], v[70:71], 1.0
	v_fmac_f64_e32 v[70:71], v[70:71], v[74:75]
	v_mul_f64 v[74:75], v[72:73], v[70:71]
	v_fma_f64 v[68:69], -v[68:69], v[74:75], v[72:73]
	v_div_fmas_f64 v[68:69], v[68:69], v[70:71], v[74:75]
	v_div_fixup_f64 v[58:59], v[68:69], v[58:59], 1.0
; %bb.444:
	s_or_b64 exec, exec, s[0:1]
	v_cmp_ne_u32_e32 vcc, v63, v60
	v_mov_b32_e32 v62, 26
	s_and_saveexec_b64 s[0:1], vcc
	s_cbranch_execz .LBB52_450
; %bb.445:
	v_cmp_eq_u32_e32 vcc, 26, v63
	s_and_saveexec_b64 s[2:3], vcc
	s_cbranch_execz .LBB52_449
; %bb.446:
	v_cmp_ne_u32_e32 vcc, 26, v60
	s_xor_b64 s[6:7], s[6:7], -1
	s_and_b64 s[14:15], s[6:7], vcc
	s_and_saveexec_b64 s[6:7], s[14:15]
	s_cbranch_execz .LBB52_448
; %bb.447:
	v_ashrrev_i32_e32 v61, 31, v60
	v_lshlrev_b64 v[62:63], 2, v[60:61]
	v_add_co_u32_e32 v62, vcc, v4, v62
	v_addc_co_u32_e32 v63, vcc, v5, v63, vcc
	flat_load_dword v61, v[62:63]
	flat_load_dword v67, v[4:5] offset:104
	s_waitcnt vmcnt(0) lgkmcnt(0)
	flat_store_dword v[4:5], v61 offset:104
	flat_store_dword v[62:63], v67
.LBB52_448:
	s_or_b64 exec, exec, s[6:7]
	v_mov_b32_e32 v61, v60
	v_mov_b32_e32 v63, v60
.LBB52_449:
	s_or_b64 exec, exec, s[2:3]
	v_mov_b32_e32 v62, v63
.LBB52_450:
	s_or_b64 exec, exec, s[0:1]
	s_load_dwordx8 s[0:7], s[4:5], 0x28
	v_cmp_gt_i32_e32 vcc, 27, v62
	v_ashrrev_i32_e32 v63, 31, v62
	s_waitcnt lgkmcnt(0)
	s_barrier
	s_barrier
	s_and_saveexec_b64 s[14:15], vcc
	s_cbranch_execz .LBB52_452
; %bb.451:
	v_mul_lo_u32 v60, v3, s4
	v_mul_lo_u32 v67, v2, s5
	v_mad_u64_u32 v[4:5], s[4:5], v2, s4, 0
	s_lshl_b64 s[2:3], s[2:3], 2
	v_add3_u32 v5, v5, v67, v60
	s_add_u32 s0, s2, s0
	v_lshlrev_b64 v[4:5], 2, v[4:5]
	s_addc_u32 s1, s3, s1
	v_mov_b32_e32 v60, s1
	v_add_co_u32_e32 v67, vcc, s0, v4
	v_addc_co_u32_e32 v60, vcc, v60, v5, vcc
	v_lshlrev_b64 v[4:5], 2, v[62:63]
	v_add_co_u32_e32 v4, vcc, v67, v4
	v_addc_co_u32_e32 v5, vcc, v60, v5, vcc
	v_add3_u32 v60, v61, s13, 1
	global_store_dword v[4:5], v60, off
.LBB52_452:
	s_or_b64 exec, exec, s[14:15]
	v_cmp_eq_u32_e32 vcc, 0, v62
	s_and_saveexec_b64 s[2:3], vcc
	s_cbranch_execz .LBB52_455
; %bb.453:
	v_lshlrev_b64 v[2:3], 2, v[2:3]
	v_mov_b32_e32 v4, s7
	v_add_co_u32_e32 v2, vcc, s6, v2
	v_addc_co_u32_e32 v3, vcc, v4, v3, vcc
	global_load_dword v4, v[2:3], off
	v_cmp_lt_i32_e64 s[0:1], 0, v66
	s_waitcnt vmcnt(0)
	v_cmp_eq_u32_e32 vcc, 0, v4
	s_and_b64 s[0:1], vcc, s[0:1]
	s_and_b64 exec, exec, s[0:1]
	s_cbranch_execz .LBB52_455
; %bb.454:
	v_add_u32_e32 v4, s13, v66
	global_store_dword v[2:3], v4, off
.LBB52_455:
	s_or_b64 exec, exec, s[2:3]
	v_mul_f64 v[2:3], v[58:59], v[56:57]
	v_cmp_lt_i32_e32 vcc, 26, v62
	v_lshlrev_b64 v[4:5], 3, v[62:63]
	v_cndmask_b32_e32 v3, v57, v3, vcc
	v_cndmask_b32_e32 v2, v56, v2, vcc
	v_add_co_u32_e32 v4, vcc, v64, v4
	v_addc_co_u32_e32 v5, vcc, v65, v5, vcc
	global_store_dwordx2 v[4:5], v[54:55], off
	v_mov_b32_e32 v54, s11
	v_add_co_u32_e32 v4, vcc, s10, v4
	v_addc_co_u32_e32 v5, vcc, v5, v54, vcc
	global_store_dwordx2 v[4:5], v[52:53], off
	v_add_u32_e32 v4, s9, v62
	v_ashrrev_i32_e32 v5, 31, v4
	v_lshlrev_b64 v[52:53], 3, v[4:5]
	v_add_co_u32_e32 v52, vcc, v64, v52
	v_add_u32_e32 v4, s8, v4
	v_addc_co_u32_e32 v53, vcc, v65, v53, vcc
	v_ashrrev_i32_e32 v5, 31, v4
	global_store_dwordx2 v[52:53], v[50:51], off
	v_lshlrev_b64 v[50:51], 3, v[4:5]
	v_add_co_u32_e32 v50, vcc, v64, v50
	v_add_u32_e32 v4, s8, v4
	v_addc_co_u32_e32 v51, vcc, v65, v51, vcc
	v_ashrrev_i32_e32 v5, 31, v4
	global_store_dwordx2 v[50:51], v[48:49], off
	;; [unrolled: 6-line block ×23, first 2 shown]
	v_lshlrev_b64 v[6:7], 3, v[4:5]
	v_add_co_u32_e32 v6, vcc, v64, v6
	v_addc_co_u32_e32 v7, vcc, v65, v7, vcc
	global_store_dwordx2 v[6:7], v[0:1], off
	v_add_u32_e32 v0, s8, v4
	v_ashrrev_i32_e32 v1, 31, v0
	v_lshlrev_b64 v[0:1], 3, v[0:1]
	v_add_co_u32_e32 v0, vcc, v64, v0
	v_addc_co_u32_e32 v1, vcc, v65, v1, vcc
	global_store_dwordx2 v[0:1], v[2:3], off
.LBB52_456:
	s_endpgm
	.section	.rodata,"a",@progbits
	.p2align	6, 0x0
	.amdhsa_kernel _ZN9rocsolver6v33100L18getf2_small_kernelILi27EdiiPKPdEEvT1_T3_lS5_lPS5_llPT2_S5_S5_S7_l
		.amdhsa_group_segment_fixed_size 0
		.amdhsa_private_segment_fixed_size 0
		.amdhsa_kernarg_size 352
		.amdhsa_user_sgpr_count 6
		.amdhsa_user_sgpr_private_segment_buffer 1
		.amdhsa_user_sgpr_dispatch_ptr 0
		.amdhsa_user_sgpr_queue_ptr 0
		.amdhsa_user_sgpr_kernarg_segment_ptr 1
		.amdhsa_user_sgpr_dispatch_id 0
		.amdhsa_user_sgpr_flat_scratch_init 0
		.amdhsa_user_sgpr_kernarg_preload_length 0
		.amdhsa_user_sgpr_kernarg_preload_offset 0
		.amdhsa_user_sgpr_private_segment_size 0
		.amdhsa_uses_dynamic_stack 0
		.amdhsa_system_sgpr_private_segment_wavefront_offset 0
		.amdhsa_system_sgpr_workgroup_id_x 1
		.amdhsa_system_sgpr_workgroup_id_y 1
		.amdhsa_system_sgpr_workgroup_id_z 0
		.amdhsa_system_sgpr_workgroup_info 0
		.amdhsa_system_vgpr_workitem_id 1
		.amdhsa_next_free_vgpr 94
		.amdhsa_next_free_sgpr 20
		.amdhsa_accum_offset 96
		.amdhsa_reserve_vcc 1
		.amdhsa_reserve_flat_scratch 0
		.amdhsa_float_round_mode_32 0
		.amdhsa_float_round_mode_16_64 0
		.amdhsa_float_denorm_mode_32 3
		.amdhsa_float_denorm_mode_16_64 3
		.amdhsa_dx10_clamp 1
		.amdhsa_ieee_mode 1
		.amdhsa_fp16_overflow 0
		.amdhsa_tg_split 0
		.amdhsa_exception_fp_ieee_invalid_op 0
		.amdhsa_exception_fp_denorm_src 0
		.amdhsa_exception_fp_ieee_div_zero 0
		.amdhsa_exception_fp_ieee_overflow 0
		.amdhsa_exception_fp_ieee_underflow 0
		.amdhsa_exception_fp_ieee_inexact 0
		.amdhsa_exception_int_div_zero 0
	.end_amdhsa_kernel
	.section	.text._ZN9rocsolver6v33100L18getf2_small_kernelILi27EdiiPKPdEEvT1_T3_lS5_lPS5_llPT2_S5_S5_S7_l,"axG",@progbits,_ZN9rocsolver6v33100L18getf2_small_kernelILi27EdiiPKPdEEvT1_T3_lS5_lPS5_llPT2_S5_S5_S7_l,comdat
.Lfunc_end52:
	.size	_ZN9rocsolver6v33100L18getf2_small_kernelILi27EdiiPKPdEEvT1_T3_lS5_lPS5_llPT2_S5_S5_S7_l, .Lfunc_end52-_ZN9rocsolver6v33100L18getf2_small_kernelILi27EdiiPKPdEEvT1_T3_lS5_lPS5_llPT2_S5_S5_S7_l
                                        ; -- End function
	.section	.AMDGPU.csdata,"",@progbits
; Kernel info:
; codeLenInByte = 20020
; NumSgprs: 24
; NumVgprs: 94
; NumAgprs: 0
; TotalNumVgprs: 94
; ScratchSize: 0
; MemoryBound: 0
; FloatMode: 240
; IeeeMode: 1
; LDSByteSize: 0 bytes/workgroup (compile time only)
; SGPRBlocks: 2
; VGPRBlocks: 11
; NumSGPRsForWavesPerEU: 24
; NumVGPRsForWavesPerEU: 94
; AccumOffset: 96
; Occupancy: 5
; WaveLimiterHint : 1
; COMPUTE_PGM_RSRC2:SCRATCH_EN: 0
; COMPUTE_PGM_RSRC2:USER_SGPR: 6
; COMPUTE_PGM_RSRC2:TRAP_HANDLER: 0
; COMPUTE_PGM_RSRC2:TGID_X_EN: 1
; COMPUTE_PGM_RSRC2:TGID_Y_EN: 1
; COMPUTE_PGM_RSRC2:TGID_Z_EN: 0
; COMPUTE_PGM_RSRC2:TIDIG_COMP_CNT: 1
; COMPUTE_PGM_RSRC3_GFX90A:ACCUM_OFFSET: 23
; COMPUTE_PGM_RSRC3_GFX90A:TG_SPLIT: 0
	.section	.text._ZN9rocsolver6v33100L23getf2_npvt_small_kernelILi27EdiiPKPdEEvT1_T3_lS5_lPT2_S5_S5_,"axG",@progbits,_ZN9rocsolver6v33100L23getf2_npvt_small_kernelILi27EdiiPKPdEEvT1_T3_lS5_lPT2_S5_S5_,comdat
	.globl	_ZN9rocsolver6v33100L23getf2_npvt_small_kernelILi27EdiiPKPdEEvT1_T3_lS5_lPT2_S5_S5_ ; -- Begin function _ZN9rocsolver6v33100L23getf2_npvt_small_kernelILi27EdiiPKPdEEvT1_T3_lS5_lPT2_S5_S5_
	.p2align	8
	.type	_ZN9rocsolver6v33100L23getf2_npvt_small_kernelILi27EdiiPKPdEEvT1_T3_lS5_lPT2_S5_S5_,@function
_ZN9rocsolver6v33100L23getf2_npvt_small_kernelILi27EdiiPKPdEEvT1_T3_lS5_lPT2_S5_S5_: ; @_ZN9rocsolver6v33100L23getf2_npvt_small_kernelILi27EdiiPKPdEEvT1_T3_lS5_lPT2_S5_S5_
; %bb.0:
	s_load_dword s0, s[4:5], 0x44
	s_load_dwordx2 s[8:9], s[4:5], 0x30
	v_bfe_u32 v110, v0, 10, 10
	s_waitcnt lgkmcnt(0)
	s_lshr_b32 s10, s0, 16
	s_mul_i32 s7, s7, s10
	v_add_u32_e32 v2, s7, v110
	v_cmp_gt_i32_e32 vcc, s8, v2
	s_and_saveexec_b64 s[0:1], vcc
	s_cbranch_execz .LBB53_138
; %bb.1:
	s_load_dwordx4 s[12:15], s[4:5], 0x8
	s_load_dword s0, s[4:5], 0x18
	v_ashrrev_i32_e32 v3, 31, v2
	v_lshlrev_b64 v[4:5], 3, v[2:3]
	v_and_b32_e32 v164, 0x3ff, v0
	s_waitcnt lgkmcnt(0)
	v_mov_b32_e32 v1, s13
	v_add_co_u32_e32 v4, vcc, s12, v4
	v_addc_co_u32_e32 v5, vcc, v1, v5, vcc
	global_load_dwordx2 v[4:5], v[4:5], off
	s_add_i32 s8, s0, s0
	v_add_u32_e32 v0, s8, v164
	v_ashrrev_i32_e32 v1, 31, v0
	v_add_u32_e32 v6, s0, v0
	v_lshlrev_b64 v[8:9], 3, v[0:1]
	v_add_u32_e32 v0, s0, v6
	v_ashrrev_i32_e32 v1, 31, v0
	v_add_u32_e32 v10, s0, v0
	v_lshlrev_b64 v[12:13], 3, v[0:1]
	;; [unrolled: 4-line block ×3, first 2 shown]
	v_add_u32_e32 v0, s0, v14
	s_lshl_b64 s[6:7], s[14:15], 3
	v_ashrrev_i32_e32 v1, 31, v0
	v_add_u32_e32 v18, s0, v0
	v_mov_b32_e32 v26, s7
	v_lshlrev_b64 v[20:21], 3, v[0:1]
	v_add_u32_e32 v0, s0, v18
	v_lshlrev_b32_e32 v25, 3, v164
	v_ashrrev_i32_e32 v1, 31, v0
	v_add_u32_e32 v24, s0, v0
	v_lshlrev_b64 v[22:23], 3, v[0:1]
	v_ashrrev_i32_e32 v7, 31, v6
	v_lshlrev_b64 v[6:7], 3, v[6:7]
	v_ashrrev_i32_e32 v11, 31, v10
	;; [unrolled: 2-line block ×4, first 2 shown]
	v_lshlrev_b64 v[18:19], 3, v[18:19]
	s_ashr_i32 s1, s0, 31
	s_lshl_b64 s[2:3], s[0:1], 3
	v_mov_b32_e32 v56, s3
	s_mulk_i32 s10, 0xd8
	s_add_i32 s1, s10, 0
	v_lshl_add_u32 v162, v110, 3, s1
	s_waitcnt vmcnt(0)
	v_add_co_u32_e32 v54, vcc, s6, v4
	v_addc_co_u32_e32 v55, vcc, v5, v26, vcc
	v_add_co_u32_e32 v0, vcc, v54, v25
	v_addc_co_u32_e32 v1, vcc, 0, v55, vcc
	;; [unrolled: 2-line block ×10, first 2 shown]
	v_add_co_u32_e32 v20, vcc, v54, v22
	v_ashrrev_i32_e32 v25, 31, v24
	v_addc_co_u32_e32 v21, vcc, v55, v23, vcc
	v_lshlrev_b64 v[22:23], 3, v[24:25]
	v_add_u32_e32 v26, s0, v24
	v_add_co_u32_e32 v22, vcc, v54, v22
	v_ashrrev_i32_e32 v27, 31, v26
	v_addc_co_u32_e32 v23, vcc, v55, v23, vcc
	v_lshlrev_b64 v[24:25], 3, v[26:27]
	v_add_u32_e32 v28, s0, v26
	;; [unrolled: 5-line block ×15, first 2 shown]
	v_add_co_u32_e32 v50, vcc, v54, v50
	v_ashrrev_i32_e32 v53, 31, v52
	v_addc_co_u32_e32 v51, vcc, v55, v51, vcc
	v_lshlrev_b64 v[52:53], 3, v[52:53]
	v_add_co_u32_e32 v52, vcc, v54, v52
	v_addc_co_u32_e32 v53, vcc, v55, v53, vcc
	v_add_co_u32_e32 v54, vcc, s2, v0
	v_addc_co_u32_e32 v55, vcc, v1, v56, vcc
	global_load_dwordx2 v[56:57], v[0:1], off
	global_load_dwordx2 v[82:83], v[54:55], off
	;; [unrolled: 1-line block ×27, first 2 shown]
	s_movk_i32 s0, 0xd8
	v_mad_u32_u24 v163, v110, s0, 0
	v_cmp_ne_u32_e64 s[2:3], 0, v164
	v_cmp_eq_u32_e64 s[0:1], 0, v164
	s_and_saveexec_b64 s[6:7], s[0:1]
	s_cbranch_execz .LBB53_4
; %bb.2:
	s_waitcnt vmcnt(26)
	ds_write_b64 v162, v[56:57]
	s_waitcnt vmcnt(24)
	ds_write2_b64 v163, v[82:83], v[106:107] offset0:1 offset1:2
	s_waitcnt vmcnt(22)
	ds_write2_b64 v163, v[80:81], v[104:105] offset0:3 offset1:4
	s_waitcnt vmcnt(20)
	ds_write2_b64 v163, v[78:79], v[102:103] offset0:5 offset1:6
	s_waitcnt vmcnt(18)
	ds_write2_b64 v163, v[76:77], v[100:101] offset0:7 offset1:8
	s_waitcnt vmcnt(16)
	ds_write2_b64 v163, v[74:75], v[98:99] offset0:9 offset1:10
	s_waitcnt vmcnt(14)
	ds_write2_b64 v163, v[72:73], v[96:97] offset0:11 offset1:12
	s_waitcnt vmcnt(12)
	ds_write2_b64 v163, v[70:71], v[94:95] offset0:13 offset1:14
	s_waitcnt vmcnt(10)
	ds_write2_b64 v163, v[68:69], v[92:93] offset0:15 offset1:16
	s_waitcnt vmcnt(8)
	ds_write2_b64 v163, v[66:67], v[90:91] offset0:17 offset1:18
	s_waitcnt vmcnt(6)
	ds_write2_b64 v163, v[64:65], v[88:89] offset0:19 offset1:20
	s_waitcnt vmcnt(4)
	ds_write2_b64 v163, v[62:63], v[86:87] offset0:21 offset1:22
	s_waitcnt vmcnt(2)
	ds_write2_b64 v163, v[60:61], v[84:85] offset0:23 offset1:24
	s_waitcnt vmcnt(0)
	ds_write2_b64 v163, v[58:59], v[108:109] offset0:25 offset1:26
	ds_read_b64 v[110:111], v162
	s_waitcnt lgkmcnt(0)
	v_cmp_neq_f64_e32 vcc, 0, v[110:111]
	s_and_b64 exec, exec, vcc
	s_cbranch_execz .LBB53_4
; %bb.3:
	v_div_scale_f64 v[112:113], s[10:11], v[110:111], v[110:111], 1.0
	v_rcp_f64_e32 v[114:115], v[112:113]
	v_div_scale_f64 v[116:117], vcc, 1.0, v[110:111], 1.0
	v_fma_f64 v[118:119], -v[112:113], v[114:115], 1.0
	v_fmac_f64_e32 v[114:115], v[114:115], v[118:119]
	v_fma_f64 v[118:119], -v[112:113], v[114:115], 1.0
	v_fmac_f64_e32 v[114:115], v[114:115], v[118:119]
	v_mul_f64 v[118:119], v[116:117], v[114:115]
	v_fma_f64 v[112:113], -v[112:113], v[118:119], v[116:117]
	v_div_fmas_f64 v[112:113], v[112:113], v[114:115], v[118:119]
	v_div_fixup_f64 v[110:111], v[112:113], v[110:111], 1.0
	ds_write_b64 v162, v[110:111]
.LBB53_4:
	s_or_b64 exec, exec, s[6:7]
	s_waitcnt lgkmcnt(0)
	s_barrier
	ds_read_b64 v[110:111], v162
	s_and_saveexec_b64 s[6:7], s[2:3]
	s_cbranch_execz .LBB53_6
; %bb.5:
	ds_read2_b64 v[112:115], v163 offset0:1 offset1:2
	ds_read2_b64 v[116:119], v163 offset0:3 offset1:4
	s_waitcnt vmcnt(26) lgkmcnt(2)
	v_mul_f64 v[56:57], v[110:111], v[56:57]
	ds_read2_b64 v[120:123], v163 offset0:5 offset1:6
	s_waitcnt vmcnt(25) lgkmcnt(2)
	v_fma_f64 v[82:83], -v[56:57], v[112:113], v[82:83]
	s_waitcnt vmcnt(24)
	v_fma_f64 v[106:107], -v[56:57], v[114:115], v[106:107]
	ds_read2_b64 v[112:115], v163 offset0:7 offset1:8
	s_waitcnt vmcnt(23) lgkmcnt(2)
	v_fma_f64 v[80:81], -v[56:57], v[116:117], v[80:81]
	s_waitcnt vmcnt(22)
	v_fma_f64 v[104:105], -v[56:57], v[118:119], v[104:105]
	s_waitcnt vmcnt(21) lgkmcnt(1)
	v_fma_f64 v[78:79], -v[56:57], v[120:121], v[78:79]
	ds_read2_b64 v[116:119], v163 offset0:9 offset1:10
	s_waitcnt vmcnt(20)
	v_fma_f64 v[102:103], -v[56:57], v[122:123], v[102:103]
	ds_read2_b64 v[120:123], v163 offset0:11 offset1:12
	s_waitcnt vmcnt(19) lgkmcnt(2)
	v_fma_f64 v[76:77], -v[56:57], v[112:113], v[76:77]
	s_waitcnt vmcnt(18)
	v_fma_f64 v[100:101], -v[56:57], v[114:115], v[100:101]
	ds_read2_b64 v[112:115], v163 offset0:13 offset1:14
	s_waitcnt vmcnt(17) lgkmcnt(2)
	v_fma_f64 v[74:75], -v[56:57], v[116:117], v[74:75]
	;; [unrolled: 5-line block ×3, first 2 shown]
	s_waitcnt vmcnt(14)
	v_fma_f64 v[96:97], -v[56:57], v[122:123], v[96:97]
	s_waitcnt vmcnt(13) lgkmcnt(1)
	v_fma_f64 v[70:71], -v[56:57], v[112:113], v[70:71]
	ds_read2_b64 v[120:123], v163 offset0:17 offset1:18
	s_waitcnt vmcnt(12)
	v_fma_f64 v[94:95], -v[56:57], v[114:115], v[94:95]
	ds_read2_b64 v[112:115], v163 offset0:19 offset1:20
	s_waitcnt vmcnt(11) lgkmcnt(2)
	v_fma_f64 v[68:69], -v[56:57], v[116:117], v[68:69]
	s_waitcnt vmcnt(10)
	v_fma_f64 v[92:93], -v[56:57], v[118:119], v[92:93]
	s_waitcnt vmcnt(9) lgkmcnt(1)
	v_fma_f64 v[66:67], -v[56:57], v[120:121], v[66:67]
	s_waitcnt vmcnt(8)
	v_fma_f64 v[90:91], -v[56:57], v[122:123], v[90:91]
	ds_read2_b64 v[116:119], v163 offset0:21 offset1:22
	ds_read2_b64 v[120:123], v163 offset0:23 offset1:24
	s_waitcnt vmcnt(7) lgkmcnt(2)
	v_fma_f64 v[64:65], -v[56:57], v[112:113], v[64:65]
	s_waitcnt vmcnt(6)
	v_fma_f64 v[88:89], -v[56:57], v[114:115], v[88:89]
	ds_read2_b64 v[112:115], v163 offset0:25 offset1:26
	s_waitcnt vmcnt(5) lgkmcnt(2)
	v_fma_f64 v[62:63], -v[56:57], v[116:117], v[62:63]
	s_waitcnt vmcnt(4)
	v_fma_f64 v[86:87], -v[56:57], v[118:119], v[86:87]
	s_waitcnt vmcnt(3) lgkmcnt(1)
	v_fma_f64 v[60:61], -v[56:57], v[120:121], v[60:61]
	s_waitcnt vmcnt(2)
	v_fma_f64 v[84:85], -v[56:57], v[122:123], v[84:85]
	;; [unrolled: 4-line block ×3, first 2 shown]
.LBB53_6:
	s_or_b64 exec, exec, s[6:7]
	v_cmp_eq_u32_e32 vcc, 1, v164
	s_waitcnt lgkmcnt(0)
	s_barrier
	s_and_saveexec_b64 s[2:3], vcc
	s_cbranch_execz .LBB53_9
; %bb.7:
	s_waitcnt vmcnt(24)
	v_mov_b32_e32 v112, v106
	v_mov_b32_e32 v113, v107
	s_waitcnt vmcnt(23)
	v_mov_b32_e32 v114, v80
	v_mov_b32_e32 v115, v81
	ds_write_b64 v162, v[82:83]
	ds_write2_b64 v163, v[112:113], v[114:115] offset0:2 offset1:3
	s_waitcnt vmcnt(22)
	v_mov_b32_e32 v112, v104
	v_mov_b32_e32 v113, v105
	s_waitcnt vmcnt(21)
	v_mov_b32_e32 v114, v78
	v_mov_b32_e32 v115, v79
	ds_write2_b64 v163, v[112:113], v[114:115] offset0:4 offset1:5
	s_waitcnt vmcnt(20)
	v_mov_b32_e32 v112, v102
	v_mov_b32_e32 v113, v103
	s_waitcnt vmcnt(19)
	v_mov_b32_e32 v114, v76
	v_mov_b32_e32 v115, v77
	;; [unrolled: 7-line block ×11, first 2 shown]
	ds_write2_b64 v163, v[112:113], v[114:115] offset0:24 offset1:25
	s_waitcnt vmcnt(0)
	ds_write_b64 v163, v[108:109] offset:208
	ds_read_b64 v[112:113], v162
	s_waitcnt lgkmcnt(0)
	v_cmp_neq_f64_e32 vcc, 0, v[112:113]
	s_and_b64 exec, exec, vcc
	s_cbranch_execz .LBB53_9
; %bb.8:
	v_div_scale_f64 v[114:115], s[6:7], v[112:113], v[112:113], 1.0
	v_rcp_f64_e32 v[116:117], v[114:115]
	v_div_scale_f64 v[118:119], vcc, 1.0, v[112:113], 1.0
	v_fma_f64 v[120:121], -v[114:115], v[116:117], 1.0
	v_fmac_f64_e32 v[116:117], v[116:117], v[120:121]
	v_fma_f64 v[120:121], -v[114:115], v[116:117], 1.0
	v_fmac_f64_e32 v[116:117], v[116:117], v[120:121]
	v_mul_f64 v[120:121], v[118:119], v[116:117]
	v_fma_f64 v[114:115], -v[114:115], v[120:121], v[118:119]
	v_div_fmas_f64 v[114:115], v[114:115], v[116:117], v[120:121]
	v_div_fixup_f64 v[112:113], v[114:115], v[112:113], 1.0
	ds_write_b64 v162, v[112:113]
.LBB53_9:
	s_or_b64 exec, exec, s[2:3]
	s_waitcnt lgkmcnt(0)
	s_barrier
	ds_read_b64 v[112:113], v162
	v_cmp_lt_u32_e32 vcc, 1, v164
	s_and_saveexec_b64 s[2:3], vcc
	s_cbranch_execz .LBB53_11
; %bb.10:
	ds_read2_b64 v[114:117], v163 offset0:2 offset1:3
	ds_read2_b64 v[118:121], v163 offset0:4 offset1:5
	s_waitcnt vmcnt(25) lgkmcnt(2)
	v_mul_f64 v[82:83], v[112:113], v[82:83]
	ds_read2_b64 v[122:125], v163 offset0:6 offset1:7
	s_waitcnt vmcnt(24) lgkmcnt(2)
	v_fma_f64 v[106:107], -v[82:83], v[114:115], v[106:107]
	s_waitcnt vmcnt(23)
	v_fma_f64 v[80:81], -v[82:83], v[116:117], v[80:81]
	ds_read2_b64 v[114:117], v163 offset0:8 offset1:9
	s_waitcnt vmcnt(22) lgkmcnt(2)
	v_fma_f64 v[104:105], -v[82:83], v[118:119], v[104:105]
	s_waitcnt vmcnt(21)
	v_fma_f64 v[78:79], -v[82:83], v[120:121], v[78:79]
	s_waitcnt vmcnt(20) lgkmcnt(1)
	v_fma_f64 v[102:103], -v[82:83], v[122:123], v[102:103]
	ds_read2_b64 v[118:121], v163 offset0:10 offset1:11
	s_waitcnt vmcnt(19)
	v_fma_f64 v[76:77], -v[82:83], v[124:125], v[76:77]
	ds_read2_b64 v[122:125], v163 offset0:12 offset1:13
	s_waitcnt vmcnt(18) lgkmcnt(2)
	v_fma_f64 v[100:101], -v[82:83], v[114:115], v[100:101]
	s_waitcnt vmcnt(17)
	v_fma_f64 v[74:75], -v[82:83], v[116:117], v[74:75]
	ds_read2_b64 v[114:117], v163 offset0:14 offset1:15
	s_waitcnt vmcnt(16) lgkmcnt(2)
	v_fma_f64 v[98:99], -v[82:83], v[118:119], v[98:99]
	;; [unrolled: 5-line block ×3, first 2 shown]
	s_waitcnt vmcnt(13)
	v_fma_f64 v[70:71], -v[82:83], v[124:125], v[70:71]
	s_waitcnt vmcnt(12) lgkmcnt(1)
	v_fma_f64 v[94:95], -v[82:83], v[114:115], v[94:95]
	ds_read2_b64 v[122:125], v163 offset0:18 offset1:19
	s_waitcnt vmcnt(11)
	v_fma_f64 v[68:69], -v[82:83], v[116:117], v[68:69]
	ds_read2_b64 v[114:117], v163 offset0:20 offset1:21
	s_waitcnt vmcnt(10) lgkmcnt(2)
	v_fma_f64 v[92:93], -v[82:83], v[118:119], v[92:93]
	s_waitcnt vmcnt(9)
	v_fma_f64 v[66:67], -v[82:83], v[120:121], v[66:67]
	s_waitcnt vmcnt(8) lgkmcnt(1)
	v_fma_f64 v[90:91], -v[82:83], v[122:123], v[90:91]
	s_waitcnt vmcnt(7)
	v_fma_f64 v[64:65], -v[82:83], v[124:125], v[64:65]
	ds_read2_b64 v[118:121], v163 offset0:22 offset1:23
	ds_read2_b64 v[122:125], v163 offset0:24 offset1:25
	s_waitcnt vmcnt(6) lgkmcnt(2)
	v_fma_f64 v[88:89], -v[82:83], v[114:115], v[88:89]
	ds_read_b64 v[114:115], v163 offset:208
	s_waitcnt vmcnt(5)
	v_fma_f64 v[62:63], -v[82:83], v[116:117], v[62:63]
	s_waitcnt vmcnt(4) lgkmcnt(2)
	v_fma_f64 v[86:87], -v[82:83], v[118:119], v[86:87]
	s_waitcnt vmcnt(3)
	v_fma_f64 v[60:61], -v[82:83], v[120:121], v[60:61]
	s_waitcnt vmcnt(2) lgkmcnt(1)
	v_fma_f64 v[84:85], -v[82:83], v[122:123], v[84:85]
	;; [unrolled: 4-line block ×3, first 2 shown]
.LBB53_11:
	s_or_b64 exec, exec, s[2:3]
	v_cmp_eq_u32_e32 vcc, 2, v164
	s_waitcnt lgkmcnt(0)
	s_barrier
	s_and_saveexec_b64 s[2:3], vcc
	s_cbranch_execz .LBB53_14
; %bb.12:
	s_waitcnt vmcnt(24)
	ds_write_b64 v162, v[106:107]
	s_waitcnt vmcnt(22)
	ds_write2_b64 v163, v[80:81], v[104:105] offset0:3 offset1:4
	s_waitcnt vmcnt(20)
	ds_write2_b64 v163, v[78:79], v[102:103] offset0:5 offset1:6
	;; [unrolled: 2-line block ×12, first 2 shown]
	ds_read_b64 v[114:115], v162
	s_waitcnt lgkmcnt(0)
	v_cmp_neq_f64_e32 vcc, 0, v[114:115]
	s_and_b64 exec, exec, vcc
	s_cbranch_execz .LBB53_14
; %bb.13:
	v_div_scale_f64 v[116:117], s[6:7], v[114:115], v[114:115], 1.0
	v_rcp_f64_e32 v[118:119], v[116:117]
	v_div_scale_f64 v[120:121], vcc, 1.0, v[114:115], 1.0
	v_fma_f64 v[122:123], -v[116:117], v[118:119], 1.0
	v_fmac_f64_e32 v[118:119], v[118:119], v[122:123]
	v_fma_f64 v[122:123], -v[116:117], v[118:119], 1.0
	v_fmac_f64_e32 v[118:119], v[118:119], v[122:123]
	v_mul_f64 v[122:123], v[120:121], v[118:119]
	v_fma_f64 v[116:117], -v[116:117], v[122:123], v[120:121]
	v_div_fmas_f64 v[116:117], v[116:117], v[118:119], v[122:123]
	v_div_fixup_f64 v[114:115], v[116:117], v[114:115], 1.0
	ds_write_b64 v162, v[114:115]
.LBB53_14:
	s_or_b64 exec, exec, s[2:3]
	s_waitcnt lgkmcnt(0)
	s_barrier
	ds_read_b64 v[114:115], v162
	v_cmp_lt_u32_e32 vcc, 2, v164
	s_and_saveexec_b64 s[2:3], vcc
	s_cbranch_execz .LBB53_16
; %bb.15:
	ds_read2_b64 v[116:119], v163 offset0:3 offset1:4
	ds_read2_b64 v[120:123], v163 offset0:5 offset1:6
	;; [unrolled: 1-line block ×3, first 2 shown]
	s_waitcnt vmcnt(24) lgkmcnt(3)
	v_mul_f64 v[106:107], v[114:115], v[106:107]
	s_waitcnt vmcnt(23) lgkmcnt(2)
	v_fma_f64 v[80:81], -v[106:107], v[116:117], v[80:81]
	s_waitcnt vmcnt(22)
	v_fma_f64 v[104:105], -v[106:107], v[118:119], v[104:105]
	ds_read2_b64 v[116:119], v163 offset0:9 offset1:10
	s_waitcnt vmcnt(21) lgkmcnt(2)
	v_fma_f64 v[78:79], -v[106:107], v[120:121], v[78:79]
	s_waitcnt vmcnt(20)
	v_fma_f64 v[102:103], -v[106:107], v[122:123], v[102:103]
	s_waitcnt vmcnt(19) lgkmcnt(1)
	v_fma_f64 v[76:77], -v[106:107], v[124:125], v[76:77]
	ds_read2_b64 v[120:123], v163 offset0:11 offset1:12
	s_waitcnt vmcnt(18)
	v_fma_f64 v[100:101], -v[106:107], v[126:127], v[100:101]
	ds_read2_b64 v[124:127], v163 offset0:13 offset1:14
	s_waitcnt vmcnt(17) lgkmcnt(2)
	v_fma_f64 v[74:75], -v[106:107], v[116:117], v[74:75]
	s_waitcnt vmcnt(16)
	v_fma_f64 v[98:99], -v[106:107], v[118:119], v[98:99]
	s_waitcnt vmcnt(15) lgkmcnt(1)
	v_fma_f64 v[72:73], -v[106:107], v[120:121], v[72:73]
	ds_read2_b64 v[116:119], v163 offset0:15 offset1:16
	s_waitcnt vmcnt(14)
	v_fma_f64 v[96:97], -v[106:107], v[122:123], v[96:97]
	ds_read2_b64 v[120:123], v163 offset0:17 offset1:18
	s_waitcnt vmcnt(13) lgkmcnt(2)
	v_fma_f64 v[70:71], -v[106:107], v[124:125], v[70:71]
	s_waitcnt vmcnt(12)
	v_fma_f64 v[94:95], -v[106:107], v[126:127], v[94:95]
	ds_read2_b64 v[124:127], v163 offset0:19 offset1:20
	s_waitcnt vmcnt(11) lgkmcnt(2)
	v_fma_f64 v[68:69], -v[106:107], v[116:117], v[68:69]
	;; [unrolled: 5-line block ×3, first 2 shown]
	s_waitcnt vmcnt(8)
	v_fma_f64 v[90:91], -v[106:107], v[122:123], v[90:91]
	s_waitcnt vmcnt(7) lgkmcnt(1)
	v_fma_f64 v[64:65], -v[106:107], v[124:125], v[64:65]
	ds_read2_b64 v[120:123], v163 offset0:23 offset1:24
	s_waitcnt vmcnt(6)
	v_fma_f64 v[88:89], -v[106:107], v[126:127], v[88:89]
	ds_read2_b64 v[124:127], v163 offset0:25 offset1:26
	s_waitcnt vmcnt(5) lgkmcnt(2)
	v_fma_f64 v[62:63], -v[106:107], v[116:117], v[62:63]
	s_waitcnt vmcnt(4)
	v_fma_f64 v[86:87], -v[106:107], v[118:119], v[86:87]
	s_waitcnt vmcnt(3) lgkmcnt(1)
	v_fma_f64 v[60:61], -v[106:107], v[120:121], v[60:61]
	s_waitcnt vmcnt(2)
	v_fma_f64 v[84:85], -v[106:107], v[122:123], v[84:85]
	;; [unrolled: 4-line block ×3, first 2 shown]
.LBB53_16:
	s_or_b64 exec, exec, s[2:3]
	v_cmp_eq_u32_e32 vcc, 3, v164
	s_waitcnt lgkmcnt(0)
	s_barrier
	s_and_saveexec_b64 s[2:3], vcc
	s_cbranch_execz .LBB53_19
; %bb.17:
	s_waitcnt vmcnt(22)
	v_mov_b32_e32 v116, v104
	v_mov_b32_e32 v117, v105
	s_waitcnt vmcnt(21)
	v_mov_b32_e32 v118, v78
	v_mov_b32_e32 v119, v79
	ds_write_b64 v162, v[80:81]
	ds_write2_b64 v163, v[116:117], v[118:119] offset0:4 offset1:5
	s_waitcnt vmcnt(20)
	v_mov_b32_e32 v116, v102
	v_mov_b32_e32 v117, v103
	s_waitcnt vmcnt(19)
	v_mov_b32_e32 v118, v76
	v_mov_b32_e32 v119, v77
	ds_write2_b64 v163, v[116:117], v[118:119] offset0:6 offset1:7
	s_waitcnt vmcnt(18)
	v_mov_b32_e32 v116, v100
	v_mov_b32_e32 v117, v101
	s_waitcnt vmcnt(17)
	v_mov_b32_e32 v118, v74
	v_mov_b32_e32 v119, v75
	;; [unrolled: 7-line block ×10, first 2 shown]
	ds_write2_b64 v163, v[116:117], v[118:119] offset0:24 offset1:25
	s_waitcnt vmcnt(0)
	ds_write_b64 v163, v[108:109] offset:208
	ds_read_b64 v[116:117], v162
	s_waitcnt lgkmcnt(0)
	v_cmp_neq_f64_e32 vcc, 0, v[116:117]
	s_and_b64 exec, exec, vcc
	s_cbranch_execz .LBB53_19
; %bb.18:
	v_div_scale_f64 v[118:119], s[6:7], v[116:117], v[116:117], 1.0
	v_rcp_f64_e32 v[120:121], v[118:119]
	v_div_scale_f64 v[122:123], vcc, 1.0, v[116:117], 1.0
	v_fma_f64 v[124:125], -v[118:119], v[120:121], 1.0
	v_fmac_f64_e32 v[120:121], v[120:121], v[124:125]
	v_fma_f64 v[124:125], -v[118:119], v[120:121], 1.0
	v_fmac_f64_e32 v[120:121], v[120:121], v[124:125]
	v_mul_f64 v[124:125], v[122:123], v[120:121]
	v_fma_f64 v[118:119], -v[118:119], v[124:125], v[122:123]
	v_div_fmas_f64 v[118:119], v[118:119], v[120:121], v[124:125]
	v_div_fixup_f64 v[116:117], v[118:119], v[116:117], 1.0
	ds_write_b64 v162, v[116:117]
.LBB53_19:
	s_or_b64 exec, exec, s[2:3]
	s_waitcnt lgkmcnt(0)
	s_barrier
	ds_read_b64 v[116:117], v162
	v_cmp_lt_u32_e32 vcc, 3, v164
	s_and_saveexec_b64 s[2:3], vcc
	s_cbranch_execz .LBB53_21
; %bb.20:
	ds_read2_b64 v[118:121], v163 offset0:4 offset1:5
	ds_read2_b64 v[122:125], v163 offset0:6 offset1:7
	;; [unrolled: 1-line block ×3, first 2 shown]
	s_waitcnt vmcnt(23) lgkmcnt(3)
	v_mul_f64 v[80:81], v[116:117], v[80:81]
	s_waitcnt vmcnt(22) lgkmcnt(2)
	v_fma_f64 v[104:105], -v[80:81], v[118:119], v[104:105]
	s_waitcnt vmcnt(21)
	v_fma_f64 v[78:79], -v[80:81], v[120:121], v[78:79]
	ds_read2_b64 v[118:121], v163 offset0:10 offset1:11
	s_waitcnt vmcnt(20) lgkmcnt(2)
	v_fma_f64 v[102:103], -v[80:81], v[122:123], v[102:103]
	s_waitcnt vmcnt(19)
	v_fma_f64 v[76:77], -v[80:81], v[124:125], v[76:77]
	s_waitcnt vmcnt(18) lgkmcnt(1)
	v_fma_f64 v[100:101], -v[80:81], v[126:127], v[100:101]
	ds_read2_b64 v[122:125], v163 offset0:12 offset1:13
	s_waitcnt vmcnt(17)
	v_fma_f64 v[74:75], -v[80:81], v[128:129], v[74:75]
	ds_read2_b64 v[126:129], v163 offset0:14 offset1:15
	s_waitcnt vmcnt(16) lgkmcnt(2)
	v_fma_f64 v[98:99], -v[80:81], v[118:119], v[98:99]
	s_waitcnt vmcnt(15)
	v_fma_f64 v[72:73], -v[80:81], v[120:121], v[72:73]
	s_waitcnt vmcnt(14) lgkmcnt(1)
	v_fma_f64 v[96:97], -v[80:81], v[122:123], v[96:97]
	ds_read2_b64 v[118:121], v163 offset0:16 offset1:17
	s_waitcnt vmcnt(13)
	v_fma_f64 v[70:71], -v[80:81], v[124:125], v[70:71]
	ds_read2_b64 v[122:125], v163 offset0:18 offset1:19
	s_waitcnt vmcnt(12) lgkmcnt(2)
	v_fma_f64 v[94:95], -v[80:81], v[126:127], v[94:95]
	s_waitcnt vmcnt(11)
	v_fma_f64 v[68:69], -v[80:81], v[128:129], v[68:69]
	ds_read2_b64 v[126:129], v163 offset0:20 offset1:21
	s_waitcnt vmcnt(10) lgkmcnt(2)
	v_fma_f64 v[92:93], -v[80:81], v[118:119], v[92:93]
	;; [unrolled: 5-line block ×3, first 2 shown]
	s_waitcnt vmcnt(7)
	v_fma_f64 v[64:65], -v[80:81], v[124:125], v[64:65]
	s_waitcnt vmcnt(6) lgkmcnt(1)
	v_fma_f64 v[88:89], -v[80:81], v[126:127], v[88:89]
	ds_read2_b64 v[122:125], v163 offset0:24 offset1:25
	ds_read_b64 v[126:127], v163 offset:208
	s_waitcnt vmcnt(5)
	v_fma_f64 v[62:63], -v[80:81], v[128:129], v[62:63]
	s_waitcnt vmcnt(4) lgkmcnt(2)
	v_fma_f64 v[86:87], -v[80:81], v[118:119], v[86:87]
	s_waitcnt vmcnt(3)
	v_fma_f64 v[60:61], -v[80:81], v[120:121], v[60:61]
	s_waitcnt vmcnt(2) lgkmcnt(1)
	v_fma_f64 v[84:85], -v[80:81], v[122:123], v[84:85]
	;; [unrolled: 4-line block ×3, first 2 shown]
.LBB53_21:
	s_or_b64 exec, exec, s[2:3]
	v_cmp_eq_u32_e32 vcc, 4, v164
	s_waitcnt lgkmcnt(0)
	s_barrier
	s_and_saveexec_b64 s[2:3], vcc
	s_cbranch_execz .LBB53_24
; %bb.22:
	s_waitcnt vmcnt(22)
	ds_write_b64 v162, v[104:105]
	s_waitcnt vmcnt(20)
	ds_write2_b64 v163, v[78:79], v[102:103] offset0:5 offset1:6
	s_waitcnt vmcnt(18)
	ds_write2_b64 v163, v[76:77], v[100:101] offset0:7 offset1:8
	;; [unrolled: 2-line block ×11, first 2 shown]
	ds_read_b64 v[118:119], v162
	s_waitcnt lgkmcnt(0)
	v_cmp_neq_f64_e32 vcc, 0, v[118:119]
	s_and_b64 exec, exec, vcc
	s_cbranch_execz .LBB53_24
; %bb.23:
	v_div_scale_f64 v[120:121], s[6:7], v[118:119], v[118:119], 1.0
	v_rcp_f64_e32 v[122:123], v[120:121]
	v_div_scale_f64 v[124:125], vcc, 1.0, v[118:119], 1.0
	v_fma_f64 v[126:127], -v[120:121], v[122:123], 1.0
	v_fmac_f64_e32 v[122:123], v[122:123], v[126:127]
	v_fma_f64 v[126:127], -v[120:121], v[122:123], 1.0
	v_fmac_f64_e32 v[122:123], v[122:123], v[126:127]
	v_mul_f64 v[126:127], v[124:125], v[122:123]
	v_fma_f64 v[120:121], -v[120:121], v[126:127], v[124:125]
	v_div_fmas_f64 v[120:121], v[120:121], v[122:123], v[126:127]
	v_div_fixup_f64 v[118:119], v[120:121], v[118:119], 1.0
	ds_write_b64 v162, v[118:119]
.LBB53_24:
	s_or_b64 exec, exec, s[2:3]
	s_waitcnt lgkmcnt(0)
	s_barrier
	ds_read_b64 v[118:119], v162
	v_cmp_lt_u32_e32 vcc, 4, v164
	s_and_saveexec_b64 s[2:3], vcc
	s_cbranch_execz .LBB53_26
; %bb.25:
	ds_read2_b64 v[120:123], v163 offset0:5 offset1:6
	ds_read2_b64 v[124:127], v163 offset0:7 offset1:8
	s_waitcnt vmcnt(22) lgkmcnt(2)
	v_mul_f64 v[104:105], v[118:119], v[104:105]
	ds_read2_b64 v[128:131], v163 offset0:9 offset1:10
	s_waitcnt vmcnt(21) lgkmcnt(2)
	v_fma_f64 v[78:79], -v[104:105], v[120:121], v[78:79]
	s_waitcnt vmcnt(20)
	v_fma_f64 v[102:103], -v[104:105], v[122:123], v[102:103]
	ds_read2_b64 v[120:123], v163 offset0:11 offset1:12
	s_waitcnt vmcnt(19) lgkmcnt(2)
	v_fma_f64 v[76:77], -v[104:105], v[124:125], v[76:77]
	s_waitcnt vmcnt(18)
	v_fma_f64 v[100:101], -v[104:105], v[126:127], v[100:101]
	ds_read2_b64 v[124:127], v163 offset0:13 offset1:14
	s_waitcnt vmcnt(17) lgkmcnt(2)
	v_fma_f64 v[74:75], -v[104:105], v[128:129], v[74:75]
	s_waitcnt vmcnt(16)
	v_fma_f64 v[98:99], -v[104:105], v[130:131], v[98:99]
	ds_read2_b64 v[128:131], v163 offset0:15 offset1:16
	s_waitcnt vmcnt(15) lgkmcnt(2)
	v_fma_f64 v[72:73], -v[104:105], v[120:121], v[72:73]
	s_waitcnt vmcnt(14)
	v_fma_f64 v[96:97], -v[104:105], v[122:123], v[96:97]
	s_waitcnt vmcnt(13) lgkmcnt(1)
	v_fma_f64 v[70:71], -v[104:105], v[124:125], v[70:71]
	ds_read2_b64 v[120:123], v163 offset0:17 offset1:18
	s_waitcnt vmcnt(12)
	v_fma_f64 v[94:95], -v[104:105], v[126:127], v[94:95]
	ds_read2_b64 v[124:127], v163 offset0:19 offset1:20
	s_waitcnt vmcnt(11) lgkmcnt(2)
	v_fma_f64 v[68:69], -v[104:105], v[128:129], v[68:69]
	s_waitcnt vmcnt(10)
	v_fma_f64 v[92:93], -v[104:105], v[130:131], v[92:93]
	s_waitcnt vmcnt(9) lgkmcnt(1)
	v_fma_f64 v[66:67], -v[104:105], v[120:121], v[66:67]
	s_waitcnt vmcnt(8)
	v_fma_f64 v[90:91], -v[104:105], v[122:123], v[90:91]
	ds_read2_b64 v[120:123], v163 offset0:21 offset1:22
	ds_read2_b64 v[128:131], v163 offset0:23 offset1:24
	s_waitcnt vmcnt(7) lgkmcnt(2)
	v_fma_f64 v[64:65], -v[104:105], v[124:125], v[64:65]
	s_waitcnt vmcnt(6)
	v_fma_f64 v[88:89], -v[104:105], v[126:127], v[88:89]
	ds_read2_b64 v[124:127], v163 offset0:25 offset1:26
	s_waitcnt vmcnt(5) lgkmcnt(2)
	v_fma_f64 v[62:63], -v[104:105], v[120:121], v[62:63]
	s_waitcnt vmcnt(4)
	v_fma_f64 v[86:87], -v[104:105], v[122:123], v[86:87]
	s_waitcnt vmcnt(3) lgkmcnt(1)
	v_fma_f64 v[60:61], -v[104:105], v[128:129], v[60:61]
	s_waitcnt vmcnt(2)
	v_fma_f64 v[84:85], -v[104:105], v[130:131], v[84:85]
	;; [unrolled: 4-line block ×3, first 2 shown]
.LBB53_26:
	s_or_b64 exec, exec, s[2:3]
	v_cmp_eq_u32_e32 vcc, 5, v164
	s_waitcnt lgkmcnt(0)
	s_barrier
	s_and_saveexec_b64 s[2:3], vcc
	s_cbranch_execz .LBB53_29
; %bb.27:
	s_waitcnt vmcnt(20)
	v_mov_b32_e32 v120, v102
	v_mov_b32_e32 v121, v103
	s_waitcnt vmcnt(19)
	v_mov_b32_e32 v122, v76
	v_mov_b32_e32 v123, v77
	ds_write_b64 v162, v[78:79]
	ds_write2_b64 v163, v[120:121], v[122:123] offset0:6 offset1:7
	s_waitcnt vmcnt(18)
	v_mov_b32_e32 v120, v100
	v_mov_b32_e32 v121, v101
	s_waitcnt vmcnt(17)
	v_mov_b32_e32 v122, v74
	v_mov_b32_e32 v123, v75
	ds_write2_b64 v163, v[120:121], v[122:123] offset0:8 offset1:9
	s_waitcnt vmcnt(16)
	v_mov_b32_e32 v120, v98
	v_mov_b32_e32 v121, v99
	s_waitcnt vmcnt(15)
	v_mov_b32_e32 v122, v72
	v_mov_b32_e32 v123, v73
	ds_write2_b64 v163, v[120:121], v[122:123] offset0:10 offset1:11
	s_waitcnt vmcnt(14)
	v_mov_b32_e32 v120, v96
	v_mov_b32_e32 v121, v97
	s_waitcnt vmcnt(13)
	v_mov_b32_e32 v122, v70
	v_mov_b32_e32 v123, v71
	ds_write2_b64 v163, v[120:121], v[122:123] offset0:12 offset1:13
	s_waitcnt vmcnt(12)
	v_mov_b32_e32 v120, v94
	v_mov_b32_e32 v121, v95
	s_waitcnt vmcnt(11)
	v_mov_b32_e32 v122, v68
	v_mov_b32_e32 v123, v69
	ds_write2_b64 v163, v[120:121], v[122:123] offset0:14 offset1:15
	s_waitcnt vmcnt(10)
	v_mov_b32_e32 v120, v92
	v_mov_b32_e32 v121, v93
	s_waitcnt vmcnt(9)
	v_mov_b32_e32 v122, v66
	v_mov_b32_e32 v123, v67
	ds_write2_b64 v163, v[120:121], v[122:123] offset0:16 offset1:17
	s_waitcnt vmcnt(8)
	v_mov_b32_e32 v120, v90
	v_mov_b32_e32 v121, v91
	s_waitcnt vmcnt(7)
	v_mov_b32_e32 v122, v64
	v_mov_b32_e32 v123, v65
	ds_write2_b64 v163, v[120:121], v[122:123] offset0:18 offset1:19
	s_waitcnt vmcnt(6)
	v_mov_b32_e32 v120, v88
	v_mov_b32_e32 v121, v89
	s_waitcnt vmcnt(5)
	v_mov_b32_e32 v122, v62
	v_mov_b32_e32 v123, v63
	ds_write2_b64 v163, v[120:121], v[122:123] offset0:20 offset1:21
	s_waitcnt vmcnt(4)
	v_mov_b32_e32 v120, v86
	v_mov_b32_e32 v121, v87
	s_waitcnt vmcnt(3)
	v_mov_b32_e32 v122, v60
	v_mov_b32_e32 v123, v61
	ds_write2_b64 v163, v[120:121], v[122:123] offset0:22 offset1:23
	s_waitcnt vmcnt(2)
	v_mov_b32_e32 v120, v84
	v_mov_b32_e32 v121, v85
	s_waitcnt vmcnt(1)
	v_mov_b32_e32 v122, v58
	v_mov_b32_e32 v123, v59
	ds_write2_b64 v163, v[120:121], v[122:123] offset0:24 offset1:25
	s_waitcnt vmcnt(0)
	ds_write_b64 v163, v[108:109] offset:208
	ds_read_b64 v[120:121], v162
	s_waitcnt lgkmcnt(0)
	v_cmp_neq_f64_e32 vcc, 0, v[120:121]
	s_and_b64 exec, exec, vcc
	s_cbranch_execz .LBB53_29
; %bb.28:
	v_div_scale_f64 v[122:123], s[6:7], v[120:121], v[120:121], 1.0
	v_rcp_f64_e32 v[124:125], v[122:123]
	v_div_scale_f64 v[126:127], vcc, 1.0, v[120:121], 1.0
	v_fma_f64 v[128:129], -v[122:123], v[124:125], 1.0
	v_fmac_f64_e32 v[124:125], v[124:125], v[128:129]
	v_fma_f64 v[128:129], -v[122:123], v[124:125], 1.0
	v_fmac_f64_e32 v[124:125], v[124:125], v[128:129]
	v_mul_f64 v[128:129], v[126:127], v[124:125]
	v_fma_f64 v[122:123], -v[122:123], v[128:129], v[126:127]
	v_div_fmas_f64 v[122:123], v[122:123], v[124:125], v[128:129]
	v_div_fixup_f64 v[120:121], v[122:123], v[120:121], 1.0
	ds_write_b64 v162, v[120:121]
.LBB53_29:
	s_or_b64 exec, exec, s[2:3]
	s_waitcnt lgkmcnt(0)
	s_barrier
	ds_read_b64 v[120:121], v162
	v_cmp_lt_u32_e32 vcc, 5, v164
	s_and_saveexec_b64 s[2:3], vcc
	s_cbranch_execz .LBB53_31
; %bb.30:
	ds_read2_b64 v[122:125], v163 offset0:6 offset1:7
	ds_read2_b64 v[126:129], v163 offset0:8 offset1:9
	s_waitcnt vmcnt(21) lgkmcnt(2)
	v_mul_f64 v[78:79], v[120:121], v[78:79]
	ds_read2_b64 v[130:133], v163 offset0:10 offset1:11
	s_waitcnt vmcnt(20) lgkmcnt(2)
	v_fma_f64 v[102:103], -v[78:79], v[122:123], v[102:103]
	s_waitcnt vmcnt(19)
	v_fma_f64 v[76:77], -v[78:79], v[124:125], v[76:77]
	ds_read2_b64 v[122:125], v163 offset0:12 offset1:13
	s_waitcnt vmcnt(18) lgkmcnt(2)
	v_fma_f64 v[100:101], -v[78:79], v[126:127], v[100:101]
	s_waitcnt vmcnt(17)
	v_fma_f64 v[74:75], -v[78:79], v[128:129], v[74:75]
	;; [unrolled: 5-line block ×4, first 2 shown]
	s_waitcnt vmcnt(12) lgkmcnt(1)
	v_fma_f64 v[94:95], -v[78:79], v[126:127], v[94:95]
	ds_read2_b64 v[122:125], v163 offset0:18 offset1:19
	s_waitcnt vmcnt(11)
	v_fma_f64 v[68:69], -v[78:79], v[128:129], v[68:69]
	ds_read2_b64 v[126:129], v163 offset0:20 offset1:21
	s_waitcnt vmcnt(10) lgkmcnt(2)
	v_fma_f64 v[92:93], -v[78:79], v[130:131], v[92:93]
	s_waitcnt vmcnt(9)
	v_fma_f64 v[66:67], -v[78:79], v[132:133], v[66:67]
	s_waitcnt vmcnt(8) lgkmcnt(1)
	v_fma_f64 v[90:91], -v[78:79], v[122:123], v[90:91]
	s_waitcnt vmcnt(7)
	v_fma_f64 v[64:65], -v[78:79], v[124:125], v[64:65]
	ds_read2_b64 v[122:125], v163 offset0:22 offset1:23
	ds_read2_b64 v[130:133], v163 offset0:24 offset1:25
	s_waitcnt vmcnt(6) lgkmcnt(2)
	v_fma_f64 v[88:89], -v[78:79], v[126:127], v[88:89]
	ds_read_b64 v[126:127], v163 offset:208
	s_waitcnt vmcnt(5)
	v_fma_f64 v[62:63], -v[78:79], v[128:129], v[62:63]
	s_waitcnt vmcnt(4) lgkmcnt(2)
	v_fma_f64 v[86:87], -v[78:79], v[122:123], v[86:87]
	s_waitcnt vmcnt(3)
	v_fma_f64 v[60:61], -v[78:79], v[124:125], v[60:61]
	s_waitcnt vmcnt(2) lgkmcnt(1)
	v_fma_f64 v[84:85], -v[78:79], v[130:131], v[84:85]
	;; [unrolled: 4-line block ×3, first 2 shown]
.LBB53_31:
	s_or_b64 exec, exec, s[2:3]
	v_cmp_eq_u32_e32 vcc, 6, v164
	s_waitcnt lgkmcnt(0)
	s_barrier
	s_and_saveexec_b64 s[2:3], vcc
	s_cbranch_execz .LBB53_34
; %bb.32:
	s_waitcnt vmcnt(20)
	ds_write_b64 v162, v[102:103]
	s_waitcnt vmcnt(18)
	ds_write2_b64 v163, v[76:77], v[100:101] offset0:7 offset1:8
	s_waitcnt vmcnt(16)
	ds_write2_b64 v163, v[74:75], v[98:99] offset0:9 offset1:10
	;; [unrolled: 2-line block ×10, first 2 shown]
	ds_read_b64 v[122:123], v162
	s_waitcnt lgkmcnt(0)
	v_cmp_neq_f64_e32 vcc, 0, v[122:123]
	s_and_b64 exec, exec, vcc
	s_cbranch_execz .LBB53_34
; %bb.33:
	v_div_scale_f64 v[124:125], s[6:7], v[122:123], v[122:123], 1.0
	v_rcp_f64_e32 v[126:127], v[124:125]
	v_div_scale_f64 v[128:129], vcc, 1.0, v[122:123], 1.0
	v_fma_f64 v[130:131], -v[124:125], v[126:127], 1.0
	v_fmac_f64_e32 v[126:127], v[126:127], v[130:131]
	v_fma_f64 v[130:131], -v[124:125], v[126:127], 1.0
	v_fmac_f64_e32 v[126:127], v[126:127], v[130:131]
	v_mul_f64 v[130:131], v[128:129], v[126:127]
	v_fma_f64 v[124:125], -v[124:125], v[130:131], v[128:129]
	v_div_fmas_f64 v[124:125], v[124:125], v[126:127], v[130:131]
	v_div_fixup_f64 v[122:123], v[124:125], v[122:123], 1.0
	ds_write_b64 v162, v[122:123]
.LBB53_34:
	s_or_b64 exec, exec, s[2:3]
	s_waitcnt lgkmcnt(0)
	s_barrier
	ds_read_b64 v[122:123], v162
	v_cmp_lt_u32_e32 vcc, 6, v164
	s_and_saveexec_b64 s[2:3], vcc
	s_cbranch_execz .LBB53_36
; %bb.35:
	ds_read2_b64 v[124:127], v163 offset0:7 offset1:8
	ds_read2_b64 v[128:131], v163 offset0:9 offset1:10
	s_waitcnt vmcnt(20) lgkmcnt(2)
	v_mul_f64 v[102:103], v[122:123], v[102:103]
	ds_read2_b64 v[132:135], v163 offset0:11 offset1:12
	s_waitcnt vmcnt(19) lgkmcnt(2)
	v_fma_f64 v[76:77], -v[102:103], v[124:125], v[76:77]
	s_waitcnt vmcnt(18)
	v_fma_f64 v[100:101], -v[102:103], v[126:127], v[100:101]
	ds_read2_b64 v[124:127], v163 offset0:13 offset1:14
	s_waitcnt vmcnt(17) lgkmcnt(2)
	v_fma_f64 v[74:75], -v[102:103], v[128:129], v[74:75]
	s_waitcnt vmcnt(16)
	v_fma_f64 v[98:99], -v[102:103], v[130:131], v[98:99]
	s_waitcnt vmcnt(15) lgkmcnt(1)
	v_fma_f64 v[72:73], -v[102:103], v[132:133], v[72:73]
	ds_read2_b64 v[128:131], v163 offset0:15 offset1:16
	s_waitcnt vmcnt(14)
	v_fma_f64 v[96:97], -v[102:103], v[134:135], v[96:97]
	ds_read2_b64 v[132:135], v163 offset0:17 offset1:18
	s_waitcnt vmcnt(13) lgkmcnt(2)
	v_fma_f64 v[70:71], -v[102:103], v[124:125], v[70:71]
	s_waitcnt vmcnt(12)
	v_fma_f64 v[94:95], -v[102:103], v[126:127], v[94:95]
	ds_read2_b64 v[124:127], v163 offset0:19 offset1:20
	s_waitcnt vmcnt(11) lgkmcnt(2)
	v_fma_f64 v[68:69], -v[102:103], v[128:129], v[68:69]
	;; [unrolled: 5-line block ×3, first 2 shown]
	s_waitcnt vmcnt(8)
	v_fma_f64 v[90:91], -v[102:103], v[134:135], v[90:91]
	s_waitcnt vmcnt(7) lgkmcnt(1)
	v_fma_f64 v[64:65], -v[102:103], v[124:125], v[64:65]
	ds_read2_b64 v[132:135], v163 offset0:23 offset1:24
	s_waitcnt vmcnt(6)
	v_fma_f64 v[88:89], -v[102:103], v[126:127], v[88:89]
	ds_read2_b64 v[124:127], v163 offset0:25 offset1:26
	s_waitcnt vmcnt(5) lgkmcnt(2)
	v_fma_f64 v[62:63], -v[102:103], v[128:129], v[62:63]
	s_waitcnt vmcnt(4)
	v_fma_f64 v[86:87], -v[102:103], v[130:131], v[86:87]
	s_waitcnt vmcnt(3) lgkmcnt(1)
	v_fma_f64 v[60:61], -v[102:103], v[132:133], v[60:61]
	s_waitcnt vmcnt(2)
	v_fma_f64 v[84:85], -v[102:103], v[134:135], v[84:85]
	;; [unrolled: 4-line block ×3, first 2 shown]
.LBB53_36:
	s_or_b64 exec, exec, s[2:3]
	v_cmp_eq_u32_e32 vcc, 7, v164
	s_waitcnt lgkmcnt(0)
	s_barrier
	s_and_saveexec_b64 s[2:3], vcc
	s_cbranch_execz .LBB53_39
; %bb.37:
	s_waitcnt vmcnt(18)
	v_mov_b32_e32 v124, v100
	v_mov_b32_e32 v125, v101
	s_waitcnt vmcnt(17)
	v_mov_b32_e32 v126, v74
	v_mov_b32_e32 v127, v75
	ds_write_b64 v162, v[76:77]
	ds_write2_b64 v163, v[124:125], v[126:127] offset0:8 offset1:9
	s_waitcnt vmcnt(16)
	v_mov_b32_e32 v124, v98
	v_mov_b32_e32 v125, v99
	s_waitcnt vmcnt(15)
	v_mov_b32_e32 v126, v72
	v_mov_b32_e32 v127, v73
	ds_write2_b64 v163, v[124:125], v[126:127] offset0:10 offset1:11
	s_waitcnt vmcnt(14)
	v_mov_b32_e32 v124, v96
	v_mov_b32_e32 v125, v97
	s_waitcnt vmcnt(13)
	v_mov_b32_e32 v126, v70
	v_mov_b32_e32 v127, v71
	;; [unrolled: 7-line block ×8, first 2 shown]
	ds_write2_b64 v163, v[124:125], v[126:127] offset0:24 offset1:25
	s_waitcnt vmcnt(0)
	ds_write_b64 v163, v[108:109] offset:208
	ds_read_b64 v[124:125], v162
	s_waitcnt lgkmcnt(0)
	v_cmp_neq_f64_e32 vcc, 0, v[124:125]
	s_and_b64 exec, exec, vcc
	s_cbranch_execz .LBB53_39
; %bb.38:
	v_div_scale_f64 v[126:127], s[6:7], v[124:125], v[124:125], 1.0
	v_rcp_f64_e32 v[128:129], v[126:127]
	v_div_scale_f64 v[130:131], vcc, 1.0, v[124:125], 1.0
	v_fma_f64 v[132:133], -v[126:127], v[128:129], 1.0
	v_fmac_f64_e32 v[128:129], v[128:129], v[132:133]
	v_fma_f64 v[132:133], -v[126:127], v[128:129], 1.0
	v_fmac_f64_e32 v[128:129], v[128:129], v[132:133]
	v_mul_f64 v[132:133], v[130:131], v[128:129]
	v_fma_f64 v[126:127], -v[126:127], v[132:133], v[130:131]
	v_div_fmas_f64 v[126:127], v[126:127], v[128:129], v[132:133]
	v_div_fixup_f64 v[124:125], v[126:127], v[124:125], 1.0
	ds_write_b64 v162, v[124:125]
.LBB53_39:
	s_or_b64 exec, exec, s[2:3]
	s_waitcnt lgkmcnt(0)
	s_barrier
	ds_read_b64 v[124:125], v162
	v_cmp_lt_u32_e32 vcc, 7, v164
	s_and_saveexec_b64 s[2:3], vcc
	s_cbranch_execz .LBB53_41
; %bb.40:
	ds_read2_b64 v[126:129], v163 offset0:8 offset1:9
	ds_read2_b64 v[130:133], v163 offset0:10 offset1:11
	s_waitcnt vmcnt(19) lgkmcnt(2)
	v_mul_f64 v[76:77], v[124:125], v[76:77]
	ds_read2_b64 v[134:137], v163 offset0:12 offset1:13
	s_waitcnt vmcnt(18) lgkmcnt(2)
	v_fma_f64 v[100:101], -v[76:77], v[126:127], v[100:101]
	s_waitcnt vmcnt(17)
	v_fma_f64 v[74:75], -v[76:77], v[128:129], v[74:75]
	ds_read2_b64 v[126:129], v163 offset0:14 offset1:15
	s_waitcnt vmcnt(16) lgkmcnt(2)
	v_fma_f64 v[98:99], -v[76:77], v[130:131], v[98:99]
	s_waitcnt vmcnt(15)
	v_fma_f64 v[72:73], -v[76:77], v[132:133], v[72:73]
	s_waitcnt vmcnt(14) lgkmcnt(1)
	v_fma_f64 v[96:97], -v[76:77], v[134:135], v[96:97]
	ds_read2_b64 v[130:133], v163 offset0:16 offset1:17
	s_waitcnt vmcnt(13)
	v_fma_f64 v[70:71], -v[76:77], v[136:137], v[70:71]
	ds_read2_b64 v[134:137], v163 offset0:18 offset1:19
	s_waitcnt vmcnt(12) lgkmcnt(2)
	v_fma_f64 v[94:95], -v[76:77], v[126:127], v[94:95]
	s_waitcnt vmcnt(11)
	v_fma_f64 v[68:69], -v[76:77], v[128:129], v[68:69]
	ds_read2_b64 v[126:129], v163 offset0:20 offset1:21
	s_waitcnt vmcnt(10) lgkmcnt(2)
	v_fma_f64 v[92:93], -v[76:77], v[130:131], v[92:93]
	;; [unrolled: 5-line block ×3, first 2 shown]
	s_waitcnt vmcnt(7)
	v_fma_f64 v[64:65], -v[76:77], v[136:137], v[64:65]
	s_waitcnt vmcnt(6) lgkmcnt(1)
	v_fma_f64 v[88:89], -v[76:77], v[126:127], v[88:89]
	ds_read2_b64 v[134:137], v163 offset0:24 offset1:25
	ds_read_b64 v[126:127], v163 offset:208
	s_waitcnt vmcnt(5)
	v_fma_f64 v[62:63], -v[76:77], v[128:129], v[62:63]
	s_waitcnt vmcnt(4) lgkmcnt(2)
	v_fma_f64 v[86:87], -v[76:77], v[130:131], v[86:87]
	s_waitcnt vmcnt(3)
	v_fma_f64 v[60:61], -v[76:77], v[132:133], v[60:61]
	s_waitcnt vmcnt(2) lgkmcnt(1)
	v_fma_f64 v[84:85], -v[76:77], v[134:135], v[84:85]
	;; [unrolled: 4-line block ×3, first 2 shown]
.LBB53_41:
	s_or_b64 exec, exec, s[2:3]
	v_cmp_eq_u32_e32 vcc, 8, v164
	s_waitcnt lgkmcnt(0)
	s_barrier
	s_and_saveexec_b64 s[2:3], vcc
	s_cbranch_execz .LBB53_44
; %bb.42:
	s_waitcnt vmcnt(18)
	ds_write_b64 v162, v[100:101]
	s_waitcnt vmcnt(16)
	ds_write2_b64 v163, v[74:75], v[98:99] offset0:9 offset1:10
	s_waitcnt vmcnt(14)
	ds_write2_b64 v163, v[72:73], v[96:97] offset0:11 offset1:12
	;; [unrolled: 2-line block ×9, first 2 shown]
	ds_read_b64 v[126:127], v162
	s_waitcnt lgkmcnt(0)
	v_cmp_neq_f64_e32 vcc, 0, v[126:127]
	s_and_b64 exec, exec, vcc
	s_cbranch_execz .LBB53_44
; %bb.43:
	v_div_scale_f64 v[128:129], s[6:7], v[126:127], v[126:127], 1.0
	v_rcp_f64_e32 v[130:131], v[128:129]
	v_div_scale_f64 v[132:133], vcc, 1.0, v[126:127], 1.0
	v_fma_f64 v[134:135], -v[128:129], v[130:131], 1.0
	v_fmac_f64_e32 v[130:131], v[130:131], v[134:135]
	v_fma_f64 v[134:135], -v[128:129], v[130:131], 1.0
	v_fmac_f64_e32 v[130:131], v[130:131], v[134:135]
	v_mul_f64 v[134:135], v[132:133], v[130:131]
	v_fma_f64 v[128:129], -v[128:129], v[134:135], v[132:133]
	v_div_fmas_f64 v[128:129], v[128:129], v[130:131], v[134:135]
	v_div_fixup_f64 v[126:127], v[128:129], v[126:127], 1.0
	ds_write_b64 v162, v[126:127]
.LBB53_44:
	s_or_b64 exec, exec, s[2:3]
	s_waitcnt lgkmcnt(0)
	s_barrier
	ds_read_b64 v[126:127], v162
	v_cmp_lt_u32_e32 vcc, 8, v164
	s_and_saveexec_b64 s[2:3], vcc
	s_cbranch_execz .LBB53_46
; %bb.45:
	ds_read2_b64 v[128:131], v163 offset0:9 offset1:10
	ds_read2_b64 v[132:135], v163 offset0:11 offset1:12
	;; [unrolled: 1-line block ×3, first 2 shown]
	s_waitcnt vmcnt(18) lgkmcnt(3)
	v_mul_f64 v[100:101], v[126:127], v[100:101]
	s_waitcnt vmcnt(17) lgkmcnt(2)
	v_fma_f64 v[74:75], -v[100:101], v[128:129], v[74:75]
	s_waitcnt vmcnt(16)
	v_fma_f64 v[98:99], -v[100:101], v[130:131], v[98:99]
	ds_read2_b64 v[128:131], v163 offset0:15 offset1:16
	s_waitcnt vmcnt(15) lgkmcnt(2)
	v_fma_f64 v[72:73], -v[100:101], v[132:133], v[72:73]
	s_waitcnt vmcnt(14)
	v_fma_f64 v[96:97], -v[100:101], v[134:135], v[96:97]
	s_waitcnt vmcnt(13) lgkmcnt(1)
	v_fma_f64 v[70:71], -v[100:101], v[136:137], v[70:71]
	ds_read2_b64 v[132:135], v163 offset0:17 offset1:18
	s_waitcnt vmcnt(12)
	v_fma_f64 v[94:95], -v[100:101], v[138:139], v[94:95]
	ds_read2_b64 v[136:139], v163 offset0:19 offset1:20
	s_waitcnt vmcnt(11) lgkmcnt(2)
	v_fma_f64 v[68:69], -v[100:101], v[128:129], v[68:69]
	s_waitcnt vmcnt(10)
	v_fma_f64 v[92:93], -v[100:101], v[130:131], v[92:93]
	s_waitcnt vmcnt(9) lgkmcnt(1)
	v_fma_f64 v[66:67], -v[100:101], v[132:133], v[66:67]
	s_waitcnt vmcnt(8)
	v_fma_f64 v[90:91], -v[100:101], v[134:135], v[90:91]
	ds_read2_b64 v[128:131], v163 offset0:21 offset1:22
	ds_read2_b64 v[132:135], v163 offset0:23 offset1:24
	s_waitcnt vmcnt(7) lgkmcnt(2)
	v_fma_f64 v[64:65], -v[100:101], v[136:137], v[64:65]
	s_waitcnt vmcnt(6)
	v_fma_f64 v[88:89], -v[100:101], v[138:139], v[88:89]
	ds_read2_b64 v[136:139], v163 offset0:25 offset1:26
	s_waitcnt vmcnt(5) lgkmcnt(2)
	v_fma_f64 v[62:63], -v[100:101], v[128:129], v[62:63]
	s_waitcnt vmcnt(4)
	v_fma_f64 v[86:87], -v[100:101], v[130:131], v[86:87]
	s_waitcnt vmcnt(3) lgkmcnt(1)
	v_fma_f64 v[60:61], -v[100:101], v[132:133], v[60:61]
	s_waitcnt vmcnt(2)
	v_fma_f64 v[84:85], -v[100:101], v[134:135], v[84:85]
	s_waitcnt vmcnt(1) lgkmcnt(0)
	v_fma_f64 v[58:59], -v[100:101], v[136:137], v[58:59]
	s_waitcnt vmcnt(0)
	v_fma_f64 v[108:109], -v[100:101], v[138:139], v[108:109]
.LBB53_46:
	s_or_b64 exec, exec, s[2:3]
	v_cmp_eq_u32_e32 vcc, 9, v164
	s_waitcnt lgkmcnt(0)
	s_barrier
	s_and_saveexec_b64 s[2:3], vcc
	s_cbranch_execz .LBB53_49
; %bb.47:
	s_waitcnt vmcnt(16)
	v_mov_b32_e32 v128, v98
	v_mov_b32_e32 v129, v99
	s_waitcnt vmcnt(15)
	v_mov_b32_e32 v130, v72
	v_mov_b32_e32 v131, v73
	ds_write_b64 v162, v[74:75]
	ds_write2_b64 v163, v[128:129], v[130:131] offset0:10 offset1:11
	s_waitcnt vmcnt(14)
	v_mov_b32_e32 v128, v96
	v_mov_b32_e32 v129, v97
	s_waitcnt vmcnt(13)
	v_mov_b32_e32 v130, v70
	v_mov_b32_e32 v131, v71
	ds_write2_b64 v163, v[128:129], v[130:131] offset0:12 offset1:13
	s_waitcnt vmcnt(12)
	v_mov_b32_e32 v128, v94
	v_mov_b32_e32 v129, v95
	s_waitcnt vmcnt(11)
	v_mov_b32_e32 v130, v68
	v_mov_b32_e32 v131, v69
	;; [unrolled: 7-line block ×7, first 2 shown]
	ds_write2_b64 v163, v[128:129], v[130:131] offset0:24 offset1:25
	s_waitcnt vmcnt(0)
	ds_write_b64 v163, v[108:109] offset:208
	ds_read_b64 v[128:129], v162
	s_waitcnt lgkmcnt(0)
	v_cmp_neq_f64_e32 vcc, 0, v[128:129]
	s_and_b64 exec, exec, vcc
	s_cbranch_execz .LBB53_49
; %bb.48:
	v_div_scale_f64 v[130:131], s[6:7], v[128:129], v[128:129], 1.0
	v_rcp_f64_e32 v[132:133], v[130:131]
	v_div_scale_f64 v[134:135], vcc, 1.0, v[128:129], 1.0
	v_fma_f64 v[136:137], -v[130:131], v[132:133], 1.0
	v_fmac_f64_e32 v[132:133], v[132:133], v[136:137]
	v_fma_f64 v[136:137], -v[130:131], v[132:133], 1.0
	v_fmac_f64_e32 v[132:133], v[132:133], v[136:137]
	v_mul_f64 v[136:137], v[134:135], v[132:133]
	v_fma_f64 v[130:131], -v[130:131], v[136:137], v[134:135]
	v_div_fmas_f64 v[130:131], v[130:131], v[132:133], v[136:137]
	v_div_fixup_f64 v[128:129], v[130:131], v[128:129], 1.0
	ds_write_b64 v162, v[128:129]
.LBB53_49:
	s_or_b64 exec, exec, s[2:3]
	s_waitcnt lgkmcnt(0)
	s_barrier
	ds_read_b64 v[128:129], v162
	v_cmp_lt_u32_e32 vcc, 9, v164
	s_and_saveexec_b64 s[2:3], vcc
	s_cbranch_execz .LBB53_51
; %bb.50:
	ds_read2_b64 v[130:133], v163 offset0:10 offset1:11
	ds_read2_b64 v[134:137], v163 offset0:12 offset1:13
	;; [unrolled: 1-line block ×3, first 2 shown]
	s_waitcnt vmcnt(17) lgkmcnt(3)
	v_mul_f64 v[74:75], v[128:129], v[74:75]
	s_waitcnt vmcnt(16) lgkmcnt(2)
	v_fma_f64 v[98:99], -v[74:75], v[130:131], v[98:99]
	s_waitcnt vmcnt(15)
	v_fma_f64 v[72:73], -v[74:75], v[132:133], v[72:73]
	ds_read2_b64 v[130:133], v163 offset0:16 offset1:17
	s_waitcnt vmcnt(14) lgkmcnt(2)
	v_fma_f64 v[96:97], -v[74:75], v[134:135], v[96:97]
	s_waitcnt vmcnt(13)
	v_fma_f64 v[70:71], -v[74:75], v[136:137], v[70:71]
	s_waitcnt vmcnt(12) lgkmcnt(1)
	v_fma_f64 v[94:95], -v[74:75], v[138:139], v[94:95]
	ds_read2_b64 v[134:137], v163 offset0:18 offset1:19
	s_waitcnt vmcnt(11)
	v_fma_f64 v[68:69], -v[74:75], v[140:141], v[68:69]
	ds_read2_b64 v[138:141], v163 offset0:20 offset1:21
	s_waitcnt vmcnt(10) lgkmcnt(2)
	v_fma_f64 v[92:93], -v[74:75], v[130:131], v[92:93]
	s_waitcnt vmcnt(9)
	v_fma_f64 v[66:67], -v[74:75], v[132:133], v[66:67]
	s_waitcnt vmcnt(8) lgkmcnt(1)
	v_fma_f64 v[90:91], -v[74:75], v[134:135], v[90:91]
	s_waitcnt vmcnt(7)
	v_fma_f64 v[64:65], -v[74:75], v[136:137], v[64:65]
	ds_read2_b64 v[130:133], v163 offset0:22 offset1:23
	ds_read2_b64 v[134:137], v163 offset0:24 offset1:25
	s_waitcnt vmcnt(6) lgkmcnt(2)
	v_fma_f64 v[88:89], -v[74:75], v[138:139], v[88:89]
	ds_read_b64 v[138:139], v163 offset:208
	s_waitcnt vmcnt(5)
	v_fma_f64 v[62:63], -v[74:75], v[140:141], v[62:63]
	s_waitcnt vmcnt(4) lgkmcnt(2)
	v_fma_f64 v[86:87], -v[74:75], v[130:131], v[86:87]
	s_waitcnt vmcnt(3)
	v_fma_f64 v[60:61], -v[74:75], v[132:133], v[60:61]
	s_waitcnt vmcnt(2) lgkmcnt(1)
	v_fma_f64 v[84:85], -v[74:75], v[134:135], v[84:85]
	;; [unrolled: 4-line block ×3, first 2 shown]
.LBB53_51:
	s_or_b64 exec, exec, s[2:3]
	v_cmp_eq_u32_e32 vcc, 10, v164
	s_waitcnt lgkmcnt(0)
	s_barrier
	s_and_saveexec_b64 s[2:3], vcc
	s_cbranch_execz .LBB53_54
; %bb.52:
	s_waitcnt vmcnt(16)
	ds_write_b64 v162, v[98:99]
	s_waitcnt vmcnt(14)
	ds_write2_b64 v163, v[72:73], v[96:97] offset0:11 offset1:12
	s_waitcnt vmcnt(12)
	ds_write2_b64 v163, v[70:71], v[94:95] offset0:13 offset1:14
	;; [unrolled: 2-line block ×8, first 2 shown]
	ds_read_b64 v[130:131], v162
	s_waitcnt lgkmcnt(0)
	v_cmp_neq_f64_e32 vcc, 0, v[130:131]
	s_and_b64 exec, exec, vcc
	s_cbranch_execz .LBB53_54
; %bb.53:
	v_div_scale_f64 v[132:133], s[6:7], v[130:131], v[130:131], 1.0
	v_rcp_f64_e32 v[134:135], v[132:133]
	v_div_scale_f64 v[136:137], vcc, 1.0, v[130:131], 1.0
	v_fma_f64 v[138:139], -v[132:133], v[134:135], 1.0
	v_fmac_f64_e32 v[134:135], v[134:135], v[138:139]
	v_fma_f64 v[138:139], -v[132:133], v[134:135], 1.0
	v_fmac_f64_e32 v[134:135], v[134:135], v[138:139]
	v_mul_f64 v[138:139], v[136:137], v[134:135]
	v_fma_f64 v[132:133], -v[132:133], v[138:139], v[136:137]
	v_div_fmas_f64 v[132:133], v[132:133], v[134:135], v[138:139]
	v_div_fixup_f64 v[130:131], v[132:133], v[130:131], 1.0
	ds_write_b64 v162, v[130:131]
.LBB53_54:
	s_or_b64 exec, exec, s[2:3]
	s_waitcnt lgkmcnt(0)
	s_barrier
	ds_read_b64 v[130:131], v162
	v_cmp_lt_u32_e32 vcc, 10, v164
	s_and_saveexec_b64 s[2:3], vcc
	s_cbranch_execz .LBB53_56
; %bb.55:
	ds_read2_b64 v[132:135], v163 offset0:11 offset1:12
	ds_read2_b64 v[136:139], v163 offset0:13 offset1:14
	s_waitcnt vmcnt(16) lgkmcnt(2)
	v_mul_f64 v[98:99], v[130:131], v[98:99]
	ds_read2_b64 v[140:143], v163 offset0:15 offset1:16
	s_waitcnt vmcnt(15) lgkmcnt(2)
	v_fma_f64 v[72:73], -v[98:99], v[132:133], v[72:73]
	s_waitcnt vmcnt(14)
	v_fma_f64 v[96:97], -v[98:99], v[134:135], v[96:97]
	ds_read2_b64 v[132:135], v163 offset0:17 offset1:18
	s_waitcnt vmcnt(13) lgkmcnt(2)
	v_fma_f64 v[70:71], -v[98:99], v[136:137], v[70:71]
	s_waitcnt vmcnt(12)
	v_fma_f64 v[94:95], -v[98:99], v[138:139], v[94:95]
	;; [unrolled: 5-line block ×3, first 2 shown]
	s_waitcnt vmcnt(9) lgkmcnt(1)
	v_fma_f64 v[66:67], -v[98:99], v[132:133], v[66:67]
	s_waitcnt vmcnt(8)
	v_fma_f64 v[90:91], -v[98:99], v[134:135], v[90:91]
	ds_read2_b64 v[132:135], v163 offset0:21 offset1:22
	s_waitcnt vmcnt(7) lgkmcnt(1)
	v_fma_f64 v[64:65], -v[98:99], v[136:137], v[64:65]
	ds_read2_b64 v[140:143], v163 offset0:23 offset1:24
	s_waitcnt vmcnt(6)
	v_fma_f64 v[88:89], -v[98:99], v[138:139], v[88:89]
	ds_read2_b64 v[136:139], v163 offset0:25 offset1:26
	s_waitcnt vmcnt(5) lgkmcnt(2)
	v_fma_f64 v[62:63], -v[98:99], v[132:133], v[62:63]
	s_waitcnt vmcnt(4)
	v_fma_f64 v[86:87], -v[98:99], v[134:135], v[86:87]
	s_waitcnt vmcnt(3) lgkmcnt(1)
	v_fma_f64 v[60:61], -v[98:99], v[140:141], v[60:61]
	s_waitcnt vmcnt(2)
	v_fma_f64 v[84:85], -v[98:99], v[142:143], v[84:85]
	;; [unrolled: 4-line block ×3, first 2 shown]
.LBB53_56:
	s_or_b64 exec, exec, s[2:3]
	v_cmp_eq_u32_e32 vcc, 11, v164
	s_waitcnt lgkmcnt(0)
	s_barrier
	s_and_saveexec_b64 s[2:3], vcc
	s_cbranch_execz .LBB53_59
; %bb.57:
	s_waitcnt vmcnt(14)
	v_mov_b32_e32 v132, v96
	v_mov_b32_e32 v133, v97
	s_waitcnt vmcnt(13)
	v_mov_b32_e32 v134, v70
	v_mov_b32_e32 v135, v71
	ds_write_b64 v162, v[72:73]
	ds_write2_b64 v163, v[132:133], v[134:135] offset0:12 offset1:13
	s_waitcnt vmcnt(12)
	v_mov_b32_e32 v132, v94
	v_mov_b32_e32 v133, v95
	s_waitcnt vmcnt(11)
	v_mov_b32_e32 v134, v68
	v_mov_b32_e32 v135, v69
	ds_write2_b64 v163, v[132:133], v[134:135] offset0:14 offset1:15
	s_waitcnt vmcnt(10)
	v_mov_b32_e32 v132, v92
	v_mov_b32_e32 v133, v93
	s_waitcnt vmcnt(9)
	v_mov_b32_e32 v134, v66
	v_mov_b32_e32 v135, v67
	;; [unrolled: 7-line block ×6, first 2 shown]
	ds_write2_b64 v163, v[132:133], v[134:135] offset0:24 offset1:25
	s_waitcnt vmcnt(0)
	ds_write_b64 v163, v[108:109] offset:208
	ds_read_b64 v[132:133], v162
	s_waitcnt lgkmcnt(0)
	v_cmp_neq_f64_e32 vcc, 0, v[132:133]
	s_and_b64 exec, exec, vcc
	s_cbranch_execz .LBB53_59
; %bb.58:
	v_div_scale_f64 v[134:135], s[6:7], v[132:133], v[132:133], 1.0
	v_rcp_f64_e32 v[136:137], v[134:135]
	v_div_scale_f64 v[138:139], vcc, 1.0, v[132:133], 1.0
	v_fma_f64 v[140:141], -v[134:135], v[136:137], 1.0
	v_fmac_f64_e32 v[136:137], v[136:137], v[140:141]
	v_fma_f64 v[140:141], -v[134:135], v[136:137], 1.0
	v_fmac_f64_e32 v[136:137], v[136:137], v[140:141]
	v_mul_f64 v[140:141], v[138:139], v[136:137]
	v_fma_f64 v[134:135], -v[134:135], v[140:141], v[138:139]
	v_div_fmas_f64 v[134:135], v[134:135], v[136:137], v[140:141]
	v_div_fixup_f64 v[132:133], v[134:135], v[132:133], 1.0
	ds_write_b64 v162, v[132:133]
.LBB53_59:
	s_or_b64 exec, exec, s[2:3]
	s_waitcnt lgkmcnt(0)
	s_barrier
	ds_read_b64 v[132:133], v162
	v_cmp_lt_u32_e32 vcc, 11, v164
	s_and_saveexec_b64 s[2:3], vcc
	s_cbranch_execz .LBB53_61
; %bb.60:
	ds_read2_b64 v[134:137], v163 offset0:12 offset1:13
	ds_read2_b64 v[138:141], v163 offset0:14 offset1:15
	s_waitcnt vmcnt(15) lgkmcnt(2)
	v_mul_f64 v[72:73], v[132:133], v[72:73]
	ds_read2_b64 v[142:145], v163 offset0:16 offset1:17
	s_waitcnt vmcnt(14) lgkmcnt(2)
	v_fma_f64 v[96:97], -v[72:73], v[134:135], v[96:97]
	s_waitcnt vmcnt(13)
	v_fma_f64 v[70:71], -v[72:73], v[136:137], v[70:71]
	ds_read2_b64 v[134:137], v163 offset0:18 offset1:19
	s_waitcnt vmcnt(12) lgkmcnt(2)
	v_fma_f64 v[94:95], -v[72:73], v[138:139], v[94:95]
	s_waitcnt vmcnt(11)
	v_fma_f64 v[68:69], -v[72:73], v[140:141], v[68:69]
	;; [unrolled: 5-line block ×3, first 2 shown]
	s_waitcnt vmcnt(8) lgkmcnt(1)
	v_fma_f64 v[90:91], -v[72:73], v[134:135], v[90:91]
	s_waitcnt vmcnt(7)
	v_fma_f64 v[64:65], -v[72:73], v[136:137], v[64:65]
	ds_read2_b64 v[134:137], v163 offset0:22 offset1:23
	s_waitcnt vmcnt(6) lgkmcnt(1)
	v_fma_f64 v[88:89], -v[72:73], v[138:139], v[88:89]
	ds_read2_b64 v[142:145], v163 offset0:24 offset1:25
	ds_read_b64 v[138:139], v163 offset:208
	s_waitcnt vmcnt(5)
	v_fma_f64 v[62:63], -v[72:73], v[140:141], v[62:63]
	s_waitcnt vmcnt(4) lgkmcnt(2)
	v_fma_f64 v[86:87], -v[72:73], v[134:135], v[86:87]
	s_waitcnt vmcnt(3)
	v_fma_f64 v[60:61], -v[72:73], v[136:137], v[60:61]
	s_waitcnt vmcnt(2) lgkmcnt(1)
	v_fma_f64 v[84:85], -v[72:73], v[142:143], v[84:85]
	;; [unrolled: 4-line block ×3, first 2 shown]
.LBB53_61:
	s_or_b64 exec, exec, s[2:3]
	v_cmp_eq_u32_e32 vcc, 12, v164
	s_waitcnt lgkmcnt(0)
	s_barrier
	s_and_saveexec_b64 s[2:3], vcc
	s_cbranch_execz .LBB53_64
; %bb.62:
	s_waitcnt vmcnt(14)
	ds_write_b64 v162, v[96:97]
	s_waitcnt vmcnt(12)
	ds_write2_b64 v163, v[70:71], v[94:95] offset0:13 offset1:14
	s_waitcnt vmcnt(10)
	ds_write2_b64 v163, v[68:69], v[92:93] offset0:15 offset1:16
	s_waitcnt vmcnt(8)
	ds_write2_b64 v163, v[66:67], v[90:91] offset0:17 offset1:18
	s_waitcnt vmcnt(6)
	ds_write2_b64 v163, v[64:65], v[88:89] offset0:19 offset1:20
	s_waitcnt vmcnt(4)
	ds_write2_b64 v163, v[62:63], v[86:87] offset0:21 offset1:22
	s_waitcnt vmcnt(2)
	ds_write2_b64 v163, v[60:61], v[84:85] offset0:23 offset1:24
	s_waitcnt vmcnt(0)
	ds_write2_b64 v163, v[58:59], v[108:109] offset0:25 offset1:26
	ds_read_b64 v[134:135], v162
	s_waitcnt lgkmcnt(0)
	v_cmp_neq_f64_e32 vcc, 0, v[134:135]
	s_and_b64 exec, exec, vcc
	s_cbranch_execz .LBB53_64
; %bb.63:
	v_div_scale_f64 v[136:137], s[6:7], v[134:135], v[134:135], 1.0
	v_rcp_f64_e32 v[138:139], v[136:137]
	v_div_scale_f64 v[140:141], vcc, 1.0, v[134:135], 1.0
	v_fma_f64 v[142:143], -v[136:137], v[138:139], 1.0
	v_fmac_f64_e32 v[138:139], v[138:139], v[142:143]
	v_fma_f64 v[142:143], -v[136:137], v[138:139], 1.0
	v_fmac_f64_e32 v[138:139], v[138:139], v[142:143]
	v_mul_f64 v[142:143], v[140:141], v[138:139]
	v_fma_f64 v[136:137], -v[136:137], v[142:143], v[140:141]
	v_div_fmas_f64 v[136:137], v[136:137], v[138:139], v[142:143]
	v_div_fixup_f64 v[134:135], v[136:137], v[134:135], 1.0
	ds_write_b64 v162, v[134:135]
.LBB53_64:
	s_or_b64 exec, exec, s[2:3]
	s_waitcnt lgkmcnt(0)
	s_barrier
	ds_read_b64 v[134:135], v162
	v_cmp_lt_u32_e32 vcc, 12, v164
	s_and_saveexec_b64 s[2:3], vcc
	s_cbranch_execz .LBB53_66
; %bb.65:
	ds_read2_b64 v[136:139], v163 offset0:13 offset1:14
	ds_read2_b64 v[140:143], v163 offset0:15 offset1:16
	s_waitcnt vmcnt(14) lgkmcnt(2)
	v_mul_f64 v[96:97], v[134:135], v[96:97]
	ds_read2_b64 v[144:147], v163 offset0:17 offset1:18
	s_waitcnt vmcnt(13) lgkmcnt(2)
	v_fma_f64 v[70:71], -v[96:97], v[136:137], v[70:71]
	s_waitcnt vmcnt(12)
	v_fma_f64 v[94:95], -v[96:97], v[138:139], v[94:95]
	ds_read2_b64 v[136:139], v163 offset0:19 offset1:20
	s_waitcnt vmcnt(11) lgkmcnt(2)
	v_fma_f64 v[68:69], -v[96:97], v[140:141], v[68:69]
	s_waitcnt vmcnt(10)
	v_fma_f64 v[92:93], -v[96:97], v[142:143], v[92:93]
	s_waitcnt vmcnt(9) lgkmcnt(1)
	v_fma_f64 v[66:67], -v[96:97], v[144:145], v[66:67]
	s_waitcnt vmcnt(8)
	v_fma_f64 v[90:91], -v[96:97], v[146:147], v[90:91]
	ds_read2_b64 v[140:143], v163 offset0:21 offset1:22
	ds_read2_b64 v[144:147], v163 offset0:23 offset1:24
	s_waitcnt vmcnt(7) lgkmcnt(2)
	v_fma_f64 v[64:65], -v[96:97], v[136:137], v[64:65]
	s_waitcnt vmcnt(6)
	v_fma_f64 v[88:89], -v[96:97], v[138:139], v[88:89]
	ds_read2_b64 v[136:139], v163 offset0:25 offset1:26
	s_waitcnt vmcnt(5) lgkmcnt(2)
	v_fma_f64 v[62:63], -v[96:97], v[140:141], v[62:63]
	s_waitcnt vmcnt(4)
	v_fma_f64 v[86:87], -v[96:97], v[142:143], v[86:87]
	s_waitcnt vmcnt(3) lgkmcnt(1)
	v_fma_f64 v[60:61], -v[96:97], v[144:145], v[60:61]
	s_waitcnt vmcnt(2)
	v_fma_f64 v[84:85], -v[96:97], v[146:147], v[84:85]
	;; [unrolled: 4-line block ×3, first 2 shown]
.LBB53_66:
	s_or_b64 exec, exec, s[2:3]
	v_cmp_eq_u32_e32 vcc, 13, v164
	s_waitcnt lgkmcnt(0)
	s_barrier
	s_and_saveexec_b64 s[2:3], vcc
	s_cbranch_execz .LBB53_69
; %bb.67:
	s_waitcnt vmcnt(12)
	v_mov_b32_e32 v136, v94
	v_mov_b32_e32 v137, v95
	s_waitcnt vmcnt(11)
	v_mov_b32_e32 v138, v68
	v_mov_b32_e32 v139, v69
	ds_write_b64 v162, v[70:71]
	ds_write2_b64 v163, v[136:137], v[138:139] offset0:14 offset1:15
	s_waitcnt vmcnt(10)
	v_mov_b32_e32 v136, v92
	v_mov_b32_e32 v137, v93
	s_waitcnt vmcnt(9)
	v_mov_b32_e32 v138, v66
	v_mov_b32_e32 v139, v67
	ds_write2_b64 v163, v[136:137], v[138:139] offset0:16 offset1:17
	s_waitcnt vmcnt(8)
	v_mov_b32_e32 v136, v90
	v_mov_b32_e32 v137, v91
	s_waitcnt vmcnt(7)
	v_mov_b32_e32 v138, v64
	v_mov_b32_e32 v139, v65
	;; [unrolled: 7-line block ×5, first 2 shown]
	ds_write2_b64 v163, v[136:137], v[138:139] offset0:24 offset1:25
	s_waitcnt vmcnt(0)
	ds_write_b64 v163, v[108:109] offset:208
	ds_read_b64 v[136:137], v162
	s_waitcnt lgkmcnt(0)
	v_cmp_neq_f64_e32 vcc, 0, v[136:137]
	s_and_b64 exec, exec, vcc
	s_cbranch_execz .LBB53_69
; %bb.68:
	v_div_scale_f64 v[138:139], s[6:7], v[136:137], v[136:137], 1.0
	v_rcp_f64_e32 v[140:141], v[138:139]
	v_div_scale_f64 v[142:143], vcc, 1.0, v[136:137], 1.0
	v_fma_f64 v[144:145], -v[138:139], v[140:141], 1.0
	v_fmac_f64_e32 v[140:141], v[140:141], v[144:145]
	v_fma_f64 v[144:145], -v[138:139], v[140:141], 1.0
	v_fmac_f64_e32 v[140:141], v[140:141], v[144:145]
	v_mul_f64 v[144:145], v[142:143], v[140:141]
	v_fma_f64 v[138:139], -v[138:139], v[144:145], v[142:143]
	v_div_fmas_f64 v[138:139], v[138:139], v[140:141], v[144:145]
	v_div_fixup_f64 v[136:137], v[138:139], v[136:137], 1.0
	ds_write_b64 v162, v[136:137]
.LBB53_69:
	s_or_b64 exec, exec, s[2:3]
	s_waitcnt lgkmcnt(0)
	s_barrier
	ds_read_b64 v[136:137], v162
	v_cmp_lt_u32_e32 vcc, 13, v164
	s_and_saveexec_b64 s[2:3], vcc
	s_cbranch_execz .LBB53_71
; %bb.70:
	ds_read2_b64 v[138:141], v163 offset0:14 offset1:15
	ds_read2_b64 v[142:145], v163 offset0:16 offset1:17
	s_waitcnt vmcnt(13) lgkmcnt(2)
	v_mul_f64 v[70:71], v[136:137], v[70:71]
	ds_read2_b64 v[146:149], v163 offset0:18 offset1:19
	s_waitcnt vmcnt(12) lgkmcnt(2)
	v_fma_f64 v[94:95], -v[70:71], v[138:139], v[94:95]
	s_waitcnt vmcnt(11)
	v_fma_f64 v[68:69], -v[70:71], v[140:141], v[68:69]
	ds_read2_b64 v[138:141], v163 offset0:20 offset1:21
	s_waitcnt vmcnt(10) lgkmcnt(2)
	v_fma_f64 v[92:93], -v[70:71], v[142:143], v[92:93]
	s_waitcnt vmcnt(9)
	v_fma_f64 v[66:67], -v[70:71], v[144:145], v[66:67]
	s_waitcnt vmcnt(8) lgkmcnt(1)
	v_fma_f64 v[90:91], -v[70:71], v[146:147], v[90:91]
	s_waitcnt vmcnt(7)
	v_fma_f64 v[64:65], -v[70:71], v[148:149], v[64:65]
	ds_read2_b64 v[142:145], v163 offset0:22 offset1:23
	ds_read2_b64 v[146:149], v163 offset0:24 offset1:25
	s_waitcnt vmcnt(6) lgkmcnt(2)
	v_fma_f64 v[88:89], -v[70:71], v[138:139], v[88:89]
	ds_read_b64 v[138:139], v163 offset:208
	s_waitcnt vmcnt(5)
	v_fma_f64 v[62:63], -v[70:71], v[140:141], v[62:63]
	s_waitcnt vmcnt(4) lgkmcnt(2)
	v_fma_f64 v[86:87], -v[70:71], v[142:143], v[86:87]
	s_waitcnt vmcnt(3)
	v_fma_f64 v[60:61], -v[70:71], v[144:145], v[60:61]
	s_waitcnt vmcnt(2) lgkmcnt(1)
	v_fma_f64 v[84:85], -v[70:71], v[146:147], v[84:85]
	s_waitcnt vmcnt(1)
	v_fma_f64 v[58:59], -v[70:71], v[148:149], v[58:59]
	s_waitcnt vmcnt(0) lgkmcnt(0)
	v_fma_f64 v[108:109], -v[70:71], v[138:139], v[108:109]
.LBB53_71:
	s_or_b64 exec, exec, s[2:3]
	v_cmp_eq_u32_e32 vcc, 14, v164
	s_waitcnt lgkmcnt(0)
	s_barrier
	s_and_saveexec_b64 s[2:3], vcc
	s_cbranch_execz .LBB53_74
; %bb.72:
	s_waitcnt vmcnt(12)
	ds_write_b64 v162, v[94:95]
	s_waitcnt vmcnt(10)
	ds_write2_b64 v163, v[68:69], v[92:93] offset0:15 offset1:16
	s_waitcnt vmcnt(8)
	ds_write2_b64 v163, v[66:67], v[90:91] offset0:17 offset1:18
	s_waitcnt vmcnt(6)
	ds_write2_b64 v163, v[64:65], v[88:89] offset0:19 offset1:20
	s_waitcnt vmcnt(4)
	ds_write2_b64 v163, v[62:63], v[86:87] offset0:21 offset1:22
	s_waitcnt vmcnt(2)
	ds_write2_b64 v163, v[60:61], v[84:85] offset0:23 offset1:24
	s_waitcnt vmcnt(0)
	ds_write2_b64 v163, v[58:59], v[108:109] offset0:25 offset1:26
	ds_read_b64 v[138:139], v162
	s_waitcnt lgkmcnt(0)
	v_cmp_neq_f64_e32 vcc, 0, v[138:139]
	s_and_b64 exec, exec, vcc
	s_cbranch_execz .LBB53_74
; %bb.73:
	v_div_scale_f64 v[140:141], s[6:7], v[138:139], v[138:139], 1.0
	v_rcp_f64_e32 v[142:143], v[140:141]
	v_div_scale_f64 v[144:145], vcc, 1.0, v[138:139], 1.0
	v_fma_f64 v[146:147], -v[140:141], v[142:143], 1.0
	v_fmac_f64_e32 v[142:143], v[142:143], v[146:147]
	v_fma_f64 v[146:147], -v[140:141], v[142:143], 1.0
	v_fmac_f64_e32 v[142:143], v[142:143], v[146:147]
	v_mul_f64 v[146:147], v[144:145], v[142:143]
	v_fma_f64 v[140:141], -v[140:141], v[146:147], v[144:145]
	v_div_fmas_f64 v[140:141], v[140:141], v[142:143], v[146:147]
	v_div_fixup_f64 v[138:139], v[140:141], v[138:139], 1.0
	ds_write_b64 v162, v[138:139]
.LBB53_74:
	s_or_b64 exec, exec, s[2:3]
	s_waitcnt lgkmcnt(0)
	s_barrier
	ds_read_b64 v[138:139], v162
	v_cmp_lt_u32_e32 vcc, 14, v164
	s_and_saveexec_b64 s[2:3], vcc
	s_cbranch_execz .LBB53_76
; %bb.75:
	ds_read2_b64 v[140:143], v163 offset0:15 offset1:16
	ds_read2_b64 v[144:147], v163 offset0:17 offset1:18
	;; [unrolled: 1-line block ×3, first 2 shown]
	s_waitcnt vmcnt(12) lgkmcnt(3)
	v_mul_f64 v[94:95], v[138:139], v[94:95]
	s_waitcnt vmcnt(11) lgkmcnt(2)
	v_fma_f64 v[68:69], -v[94:95], v[140:141], v[68:69]
	s_waitcnt vmcnt(10)
	v_fma_f64 v[92:93], -v[94:95], v[142:143], v[92:93]
	ds_read2_b64 v[140:143], v163 offset0:21 offset1:22
	s_waitcnt vmcnt(9) lgkmcnt(2)
	v_fma_f64 v[66:67], -v[94:95], v[144:145], v[66:67]
	s_waitcnt vmcnt(8)
	v_fma_f64 v[90:91], -v[94:95], v[146:147], v[90:91]
	s_waitcnt vmcnt(7) lgkmcnt(1)
	v_fma_f64 v[64:65], -v[94:95], v[148:149], v[64:65]
	ds_read2_b64 v[144:147], v163 offset0:23 offset1:24
	s_waitcnt vmcnt(6)
	v_fma_f64 v[88:89], -v[94:95], v[150:151], v[88:89]
	ds_read2_b64 v[148:151], v163 offset0:25 offset1:26
	s_waitcnt vmcnt(5) lgkmcnt(2)
	v_fma_f64 v[62:63], -v[94:95], v[140:141], v[62:63]
	s_waitcnt vmcnt(4)
	v_fma_f64 v[86:87], -v[94:95], v[142:143], v[86:87]
	s_waitcnt vmcnt(3) lgkmcnt(1)
	v_fma_f64 v[60:61], -v[94:95], v[144:145], v[60:61]
	s_waitcnt vmcnt(2)
	v_fma_f64 v[84:85], -v[94:95], v[146:147], v[84:85]
	;; [unrolled: 4-line block ×3, first 2 shown]
.LBB53_76:
	s_or_b64 exec, exec, s[2:3]
	v_cmp_eq_u32_e32 vcc, 15, v164
	s_waitcnt lgkmcnt(0)
	s_barrier
	s_and_saveexec_b64 s[2:3], vcc
	s_cbranch_execz .LBB53_79
; %bb.77:
	s_waitcnt vmcnt(10)
	v_mov_b32_e32 v140, v92
	v_mov_b32_e32 v141, v93
	s_waitcnt vmcnt(9)
	v_mov_b32_e32 v142, v66
	v_mov_b32_e32 v143, v67
	ds_write_b64 v162, v[68:69]
	ds_write2_b64 v163, v[140:141], v[142:143] offset0:16 offset1:17
	s_waitcnt vmcnt(8)
	v_mov_b32_e32 v140, v90
	v_mov_b32_e32 v141, v91
	s_waitcnt vmcnt(7)
	v_mov_b32_e32 v142, v64
	v_mov_b32_e32 v143, v65
	ds_write2_b64 v163, v[140:141], v[142:143] offset0:18 offset1:19
	s_waitcnt vmcnt(6)
	v_mov_b32_e32 v140, v88
	v_mov_b32_e32 v141, v89
	s_waitcnt vmcnt(5)
	v_mov_b32_e32 v142, v62
	v_mov_b32_e32 v143, v63
	;; [unrolled: 7-line block ×4, first 2 shown]
	ds_write2_b64 v163, v[140:141], v[142:143] offset0:24 offset1:25
	s_waitcnt vmcnt(0)
	ds_write_b64 v163, v[108:109] offset:208
	ds_read_b64 v[140:141], v162
	s_waitcnt lgkmcnt(0)
	v_cmp_neq_f64_e32 vcc, 0, v[140:141]
	s_and_b64 exec, exec, vcc
	s_cbranch_execz .LBB53_79
; %bb.78:
	v_div_scale_f64 v[142:143], s[6:7], v[140:141], v[140:141], 1.0
	v_rcp_f64_e32 v[144:145], v[142:143]
	v_div_scale_f64 v[146:147], vcc, 1.0, v[140:141], 1.0
	v_fma_f64 v[148:149], -v[142:143], v[144:145], 1.0
	v_fmac_f64_e32 v[144:145], v[144:145], v[148:149]
	v_fma_f64 v[148:149], -v[142:143], v[144:145], 1.0
	v_fmac_f64_e32 v[144:145], v[144:145], v[148:149]
	v_mul_f64 v[148:149], v[146:147], v[144:145]
	v_fma_f64 v[142:143], -v[142:143], v[148:149], v[146:147]
	v_div_fmas_f64 v[142:143], v[142:143], v[144:145], v[148:149]
	v_div_fixup_f64 v[140:141], v[142:143], v[140:141], 1.0
	ds_write_b64 v162, v[140:141]
.LBB53_79:
	s_or_b64 exec, exec, s[2:3]
	s_waitcnt lgkmcnt(0)
	s_barrier
	ds_read_b64 v[140:141], v162
	v_cmp_lt_u32_e32 vcc, 15, v164
	s_and_saveexec_b64 s[2:3], vcc
	s_cbranch_execz .LBB53_81
; %bb.80:
	ds_read2_b64 v[142:145], v163 offset0:16 offset1:17
	ds_read2_b64 v[146:149], v163 offset0:18 offset1:19
	ds_read2_b64 v[150:153], v163 offset0:20 offset1:21
	s_waitcnt vmcnt(11) lgkmcnt(3)
	v_mul_f64 v[68:69], v[140:141], v[68:69]
	s_waitcnt vmcnt(10) lgkmcnt(2)
	v_fma_f64 v[92:93], -v[68:69], v[142:143], v[92:93]
	s_waitcnt vmcnt(9)
	v_fma_f64 v[66:67], -v[68:69], v[144:145], v[66:67]
	ds_read2_b64 v[142:145], v163 offset0:22 offset1:23
	s_waitcnt vmcnt(8) lgkmcnt(2)
	v_fma_f64 v[90:91], -v[68:69], v[146:147], v[90:91]
	s_waitcnt vmcnt(7)
	v_fma_f64 v[64:65], -v[68:69], v[148:149], v[64:65]
	s_waitcnt vmcnt(6) lgkmcnt(1)
	v_fma_f64 v[88:89], -v[68:69], v[150:151], v[88:89]
	ds_read2_b64 v[146:149], v163 offset0:24 offset1:25
	ds_read_b64 v[150:151], v163 offset:208
	s_waitcnt vmcnt(5)
	v_fma_f64 v[62:63], -v[68:69], v[152:153], v[62:63]
	s_waitcnt vmcnt(4) lgkmcnt(2)
	v_fma_f64 v[86:87], -v[68:69], v[142:143], v[86:87]
	s_waitcnt vmcnt(3)
	v_fma_f64 v[60:61], -v[68:69], v[144:145], v[60:61]
	s_waitcnt vmcnt(2) lgkmcnt(1)
	v_fma_f64 v[84:85], -v[68:69], v[146:147], v[84:85]
	;; [unrolled: 4-line block ×3, first 2 shown]
.LBB53_81:
	s_or_b64 exec, exec, s[2:3]
	v_cmp_eq_u32_e32 vcc, 16, v164
	s_waitcnt lgkmcnt(0)
	s_barrier
	s_and_saveexec_b64 s[2:3], vcc
	s_cbranch_execz .LBB53_84
; %bb.82:
	s_waitcnt vmcnt(10)
	ds_write_b64 v162, v[92:93]
	s_waitcnt vmcnt(8)
	ds_write2_b64 v163, v[66:67], v[90:91] offset0:17 offset1:18
	s_waitcnt vmcnt(6)
	ds_write2_b64 v163, v[64:65], v[88:89] offset0:19 offset1:20
	;; [unrolled: 2-line block ×5, first 2 shown]
	ds_read_b64 v[142:143], v162
	s_waitcnt lgkmcnt(0)
	v_cmp_neq_f64_e32 vcc, 0, v[142:143]
	s_and_b64 exec, exec, vcc
	s_cbranch_execz .LBB53_84
; %bb.83:
	v_div_scale_f64 v[144:145], s[6:7], v[142:143], v[142:143], 1.0
	v_rcp_f64_e32 v[146:147], v[144:145]
	v_div_scale_f64 v[148:149], vcc, 1.0, v[142:143], 1.0
	v_fma_f64 v[150:151], -v[144:145], v[146:147], 1.0
	v_fmac_f64_e32 v[146:147], v[146:147], v[150:151]
	v_fma_f64 v[150:151], -v[144:145], v[146:147], 1.0
	v_fmac_f64_e32 v[146:147], v[146:147], v[150:151]
	v_mul_f64 v[150:151], v[148:149], v[146:147]
	v_fma_f64 v[144:145], -v[144:145], v[150:151], v[148:149]
	v_div_fmas_f64 v[144:145], v[144:145], v[146:147], v[150:151]
	v_div_fixup_f64 v[142:143], v[144:145], v[142:143], 1.0
	ds_write_b64 v162, v[142:143]
.LBB53_84:
	s_or_b64 exec, exec, s[2:3]
	s_waitcnt lgkmcnt(0)
	s_barrier
	ds_read_b64 v[142:143], v162
	v_cmp_lt_u32_e32 vcc, 16, v164
	s_and_saveexec_b64 s[2:3], vcc
	s_cbranch_execz .LBB53_86
; %bb.85:
	ds_read2_b64 v[144:147], v163 offset0:17 offset1:18
	ds_read2_b64 v[148:151], v163 offset0:19 offset1:20
	s_waitcnt vmcnt(10) lgkmcnt(2)
	v_mul_f64 v[92:93], v[142:143], v[92:93]
	ds_read2_b64 v[152:155], v163 offset0:23 offset1:24
	s_waitcnt vmcnt(9) lgkmcnt(2)
	v_fma_f64 v[66:67], -v[92:93], v[144:145], v[66:67]
	s_waitcnt vmcnt(8)
	v_fma_f64 v[90:91], -v[92:93], v[146:147], v[90:91]
	ds_read2_b64 v[144:147], v163 offset0:21 offset1:22
	s_waitcnt vmcnt(7) lgkmcnt(2)
	v_fma_f64 v[64:65], -v[92:93], v[148:149], v[64:65]
	s_waitcnt vmcnt(6)
	v_fma_f64 v[88:89], -v[92:93], v[150:151], v[88:89]
	ds_read2_b64 v[148:151], v163 offset0:25 offset1:26
	s_waitcnt vmcnt(3) lgkmcnt(2)
	v_fma_f64 v[60:61], -v[92:93], v[152:153], v[60:61]
	s_waitcnt lgkmcnt(1)
	v_fma_f64 v[62:63], -v[92:93], v[144:145], v[62:63]
	v_fma_f64 v[86:87], -v[92:93], v[146:147], v[86:87]
	s_waitcnt vmcnt(2)
	v_fma_f64 v[84:85], -v[92:93], v[154:155], v[84:85]
	s_waitcnt vmcnt(1) lgkmcnt(0)
	v_fma_f64 v[58:59], -v[92:93], v[148:149], v[58:59]
	s_waitcnt vmcnt(0)
	v_fma_f64 v[108:109], -v[92:93], v[150:151], v[108:109]
.LBB53_86:
	s_or_b64 exec, exec, s[2:3]
	v_cmp_eq_u32_e32 vcc, 17, v164
	s_waitcnt lgkmcnt(0)
	s_barrier
	s_and_saveexec_b64 s[2:3], vcc
	s_cbranch_execz .LBB53_89
; %bb.87:
	s_waitcnt vmcnt(8)
	v_mov_b32_e32 v144, v90
	v_mov_b32_e32 v145, v91
	s_waitcnt vmcnt(7)
	v_mov_b32_e32 v146, v64
	v_mov_b32_e32 v147, v65
	ds_write_b64 v162, v[66:67]
	ds_write2_b64 v163, v[144:145], v[146:147] offset0:18 offset1:19
	s_waitcnt vmcnt(6)
	v_mov_b32_e32 v144, v88
	v_mov_b32_e32 v145, v89
	s_waitcnt vmcnt(5)
	v_mov_b32_e32 v146, v62
	v_mov_b32_e32 v147, v63
	ds_write2_b64 v163, v[144:145], v[146:147] offset0:20 offset1:21
	s_waitcnt vmcnt(4)
	v_mov_b32_e32 v144, v86
	v_mov_b32_e32 v145, v87
	s_waitcnt vmcnt(3)
	v_mov_b32_e32 v146, v60
	v_mov_b32_e32 v147, v61
	;; [unrolled: 7-line block ×3, first 2 shown]
	ds_write2_b64 v163, v[144:145], v[146:147] offset0:24 offset1:25
	s_waitcnt vmcnt(0)
	ds_write_b64 v163, v[108:109] offset:208
	ds_read_b64 v[144:145], v162
	s_waitcnt lgkmcnt(0)
	v_cmp_neq_f64_e32 vcc, 0, v[144:145]
	s_and_b64 exec, exec, vcc
	s_cbranch_execz .LBB53_89
; %bb.88:
	v_div_scale_f64 v[146:147], s[6:7], v[144:145], v[144:145], 1.0
	v_rcp_f64_e32 v[148:149], v[146:147]
	v_div_scale_f64 v[150:151], vcc, 1.0, v[144:145], 1.0
	v_fma_f64 v[152:153], -v[146:147], v[148:149], 1.0
	v_fmac_f64_e32 v[148:149], v[148:149], v[152:153]
	v_fma_f64 v[152:153], -v[146:147], v[148:149], 1.0
	v_fmac_f64_e32 v[148:149], v[148:149], v[152:153]
	v_mul_f64 v[152:153], v[150:151], v[148:149]
	v_fma_f64 v[146:147], -v[146:147], v[152:153], v[150:151]
	v_div_fmas_f64 v[146:147], v[146:147], v[148:149], v[152:153]
	v_div_fixup_f64 v[144:145], v[146:147], v[144:145], 1.0
	ds_write_b64 v162, v[144:145]
.LBB53_89:
	s_or_b64 exec, exec, s[2:3]
	s_waitcnt lgkmcnt(0)
	s_barrier
	ds_read_b64 v[144:145], v162
	v_cmp_lt_u32_e32 vcc, 17, v164
	s_and_saveexec_b64 s[2:3], vcc
	s_cbranch_execz .LBB53_91
; %bb.90:
	ds_read2_b64 v[146:149], v163 offset0:18 offset1:19
	ds_read2_b64 v[150:153], v163 offset0:20 offset1:21
	s_waitcnt vmcnt(9) lgkmcnt(2)
	v_mul_f64 v[66:67], v[144:145], v[66:67]
	ds_read2_b64 v[154:157], v163 offset0:24 offset1:25
	s_waitcnt vmcnt(8) lgkmcnt(2)
	v_fma_f64 v[90:91], -v[66:67], v[146:147], v[90:91]
	s_waitcnt vmcnt(7)
	v_fma_f64 v[64:65], -v[66:67], v[148:149], v[64:65]
	ds_read2_b64 v[146:149], v163 offset0:22 offset1:23
	s_waitcnt vmcnt(6) lgkmcnt(2)
	v_fma_f64 v[88:89], -v[66:67], v[150:151], v[88:89]
	ds_read_b64 v[150:151], v163 offset:208
	s_waitcnt vmcnt(5)
	v_fma_f64 v[62:63], -v[66:67], v[152:153], v[62:63]
	s_waitcnt vmcnt(2) lgkmcnt(2)
	v_fma_f64 v[84:85], -v[66:67], v[154:155], v[84:85]
	s_waitcnt lgkmcnt(1)
	v_fma_f64 v[86:87], -v[66:67], v[146:147], v[86:87]
	v_fma_f64 v[60:61], -v[66:67], v[148:149], v[60:61]
	s_waitcnt vmcnt(1)
	v_fma_f64 v[58:59], -v[66:67], v[156:157], v[58:59]
	s_waitcnt vmcnt(0) lgkmcnt(0)
	v_fma_f64 v[108:109], -v[66:67], v[150:151], v[108:109]
.LBB53_91:
	s_or_b64 exec, exec, s[2:3]
	v_cmp_eq_u32_e32 vcc, 18, v164
	s_waitcnt lgkmcnt(0)
	s_barrier
	s_and_saveexec_b64 s[2:3], vcc
	s_cbranch_execz .LBB53_94
; %bb.92:
	s_waitcnt vmcnt(8)
	ds_write_b64 v162, v[90:91]
	s_waitcnt vmcnt(6)
	ds_write2_b64 v163, v[64:65], v[88:89] offset0:19 offset1:20
	s_waitcnt vmcnt(4)
	ds_write2_b64 v163, v[62:63], v[86:87] offset0:21 offset1:22
	;; [unrolled: 2-line block ×4, first 2 shown]
	ds_read_b64 v[146:147], v162
	s_waitcnt lgkmcnt(0)
	v_cmp_neq_f64_e32 vcc, 0, v[146:147]
	s_and_b64 exec, exec, vcc
	s_cbranch_execz .LBB53_94
; %bb.93:
	v_div_scale_f64 v[148:149], s[6:7], v[146:147], v[146:147], 1.0
	v_rcp_f64_e32 v[150:151], v[148:149]
	v_div_scale_f64 v[152:153], vcc, 1.0, v[146:147], 1.0
	v_fma_f64 v[154:155], -v[148:149], v[150:151], 1.0
	v_fmac_f64_e32 v[150:151], v[150:151], v[154:155]
	v_fma_f64 v[154:155], -v[148:149], v[150:151], 1.0
	v_fmac_f64_e32 v[150:151], v[150:151], v[154:155]
	v_mul_f64 v[154:155], v[152:153], v[150:151]
	v_fma_f64 v[148:149], -v[148:149], v[154:155], v[152:153]
	v_div_fmas_f64 v[148:149], v[148:149], v[150:151], v[154:155]
	v_div_fixup_f64 v[146:147], v[148:149], v[146:147], 1.0
	ds_write_b64 v162, v[146:147]
.LBB53_94:
	s_or_b64 exec, exec, s[2:3]
	s_waitcnt lgkmcnt(0)
	s_barrier
	ds_read_b64 v[146:147], v162
	v_cmp_lt_u32_e32 vcc, 18, v164
	s_and_saveexec_b64 s[2:3], vcc
	s_cbranch_execz .LBB53_96
; %bb.95:
	ds_read2_b64 v[148:151], v163 offset0:19 offset1:20
	ds_read2_b64 v[152:155], v163 offset0:21 offset1:22
	s_waitcnt vmcnt(8) lgkmcnt(2)
	v_mul_f64 v[90:91], v[146:147], v[90:91]
	ds_read2_b64 v[156:159], v163 offset0:23 offset1:24
	s_waitcnt vmcnt(7) lgkmcnt(2)
	v_fma_f64 v[64:65], -v[90:91], v[148:149], v[64:65]
	s_waitcnt vmcnt(6)
	v_fma_f64 v[88:89], -v[90:91], v[150:151], v[88:89]
	ds_read2_b64 v[148:151], v163 offset0:25 offset1:26
	s_waitcnt vmcnt(5) lgkmcnt(2)
	v_fma_f64 v[62:63], -v[90:91], v[152:153], v[62:63]
	s_waitcnt vmcnt(4)
	v_fma_f64 v[86:87], -v[90:91], v[154:155], v[86:87]
	s_waitcnt vmcnt(3) lgkmcnt(1)
	v_fma_f64 v[60:61], -v[90:91], v[156:157], v[60:61]
	s_waitcnt vmcnt(2)
	v_fma_f64 v[84:85], -v[90:91], v[158:159], v[84:85]
	;; [unrolled: 4-line block ×3, first 2 shown]
.LBB53_96:
	s_or_b64 exec, exec, s[2:3]
	v_cmp_eq_u32_e32 vcc, 19, v164
	s_waitcnt lgkmcnt(0)
	s_barrier
	s_and_saveexec_b64 s[2:3], vcc
	s_cbranch_execz .LBB53_99
; %bb.97:
	s_waitcnt vmcnt(6)
	v_mov_b32_e32 v148, v88
	v_mov_b32_e32 v149, v89
	s_waitcnt vmcnt(5)
	v_mov_b32_e32 v150, v62
	v_mov_b32_e32 v151, v63
	ds_write_b64 v162, v[64:65]
	ds_write2_b64 v163, v[148:149], v[150:151] offset0:20 offset1:21
	s_waitcnt vmcnt(4)
	v_mov_b32_e32 v148, v86
	v_mov_b32_e32 v149, v87
	s_waitcnt vmcnt(3)
	v_mov_b32_e32 v150, v60
	v_mov_b32_e32 v151, v61
	ds_write2_b64 v163, v[148:149], v[150:151] offset0:22 offset1:23
	s_waitcnt vmcnt(2)
	v_mov_b32_e32 v148, v84
	v_mov_b32_e32 v149, v85
	s_waitcnt vmcnt(1)
	v_mov_b32_e32 v150, v58
	v_mov_b32_e32 v151, v59
	ds_write2_b64 v163, v[148:149], v[150:151] offset0:24 offset1:25
	s_waitcnt vmcnt(0)
	ds_write_b64 v163, v[108:109] offset:208
	ds_read_b64 v[148:149], v162
	s_waitcnt lgkmcnt(0)
	v_cmp_neq_f64_e32 vcc, 0, v[148:149]
	s_and_b64 exec, exec, vcc
	s_cbranch_execz .LBB53_99
; %bb.98:
	v_div_scale_f64 v[150:151], s[6:7], v[148:149], v[148:149], 1.0
	v_rcp_f64_e32 v[152:153], v[150:151]
	v_div_scale_f64 v[154:155], vcc, 1.0, v[148:149], 1.0
	v_fma_f64 v[156:157], -v[150:151], v[152:153], 1.0
	v_fmac_f64_e32 v[152:153], v[152:153], v[156:157]
	v_fma_f64 v[156:157], -v[150:151], v[152:153], 1.0
	v_fmac_f64_e32 v[152:153], v[152:153], v[156:157]
	v_mul_f64 v[156:157], v[154:155], v[152:153]
	v_fma_f64 v[150:151], -v[150:151], v[156:157], v[154:155]
	v_div_fmas_f64 v[150:151], v[150:151], v[152:153], v[156:157]
	v_div_fixup_f64 v[148:149], v[150:151], v[148:149], 1.0
	ds_write_b64 v162, v[148:149]
.LBB53_99:
	s_or_b64 exec, exec, s[2:3]
	s_waitcnt lgkmcnt(0)
	s_barrier
	ds_read_b64 v[148:149], v162
	v_cmp_lt_u32_e32 vcc, 19, v164
	s_and_saveexec_b64 s[2:3], vcc
	s_cbranch_execz .LBB53_101
; %bb.100:
	ds_read2_b64 v[150:153], v163 offset0:20 offset1:21
	ds_read2_b64 v[154:157], v163 offset0:22 offset1:23
	s_waitcnt vmcnt(7) lgkmcnt(2)
	v_mul_f64 v[64:65], v[148:149], v[64:65]
	ds_read2_b64 v[158:161], v163 offset0:24 offset1:25
	s_waitcnt vmcnt(6) lgkmcnt(2)
	v_fma_f64 v[88:89], -v[64:65], v[150:151], v[88:89]
	ds_read_b64 v[150:151], v163 offset:208
	s_waitcnt vmcnt(5)
	v_fma_f64 v[62:63], -v[64:65], v[152:153], v[62:63]
	s_waitcnt vmcnt(4) lgkmcnt(2)
	v_fma_f64 v[86:87], -v[64:65], v[154:155], v[86:87]
	s_waitcnt vmcnt(3)
	v_fma_f64 v[60:61], -v[64:65], v[156:157], v[60:61]
	s_waitcnt vmcnt(2) lgkmcnt(1)
	v_fma_f64 v[84:85], -v[64:65], v[158:159], v[84:85]
	;; [unrolled: 4-line block ×3, first 2 shown]
.LBB53_101:
	s_or_b64 exec, exec, s[2:3]
	v_cmp_eq_u32_e32 vcc, 20, v164
	s_waitcnt lgkmcnt(0)
	s_barrier
	s_and_saveexec_b64 s[2:3], vcc
	s_cbranch_execz .LBB53_104
; %bb.102:
	s_waitcnt vmcnt(6)
	ds_write_b64 v162, v[88:89]
	s_waitcnt vmcnt(4)
	ds_write2_b64 v163, v[62:63], v[86:87] offset0:21 offset1:22
	s_waitcnt vmcnt(2)
	ds_write2_b64 v163, v[60:61], v[84:85] offset0:23 offset1:24
	;; [unrolled: 2-line block ×3, first 2 shown]
	ds_read_b64 v[150:151], v162
	s_waitcnt lgkmcnt(0)
	v_cmp_neq_f64_e32 vcc, 0, v[150:151]
	s_and_b64 exec, exec, vcc
	s_cbranch_execz .LBB53_104
; %bb.103:
	v_div_scale_f64 v[152:153], s[6:7], v[150:151], v[150:151], 1.0
	v_rcp_f64_e32 v[154:155], v[152:153]
	v_div_scale_f64 v[156:157], vcc, 1.0, v[150:151], 1.0
	v_fma_f64 v[158:159], -v[152:153], v[154:155], 1.0
	v_fmac_f64_e32 v[154:155], v[154:155], v[158:159]
	v_fma_f64 v[158:159], -v[152:153], v[154:155], 1.0
	v_fmac_f64_e32 v[154:155], v[154:155], v[158:159]
	v_mul_f64 v[158:159], v[156:157], v[154:155]
	v_fma_f64 v[152:153], -v[152:153], v[158:159], v[156:157]
	v_div_fmas_f64 v[152:153], v[152:153], v[154:155], v[158:159]
	v_div_fixup_f64 v[150:151], v[152:153], v[150:151], 1.0
	ds_write_b64 v162, v[150:151]
.LBB53_104:
	s_or_b64 exec, exec, s[2:3]
	s_waitcnt lgkmcnt(0)
	s_barrier
	ds_read_b64 v[150:151], v162
	v_cmp_lt_u32_e32 vcc, 20, v164
	s_and_saveexec_b64 s[2:3], vcc
	s_cbranch_execz .LBB53_106
; %bb.105:
	ds_read2_b64 v[152:155], v163 offset0:21 offset1:22
	ds_read2_b64 v[156:159], v163 offset0:23 offset1:24
	;; [unrolled: 1-line block ×3, first 2 shown]
	s_waitcnt vmcnt(6) lgkmcnt(3)
	v_mul_f64 v[88:89], v[150:151], v[88:89]
	s_waitcnt vmcnt(5) lgkmcnt(2)
	v_fma_f64 v[62:63], -v[88:89], v[152:153], v[62:63]
	s_waitcnt vmcnt(4)
	v_fma_f64 v[86:87], -v[88:89], v[154:155], v[86:87]
	s_waitcnt vmcnt(3) lgkmcnt(1)
	v_fma_f64 v[60:61], -v[88:89], v[156:157], v[60:61]
	s_waitcnt vmcnt(2)
	v_fma_f64 v[84:85], -v[88:89], v[158:159], v[84:85]
	;; [unrolled: 4-line block ×3, first 2 shown]
.LBB53_106:
	s_or_b64 exec, exec, s[2:3]
	v_cmp_eq_u32_e32 vcc, 21, v164
	s_waitcnt lgkmcnt(0)
	s_barrier
	s_and_saveexec_b64 s[2:3], vcc
	s_cbranch_execz .LBB53_109
; %bb.107:
	s_waitcnt vmcnt(4)
	v_mov_b32_e32 v152, v86
	v_mov_b32_e32 v153, v87
	s_waitcnt vmcnt(3)
	v_mov_b32_e32 v154, v60
	v_mov_b32_e32 v155, v61
	ds_write_b64 v162, v[62:63]
	ds_write2_b64 v163, v[152:153], v[154:155] offset0:22 offset1:23
	s_waitcnt vmcnt(2)
	v_mov_b32_e32 v152, v84
	v_mov_b32_e32 v153, v85
	s_waitcnt vmcnt(1)
	v_mov_b32_e32 v154, v58
	v_mov_b32_e32 v155, v59
	ds_write2_b64 v163, v[152:153], v[154:155] offset0:24 offset1:25
	s_waitcnt vmcnt(0)
	ds_write_b64 v163, v[108:109] offset:208
	ds_read_b64 v[152:153], v162
	s_waitcnt lgkmcnt(0)
	v_cmp_neq_f64_e32 vcc, 0, v[152:153]
	s_and_b64 exec, exec, vcc
	s_cbranch_execz .LBB53_109
; %bb.108:
	v_div_scale_f64 v[154:155], s[6:7], v[152:153], v[152:153], 1.0
	v_rcp_f64_e32 v[156:157], v[154:155]
	v_div_scale_f64 v[158:159], vcc, 1.0, v[152:153], 1.0
	v_fma_f64 v[160:161], -v[154:155], v[156:157], 1.0
	v_fmac_f64_e32 v[156:157], v[156:157], v[160:161]
	v_fma_f64 v[160:161], -v[154:155], v[156:157], 1.0
	v_fmac_f64_e32 v[156:157], v[156:157], v[160:161]
	v_mul_f64 v[160:161], v[158:159], v[156:157]
	v_fma_f64 v[154:155], -v[154:155], v[160:161], v[158:159]
	v_div_fmas_f64 v[154:155], v[154:155], v[156:157], v[160:161]
	v_div_fixup_f64 v[152:153], v[154:155], v[152:153], 1.0
	ds_write_b64 v162, v[152:153]
.LBB53_109:
	s_or_b64 exec, exec, s[2:3]
	s_waitcnt lgkmcnt(0)
	s_barrier
	ds_read_b64 v[152:153], v162
	v_cmp_lt_u32_e32 vcc, 21, v164
	s_and_saveexec_b64 s[2:3], vcc
	s_cbranch_execz .LBB53_111
; %bb.110:
	ds_read2_b64 v[154:157], v163 offset0:22 offset1:23
	ds_read2_b64 v[158:161], v163 offset0:24 offset1:25
	ds_read_b64 v[166:167], v163 offset:208
	s_waitcnt vmcnt(5) lgkmcnt(3)
	v_mul_f64 v[62:63], v[152:153], v[62:63]
	s_waitcnt vmcnt(4) lgkmcnt(2)
	v_fma_f64 v[86:87], -v[62:63], v[154:155], v[86:87]
	s_waitcnt vmcnt(3)
	v_fma_f64 v[60:61], -v[62:63], v[156:157], v[60:61]
	s_waitcnt vmcnt(2) lgkmcnt(1)
	v_fma_f64 v[84:85], -v[62:63], v[158:159], v[84:85]
	s_waitcnt vmcnt(1)
	v_fma_f64 v[58:59], -v[62:63], v[160:161], v[58:59]
	s_waitcnt vmcnt(0) lgkmcnt(0)
	v_fma_f64 v[108:109], -v[62:63], v[166:167], v[108:109]
.LBB53_111:
	s_or_b64 exec, exec, s[2:3]
	v_cmp_eq_u32_e32 vcc, 22, v164
	s_waitcnt lgkmcnt(0)
	s_barrier
	s_and_saveexec_b64 s[2:3], vcc
	s_cbranch_execz .LBB53_114
; %bb.112:
	s_waitcnt vmcnt(4)
	ds_write_b64 v162, v[86:87]
	s_waitcnt vmcnt(2)
	ds_write2_b64 v163, v[60:61], v[84:85] offset0:23 offset1:24
	s_waitcnt vmcnt(0)
	ds_write2_b64 v163, v[58:59], v[108:109] offset0:25 offset1:26
	ds_read_b64 v[154:155], v162
	s_waitcnt lgkmcnt(0)
	v_cmp_neq_f64_e32 vcc, 0, v[154:155]
	s_and_b64 exec, exec, vcc
	s_cbranch_execz .LBB53_114
; %bb.113:
	v_div_scale_f64 v[156:157], s[6:7], v[154:155], v[154:155], 1.0
	v_rcp_f64_e32 v[158:159], v[156:157]
	v_div_scale_f64 v[160:161], vcc, 1.0, v[154:155], 1.0
	v_fma_f64 v[166:167], -v[156:157], v[158:159], 1.0
	v_fmac_f64_e32 v[158:159], v[158:159], v[166:167]
	v_fma_f64 v[166:167], -v[156:157], v[158:159], 1.0
	v_fmac_f64_e32 v[158:159], v[158:159], v[166:167]
	v_mul_f64 v[166:167], v[160:161], v[158:159]
	v_fma_f64 v[156:157], -v[156:157], v[166:167], v[160:161]
	v_div_fmas_f64 v[156:157], v[156:157], v[158:159], v[166:167]
	v_div_fixup_f64 v[154:155], v[156:157], v[154:155], 1.0
	ds_write_b64 v162, v[154:155]
.LBB53_114:
	s_or_b64 exec, exec, s[2:3]
	s_waitcnt lgkmcnt(0)
	s_barrier
	ds_read_b64 v[154:155], v162
	v_cmp_lt_u32_e32 vcc, 22, v164
	s_and_saveexec_b64 s[2:3], vcc
	s_cbranch_execz .LBB53_116
; %bb.115:
	ds_read2_b64 v[156:159], v163 offset0:23 offset1:24
	ds_read2_b64 v[166:169], v163 offset0:25 offset1:26
	s_waitcnt vmcnt(4) lgkmcnt(2)
	v_mul_f64 v[86:87], v[154:155], v[86:87]
	s_waitcnt vmcnt(3) lgkmcnt(1)
	v_fma_f64 v[60:61], -v[86:87], v[156:157], v[60:61]
	s_waitcnt vmcnt(2)
	v_fma_f64 v[84:85], -v[86:87], v[158:159], v[84:85]
	s_waitcnt vmcnt(1) lgkmcnt(0)
	v_fma_f64 v[58:59], -v[86:87], v[166:167], v[58:59]
	s_waitcnt vmcnt(0)
	v_fma_f64 v[108:109], -v[86:87], v[168:169], v[108:109]
.LBB53_116:
	s_or_b64 exec, exec, s[2:3]
	v_cmp_eq_u32_e32 vcc, 23, v164
	s_waitcnt lgkmcnt(0)
	s_barrier
	s_and_saveexec_b64 s[2:3], vcc
	s_cbranch_execz .LBB53_119
; %bb.117:
	s_waitcnt vmcnt(2)
	v_mov_b32_e32 v156, v84
	v_mov_b32_e32 v157, v85
	s_waitcnt vmcnt(1)
	v_mov_b32_e32 v158, v58
	v_mov_b32_e32 v159, v59
	ds_write_b64 v162, v[60:61]
	ds_write2_b64 v163, v[156:157], v[158:159] offset0:24 offset1:25
	s_waitcnt vmcnt(0)
	ds_write_b64 v163, v[108:109] offset:208
	ds_read_b64 v[156:157], v162
	s_waitcnt lgkmcnt(0)
	v_cmp_neq_f64_e32 vcc, 0, v[156:157]
	s_and_b64 exec, exec, vcc
	s_cbranch_execz .LBB53_119
; %bb.118:
	v_div_scale_f64 v[158:159], s[6:7], v[156:157], v[156:157], 1.0
	v_rcp_f64_e32 v[160:161], v[158:159]
	v_div_scale_f64 v[166:167], vcc, 1.0, v[156:157], 1.0
	v_fma_f64 v[168:169], -v[158:159], v[160:161], 1.0
	v_fmac_f64_e32 v[160:161], v[160:161], v[168:169]
	v_fma_f64 v[168:169], -v[158:159], v[160:161], 1.0
	v_fmac_f64_e32 v[160:161], v[160:161], v[168:169]
	v_mul_f64 v[168:169], v[166:167], v[160:161]
	v_fma_f64 v[158:159], -v[158:159], v[168:169], v[166:167]
	v_div_fmas_f64 v[158:159], v[158:159], v[160:161], v[168:169]
	v_div_fixup_f64 v[156:157], v[158:159], v[156:157], 1.0
	ds_write_b64 v162, v[156:157]
.LBB53_119:
	s_or_b64 exec, exec, s[2:3]
	s_waitcnt lgkmcnt(0)
	s_barrier
	ds_read_b64 v[156:157], v162
	v_cmp_lt_u32_e32 vcc, 23, v164
	s_and_saveexec_b64 s[2:3], vcc
	s_cbranch_execz .LBB53_121
; %bb.120:
	ds_read2_b64 v[158:161], v163 offset0:24 offset1:25
	ds_read_b64 v[166:167], v163 offset:208
	s_waitcnt vmcnt(3) lgkmcnt(2)
	v_mul_f64 v[60:61], v[156:157], v[60:61]
	s_waitcnt vmcnt(2) lgkmcnt(1)
	v_fma_f64 v[84:85], -v[60:61], v[158:159], v[84:85]
	s_waitcnt vmcnt(1)
	v_fma_f64 v[58:59], -v[60:61], v[160:161], v[58:59]
	s_waitcnt vmcnt(0) lgkmcnt(0)
	v_fma_f64 v[108:109], -v[60:61], v[166:167], v[108:109]
.LBB53_121:
	s_or_b64 exec, exec, s[2:3]
	v_cmp_eq_u32_e32 vcc, 24, v164
	s_waitcnt lgkmcnt(0)
	s_barrier
	s_and_saveexec_b64 s[2:3], vcc
	s_cbranch_execz .LBB53_124
; %bb.122:
	s_waitcnt vmcnt(2)
	ds_write_b64 v162, v[84:85]
	s_waitcnt vmcnt(0)
	ds_write2_b64 v163, v[58:59], v[108:109] offset0:25 offset1:26
	ds_read_b64 v[158:159], v162
	s_waitcnt lgkmcnt(0)
	v_cmp_neq_f64_e32 vcc, 0, v[158:159]
	s_and_b64 exec, exec, vcc
	s_cbranch_execz .LBB53_124
; %bb.123:
	v_div_scale_f64 v[160:161], s[6:7], v[158:159], v[158:159], 1.0
	v_rcp_f64_e32 v[166:167], v[160:161]
	v_div_scale_f64 v[168:169], vcc, 1.0, v[158:159], 1.0
	v_fma_f64 v[170:171], -v[160:161], v[166:167], 1.0
	v_fmac_f64_e32 v[166:167], v[166:167], v[170:171]
	v_fma_f64 v[170:171], -v[160:161], v[166:167], 1.0
	v_fmac_f64_e32 v[166:167], v[166:167], v[170:171]
	v_mul_f64 v[170:171], v[168:169], v[166:167]
	v_fma_f64 v[160:161], -v[160:161], v[170:171], v[168:169]
	v_div_fmas_f64 v[160:161], v[160:161], v[166:167], v[170:171]
	v_div_fixup_f64 v[158:159], v[160:161], v[158:159], 1.0
	ds_write_b64 v162, v[158:159]
.LBB53_124:
	s_or_b64 exec, exec, s[2:3]
	s_waitcnt lgkmcnt(0)
	s_barrier
	ds_read_b64 v[158:159], v162
	v_cmp_lt_u32_e32 vcc, 24, v164
	s_and_saveexec_b64 s[2:3], vcc
	s_cbranch_execz .LBB53_126
; %bb.125:
	ds_read2_b64 v[166:169], v163 offset0:25 offset1:26
	s_waitcnt vmcnt(2) lgkmcnt(1)
	v_mul_f64 v[84:85], v[158:159], v[84:85]
	s_waitcnt vmcnt(1) lgkmcnt(0)
	v_fma_f64 v[58:59], -v[84:85], v[166:167], v[58:59]
	s_waitcnt vmcnt(0)
	v_fma_f64 v[108:109], -v[84:85], v[168:169], v[108:109]
.LBB53_126:
	s_or_b64 exec, exec, s[2:3]
	v_cmp_eq_u32_e32 vcc, 25, v164
	s_waitcnt lgkmcnt(0)
	s_barrier
	s_and_saveexec_b64 s[2:3], vcc
	s_cbranch_execz .LBB53_129
; %bb.127:
	s_waitcnt vmcnt(1)
	ds_write_b64 v162, v[58:59]
	s_waitcnt vmcnt(0)
	ds_write_b64 v163, v[108:109] offset:208
	ds_read_b64 v[160:161], v162
	s_waitcnt lgkmcnt(0)
	v_cmp_neq_f64_e32 vcc, 0, v[160:161]
	s_and_b64 exec, exec, vcc
	s_cbranch_execz .LBB53_129
; %bb.128:
	v_div_scale_f64 v[166:167], s[6:7], v[160:161], v[160:161], 1.0
	v_rcp_f64_e32 v[168:169], v[166:167]
	v_div_scale_f64 v[170:171], vcc, 1.0, v[160:161], 1.0
	v_fma_f64 v[172:173], -v[166:167], v[168:169], 1.0
	v_fmac_f64_e32 v[168:169], v[168:169], v[172:173]
	v_fma_f64 v[172:173], -v[166:167], v[168:169], 1.0
	v_fmac_f64_e32 v[168:169], v[168:169], v[172:173]
	v_mul_f64 v[172:173], v[170:171], v[168:169]
	v_fma_f64 v[166:167], -v[166:167], v[172:173], v[170:171]
	v_div_fmas_f64 v[166:167], v[166:167], v[168:169], v[172:173]
	v_div_fixup_f64 v[160:161], v[166:167], v[160:161], 1.0
	ds_write_b64 v162, v[160:161]
.LBB53_129:
	s_or_b64 exec, exec, s[2:3]
	s_waitcnt lgkmcnt(0)
	s_barrier
	ds_read_b64 v[160:161], v162
	v_cmp_lt_u32_e32 vcc, 25, v164
	s_and_saveexec_b64 s[2:3], vcc
	s_cbranch_execz .LBB53_131
; %bb.130:
	ds_read_b64 v[166:167], v163 offset:208
	s_waitcnt vmcnt(1) lgkmcnt(1)
	v_mul_f64 v[58:59], v[160:161], v[58:59]
	s_waitcnt vmcnt(0) lgkmcnt(0)
	v_fma_f64 v[108:109], -v[58:59], v[166:167], v[108:109]
.LBB53_131:
	s_or_b64 exec, exec, s[2:3]
	v_cmp_eq_u32_e32 vcc, 26, v164
	s_waitcnt lgkmcnt(0)
	s_barrier
	s_and_saveexec_b64 s[2:3], vcc
	s_cbranch_execz .LBB53_134
; %bb.132:
	s_waitcnt vmcnt(0)
	v_cmp_neq_f64_e32 vcc, 0, v[108:109]
	ds_write_b64 v162, v[108:109]
	s_and_b64 exec, exec, vcc
	s_cbranch_execz .LBB53_134
; %bb.133:
	v_div_scale_f64 v[166:167], s[6:7], v[108:109], v[108:109], 1.0
	v_rcp_f64_e32 v[168:169], v[166:167]
	v_div_scale_f64 v[170:171], vcc, 1.0, v[108:109], 1.0
	v_fma_f64 v[172:173], -v[166:167], v[168:169], 1.0
	v_fmac_f64_e32 v[168:169], v[168:169], v[172:173]
	v_fma_f64 v[172:173], -v[166:167], v[168:169], 1.0
	v_fmac_f64_e32 v[168:169], v[168:169], v[172:173]
	v_mul_f64 v[172:173], v[170:171], v[168:169]
	v_fma_f64 v[166:167], -v[166:167], v[172:173], v[170:171]
	v_div_fmas_f64 v[166:167], v[166:167], v[168:169], v[172:173]
	v_div_fixup_f64 v[166:167], v[166:167], v[108:109], 1.0
	ds_write_b64 v162, v[166:167]
.LBB53_134:
	s_or_b64 exec, exec, s[2:3]
	s_waitcnt lgkmcnt(0)
	s_barrier
	ds_read_b64 v[162:163], v162
	s_waitcnt lgkmcnt(0)
	s_barrier
	s_and_saveexec_b64 s[2:3], s[0:1]
	s_cbranch_execz .LBB53_137
; %bb.135:
	v_cmp_eq_f64_e32 vcc, 0, v[110:111]
	v_cmp_neq_f64_e64 s[0:1], 0, v[112:113]
	v_cndmask_b32_e64 v110, 0, 1, vcc
	s_or_b64 vcc, s[0:1], vcc
	v_cndmask_b32_e32 v110, 2, v110, vcc
	v_cmp_eq_f64_e32 vcc, 0, v[114:115]
	v_cmp_eq_u32_e64 s[0:1], 0, v110
	s_and_b64 s[0:1], vcc, s[0:1]
	v_cndmask_b32_e64 v110, v110, 3, s[0:1]
	v_cmp_eq_f64_e32 vcc, 0, v[116:117]
	v_cmp_eq_u32_e64 s[0:1], 0, v110
	s_and_b64 s[0:1], vcc, s[0:1]
	v_cndmask_b32_e64 v110, v110, 4, s[0:1]
	;; [unrolled: 4-line block ×3, first 2 shown]
	v_cmp_eq_f64_e32 vcc, 0, v[120:121]
	v_cmp_eq_u32_e64 s[0:1], 0, v110
	s_load_dwordx2 s[4:5], s[4:5], 0x28
	s_and_b64 s[0:1], vcc, s[0:1]
	v_cndmask_b32_e64 v110, v110, 6, s[0:1]
	v_cmp_eq_f64_e32 vcc, 0, v[122:123]
	v_cmp_eq_u32_e64 s[0:1], 0, v110
	s_and_b64 s[0:1], vcc, s[0:1]
	v_lshlrev_b64 v[2:3], 2, v[2:3]
	v_cndmask_b32_e64 v110, v110, 7, s[0:1]
	s_waitcnt lgkmcnt(0)
	v_mov_b32_e32 v111, s5
	v_add_co_u32_e64 v2, s[0:1], s4, v2
	v_addc_co_u32_e64 v3, s[0:1], v111, v3, s[0:1]
	global_load_dword v111, v[2:3], off
	v_cmp_eq_f64_e32 vcc, 0, v[124:125]
	v_cmp_eq_u32_e64 s[0:1], 0, v110
	s_and_b64 s[0:1], vcc, s[0:1]
	v_cndmask_b32_e64 v110, v110, 8, s[0:1]
	v_cmp_eq_f64_e32 vcc, 0, v[126:127]
	v_cmp_eq_u32_e64 s[0:1], 0, v110
	s_and_b64 s[0:1], vcc, s[0:1]
	v_cndmask_b32_e64 v110, v110, 9, s[0:1]
	;; [unrolled: 4-line block ×20, first 2 shown]
	s_waitcnt vmcnt(0)
	v_cmp_eq_u32_e32 vcc, 0, v111
	v_cmp_ne_u32_e64 s[0:1], 0, v110
	s_and_b64 s[0:1], vcc, s[0:1]
	s_and_b64 exec, exec, s[0:1]
	s_cbranch_execz .LBB53_137
; %bb.136:
	v_add_u32_e32 v110, s9, v110
	global_store_dword v[2:3], v110, off
.LBB53_137:
	s_or_b64 exec, exec, s[2:3]
	s_waitcnt vmcnt(0)
	v_mul_f64 v[2:3], v[162:163], v[108:109]
	v_cmp_lt_u32_e32 vcc, 26, v164
	v_cndmask_b32_e32 v3, v109, v3, vcc
	v_cndmask_b32_e32 v2, v108, v2, vcc
	global_store_dwordx2 v[0:1], v[56:57], off
	global_store_dwordx2 v[54:55], v[82:83], off
	;; [unrolled: 1-line block ×27, first 2 shown]
.LBB53_138:
	s_endpgm
	.section	.rodata,"a",@progbits
	.p2align	6, 0x0
	.amdhsa_kernel _ZN9rocsolver6v33100L23getf2_npvt_small_kernelILi27EdiiPKPdEEvT1_T3_lS5_lPT2_S5_S5_
		.amdhsa_group_segment_fixed_size 0
		.amdhsa_private_segment_fixed_size 0
		.amdhsa_kernarg_size 312
		.amdhsa_user_sgpr_count 6
		.amdhsa_user_sgpr_private_segment_buffer 1
		.amdhsa_user_sgpr_dispatch_ptr 0
		.amdhsa_user_sgpr_queue_ptr 0
		.amdhsa_user_sgpr_kernarg_segment_ptr 1
		.amdhsa_user_sgpr_dispatch_id 0
		.amdhsa_user_sgpr_flat_scratch_init 0
		.amdhsa_user_sgpr_kernarg_preload_length 0
		.amdhsa_user_sgpr_kernarg_preload_offset 0
		.amdhsa_user_sgpr_private_segment_size 0
		.amdhsa_uses_dynamic_stack 0
		.amdhsa_system_sgpr_private_segment_wavefront_offset 0
		.amdhsa_system_sgpr_workgroup_id_x 1
		.amdhsa_system_sgpr_workgroup_id_y 1
		.amdhsa_system_sgpr_workgroup_id_z 0
		.amdhsa_system_sgpr_workgroup_info 0
		.amdhsa_system_vgpr_workitem_id 1
		.amdhsa_next_free_vgpr 174
		.amdhsa_next_free_sgpr 16
		.amdhsa_accum_offset 176
		.amdhsa_reserve_vcc 1
		.amdhsa_reserve_flat_scratch 0
		.amdhsa_float_round_mode_32 0
		.amdhsa_float_round_mode_16_64 0
		.amdhsa_float_denorm_mode_32 3
		.amdhsa_float_denorm_mode_16_64 3
		.amdhsa_dx10_clamp 1
		.amdhsa_ieee_mode 1
		.amdhsa_fp16_overflow 0
		.amdhsa_tg_split 0
		.amdhsa_exception_fp_ieee_invalid_op 0
		.amdhsa_exception_fp_denorm_src 0
		.amdhsa_exception_fp_ieee_div_zero 0
		.amdhsa_exception_fp_ieee_overflow 0
		.amdhsa_exception_fp_ieee_underflow 0
		.amdhsa_exception_fp_ieee_inexact 0
		.amdhsa_exception_int_div_zero 0
	.end_amdhsa_kernel
	.section	.text._ZN9rocsolver6v33100L23getf2_npvt_small_kernelILi27EdiiPKPdEEvT1_T3_lS5_lPT2_S5_S5_,"axG",@progbits,_ZN9rocsolver6v33100L23getf2_npvt_small_kernelILi27EdiiPKPdEEvT1_T3_lS5_lPT2_S5_S5_,comdat
.Lfunc_end53:
	.size	_ZN9rocsolver6v33100L23getf2_npvt_small_kernelILi27EdiiPKPdEEvT1_T3_lS5_lPT2_S5_S5_, .Lfunc_end53-_ZN9rocsolver6v33100L23getf2_npvt_small_kernelILi27EdiiPKPdEEvT1_T3_lS5_lPT2_S5_S5_
                                        ; -- End function
	.section	.AMDGPU.csdata,"",@progbits
; Kernel info:
; codeLenInByte = 16384
; NumSgprs: 20
; NumVgprs: 174
; NumAgprs: 0
; TotalNumVgprs: 174
; ScratchSize: 0
; MemoryBound: 0
; FloatMode: 240
; IeeeMode: 1
; LDSByteSize: 0 bytes/workgroup (compile time only)
; SGPRBlocks: 2
; VGPRBlocks: 21
; NumSGPRsForWavesPerEU: 20
; NumVGPRsForWavesPerEU: 174
; AccumOffset: 176
; Occupancy: 2
; WaveLimiterHint : 1
; COMPUTE_PGM_RSRC2:SCRATCH_EN: 0
; COMPUTE_PGM_RSRC2:USER_SGPR: 6
; COMPUTE_PGM_RSRC2:TRAP_HANDLER: 0
; COMPUTE_PGM_RSRC2:TGID_X_EN: 1
; COMPUTE_PGM_RSRC2:TGID_Y_EN: 1
; COMPUTE_PGM_RSRC2:TGID_Z_EN: 0
; COMPUTE_PGM_RSRC2:TIDIG_COMP_CNT: 1
; COMPUTE_PGM_RSRC3_GFX90A:ACCUM_OFFSET: 43
; COMPUTE_PGM_RSRC3_GFX90A:TG_SPLIT: 0
	.section	.text._ZN9rocsolver6v33100L18getf2_small_kernelILi28EdiiPKPdEEvT1_T3_lS5_lPS5_llPT2_S5_S5_S7_l,"axG",@progbits,_ZN9rocsolver6v33100L18getf2_small_kernelILi28EdiiPKPdEEvT1_T3_lS5_lPS5_llPT2_S5_S5_S7_l,comdat
	.globl	_ZN9rocsolver6v33100L18getf2_small_kernelILi28EdiiPKPdEEvT1_T3_lS5_lPS5_llPT2_S5_S5_S7_l ; -- Begin function _ZN9rocsolver6v33100L18getf2_small_kernelILi28EdiiPKPdEEvT1_T3_lS5_lPS5_llPT2_S5_S5_S7_l
	.p2align	8
	.type	_ZN9rocsolver6v33100L18getf2_small_kernelILi28EdiiPKPdEEvT1_T3_lS5_lPS5_llPT2_S5_S5_S7_l,@function
_ZN9rocsolver6v33100L18getf2_small_kernelILi28EdiiPKPdEEvT1_T3_lS5_lPS5_llPT2_S5_S5_S7_l: ; @_ZN9rocsolver6v33100L18getf2_small_kernelILi28EdiiPKPdEEvT1_T3_lS5_lPS5_llPT2_S5_S5_S7_l
; %bb.0:
	s_load_dword s0, s[4:5], 0x6c
	s_load_dwordx2 s[12:13], s[4:5], 0x48
	v_bfe_u32 v60, v0, 10, 10
	s_waitcnt lgkmcnt(0)
	s_lshr_b32 s0, s0, 16
	s_mul_i32 s7, s7, s0
	v_add_u32_e32 v2, s7, v60
	v_cmp_gt_i32_e32 vcc, s12, v2
	s_and_saveexec_b64 s[0:1], vcc
	s_cbranch_execz .LBB54_473
; %bb.1:
	s_load_dwordx4 s[0:3], s[4:5], 0x8
	s_load_dwordx4 s[8:11], s[4:5], 0x50
	v_ashrrev_i32_e32 v3, 31, v2
	v_lshlrev_b64 v[4:5], 3, v[2:3]
	s_waitcnt lgkmcnt(0)
	v_mov_b32_e32 v1, s1
	v_add_co_u32_e32 v4, vcc, s0, v4
	v_addc_co_u32_e32 v5, vcc, v1, v5, vcc
	global_load_dwordx2 v[6:7], v[4:5], off
	s_cmp_eq_u64 s[8:9], 0
	s_cselect_b64 s[6:7], -1, 0
	s_and_b64 vcc, exec, s[6:7]
	v_pk_mov_b32 v[4:5], 0, 0
	s_cbranch_vccnz .LBB54_3
; %bb.2:
	v_mul_lo_u32 v1, v3, s10
	v_mul_lo_u32 v8, v2, s11
	v_mad_u64_u32 v[4:5], s[0:1], v2, s10, 0
	v_add3_u32 v5, v5, v8, v1
	v_lshlrev_b64 v[4:5], 2, v[4:5]
	v_mov_b32_e32 v1, s9
	v_add_co_u32_e32 v4, vcc, s8, v4
	v_addc_co_u32_e32 v5, vcc, v1, v5, vcc
.LBB54_3:
	s_load_dword s8, s[4:5], 0x18
	s_load_dword s18, s[4:5], 0x0
	s_lshl_b64 s[0:1], s[2:3], 3
	v_and_b32_e32 v68, 0x3ff, v0
	v_mov_b32_e32 v1, s1
	s_waitcnt lgkmcnt(0)
	s_add_i32 s12, s8, s8
	s_waitcnt vmcnt(0)
	v_add_co_u32_e32 v66, vcc, s0, v6
	v_add_u32_e32 v0, s12, v68
	v_addc_co_u32_e32 v67, vcc, v7, v1, vcc
	v_ashrrev_i32_e32 v1, 31, v0
	v_lshlrev_b64 v[6:7], 3, v[0:1]
	v_add_u32_e32 v0, s8, v0
	v_add_co_u32_e32 v6, vcc, v66, v6
	v_ashrrev_i32_e32 v1, 31, v0
	v_addc_co_u32_e32 v7, vcc, v67, v7, vcc
	v_lshlrev_b64 v[8:9], 3, v[0:1]
	v_add_u32_e32 v0, s8, v0
	v_add_co_u32_e32 v8, vcc, v66, v8
	v_ashrrev_i32_e32 v1, 31, v0
	v_addc_co_u32_e32 v9, vcc, v67, v9, vcc
	;; [unrolled: 5-line block ×25, first 2 shown]
	v_lshlrev_b64 v[0:1], 3, v[0:1]
	v_add_co_u32_e32 v92, vcc, v66, v0
	v_lshlrev_b32_e32 v61, 3, v68
	v_addc_co_u32_e32 v93, vcc, v67, v1, vcc
	v_add_co_u32_e32 v0, vcc, v66, v61
	s_ashr_i32 s9, s8, 31
	v_addc_co_u32_e32 v1, vcc, 0, v67, vcc
	s_lshl_b64 s[10:11], s[8:9], 3
	v_mov_b32_e32 v26, s11
	v_add_co_u32_e32 v94, vcc, s10, v0
	v_addc_co_u32_e32 v95, vcc, v1, v26, vcc
	global_load_dwordx2 v[56:57], v[0:1], off
	global_load_dwordx2 v[54:55], v[94:95], off
	;; [unrolled: 1-line block ×15, first 2 shown]
                                        ; kill: killed $vgpr24 killed $vgpr25
                                        ; kill: killed $vgpr58 killed $vgpr59
                                        ; kill: killed $vgpr0 killed $vgpr1
                                        ; kill: killed $vgpr6 killed $vgpr7
                                        ; kill: killed $vgpr94 killed $vgpr95
                                        ; kill: killed $vgpr10 killed $vgpr11
                                        ; kill: killed $vgpr14 killed $vgpr15
                                        ; kill: killed $vgpr18 killed $vgpr19
                                        ; kill: killed $vgpr22 killed $vgpr23
                                        ; kill: killed $vgpr28 killed $vgpr29
                                        ; kill: killed $vgpr62 killed $vgpr63
                                        ; kill: killed $vgpr8 killed $vgpr9
                                        ; kill: killed $vgpr12 killed $vgpr13
                                        ; kill: killed $vgpr16 killed $vgpr17
                                        ; kill: killed $vgpr20 killed $vgpr21
	s_nop 0
	global_load_dwordx2 v[28:29], v[64:65], off
	global_load_dwordx2 v[24:25], v[70:71], off
	;; [unrolled: 1-line block ×13, first 2 shown]
	s_max_i32 s0, s18, 28
	v_mul_lo_u32 v62, s0, v60
	v_lshl_add_u32 v64, v62, 3, 0
	v_add_u32_e32 v60, v64, v61
	s_cmp_lt_i32 s18, 2
	v_lshlrev_b32_e32 v69, 3, v62
	v_mov_b32_e32 v62, 0
	s_waitcnt vmcnt(27)
	ds_write_b64 v60, v[56:57]
	s_waitcnt lgkmcnt(0)
	s_barrier
	ds_read_b64 v[60:61], v64
	s_cbranch_scc1 .LBB54_6
; %bb.4:
	v_add3_u32 v63, v69, 0, 8
	s_mov_b32 s0, 1
	v_mov_b32_e32 v62, 0
.LBB54_5:                               ; =>This Inner Loop Header: Depth=1
	ds_read_b64 v[70:71], v63
	v_mov_b32_e32 v65, s0
	s_add_i32 s0, s0, 1
	v_add_u32_e32 v63, 8, v63
	s_cmp_eq_u32 s18, s0
	s_waitcnt lgkmcnt(0)
	v_cmp_lt_f64_e64 vcc, |v[60:61]|, |v[70:71]|
	v_cndmask_b32_e32 v61, v61, v71, vcc
	v_cndmask_b32_e32 v60, v60, v70, vcc
	;; [unrolled: 1-line block ×3, first 2 shown]
	s_cbranch_scc0 .LBB54_5
.LBB54_6:
	v_cmp_ne_u32_e32 vcc, v68, v62
                                        ; implicit-def: $vgpr65
	s_and_saveexec_b64 s[0:1], vcc
	s_xor_b64 s[0:1], exec, s[0:1]
	s_cbranch_execz .LBB54_12
; %bb.7:
	v_cmp_eq_u32_e32 vcc, 0, v68
	s_and_saveexec_b64 s[2:3], vcc
	s_cbranch_execz .LBB54_11
; %bb.8:
	v_cmp_ne_u32_e32 vcc, 0, v62
	s_xor_b64 s[14:15], s[6:7], -1
	s_and_b64 s[16:17], s[14:15], vcc
	s_and_saveexec_b64 s[14:15], s[16:17]
	s_cbranch_execz .LBB54_10
; %bb.9:
	v_ashrrev_i32_e32 v63, 31, v62
	v_lshlrev_b64 v[70:71], 2, v[62:63]
	v_add_co_u32_e32 v70, vcc, v4, v70
	v_addc_co_u32_e32 v71, vcc, v5, v71, vcc
	flat_load_dword v63, v[70:71]
	flat_load_dword v65, v[4:5]
	s_waitcnt vmcnt(0) lgkmcnt(0)
	flat_store_dword v[4:5], v63
	flat_store_dword v[70:71], v65
.LBB54_10:
	s_or_b64 exec, exec, s[14:15]
	v_mov_b32_e32 v68, v62
.LBB54_11:
	s_or_b64 exec, exec, s[2:3]
	v_mov_b32_e32 v65, v68
                                        ; implicit-def: $vgpr68
.LBB54_12:
	s_or_saveexec_b64 s[0:1], s[0:1]
	v_mov_b32_e32 v63, v65
	s_xor_b64 exec, exec, s[0:1]
	s_cbranch_execz .LBB54_14
; %bb.13:
	v_mov_b32_e32 v65, 0
	v_mov_b32_e32 v63, v68
	s_waitcnt vmcnt(0)
	ds_write2_b64 v64, v[54:55], v[52:53] offset0:1 offset1:2
	ds_write2_b64 v64, v[50:51], v[48:49] offset0:3 offset1:4
	ds_write2_b64 v64, v[46:47], v[44:45] offset0:5 offset1:6
	ds_write2_b64 v64, v[42:43], v[40:41] offset0:7 offset1:8
	ds_write2_b64 v64, v[38:39], v[36:37] offset0:9 offset1:10
	ds_write2_b64 v64, v[34:35], v[32:33] offset0:11 offset1:12
	ds_write2_b64 v64, v[30:31], v[26:27] offset0:13 offset1:14
	ds_write2_b64 v64, v[28:29], v[24:25] offset0:15 offset1:16
	ds_write2_b64 v64, v[22:23], v[20:21] offset0:17 offset1:18
	ds_write2_b64 v64, v[18:19], v[16:17] offset0:19 offset1:20
	ds_write2_b64 v64, v[14:15], v[12:13] offset0:21 offset1:22
	ds_write2_b64 v64, v[10:11], v[8:9] offset0:23 offset1:24
	ds_write2_b64 v64, v[6:7], v[0:1] offset0:25 offset1:26
	ds_write_b64 v64, v[58:59] offset:216
.LBB54_14:
	s_or_b64 exec, exec, s[0:1]
	s_waitcnt lgkmcnt(0)
	v_cmp_eq_f64_e64 s[0:1], 0, v[60:61]
	v_cmp_lt_i32_e32 vcc, 0, v65
	s_barrier
	s_and_saveexec_b64 s[2:3], vcc
	s_cbranch_execz .LBB54_16
; %bb.15:
	v_div_scale_f64 v[70:71], s[14:15], v[60:61], v[60:61], 1.0
	v_rcp_f64_e32 v[72:73], v[70:71]
	v_div_scale_f64 v[74:75], vcc, 1.0, v[60:61], 1.0
	ds_read2_b64 v[78:81], v64 offset0:5 offset1:6
	v_fma_f64 v[76:77], -v[70:71], v[72:73], 1.0
	v_fmac_f64_e32 v[72:73], v[72:73], v[76:77]
	v_fma_f64 v[76:77], -v[70:71], v[72:73], 1.0
	v_fmac_f64_e32 v[72:73], v[72:73], v[76:77]
	v_mul_f64 v[76:77], v[74:75], v[72:73]
	v_fma_f64 v[70:71], -v[70:71], v[76:77], v[74:75]
	v_div_fmas_f64 v[70:71], v[70:71], v[72:73], v[76:77]
	v_div_fixup_f64 v[74:75], v[70:71], v[60:61], 1.0
	ds_read2_b64 v[70:73], v64 offset0:1 offset1:2
	v_cndmask_b32_e64 v61, v75, v61, s[0:1]
	v_cndmask_b32_e64 v60, v74, v60, s[0:1]
	ds_read2_b64 v[74:77], v64 offset0:3 offset1:4
	v_mul_f64 v[56:57], v[60:61], v[56:57]
	s_waitcnt vmcnt(0) lgkmcnt(0)
	v_fma_f64 v[54:55], -v[56:57], v[70:71], v[54:55]
	v_fma_f64 v[52:53], -v[56:57], v[72:73], v[52:53]
	ds_read2_b64 v[70:73], v64 offset0:7 offset1:8
	v_fma_f64 v[50:51], -v[56:57], v[74:75], v[50:51]
	v_fma_f64 v[48:49], -v[56:57], v[76:77], v[48:49]
	v_fma_f64 v[46:47], -v[56:57], v[78:79], v[46:47]
	ds_read2_b64 v[74:77], v64 offset0:9 offset1:10
	v_fma_f64 v[44:45], -v[56:57], v[80:81], v[44:45]
	ds_read2_b64 v[78:81], v64 offset0:11 offset1:12
	s_waitcnt lgkmcnt(2)
	v_fma_f64 v[42:43], -v[56:57], v[70:71], v[42:43]
	v_fma_f64 v[40:41], -v[56:57], v[72:73], v[40:41]
	ds_read2_b64 v[70:73], v64 offset0:13 offset1:14
	s_waitcnt lgkmcnt(2)
	v_fma_f64 v[38:39], -v[56:57], v[74:75], v[38:39]
	;; [unrolled: 4-line block ×3, first 2 shown]
	v_fma_f64 v[32:33], -v[56:57], v[80:81], v[32:33]
	s_waitcnt lgkmcnt(1)
	v_fma_f64 v[30:31], -v[56:57], v[70:71], v[30:31]
	ds_read2_b64 v[78:81], v64 offset0:17 offset1:18
	v_fma_f64 v[26:27], -v[56:57], v[72:73], v[26:27]
	ds_read2_b64 v[70:73], v64 offset0:19 offset1:20
	s_waitcnt lgkmcnt(2)
	v_fma_f64 v[28:29], -v[56:57], v[74:75], v[28:29]
	v_fma_f64 v[24:25], -v[56:57], v[76:77], v[24:25]
	s_waitcnt lgkmcnt(1)
	v_fma_f64 v[22:23], -v[56:57], v[78:79], v[22:23]
	ds_read2_b64 v[74:77], v64 offset0:21 offset1:22
	v_fma_f64 v[20:21], -v[56:57], v[80:81], v[20:21]
	s_waitcnt lgkmcnt(1)
	v_fma_f64 v[18:19], -v[56:57], v[70:71], v[18:19]
	v_fma_f64 v[16:17], -v[56:57], v[72:73], v[16:17]
	ds_read2_b64 v[70:73], v64 offset0:23 offset1:24
	ds_read2_b64 v[78:81], v64 offset0:25 offset1:26
	ds_read_b64 v[60:61], v64 offset:216
	s_waitcnt lgkmcnt(3)
	v_fma_f64 v[14:15], -v[56:57], v[74:75], v[14:15]
	v_fma_f64 v[12:13], -v[56:57], v[76:77], v[12:13]
	s_waitcnt lgkmcnt(2)
	v_fma_f64 v[10:11], -v[56:57], v[70:71], v[10:11]
	v_fma_f64 v[8:9], -v[56:57], v[72:73], v[8:9]
	;; [unrolled: 3-line block ×3, first 2 shown]
	s_waitcnt lgkmcnt(0)
	v_fma_f64 v[58:59], -v[56:57], v[60:61], v[58:59]
.LBB54_16:
	s_or_b64 exec, exec, s[2:3]
	v_lshl_add_u32 v60, v65, 3, v64
	s_barrier
	s_waitcnt vmcnt(0)
	ds_write_b64 v60, v[54:55]
	s_waitcnt lgkmcnt(0)
	s_barrier
	ds_read_b64 v[60:61], v64 offset:8
	s_cmp_lt_i32 s18, 3
	v_mov_b32_e32 v62, 1
	s_cbranch_scc1 .LBB54_19
; %bb.17:
	v_add3_u32 v68, v69, 0, 16
	s_mov_b32 s2, 2
	v_mov_b32_e32 v62, 1
.LBB54_18:                              ; =>This Inner Loop Header: Depth=1
	ds_read_b64 v[70:71], v68
	v_mov_b32_e32 v72, s2
	s_add_i32 s2, s2, 1
	v_add_u32_e32 v68, 8, v68
	s_cmp_lg_u32 s18, s2
	s_waitcnt lgkmcnt(0)
	v_cmp_lt_f64_e64 vcc, |v[60:61]|, |v[70:71]|
	v_cndmask_b32_e32 v61, v61, v71, vcc
	v_cndmask_b32_e32 v60, v60, v70, vcc
	;; [unrolled: 1-line block ×3, first 2 shown]
	s_cbranch_scc1 .LBB54_18
.LBB54_19:
	v_cmp_ne_u32_e32 vcc, v65, v62
	s_and_saveexec_b64 s[2:3], vcc
	s_xor_b64 s[2:3], exec, s[2:3]
	s_cbranch_execz .LBB54_25
; %bb.20:
	v_cmp_eq_u32_e32 vcc, 1, v65
	s_and_saveexec_b64 s[14:15], vcc
	s_cbranch_execz .LBB54_24
; %bb.21:
	v_cmp_ne_u32_e32 vcc, 1, v62
	s_xor_b64 s[16:17], s[6:7], -1
	s_and_b64 s[20:21], s[16:17], vcc
	s_and_saveexec_b64 s[16:17], s[20:21]
	s_cbranch_execz .LBB54_23
; %bb.22:
	v_ashrrev_i32_e32 v63, 31, v62
	v_lshlrev_b64 v[70:71], 2, v[62:63]
	v_add_co_u32_e32 v70, vcc, v4, v70
	v_addc_co_u32_e32 v71, vcc, v5, v71, vcc
	flat_load_dword v63, v[70:71]
	flat_load_dword v65, v[4:5] offset:4
	s_waitcnt vmcnt(0) lgkmcnt(0)
	flat_store_dword v[4:5], v63 offset:4
	flat_store_dword v[70:71], v65
.LBB54_23:
	s_or_b64 exec, exec, s[16:17]
	v_mov_b32_e32 v63, v62
	v_mov_b32_e32 v65, v62
.LBB54_24:
	s_or_b64 exec, exec, s[14:15]
.LBB54_25:
	s_andn2_saveexec_b64 s[2:3], s[2:3]
	s_cbranch_execz .LBB54_27
; %bb.26:
	v_mov_b32_e32 v70, v52
	v_mov_b32_e32 v71, v53
	v_mov_b32_e32 v72, v50
	v_mov_b32_e32 v73, v51
	ds_write2_b64 v64, v[70:71], v[72:73] offset0:2 offset1:3
	v_mov_b32_e32 v70, v48
	v_mov_b32_e32 v71, v49
	v_mov_b32_e32 v72, v46
	v_mov_b32_e32 v73, v47
	ds_write2_b64 v64, v[70:71], v[72:73] offset0:4 offset1:5
	;; [unrolled: 5-line block ×12, first 2 shown]
	v_mov_b32_e32 v70, v0
	v_mov_b32_e32 v71, v1
	;; [unrolled: 1-line block ×3, first 2 shown]
	ds_write2_b64 v64, v[70:71], v[58:59] offset0:26 offset1:27
.LBB54_27:
	s_or_b64 exec, exec, s[2:3]
	s_waitcnt lgkmcnt(0)
	v_cmp_neq_f64_e64 s[2:3], 0, v[60:61]
	v_cmp_lt_i32_e32 vcc, 1, v65
	s_barrier
	s_and_saveexec_b64 s[14:15], vcc
	s_cbranch_execz .LBB54_29
; %bb.28:
	v_div_scale_f64 v[70:71], s[16:17], v[60:61], v[60:61], 1.0
	v_rcp_f64_e32 v[72:73], v[70:71]
	v_div_scale_f64 v[74:75], vcc, 1.0, v[60:61], 1.0
	ds_read2_b64 v[78:81], v64 offset0:6 offset1:7
	v_fma_f64 v[76:77], -v[70:71], v[72:73], 1.0
	v_fmac_f64_e32 v[72:73], v[72:73], v[76:77]
	v_fma_f64 v[76:77], -v[70:71], v[72:73], 1.0
	v_fmac_f64_e32 v[72:73], v[72:73], v[76:77]
	v_mul_f64 v[76:77], v[74:75], v[72:73]
	v_fma_f64 v[70:71], -v[70:71], v[76:77], v[74:75]
	v_div_fmas_f64 v[70:71], v[70:71], v[72:73], v[76:77]
	v_div_fixup_f64 v[74:75], v[70:71], v[60:61], 1.0
	ds_read2_b64 v[70:73], v64 offset0:2 offset1:3
	v_cndmask_b32_e64 v61, v61, v75, s[2:3]
	v_cndmask_b32_e64 v60, v60, v74, s[2:3]
	ds_read2_b64 v[74:77], v64 offset0:4 offset1:5
	v_mul_f64 v[54:55], v[60:61], v[54:55]
	s_waitcnt lgkmcnt(0)
	v_fma_f64 v[52:53], -v[54:55], v[70:71], v[52:53]
	v_fma_f64 v[50:51], -v[54:55], v[72:73], v[50:51]
	ds_read2_b64 v[70:73], v64 offset0:8 offset1:9
	v_fma_f64 v[48:49], -v[54:55], v[74:75], v[48:49]
	v_fma_f64 v[46:47], -v[54:55], v[76:77], v[46:47]
	;; [unrolled: 1-line block ×3, first 2 shown]
	ds_read2_b64 v[74:77], v64 offset0:10 offset1:11
	v_fma_f64 v[42:43], -v[54:55], v[80:81], v[42:43]
	ds_read2_b64 v[78:81], v64 offset0:12 offset1:13
	s_waitcnt lgkmcnt(0)
	v_fma_f64 v[40:41], -v[54:55], v[70:71], v[40:41]
	v_fma_f64 v[38:39], -v[54:55], v[72:73], v[38:39]
	ds_read2_b64 v[70:73], v64 offset0:14 offset1:15
	v_fma_f64 v[36:37], -v[54:55], v[74:75], v[36:37]
	v_fma_f64 v[34:35], -v[54:55], v[76:77], v[34:35]
	ds_read2_b64 v[74:77], v64 offset0:16 offset1:17
	v_fma_f64 v[32:33], -v[54:55], v[78:79], v[32:33]
	v_fma_f64 v[30:31], -v[54:55], v[80:81], v[30:31]
	s_waitcnt lgkmcnt(0)
	v_fma_f64 v[26:27], -v[54:55], v[70:71], v[26:27]
	ds_read2_b64 v[78:81], v64 offset0:18 offset1:19
	v_fma_f64 v[28:29], -v[54:55], v[72:73], v[28:29]
	ds_read2_b64 v[70:73], v64 offset0:20 offset1:21
	v_fma_f64 v[24:25], -v[54:55], v[74:75], v[24:25]
	v_fma_f64 v[22:23], -v[54:55], v[76:77], v[22:23]
	s_waitcnt lgkmcnt(0)
	v_fma_f64 v[20:21], -v[54:55], v[78:79], v[20:21]
	v_fma_f64 v[18:19], -v[54:55], v[80:81], v[18:19]
	ds_read2_b64 v[74:77], v64 offset0:22 offset1:23
	ds_read2_b64 v[78:81], v64 offset0:24 offset1:25
	v_fma_f64 v[16:17], -v[54:55], v[70:71], v[16:17]
	v_fma_f64 v[14:15], -v[54:55], v[72:73], v[14:15]
	ds_read2_b64 v[70:73], v64 offset0:26 offset1:27
	s_waitcnt lgkmcnt(0)
	v_fma_f64 v[12:13], -v[54:55], v[74:75], v[12:13]
	v_fma_f64 v[10:11], -v[54:55], v[76:77], v[10:11]
	;; [unrolled: 1-line block ×6, first 2 shown]
.LBB54_29:
	s_or_b64 exec, exec, s[14:15]
	v_lshl_add_u32 v60, v65, 3, v64
	s_barrier
	ds_write_b64 v60, v[52:53]
	s_waitcnt lgkmcnt(0)
	s_barrier
	ds_read_b64 v[60:61], v64 offset:16
	s_mov_b32 s9, 3
	s_cmp_lt_i32 s18, 4
	v_mov_b32_e32 v62, 2
	s_cbranch_scc1 .LBB54_32
; %bb.30:
	v_add3_u32 v68, v69, 0, 24
	v_mov_b32_e32 v62, 2
.LBB54_31:                              ; =>This Inner Loop Header: Depth=1
	ds_read_b64 v[70:71], v68
	v_mov_b32_e32 v72, s9
	s_add_i32 s9, s9, 1
	v_add_u32_e32 v68, 8, v68
	s_cmp_lg_u32 s18, s9
	s_waitcnt lgkmcnt(0)
	v_cmp_lt_f64_e64 vcc, |v[60:61]|, |v[70:71]|
	v_cndmask_b32_e32 v61, v61, v71, vcc
	v_cndmask_b32_e32 v60, v60, v70, vcc
	;; [unrolled: 1-line block ×3, first 2 shown]
	s_cbranch_scc1 .LBB54_31
.LBB54_32:
	v_cndmask_b32_e64 v68, 2, 1, s[0:1]
	v_cndmask_b32_e64 v70, 0, 1, s[0:1]
	v_cndmask_b32_e64 v68, v68, v70, s[2:3]
	s_waitcnt lgkmcnt(0)
	v_cmp_eq_f64_e32 vcc, 0, v[60:61]
	s_and_saveexec_b64 s[0:1], vcc
	s_xor_b64 s[0:1], exec, s[0:1]
; %bb.33:
	v_cmp_ne_u32_e32 vcc, 0, v68
	v_cndmask_b32_e32 v68, 3, v68, vcc
; %bb.34:
	s_andn2_saveexec_b64 s[0:1], s[0:1]
; %bb.35:
	v_div_scale_f64 v[70:71], s[2:3], v[60:61], v[60:61], 1.0
	v_rcp_f64_e32 v[72:73], v[70:71]
	v_div_scale_f64 v[74:75], vcc, 1.0, v[60:61], 1.0
	v_fma_f64 v[76:77], -v[70:71], v[72:73], 1.0
	v_fmac_f64_e32 v[72:73], v[72:73], v[76:77]
	v_fma_f64 v[76:77], -v[70:71], v[72:73], 1.0
	v_fmac_f64_e32 v[72:73], v[72:73], v[76:77]
	v_mul_f64 v[76:77], v[74:75], v[72:73]
	v_fma_f64 v[70:71], -v[70:71], v[76:77], v[74:75]
	v_div_fmas_f64 v[70:71], v[70:71], v[72:73], v[76:77]
	v_div_fixup_f64 v[60:61], v[70:71], v[60:61], 1.0
; %bb.36:
	s_or_b64 exec, exec, s[0:1]
	v_cmp_ne_u32_e32 vcc, v65, v62
	s_and_saveexec_b64 s[0:1], vcc
	s_xor_b64 s[0:1], exec, s[0:1]
	s_cbranch_execz .LBB54_42
; %bb.37:
	v_cmp_eq_u32_e32 vcc, 2, v65
	s_and_saveexec_b64 s[2:3], vcc
	s_cbranch_execz .LBB54_41
; %bb.38:
	v_cmp_ne_u32_e32 vcc, 2, v62
	s_xor_b64 s[14:15], s[6:7], -1
	s_and_b64 s[16:17], s[14:15], vcc
	s_and_saveexec_b64 s[14:15], s[16:17]
	s_cbranch_execz .LBB54_40
; %bb.39:
	v_ashrrev_i32_e32 v63, 31, v62
	v_lshlrev_b64 v[70:71], 2, v[62:63]
	v_add_co_u32_e32 v70, vcc, v4, v70
	v_addc_co_u32_e32 v71, vcc, v5, v71, vcc
	flat_load_dword v63, v[70:71]
	flat_load_dword v65, v[4:5] offset:8
	s_waitcnt vmcnt(0) lgkmcnt(0)
	flat_store_dword v[4:5], v63 offset:8
	flat_store_dword v[70:71], v65
.LBB54_40:
	s_or_b64 exec, exec, s[14:15]
	v_mov_b32_e32 v63, v62
	v_mov_b32_e32 v65, v62
.LBB54_41:
	s_or_b64 exec, exec, s[2:3]
.LBB54_42:
	s_andn2_saveexec_b64 s[0:1], s[0:1]
	s_cbranch_execz .LBB54_44
; %bb.43:
	v_mov_b32_e32 v65, 2
	ds_write2_b64 v64, v[50:51], v[48:49] offset0:3 offset1:4
	ds_write2_b64 v64, v[46:47], v[44:45] offset0:5 offset1:6
	;; [unrolled: 1-line block ×12, first 2 shown]
	ds_write_b64 v64, v[58:59] offset:216
.LBB54_44:
	s_or_b64 exec, exec, s[0:1]
	v_cmp_lt_i32_e32 vcc, 2, v65
	s_waitcnt lgkmcnt(0)
	s_barrier
	s_and_saveexec_b64 s[0:1], vcc
	s_cbranch_execz .LBB54_46
; %bb.45:
	ds_read2_b64 v[70:73], v64 offset0:3 offset1:4
	ds_read2_b64 v[74:77], v64 offset0:5 offset1:6
	;; [unrolled: 1-line block ×3, first 2 shown]
	v_mul_f64 v[52:53], v[60:61], v[52:53]
	ds_read_b64 v[60:61], v64 offset:216
	s_waitcnt lgkmcnt(0)
	v_fma_f64 v[50:51], -v[52:53], v[70:71], v[50:51]
	v_fma_f64 v[48:49], -v[52:53], v[72:73], v[48:49]
	ds_read2_b64 v[70:73], v64 offset0:9 offset1:10
	v_fma_f64 v[46:47], -v[52:53], v[74:75], v[46:47]
	v_fma_f64 v[44:45], -v[52:53], v[76:77], v[44:45]
	v_fma_f64 v[42:43], -v[52:53], v[78:79], v[42:43]
	ds_read2_b64 v[74:77], v64 offset0:11 offset1:12
	v_fma_f64 v[40:41], -v[52:53], v[80:81], v[40:41]
	ds_read2_b64 v[78:81], v64 offset0:13 offset1:14
	s_waitcnt lgkmcnt(0)
	v_fma_f64 v[38:39], -v[52:53], v[70:71], v[38:39]
	v_fma_f64 v[36:37], -v[52:53], v[72:73], v[36:37]
	;; [unrolled: 1-line block ×3, first 2 shown]
	ds_read2_b64 v[70:73], v64 offset0:15 offset1:16
	v_fma_f64 v[32:33], -v[52:53], v[76:77], v[32:33]
	ds_read2_b64 v[74:77], v64 offset0:17 offset1:18
	v_fma_f64 v[30:31], -v[52:53], v[78:79], v[30:31]
	v_fma_f64 v[26:27], -v[52:53], v[80:81], v[26:27]
	ds_read2_b64 v[78:81], v64 offset0:19 offset1:20
	s_waitcnt lgkmcnt(0)
	v_fma_f64 v[28:29], -v[52:53], v[70:71], v[28:29]
	v_fma_f64 v[24:25], -v[52:53], v[72:73], v[24:25]
	ds_read2_b64 v[70:73], v64 offset0:21 offset1:22
	v_fma_f64 v[22:23], -v[52:53], v[74:75], v[22:23]
	v_fma_f64 v[20:21], -v[52:53], v[76:77], v[20:21]
	;; [unrolled: 1-line block ×4, first 2 shown]
	ds_read2_b64 v[74:77], v64 offset0:23 offset1:24
	ds_read2_b64 v[78:81], v64 offset0:25 offset1:26
	s_waitcnt lgkmcnt(0)
	v_fma_f64 v[14:15], -v[52:53], v[70:71], v[14:15]
	v_fma_f64 v[12:13], -v[52:53], v[72:73], v[12:13]
	;; [unrolled: 1-line block ×7, first 2 shown]
.LBB54_46:
	s_or_b64 exec, exec, s[0:1]
	v_lshl_add_u32 v60, v65, 3, v64
	s_barrier
	ds_write_b64 v60, v[50:51]
	s_waitcnt lgkmcnt(0)
	s_barrier
	ds_read_b64 v[60:61], v64 offset:24
	s_cmp_lt_i32 s18, 5
	v_mov_b32_e32 v62, 3
	s_cbranch_scc1 .LBB54_49
; %bb.47:
	v_add3_u32 v70, v69, 0, 32
	s_mov_b32 s0, 4
	v_mov_b32_e32 v62, 3
.LBB54_48:                              ; =>This Inner Loop Header: Depth=1
	ds_read_b64 v[72:73], v70
	v_mov_b32_e32 v71, s0
	s_add_i32 s0, s0, 1
	v_add_u32_e32 v70, 8, v70
	s_cmp_lg_u32 s18, s0
	s_waitcnt lgkmcnt(0)
	v_cmp_lt_f64_e64 vcc, |v[60:61]|, |v[72:73]|
	v_cndmask_b32_e32 v61, v61, v73, vcc
	v_cndmask_b32_e32 v60, v60, v72, vcc
	;; [unrolled: 1-line block ×3, first 2 shown]
	s_cbranch_scc1 .LBB54_48
.LBB54_49:
	s_waitcnt lgkmcnt(0)
	v_cmp_eq_f64_e32 vcc, 0, v[60:61]
	s_and_saveexec_b64 s[0:1], vcc
	s_xor_b64 s[0:1], exec, s[0:1]
; %bb.50:
	v_cmp_ne_u32_e32 vcc, 0, v68
	v_cndmask_b32_e32 v68, 4, v68, vcc
; %bb.51:
	s_andn2_saveexec_b64 s[0:1], s[0:1]
; %bb.52:
	v_div_scale_f64 v[70:71], s[2:3], v[60:61], v[60:61], 1.0
	v_rcp_f64_e32 v[72:73], v[70:71]
	v_div_scale_f64 v[74:75], vcc, 1.0, v[60:61], 1.0
	v_fma_f64 v[76:77], -v[70:71], v[72:73], 1.0
	v_fmac_f64_e32 v[72:73], v[72:73], v[76:77]
	v_fma_f64 v[76:77], -v[70:71], v[72:73], 1.0
	v_fmac_f64_e32 v[72:73], v[72:73], v[76:77]
	v_mul_f64 v[76:77], v[74:75], v[72:73]
	v_fma_f64 v[70:71], -v[70:71], v[76:77], v[74:75]
	v_div_fmas_f64 v[70:71], v[70:71], v[72:73], v[76:77]
	v_div_fixup_f64 v[60:61], v[70:71], v[60:61], 1.0
; %bb.53:
	s_or_b64 exec, exec, s[0:1]
	v_cmp_ne_u32_e32 vcc, v65, v62
	s_and_saveexec_b64 s[0:1], vcc
	s_xor_b64 s[0:1], exec, s[0:1]
	s_cbranch_execz .LBB54_59
; %bb.54:
	v_cmp_eq_u32_e32 vcc, 3, v65
	s_and_saveexec_b64 s[2:3], vcc
	s_cbranch_execz .LBB54_58
; %bb.55:
	v_cmp_ne_u32_e32 vcc, 3, v62
	s_xor_b64 s[14:15], s[6:7], -1
	s_and_b64 s[16:17], s[14:15], vcc
	s_and_saveexec_b64 s[14:15], s[16:17]
	s_cbranch_execz .LBB54_57
; %bb.56:
	v_ashrrev_i32_e32 v63, 31, v62
	v_lshlrev_b64 v[70:71], 2, v[62:63]
	v_add_co_u32_e32 v70, vcc, v4, v70
	v_addc_co_u32_e32 v71, vcc, v5, v71, vcc
	flat_load_dword v63, v[70:71]
	flat_load_dword v65, v[4:5] offset:12
	s_waitcnt vmcnt(0) lgkmcnt(0)
	flat_store_dword v[4:5], v63 offset:12
	flat_store_dword v[70:71], v65
.LBB54_57:
	s_or_b64 exec, exec, s[14:15]
	v_mov_b32_e32 v63, v62
	v_mov_b32_e32 v65, v62
.LBB54_58:
	s_or_b64 exec, exec, s[2:3]
.LBB54_59:
	s_andn2_saveexec_b64 s[0:1], s[0:1]
	s_cbranch_execz .LBB54_61
; %bb.60:
	v_mov_b32_e32 v70, v48
	v_mov_b32_e32 v71, v49
	v_mov_b32_e32 v72, v46
	v_mov_b32_e32 v73, v47
	ds_write2_b64 v64, v[70:71], v[72:73] offset0:4 offset1:5
	v_mov_b32_e32 v70, v44
	v_mov_b32_e32 v71, v45
	v_mov_b32_e32 v72, v42
	v_mov_b32_e32 v73, v43
	ds_write2_b64 v64, v[70:71], v[72:73] offset0:6 offset1:7
	;; [unrolled: 5-line block ×11, first 2 shown]
	v_mov_b32_e32 v70, v0
	v_mov_b32_e32 v71, v1
	;; [unrolled: 1-line block ×3, first 2 shown]
	ds_write2_b64 v64, v[70:71], v[58:59] offset0:26 offset1:27
.LBB54_61:
	s_or_b64 exec, exec, s[0:1]
	v_cmp_lt_i32_e32 vcc, 3, v65
	s_waitcnt lgkmcnt(0)
	s_barrier
	s_and_saveexec_b64 s[0:1], vcc
	s_cbranch_execz .LBB54_63
; %bb.62:
	ds_read2_b64 v[70:73], v64 offset0:4 offset1:5
	ds_read2_b64 v[74:77], v64 offset0:6 offset1:7
	;; [unrolled: 1-line block ×3, first 2 shown]
	v_mul_f64 v[50:51], v[60:61], v[50:51]
	s_waitcnt lgkmcnt(0)
	v_fma_f64 v[48:49], -v[50:51], v[70:71], v[48:49]
	v_fma_f64 v[46:47], -v[50:51], v[72:73], v[46:47]
	ds_read2_b64 v[70:73], v64 offset0:10 offset1:11
	v_fma_f64 v[44:45], -v[50:51], v[74:75], v[44:45]
	v_fma_f64 v[42:43], -v[50:51], v[76:77], v[42:43]
	;; [unrolled: 1-line block ×3, first 2 shown]
	ds_read2_b64 v[74:77], v64 offset0:12 offset1:13
	v_fma_f64 v[38:39], -v[50:51], v[80:81], v[38:39]
	ds_read2_b64 v[78:81], v64 offset0:14 offset1:15
	s_waitcnt lgkmcnt(0)
	v_fma_f64 v[36:37], -v[50:51], v[70:71], v[36:37]
	v_fma_f64 v[34:35], -v[50:51], v[72:73], v[34:35]
	;; [unrolled: 1-line block ×3, first 2 shown]
	ds_read2_b64 v[70:73], v64 offset0:16 offset1:17
	v_fma_f64 v[30:31], -v[50:51], v[76:77], v[30:31]
	ds_read2_b64 v[74:77], v64 offset0:18 offset1:19
	v_fma_f64 v[26:27], -v[50:51], v[78:79], v[26:27]
	v_fma_f64 v[28:29], -v[50:51], v[80:81], v[28:29]
	ds_read2_b64 v[78:81], v64 offset0:20 offset1:21
	s_waitcnt lgkmcnt(0)
	v_fma_f64 v[24:25], -v[50:51], v[70:71], v[24:25]
	v_fma_f64 v[22:23], -v[50:51], v[72:73], v[22:23]
	ds_read2_b64 v[70:73], v64 offset0:22 offset1:23
	v_fma_f64 v[20:21], -v[50:51], v[74:75], v[20:21]
	v_fma_f64 v[18:19], -v[50:51], v[76:77], v[18:19]
	;; [unrolled: 1-line block ×3, first 2 shown]
	ds_read2_b64 v[74:77], v64 offset0:24 offset1:25
	v_fma_f64 v[14:15], -v[50:51], v[80:81], v[14:15]
	ds_read2_b64 v[78:81], v64 offset0:26 offset1:27
	s_waitcnt lgkmcnt(0)
	v_fma_f64 v[12:13], -v[50:51], v[70:71], v[12:13]
	v_fma_f64 v[10:11], -v[50:51], v[72:73], v[10:11]
	;; [unrolled: 1-line block ×6, first 2 shown]
.LBB54_63:
	s_or_b64 exec, exec, s[0:1]
	v_lshl_add_u32 v60, v65, 3, v64
	s_barrier
	ds_write_b64 v60, v[48:49]
	s_waitcnt lgkmcnt(0)
	s_barrier
	ds_read_b64 v[60:61], v64 offset:32
	s_cmp_lt_i32 s18, 6
	v_mov_b32_e32 v62, 4
	s_cbranch_scc1 .LBB54_66
; %bb.64:
	v_add3_u32 v70, v69, 0, 40
	s_mov_b32 s0, 5
	v_mov_b32_e32 v62, 4
.LBB54_65:                              ; =>This Inner Loop Header: Depth=1
	ds_read_b64 v[72:73], v70
	v_mov_b32_e32 v71, s0
	s_add_i32 s0, s0, 1
	v_add_u32_e32 v70, 8, v70
	s_cmp_lg_u32 s18, s0
	s_waitcnt lgkmcnt(0)
	v_cmp_lt_f64_e64 vcc, |v[60:61]|, |v[72:73]|
	v_cndmask_b32_e32 v61, v61, v73, vcc
	v_cndmask_b32_e32 v60, v60, v72, vcc
	;; [unrolled: 1-line block ×3, first 2 shown]
	s_cbranch_scc1 .LBB54_65
.LBB54_66:
	s_waitcnt lgkmcnt(0)
	v_cmp_eq_f64_e32 vcc, 0, v[60:61]
	s_and_saveexec_b64 s[0:1], vcc
	s_xor_b64 s[0:1], exec, s[0:1]
; %bb.67:
	v_cmp_ne_u32_e32 vcc, 0, v68
	v_cndmask_b32_e32 v68, 5, v68, vcc
; %bb.68:
	s_andn2_saveexec_b64 s[0:1], s[0:1]
; %bb.69:
	v_div_scale_f64 v[70:71], s[2:3], v[60:61], v[60:61], 1.0
	v_rcp_f64_e32 v[72:73], v[70:71]
	v_div_scale_f64 v[74:75], vcc, 1.0, v[60:61], 1.0
	v_fma_f64 v[76:77], -v[70:71], v[72:73], 1.0
	v_fmac_f64_e32 v[72:73], v[72:73], v[76:77]
	v_fma_f64 v[76:77], -v[70:71], v[72:73], 1.0
	v_fmac_f64_e32 v[72:73], v[72:73], v[76:77]
	v_mul_f64 v[76:77], v[74:75], v[72:73]
	v_fma_f64 v[70:71], -v[70:71], v[76:77], v[74:75]
	v_div_fmas_f64 v[70:71], v[70:71], v[72:73], v[76:77]
	v_div_fixup_f64 v[60:61], v[70:71], v[60:61], 1.0
; %bb.70:
	s_or_b64 exec, exec, s[0:1]
	v_cmp_ne_u32_e32 vcc, v65, v62
	s_and_saveexec_b64 s[0:1], vcc
	s_xor_b64 s[0:1], exec, s[0:1]
	s_cbranch_execz .LBB54_76
; %bb.71:
	v_cmp_eq_u32_e32 vcc, 4, v65
	s_and_saveexec_b64 s[2:3], vcc
	s_cbranch_execz .LBB54_75
; %bb.72:
	v_cmp_ne_u32_e32 vcc, 4, v62
	s_xor_b64 s[14:15], s[6:7], -1
	s_and_b64 s[16:17], s[14:15], vcc
	s_and_saveexec_b64 s[14:15], s[16:17]
	s_cbranch_execz .LBB54_74
; %bb.73:
	v_ashrrev_i32_e32 v63, 31, v62
	v_lshlrev_b64 v[70:71], 2, v[62:63]
	v_add_co_u32_e32 v70, vcc, v4, v70
	v_addc_co_u32_e32 v71, vcc, v5, v71, vcc
	flat_load_dword v63, v[70:71]
	flat_load_dword v65, v[4:5] offset:16
	s_waitcnt vmcnt(0) lgkmcnt(0)
	flat_store_dword v[4:5], v63 offset:16
	flat_store_dword v[70:71], v65
.LBB54_74:
	s_or_b64 exec, exec, s[14:15]
	v_mov_b32_e32 v63, v62
	v_mov_b32_e32 v65, v62
.LBB54_75:
	s_or_b64 exec, exec, s[2:3]
.LBB54_76:
	s_andn2_saveexec_b64 s[0:1], s[0:1]
	s_cbranch_execz .LBB54_78
; %bb.77:
	v_mov_b32_e32 v65, 4
	ds_write2_b64 v64, v[46:47], v[44:45] offset0:5 offset1:6
	ds_write2_b64 v64, v[42:43], v[40:41] offset0:7 offset1:8
	ds_write2_b64 v64, v[38:39], v[36:37] offset0:9 offset1:10
	ds_write2_b64 v64, v[34:35], v[32:33] offset0:11 offset1:12
	ds_write2_b64 v64, v[30:31], v[26:27] offset0:13 offset1:14
	ds_write2_b64 v64, v[28:29], v[24:25] offset0:15 offset1:16
	ds_write2_b64 v64, v[22:23], v[20:21] offset0:17 offset1:18
	ds_write2_b64 v64, v[18:19], v[16:17] offset0:19 offset1:20
	ds_write2_b64 v64, v[14:15], v[12:13] offset0:21 offset1:22
	ds_write2_b64 v64, v[10:11], v[8:9] offset0:23 offset1:24
	ds_write2_b64 v64, v[6:7], v[0:1] offset0:25 offset1:26
	ds_write_b64 v64, v[58:59] offset:216
.LBB54_78:
	s_or_b64 exec, exec, s[0:1]
	v_cmp_lt_i32_e32 vcc, 4, v65
	s_waitcnt lgkmcnt(0)
	s_barrier
	s_and_saveexec_b64 s[0:1], vcc
	s_cbranch_execz .LBB54_80
; %bb.79:
	ds_read2_b64 v[70:73], v64 offset0:5 offset1:6
	ds_read2_b64 v[74:77], v64 offset0:7 offset1:8
	v_mul_f64 v[48:49], v[60:61], v[48:49]
	ds_read2_b64 v[78:81], v64 offset0:9 offset1:10
	ds_read_b64 v[60:61], v64 offset:216
	s_waitcnt lgkmcnt(0)
	v_fma_f64 v[46:47], -v[48:49], v[70:71], v[46:47]
	v_fma_f64 v[44:45], -v[48:49], v[72:73], v[44:45]
	ds_read2_b64 v[70:73], v64 offset0:11 offset1:12
	v_fma_f64 v[42:43], -v[48:49], v[74:75], v[42:43]
	v_fma_f64 v[40:41], -v[48:49], v[76:77], v[40:41]
	ds_read2_b64 v[74:77], v64 offset0:13 offset1:14
	;; [unrolled: 3-line block ×3, first 2 shown]
	s_waitcnt lgkmcnt(0)
	v_fma_f64 v[34:35], -v[48:49], v[70:71], v[34:35]
	v_fma_f64 v[32:33], -v[48:49], v[72:73], v[32:33]
	;; [unrolled: 1-line block ×3, first 2 shown]
	ds_read2_b64 v[70:73], v64 offset0:17 offset1:18
	v_fma_f64 v[26:27], -v[48:49], v[76:77], v[26:27]
	ds_read2_b64 v[74:77], v64 offset0:19 offset1:20
	v_fma_f64 v[28:29], -v[48:49], v[78:79], v[28:29]
	v_fma_f64 v[24:25], -v[48:49], v[80:81], v[24:25]
	s_waitcnt lgkmcnt(0)
	v_fma_f64 v[22:23], -v[48:49], v[70:71], v[22:23]
	ds_read2_b64 v[78:81], v64 offset0:21 offset1:22
	v_fma_f64 v[20:21], -v[48:49], v[72:73], v[20:21]
	ds_read2_b64 v[70:73], v64 offset0:23 offset1:24
	v_fma_f64 v[18:19], -v[48:49], v[74:75], v[18:19]
	v_fma_f64 v[16:17], -v[48:49], v[76:77], v[16:17]
	ds_read2_b64 v[74:77], v64 offset0:25 offset1:26
	s_waitcnt lgkmcnt(0)
	v_fma_f64 v[14:15], -v[48:49], v[78:79], v[14:15]
	v_fma_f64 v[12:13], -v[48:49], v[80:81], v[12:13]
	;; [unrolled: 1-line block ×7, first 2 shown]
.LBB54_80:
	s_or_b64 exec, exec, s[0:1]
	v_lshl_add_u32 v60, v65, 3, v64
	s_barrier
	ds_write_b64 v60, v[46:47]
	s_waitcnt lgkmcnt(0)
	s_barrier
	ds_read_b64 v[60:61], v64 offset:40
	s_cmp_lt_i32 s18, 7
	v_mov_b32_e32 v62, 5
	s_cbranch_scc1 .LBB54_83
; %bb.81:
	v_add3_u32 v70, v69, 0, 48
	s_mov_b32 s0, 6
	v_mov_b32_e32 v62, 5
.LBB54_82:                              ; =>This Inner Loop Header: Depth=1
	ds_read_b64 v[72:73], v70
	v_mov_b32_e32 v71, s0
	s_add_i32 s0, s0, 1
	v_add_u32_e32 v70, 8, v70
	s_cmp_lg_u32 s18, s0
	s_waitcnt lgkmcnt(0)
	v_cmp_lt_f64_e64 vcc, |v[60:61]|, |v[72:73]|
	v_cndmask_b32_e32 v61, v61, v73, vcc
	v_cndmask_b32_e32 v60, v60, v72, vcc
	;; [unrolled: 1-line block ×3, first 2 shown]
	s_cbranch_scc1 .LBB54_82
.LBB54_83:
	s_waitcnt lgkmcnt(0)
	v_cmp_eq_f64_e32 vcc, 0, v[60:61]
	s_and_saveexec_b64 s[0:1], vcc
	s_xor_b64 s[0:1], exec, s[0:1]
; %bb.84:
	v_cmp_ne_u32_e32 vcc, 0, v68
	v_cndmask_b32_e32 v68, 6, v68, vcc
; %bb.85:
	s_andn2_saveexec_b64 s[0:1], s[0:1]
; %bb.86:
	v_div_scale_f64 v[70:71], s[2:3], v[60:61], v[60:61], 1.0
	v_rcp_f64_e32 v[72:73], v[70:71]
	v_div_scale_f64 v[74:75], vcc, 1.0, v[60:61], 1.0
	v_fma_f64 v[76:77], -v[70:71], v[72:73], 1.0
	v_fmac_f64_e32 v[72:73], v[72:73], v[76:77]
	v_fma_f64 v[76:77], -v[70:71], v[72:73], 1.0
	v_fmac_f64_e32 v[72:73], v[72:73], v[76:77]
	v_mul_f64 v[76:77], v[74:75], v[72:73]
	v_fma_f64 v[70:71], -v[70:71], v[76:77], v[74:75]
	v_div_fmas_f64 v[70:71], v[70:71], v[72:73], v[76:77]
	v_div_fixup_f64 v[60:61], v[70:71], v[60:61], 1.0
; %bb.87:
	s_or_b64 exec, exec, s[0:1]
	v_cmp_ne_u32_e32 vcc, v65, v62
	s_and_saveexec_b64 s[0:1], vcc
	s_xor_b64 s[0:1], exec, s[0:1]
	s_cbranch_execz .LBB54_93
; %bb.88:
	v_cmp_eq_u32_e32 vcc, 5, v65
	s_and_saveexec_b64 s[2:3], vcc
	s_cbranch_execz .LBB54_92
; %bb.89:
	v_cmp_ne_u32_e32 vcc, 5, v62
	s_xor_b64 s[14:15], s[6:7], -1
	s_and_b64 s[16:17], s[14:15], vcc
	s_and_saveexec_b64 s[14:15], s[16:17]
	s_cbranch_execz .LBB54_91
; %bb.90:
	v_ashrrev_i32_e32 v63, 31, v62
	v_lshlrev_b64 v[70:71], 2, v[62:63]
	v_add_co_u32_e32 v70, vcc, v4, v70
	v_addc_co_u32_e32 v71, vcc, v5, v71, vcc
	flat_load_dword v63, v[70:71]
	flat_load_dword v65, v[4:5] offset:20
	s_waitcnt vmcnt(0) lgkmcnt(0)
	flat_store_dword v[4:5], v63 offset:20
	flat_store_dword v[70:71], v65
.LBB54_91:
	s_or_b64 exec, exec, s[14:15]
	v_mov_b32_e32 v63, v62
	v_mov_b32_e32 v65, v62
.LBB54_92:
	s_or_b64 exec, exec, s[2:3]
.LBB54_93:
	s_andn2_saveexec_b64 s[0:1], s[0:1]
	s_cbranch_execz .LBB54_95
; %bb.94:
	v_mov_b32_e32 v70, v44
	v_mov_b32_e32 v71, v45
	v_mov_b32_e32 v72, v42
	v_mov_b32_e32 v73, v43
	ds_write2_b64 v64, v[70:71], v[72:73] offset0:6 offset1:7
	v_mov_b32_e32 v70, v40
	v_mov_b32_e32 v71, v41
	v_mov_b32_e32 v72, v38
	v_mov_b32_e32 v73, v39
	ds_write2_b64 v64, v[70:71], v[72:73] offset0:8 offset1:9
	;; [unrolled: 5-line block ×10, first 2 shown]
	v_mov_b32_e32 v70, v0
	v_mov_b32_e32 v71, v1
	;; [unrolled: 1-line block ×3, first 2 shown]
	ds_write2_b64 v64, v[70:71], v[58:59] offset0:26 offset1:27
.LBB54_95:
	s_or_b64 exec, exec, s[0:1]
	v_cmp_lt_i32_e32 vcc, 5, v65
	s_waitcnt lgkmcnt(0)
	s_barrier
	s_and_saveexec_b64 s[0:1], vcc
	s_cbranch_execz .LBB54_97
; %bb.96:
	ds_read2_b64 v[70:73], v64 offset0:6 offset1:7
	ds_read2_b64 v[74:77], v64 offset0:8 offset1:9
	v_mul_f64 v[46:47], v[60:61], v[46:47]
	ds_read2_b64 v[78:81], v64 offset0:10 offset1:11
	s_waitcnt lgkmcnt(0)
	v_fma_f64 v[44:45], -v[46:47], v[70:71], v[44:45]
	v_fma_f64 v[42:43], -v[46:47], v[72:73], v[42:43]
	ds_read2_b64 v[70:73], v64 offset0:12 offset1:13
	v_fma_f64 v[40:41], -v[46:47], v[74:75], v[40:41]
	v_fma_f64 v[38:39], -v[46:47], v[76:77], v[38:39]
	ds_read2_b64 v[74:77], v64 offset0:14 offset1:15
	;; [unrolled: 3-line block ×3, first 2 shown]
	s_waitcnt lgkmcnt(0)
	v_fma_f64 v[32:33], -v[46:47], v[70:71], v[32:33]
	v_fma_f64 v[30:31], -v[46:47], v[72:73], v[30:31]
	;; [unrolled: 1-line block ×3, first 2 shown]
	ds_read2_b64 v[70:73], v64 offset0:18 offset1:19
	v_fma_f64 v[28:29], -v[46:47], v[76:77], v[28:29]
	ds_read2_b64 v[74:77], v64 offset0:20 offset1:21
	v_fma_f64 v[24:25], -v[46:47], v[78:79], v[24:25]
	v_fma_f64 v[22:23], -v[46:47], v[80:81], v[22:23]
	s_waitcnt lgkmcnt(0)
	v_fma_f64 v[20:21], -v[46:47], v[70:71], v[20:21]
	v_fma_f64 v[18:19], -v[46:47], v[72:73], v[18:19]
	ds_read2_b64 v[70:73], v64 offset0:22 offset1:23
	ds_read2_b64 v[78:81], v64 offset0:24 offset1:25
	v_fma_f64 v[16:17], -v[46:47], v[74:75], v[16:17]
	v_fma_f64 v[14:15], -v[46:47], v[76:77], v[14:15]
	ds_read2_b64 v[74:77], v64 offset0:26 offset1:27
	s_waitcnt lgkmcnt(0)
	v_fma_f64 v[12:13], -v[46:47], v[70:71], v[12:13]
	v_fma_f64 v[10:11], -v[46:47], v[72:73], v[10:11]
	;; [unrolled: 1-line block ×6, first 2 shown]
.LBB54_97:
	s_or_b64 exec, exec, s[0:1]
	v_lshl_add_u32 v60, v65, 3, v64
	s_barrier
	ds_write_b64 v60, v[44:45]
	s_waitcnt lgkmcnt(0)
	s_barrier
	ds_read_b64 v[60:61], v64 offset:48
	s_cmp_lt_i32 s18, 8
	v_mov_b32_e32 v62, 6
	s_cbranch_scc1 .LBB54_100
; %bb.98:
	v_add3_u32 v70, v69, 0, 56
	s_mov_b32 s0, 7
	v_mov_b32_e32 v62, 6
.LBB54_99:                              ; =>This Inner Loop Header: Depth=1
	ds_read_b64 v[72:73], v70
	v_mov_b32_e32 v71, s0
	s_add_i32 s0, s0, 1
	v_add_u32_e32 v70, 8, v70
	s_cmp_lg_u32 s18, s0
	s_waitcnt lgkmcnt(0)
	v_cmp_lt_f64_e64 vcc, |v[60:61]|, |v[72:73]|
	v_cndmask_b32_e32 v61, v61, v73, vcc
	v_cndmask_b32_e32 v60, v60, v72, vcc
	;; [unrolled: 1-line block ×3, first 2 shown]
	s_cbranch_scc1 .LBB54_99
.LBB54_100:
	s_waitcnt lgkmcnt(0)
	v_cmp_eq_f64_e32 vcc, 0, v[60:61]
	s_and_saveexec_b64 s[0:1], vcc
	s_xor_b64 s[0:1], exec, s[0:1]
; %bb.101:
	v_cmp_ne_u32_e32 vcc, 0, v68
	v_cndmask_b32_e32 v68, 7, v68, vcc
; %bb.102:
	s_andn2_saveexec_b64 s[0:1], s[0:1]
; %bb.103:
	v_div_scale_f64 v[70:71], s[2:3], v[60:61], v[60:61], 1.0
	v_rcp_f64_e32 v[72:73], v[70:71]
	v_div_scale_f64 v[74:75], vcc, 1.0, v[60:61], 1.0
	v_fma_f64 v[76:77], -v[70:71], v[72:73], 1.0
	v_fmac_f64_e32 v[72:73], v[72:73], v[76:77]
	v_fma_f64 v[76:77], -v[70:71], v[72:73], 1.0
	v_fmac_f64_e32 v[72:73], v[72:73], v[76:77]
	v_mul_f64 v[76:77], v[74:75], v[72:73]
	v_fma_f64 v[70:71], -v[70:71], v[76:77], v[74:75]
	v_div_fmas_f64 v[70:71], v[70:71], v[72:73], v[76:77]
	v_div_fixup_f64 v[60:61], v[70:71], v[60:61], 1.0
; %bb.104:
	s_or_b64 exec, exec, s[0:1]
	v_cmp_ne_u32_e32 vcc, v65, v62
	s_and_saveexec_b64 s[0:1], vcc
	s_xor_b64 s[0:1], exec, s[0:1]
	s_cbranch_execz .LBB54_110
; %bb.105:
	v_cmp_eq_u32_e32 vcc, 6, v65
	s_and_saveexec_b64 s[2:3], vcc
	s_cbranch_execz .LBB54_109
; %bb.106:
	v_cmp_ne_u32_e32 vcc, 6, v62
	s_xor_b64 s[14:15], s[6:7], -1
	s_and_b64 s[16:17], s[14:15], vcc
	s_and_saveexec_b64 s[14:15], s[16:17]
	s_cbranch_execz .LBB54_108
; %bb.107:
	v_ashrrev_i32_e32 v63, 31, v62
	v_lshlrev_b64 v[70:71], 2, v[62:63]
	v_add_co_u32_e32 v70, vcc, v4, v70
	v_addc_co_u32_e32 v71, vcc, v5, v71, vcc
	flat_load_dword v63, v[70:71]
	flat_load_dword v65, v[4:5] offset:24
	s_waitcnt vmcnt(0) lgkmcnt(0)
	flat_store_dword v[4:5], v63 offset:24
	flat_store_dword v[70:71], v65
.LBB54_108:
	s_or_b64 exec, exec, s[14:15]
	v_mov_b32_e32 v63, v62
	v_mov_b32_e32 v65, v62
.LBB54_109:
	s_or_b64 exec, exec, s[2:3]
.LBB54_110:
	s_andn2_saveexec_b64 s[0:1], s[0:1]
	s_cbranch_execz .LBB54_112
; %bb.111:
	v_mov_b32_e32 v65, 6
	ds_write2_b64 v64, v[42:43], v[40:41] offset0:7 offset1:8
	ds_write2_b64 v64, v[38:39], v[36:37] offset0:9 offset1:10
	;; [unrolled: 1-line block ×10, first 2 shown]
	ds_write_b64 v64, v[58:59] offset:216
.LBB54_112:
	s_or_b64 exec, exec, s[0:1]
	v_cmp_lt_i32_e32 vcc, 6, v65
	s_waitcnt lgkmcnt(0)
	s_barrier
	s_and_saveexec_b64 s[0:1], vcc
	s_cbranch_execz .LBB54_114
; %bb.113:
	ds_read2_b64 v[70:73], v64 offset0:7 offset1:8
	ds_read2_b64 v[74:77], v64 offset0:9 offset1:10
	v_mul_f64 v[44:45], v[60:61], v[44:45]
	ds_read2_b64 v[78:81], v64 offset0:11 offset1:12
	ds_read_b64 v[60:61], v64 offset:216
	s_waitcnt lgkmcnt(0)
	v_fma_f64 v[42:43], -v[44:45], v[70:71], v[42:43]
	v_fma_f64 v[40:41], -v[44:45], v[72:73], v[40:41]
	ds_read2_b64 v[70:73], v64 offset0:13 offset1:14
	v_fma_f64 v[38:39], -v[44:45], v[74:75], v[38:39]
	v_fma_f64 v[36:37], -v[44:45], v[76:77], v[36:37]
	;; [unrolled: 1-line block ×3, first 2 shown]
	ds_read2_b64 v[74:77], v64 offset0:15 offset1:16
	v_fma_f64 v[32:33], -v[44:45], v[80:81], v[32:33]
	ds_read2_b64 v[78:81], v64 offset0:17 offset1:18
	s_waitcnt lgkmcnt(0)
	v_fma_f64 v[30:31], -v[44:45], v[70:71], v[30:31]
	v_fma_f64 v[26:27], -v[44:45], v[72:73], v[26:27]
	ds_read2_b64 v[70:73], v64 offset0:19 offset1:20
	v_fma_f64 v[28:29], -v[44:45], v[74:75], v[28:29]
	v_fma_f64 v[24:25], -v[44:45], v[76:77], v[24:25]
	ds_read2_b64 v[74:77], v64 offset0:21 offset1:22
	v_fma_f64 v[22:23], -v[44:45], v[78:79], v[22:23]
	v_fma_f64 v[20:21], -v[44:45], v[80:81], v[20:21]
	s_waitcnt lgkmcnt(0)
	v_fma_f64 v[18:19], -v[44:45], v[70:71], v[18:19]
	v_fma_f64 v[16:17], -v[44:45], v[72:73], v[16:17]
	ds_read2_b64 v[70:73], v64 offset0:23 offset1:24
	ds_read2_b64 v[78:81], v64 offset0:25 offset1:26
	v_fma_f64 v[14:15], -v[44:45], v[74:75], v[14:15]
	v_fma_f64 v[12:13], -v[44:45], v[76:77], v[12:13]
	;; [unrolled: 1-line block ×3, first 2 shown]
	s_waitcnt lgkmcnt(0)
	v_fma_f64 v[10:11], -v[44:45], v[70:71], v[10:11]
	v_fma_f64 v[8:9], -v[44:45], v[72:73], v[8:9]
	;; [unrolled: 1-line block ×4, first 2 shown]
.LBB54_114:
	s_or_b64 exec, exec, s[0:1]
	v_lshl_add_u32 v60, v65, 3, v64
	s_barrier
	ds_write_b64 v60, v[42:43]
	s_waitcnt lgkmcnt(0)
	s_barrier
	ds_read_b64 v[60:61], v64 offset:56
	s_cmp_lt_i32 s18, 9
	v_mov_b32_e32 v62, 7
	s_cbranch_scc1 .LBB54_117
; %bb.115:
	v_add3_u32 v69, v69, 0, 64
	s_mov_b32 s0, 8
	v_mov_b32_e32 v62, 7
.LBB54_116:                             ; =>This Inner Loop Header: Depth=1
	ds_read_b64 v[70:71], v69
	v_mov_b32_e32 v72, s0
	s_add_i32 s0, s0, 1
	v_add_u32_e32 v69, 8, v69
	s_cmp_lg_u32 s18, s0
	s_waitcnt lgkmcnt(0)
	v_cmp_lt_f64_e64 vcc, |v[60:61]|, |v[70:71]|
	v_cndmask_b32_e32 v61, v61, v71, vcc
	v_cndmask_b32_e32 v60, v60, v70, vcc
	;; [unrolled: 1-line block ×3, first 2 shown]
	s_cbranch_scc1 .LBB54_116
.LBB54_117:
	s_waitcnt lgkmcnt(0)
	v_cmp_eq_f64_e32 vcc, 0, v[60:61]
	s_and_saveexec_b64 s[0:1], vcc
	s_xor_b64 s[0:1], exec, s[0:1]
; %bb.118:
	v_cmp_ne_u32_e32 vcc, 0, v68
	v_cndmask_b32_e32 v68, 8, v68, vcc
; %bb.119:
	s_andn2_saveexec_b64 s[0:1], s[0:1]
; %bb.120:
	v_div_scale_f64 v[70:71], s[2:3], v[60:61], v[60:61], 1.0
	v_rcp_f64_e32 v[72:73], v[70:71]
	v_div_scale_f64 v[74:75], vcc, 1.0, v[60:61], 1.0
	v_fma_f64 v[76:77], -v[70:71], v[72:73], 1.0
	v_fmac_f64_e32 v[72:73], v[72:73], v[76:77]
	v_fma_f64 v[76:77], -v[70:71], v[72:73], 1.0
	v_fmac_f64_e32 v[72:73], v[72:73], v[76:77]
	v_mul_f64 v[76:77], v[74:75], v[72:73]
	v_fma_f64 v[70:71], -v[70:71], v[76:77], v[74:75]
	v_div_fmas_f64 v[70:71], v[70:71], v[72:73], v[76:77]
	v_div_fixup_f64 v[60:61], v[70:71], v[60:61], 1.0
; %bb.121:
	s_or_b64 exec, exec, s[0:1]
	v_cmp_ne_u32_e32 vcc, v65, v62
	s_and_saveexec_b64 s[0:1], vcc
	s_xor_b64 s[0:1], exec, s[0:1]
	s_cbranch_execz .LBB54_127
; %bb.122:
	v_cmp_eq_u32_e32 vcc, 7, v65
	s_and_saveexec_b64 s[2:3], vcc
	s_cbranch_execz .LBB54_126
; %bb.123:
	v_cmp_ne_u32_e32 vcc, 7, v62
	s_xor_b64 s[14:15], s[6:7], -1
	s_and_b64 s[16:17], s[14:15], vcc
	s_and_saveexec_b64 s[14:15], s[16:17]
	s_cbranch_execz .LBB54_125
; %bb.124:
	v_ashrrev_i32_e32 v63, 31, v62
	v_lshlrev_b64 v[70:71], 2, v[62:63]
	v_add_co_u32_e32 v70, vcc, v4, v70
	v_addc_co_u32_e32 v71, vcc, v5, v71, vcc
	flat_load_dword v63, v[70:71]
	flat_load_dword v65, v[4:5] offset:28
	s_waitcnt vmcnt(0) lgkmcnt(0)
	flat_store_dword v[4:5], v63 offset:28
	flat_store_dword v[70:71], v65
.LBB54_125:
	s_or_b64 exec, exec, s[14:15]
	v_mov_b32_e32 v63, v62
	v_mov_b32_e32 v65, v62
.LBB54_126:
	s_or_b64 exec, exec, s[2:3]
.LBB54_127:
	s_andn2_saveexec_b64 s[0:1], s[0:1]
	s_cbranch_execz .LBB54_129
; %bb.128:
	v_mov_b32_e32 v70, v40
	v_mov_b32_e32 v71, v41
	v_mov_b32_e32 v72, v38
	v_mov_b32_e32 v73, v39
	ds_write2_b64 v64, v[70:71], v[72:73] offset0:8 offset1:9
	v_mov_b32_e32 v70, v36
	v_mov_b32_e32 v71, v37
	v_mov_b32_e32 v72, v34
	v_mov_b32_e32 v73, v35
	ds_write2_b64 v64, v[70:71], v[72:73] offset0:10 offset1:11
	;; [unrolled: 5-line block ×9, first 2 shown]
	v_mov_b32_e32 v70, v0
	v_mov_b32_e32 v71, v1
	;; [unrolled: 1-line block ×3, first 2 shown]
	ds_write2_b64 v64, v[70:71], v[58:59] offset0:26 offset1:27
.LBB54_129:
	s_or_b64 exec, exec, s[0:1]
	v_cmp_lt_i32_e32 vcc, 7, v65
	s_waitcnt lgkmcnt(0)
	s_barrier
	s_and_saveexec_b64 s[0:1], vcc
	s_cbranch_execz .LBB54_131
; %bb.130:
	ds_read2_b64 v[70:73], v64 offset0:8 offset1:9
	ds_read2_b64 v[74:77], v64 offset0:10 offset1:11
	v_mul_f64 v[42:43], v[60:61], v[42:43]
	ds_read2_b64 v[78:81], v64 offset0:12 offset1:13
	s_waitcnt lgkmcnt(0)
	v_fma_f64 v[40:41], -v[42:43], v[70:71], v[40:41]
	v_fma_f64 v[38:39], -v[42:43], v[72:73], v[38:39]
	ds_read2_b64 v[70:73], v64 offset0:14 offset1:15
	v_fma_f64 v[36:37], -v[42:43], v[74:75], v[36:37]
	v_fma_f64 v[34:35], -v[42:43], v[76:77], v[34:35]
	;; [unrolled: 1-line block ×3, first 2 shown]
	ds_read2_b64 v[74:77], v64 offset0:16 offset1:17
	v_fma_f64 v[30:31], -v[42:43], v[80:81], v[30:31]
	ds_read2_b64 v[78:81], v64 offset0:18 offset1:19
	s_waitcnt lgkmcnt(0)
	v_fma_f64 v[26:27], -v[42:43], v[70:71], v[26:27]
	v_fma_f64 v[28:29], -v[42:43], v[72:73], v[28:29]
	ds_read2_b64 v[70:73], v64 offset0:20 offset1:21
	v_fma_f64 v[24:25], -v[42:43], v[74:75], v[24:25]
	v_fma_f64 v[22:23], -v[42:43], v[76:77], v[22:23]
	ds_read2_b64 v[74:77], v64 offset0:22 offset1:23
	v_fma_f64 v[20:21], -v[42:43], v[78:79], v[20:21]
	v_fma_f64 v[18:19], -v[42:43], v[80:81], v[18:19]
	s_waitcnt lgkmcnt(0)
	v_fma_f64 v[16:17], -v[42:43], v[70:71], v[16:17]
	ds_read2_b64 v[78:81], v64 offset0:24 offset1:25
	v_fma_f64 v[14:15], -v[42:43], v[72:73], v[14:15]
	ds_read2_b64 v[70:73], v64 offset0:26 offset1:27
	v_fma_f64 v[12:13], -v[42:43], v[74:75], v[12:13]
	v_fma_f64 v[10:11], -v[42:43], v[76:77], v[10:11]
	s_waitcnt lgkmcnt(0)
	v_fma_f64 v[8:9], -v[42:43], v[78:79], v[8:9]
	v_fma_f64 v[6:7], -v[42:43], v[80:81], v[6:7]
	;; [unrolled: 1-line block ×4, first 2 shown]
.LBB54_131:
	s_or_b64 exec, exec, s[0:1]
	v_lshl_add_u32 v60, v65, 3, v64
	s_barrier
	ds_write_b64 v60, v[40:41]
	s_waitcnt lgkmcnt(0)
	s_barrier
	ds_read_b64 v[60:61], v64 offset:64
	s_cmp_lt_i32 s18, 10
	v_mov_b32_e32 v62, 8
	s_cbranch_scc1 .LBB54_134
; %bb.132:
	v_add_u32_e32 v69, 0x48, v64
	s_mov_b32 s0, 9
	v_mov_b32_e32 v62, 8
.LBB54_133:                             ; =>This Inner Loop Header: Depth=1
	ds_read_b64 v[70:71], v69
	v_mov_b32_e32 v72, s0
	s_add_i32 s0, s0, 1
	v_add_u32_e32 v69, 8, v69
	s_cmp_lg_u32 s18, s0
	s_waitcnt lgkmcnt(0)
	v_cmp_lt_f64_e64 vcc, |v[60:61]|, |v[70:71]|
	v_cndmask_b32_e32 v61, v61, v71, vcc
	v_cndmask_b32_e32 v60, v60, v70, vcc
	;; [unrolled: 1-line block ×3, first 2 shown]
	s_cbranch_scc1 .LBB54_133
.LBB54_134:
	s_waitcnt lgkmcnt(0)
	v_cmp_eq_f64_e32 vcc, 0, v[60:61]
	s_and_saveexec_b64 s[0:1], vcc
	s_xor_b64 s[0:1], exec, s[0:1]
; %bb.135:
	v_cmp_ne_u32_e32 vcc, 0, v68
	v_cndmask_b32_e32 v68, 9, v68, vcc
; %bb.136:
	s_andn2_saveexec_b64 s[0:1], s[0:1]
; %bb.137:
	v_div_scale_f64 v[70:71], s[2:3], v[60:61], v[60:61], 1.0
	v_rcp_f64_e32 v[72:73], v[70:71]
	v_div_scale_f64 v[74:75], vcc, 1.0, v[60:61], 1.0
	v_fma_f64 v[76:77], -v[70:71], v[72:73], 1.0
	v_fmac_f64_e32 v[72:73], v[72:73], v[76:77]
	v_fma_f64 v[76:77], -v[70:71], v[72:73], 1.0
	v_fmac_f64_e32 v[72:73], v[72:73], v[76:77]
	v_mul_f64 v[76:77], v[74:75], v[72:73]
	v_fma_f64 v[70:71], -v[70:71], v[76:77], v[74:75]
	v_div_fmas_f64 v[70:71], v[70:71], v[72:73], v[76:77]
	v_div_fixup_f64 v[60:61], v[70:71], v[60:61], 1.0
; %bb.138:
	s_or_b64 exec, exec, s[0:1]
	v_cmp_ne_u32_e32 vcc, v65, v62
	s_and_saveexec_b64 s[0:1], vcc
	s_xor_b64 s[0:1], exec, s[0:1]
	s_cbranch_execz .LBB54_144
; %bb.139:
	v_cmp_eq_u32_e32 vcc, 8, v65
	s_and_saveexec_b64 s[2:3], vcc
	s_cbranch_execz .LBB54_143
; %bb.140:
	v_cmp_ne_u32_e32 vcc, 8, v62
	s_xor_b64 s[14:15], s[6:7], -1
	s_and_b64 s[16:17], s[14:15], vcc
	s_and_saveexec_b64 s[14:15], s[16:17]
	s_cbranch_execz .LBB54_142
; %bb.141:
	v_ashrrev_i32_e32 v63, 31, v62
	v_lshlrev_b64 v[70:71], 2, v[62:63]
	v_add_co_u32_e32 v70, vcc, v4, v70
	v_addc_co_u32_e32 v71, vcc, v5, v71, vcc
	flat_load_dword v63, v[70:71]
	flat_load_dword v65, v[4:5] offset:32
	s_waitcnt vmcnt(0) lgkmcnt(0)
	flat_store_dword v[4:5], v63 offset:32
	flat_store_dword v[70:71], v65
.LBB54_142:
	s_or_b64 exec, exec, s[14:15]
	v_mov_b32_e32 v63, v62
	v_mov_b32_e32 v65, v62
.LBB54_143:
	s_or_b64 exec, exec, s[2:3]
.LBB54_144:
	s_andn2_saveexec_b64 s[0:1], s[0:1]
	s_cbranch_execz .LBB54_146
; %bb.145:
	v_mov_b32_e32 v65, 8
	ds_write2_b64 v64, v[38:39], v[36:37] offset0:9 offset1:10
	ds_write2_b64 v64, v[34:35], v[32:33] offset0:11 offset1:12
	;; [unrolled: 1-line block ×9, first 2 shown]
	ds_write_b64 v64, v[58:59] offset:216
.LBB54_146:
	s_or_b64 exec, exec, s[0:1]
	v_cmp_lt_i32_e32 vcc, 8, v65
	s_waitcnt lgkmcnt(0)
	s_barrier
	s_and_saveexec_b64 s[0:1], vcc
	s_cbranch_execz .LBB54_148
; %bb.147:
	ds_read2_b64 v[70:73], v64 offset0:9 offset1:10
	ds_read2_b64 v[74:77], v64 offset0:11 offset1:12
	;; [unrolled: 1-line block ×3, first 2 shown]
	v_mul_f64 v[40:41], v[60:61], v[40:41]
	ds_read_b64 v[60:61], v64 offset:216
	s_waitcnt lgkmcnt(0)
	v_fma_f64 v[38:39], -v[40:41], v[70:71], v[38:39]
	v_fma_f64 v[36:37], -v[40:41], v[72:73], v[36:37]
	ds_read2_b64 v[70:73], v64 offset0:15 offset1:16
	v_fma_f64 v[34:35], -v[40:41], v[74:75], v[34:35]
	v_fma_f64 v[32:33], -v[40:41], v[76:77], v[32:33]
	v_fma_f64 v[30:31], -v[40:41], v[78:79], v[30:31]
	ds_read2_b64 v[74:77], v64 offset0:17 offset1:18
	v_fma_f64 v[26:27], -v[40:41], v[80:81], v[26:27]
	ds_read2_b64 v[78:81], v64 offset0:19 offset1:20
	s_waitcnt lgkmcnt(0)
	v_fma_f64 v[28:29], -v[40:41], v[70:71], v[28:29]
	v_fma_f64 v[24:25], -v[40:41], v[72:73], v[24:25]
	;; [unrolled: 1-line block ×3, first 2 shown]
	ds_read2_b64 v[70:73], v64 offset0:21 offset1:22
	v_fma_f64 v[20:21], -v[40:41], v[76:77], v[20:21]
	ds_read2_b64 v[74:77], v64 offset0:23 offset1:24
	v_fma_f64 v[18:19], -v[40:41], v[78:79], v[18:19]
	v_fma_f64 v[16:17], -v[40:41], v[80:81], v[16:17]
	ds_read2_b64 v[78:81], v64 offset0:25 offset1:26
	s_waitcnt lgkmcnt(0)
	v_fma_f64 v[14:15], -v[40:41], v[70:71], v[14:15]
	v_fma_f64 v[12:13], -v[40:41], v[72:73], v[12:13]
	;; [unrolled: 1-line block ×7, first 2 shown]
.LBB54_148:
	s_or_b64 exec, exec, s[0:1]
	v_lshl_add_u32 v60, v65, 3, v64
	s_barrier
	ds_write_b64 v60, v[38:39]
	s_waitcnt lgkmcnt(0)
	s_barrier
	ds_read_b64 v[60:61], v64 offset:72
	s_cmp_lt_i32 s18, 11
	v_mov_b32_e32 v62, 9
	s_cbranch_scc1 .LBB54_151
; %bb.149:
	v_add_u32_e32 v69, 0x50, v64
	s_mov_b32 s0, 10
	v_mov_b32_e32 v62, 9
.LBB54_150:                             ; =>This Inner Loop Header: Depth=1
	ds_read_b64 v[70:71], v69
	v_mov_b32_e32 v72, s0
	s_add_i32 s0, s0, 1
	v_add_u32_e32 v69, 8, v69
	s_cmp_lg_u32 s18, s0
	s_waitcnt lgkmcnt(0)
	v_cmp_lt_f64_e64 vcc, |v[60:61]|, |v[70:71]|
	v_cndmask_b32_e32 v61, v61, v71, vcc
	v_cndmask_b32_e32 v60, v60, v70, vcc
	;; [unrolled: 1-line block ×3, first 2 shown]
	s_cbranch_scc1 .LBB54_150
.LBB54_151:
	s_waitcnt lgkmcnt(0)
	v_cmp_eq_f64_e32 vcc, 0, v[60:61]
	s_and_saveexec_b64 s[0:1], vcc
	s_xor_b64 s[0:1], exec, s[0:1]
; %bb.152:
	v_cmp_ne_u32_e32 vcc, 0, v68
	v_cndmask_b32_e32 v68, 10, v68, vcc
; %bb.153:
	s_andn2_saveexec_b64 s[0:1], s[0:1]
; %bb.154:
	v_div_scale_f64 v[70:71], s[2:3], v[60:61], v[60:61], 1.0
	v_rcp_f64_e32 v[72:73], v[70:71]
	v_div_scale_f64 v[74:75], vcc, 1.0, v[60:61], 1.0
	v_fma_f64 v[76:77], -v[70:71], v[72:73], 1.0
	v_fmac_f64_e32 v[72:73], v[72:73], v[76:77]
	v_fma_f64 v[76:77], -v[70:71], v[72:73], 1.0
	v_fmac_f64_e32 v[72:73], v[72:73], v[76:77]
	v_mul_f64 v[76:77], v[74:75], v[72:73]
	v_fma_f64 v[70:71], -v[70:71], v[76:77], v[74:75]
	v_div_fmas_f64 v[70:71], v[70:71], v[72:73], v[76:77]
	v_div_fixup_f64 v[60:61], v[70:71], v[60:61], 1.0
; %bb.155:
	s_or_b64 exec, exec, s[0:1]
	v_cmp_ne_u32_e32 vcc, v65, v62
	s_and_saveexec_b64 s[0:1], vcc
	s_xor_b64 s[0:1], exec, s[0:1]
	s_cbranch_execz .LBB54_161
; %bb.156:
	v_cmp_eq_u32_e32 vcc, 9, v65
	s_and_saveexec_b64 s[2:3], vcc
	s_cbranch_execz .LBB54_160
; %bb.157:
	v_cmp_ne_u32_e32 vcc, 9, v62
	s_xor_b64 s[14:15], s[6:7], -1
	s_and_b64 s[16:17], s[14:15], vcc
	s_and_saveexec_b64 s[14:15], s[16:17]
	s_cbranch_execz .LBB54_159
; %bb.158:
	v_ashrrev_i32_e32 v63, 31, v62
	v_lshlrev_b64 v[70:71], 2, v[62:63]
	v_add_co_u32_e32 v70, vcc, v4, v70
	v_addc_co_u32_e32 v71, vcc, v5, v71, vcc
	flat_load_dword v63, v[70:71]
	flat_load_dword v65, v[4:5] offset:36
	s_waitcnt vmcnt(0) lgkmcnt(0)
	flat_store_dword v[4:5], v63 offset:36
	flat_store_dword v[70:71], v65
.LBB54_159:
	s_or_b64 exec, exec, s[14:15]
	v_mov_b32_e32 v63, v62
	v_mov_b32_e32 v65, v62
.LBB54_160:
	s_or_b64 exec, exec, s[2:3]
.LBB54_161:
	s_andn2_saveexec_b64 s[0:1], s[0:1]
	s_cbranch_execz .LBB54_163
; %bb.162:
	v_mov_b32_e32 v70, v36
	v_mov_b32_e32 v71, v37
	v_mov_b32_e32 v72, v34
	v_mov_b32_e32 v73, v35
	ds_write2_b64 v64, v[70:71], v[72:73] offset0:10 offset1:11
	v_mov_b32_e32 v70, v32
	v_mov_b32_e32 v71, v33
	v_mov_b32_e32 v72, v30
	v_mov_b32_e32 v73, v31
	ds_write2_b64 v64, v[70:71], v[72:73] offset0:12 offset1:13
	;; [unrolled: 5-line block ×8, first 2 shown]
	v_mov_b32_e32 v70, v0
	v_mov_b32_e32 v71, v1
	;; [unrolled: 1-line block ×3, first 2 shown]
	ds_write2_b64 v64, v[70:71], v[58:59] offset0:26 offset1:27
.LBB54_163:
	s_or_b64 exec, exec, s[0:1]
	v_cmp_lt_i32_e32 vcc, 9, v65
	s_waitcnt lgkmcnt(0)
	s_barrier
	s_and_saveexec_b64 s[0:1], vcc
	s_cbranch_execz .LBB54_165
; %bb.164:
	ds_read2_b64 v[70:73], v64 offset0:10 offset1:11
	ds_read2_b64 v[74:77], v64 offset0:12 offset1:13
	;; [unrolled: 1-line block ×3, first 2 shown]
	v_mul_f64 v[38:39], v[60:61], v[38:39]
	s_waitcnt lgkmcnt(0)
	v_fma_f64 v[36:37], -v[38:39], v[70:71], v[36:37]
	v_fma_f64 v[34:35], -v[38:39], v[72:73], v[34:35]
	ds_read2_b64 v[70:73], v64 offset0:16 offset1:17
	v_fma_f64 v[32:33], -v[38:39], v[74:75], v[32:33]
	v_fma_f64 v[30:31], -v[38:39], v[76:77], v[30:31]
	;; [unrolled: 1-line block ×3, first 2 shown]
	ds_read2_b64 v[74:77], v64 offset0:18 offset1:19
	v_fma_f64 v[28:29], -v[38:39], v[80:81], v[28:29]
	ds_read2_b64 v[78:81], v64 offset0:20 offset1:21
	s_waitcnt lgkmcnt(0)
	v_fma_f64 v[24:25], -v[38:39], v[70:71], v[24:25]
	v_fma_f64 v[22:23], -v[38:39], v[72:73], v[22:23]
	;; [unrolled: 1-line block ×4, first 2 shown]
	ds_read2_b64 v[70:73], v64 offset0:22 offset1:23
	ds_read2_b64 v[74:77], v64 offset0:24 offset1:25
	v_fma_f64 v[16:17], -v[38:39], v[78:79], v[16:17]
	v_fma_f64 v[14:15], -v[38:39], v[80:81], v[14:15]
	ds_read2_b64 v[78:81], v64 offset0:26 offset1:27
	s_waitcnt lgkmcnt(0)
	v_fma_f64 v[12:13], -v[38:39], v[70:71], v[12:13]
	v_fma_f64 v[10:11], -v[38:39], v[72:73], v[10:11]
	;; [unrolled: 1-line block ×6, first 2 shown]
.LBB54_165:
	s_or_b64 exec, exec, s[0:1]
	v_lshl_add_u32 v60, v65, 3, v64
	s_barrier
	ds_write_b64 v60, v[36:37]
	s_waitcnt lgkmcnt(0)
	s_barrier
	ds_read_b64 v[60:61], v64 offset:80
	s_cmp_lt_i32 s18, 12
	v_mov_b32_e32 v62, 10
	s_cbranch_scc1 .LBB54_168
; %bb.166:
	v_add_u32_e32 v69, 0x58, v64
	s_mov_b32 s0, 11
	v_mov_b32_e32 v62, 10
.LBB54_167:                             ; =>This Inner Loop Header: Depth=1
	ds_read_b64 v[70:71], v69
	v_mov_b32_e32 v72, s0
	s_add_i32 s0, s0, 1
	v_add_u32_e32 v69, 8, v69
	s_cmp_lg_u32 s18, s0
	s_waitcnt lgkmcnt(0)
	v_cmp_lt_f64_e64 vcc, |v[60:61]|, |v[70:71]|
	v_cndmask_b32_e32 v61, v61, v71, vcc
	v_cndmask_b32_e32 v60, v60, v70, vcc
	;; [unrolled: 1-line block ×3, first 2 shown]
	s_cbranch_scc1 .LBB54_167
.LBB54_168:
	s_waitcnt lgkmcnt(0)
	v_cmp_eq_f64_e32 vcc, 0, v[60:61]
	s_and_saveexec_b64 s[0:1], vcc
	s_xor_b64 s[0:1], exec, s[0:1]
; %bb.169:
	v_cmp_ne_u32_e32 vcc, 0, v68
	v_cndmask_b32_e32 v68, 11, v68, vcc
; %bb.170:
	s_andn2_saveexec_b64 s[0:1], s[0:1]
; %bb.171:
	v_div_scale_f64 v[70:71], s[2:3], v[60:61], v[60:61], 1.0
	v_rcp_f64_e32 v[72:73], v[70:71]
	v_div_scale_f64 v[74:75], vcc, 1.0, v[60:61], 1.0
	v_fma_f64 v[76:77], -v[70:71], v[72:73], 1.0
	v_fmac_f64_e32 v[72:73], v[72:73], v[76:77]
	v_fma_f64 v[76:77], -v[70:71], v[72:73], 1.0
	v_fmac_f64_e32 v[72:73], v[72:73], v[76:77]
	v_mul_f64 v[76:77], v[74:75], v[72:73]
	v_fma_f64 v[70:71], -v[70:71], v[76:77], v[74:75]
	v_div_fmas_f64 v[70:71], v[70:71], v[72:73], v[76:77]
	v_div_fixup_f64 v[60:61], v[70:71], v[60:61], 1.0
; %bb.172:
	s_or_b64 exec, exec, s[0:1]
	v_cmp_ne_u32_e32 vcc, v65, v62
	s_and_saveexec_b64 s[0:1], vcc
	s_xor_b64 s[0:1], exec, s[0:1]
	s_cbranch_execz .LBB54_178
; %bb.173:
	v_cmp_eq_u32_e32 vcc, 10, v65
	s_and_saveexec_b64 s[2:3], vcc
	s_cbranch_execz .LBB54_177
; %bb.174:
	v_cmp_ne_u32_e32 vcc, 10, v62
	s_xor_b64 s[14:15], s[6:7], -1
	s_and_b64 s[16:17], s[14:15], vcc
	s_and_saveexec_b64 s[14:15], s[16:17]
	s_cbranch_execz .LBB54_176
; %bb.175:
	v_ashrrev_i32_e32 v63, 31, v62
	v_lshlrev_b64 v[70:71], 2, v[62:63]
	v_add_co_u32_e32 v70, vcc, v4, v70
	v_addc_co_u32_e32 v71, vcc, v5, v71, vcc
	flat_load_dword v63, v[70:71]
	flat_load_dword v65, v[4:5] offset:40
	s_waitcnt vmcnt(0) lgkmcnt(0)
	flat_store_dword v[4:5], v63 offset:40
	flat_store_dword v[70:71], v65
.LBB54_176:
	s_or_b64 exec, exec, s[14:15]
	v_mov_b32_e32 v63, v62
	v_mov_b32_e32 v65, v62
.LBB54_177:
	s_or_b64 exec, exec, s[2:3]
.LBB54_178:
	s_andn2_saveexec_b64 s[0:1], s[0:1]
	s_cbranch_execz .LBB54_180
; %bb.179:
	v_mov_b32_e32 v65, 10
	ds_write2_b64 v64, v[34:35], v[32:33] offset0:11 offset1:12
	ds_write2_b64 v64, v[30:31], v[26:27] offset0:13 offset1:14
	;; [unrolled: 1-line block ×8, first 2 shown]
	ds_write_b64 v64, v[58:59] offset:216
.LBB54_180:
	s_or_b64 exec, exec, s[0:1]
	v_cmp_lt_i32_e32 vcc, 10, v65
	s_waitcnt lgkmcnt(0)
	s_barrier
	s_and_saveexec_b64 s[0:1], vcc
	s_cbranch_execz .LBB54_182
; %bb.181:
	ds_read2_b64 v[70:73], v64 offset0:11 offset1:12
	ds_read2_b64 v[74:77], v64 offset0:13 offset1:14
	v_mul_f64 v[36:37], v[60:61], v[36:37]
	ds_read2_b64 v[78:81], v64 offset0:15 offset1:16
	ds_read_b64 v[60:61], v64 offset:216
	s_waitcnt lgkmcnt(0)
	v_fma_f64 v[34:35], -v[36:37], v[70:71], v[34:35]
	v_fma_f64 v[32:33], -v[36:37], v[72:73], v[32:33]
	ds_read2_b64 v[70:73], v64 offset0:17 offset1:18
	v_fma_f64 v[30:31], -v[36:37], v[74:75], v[30:31]
	v_fma_f64 v[26:27], -v[36:37], v[76:77], v[26:27]
	ds_read2_b64 v[74:77], v64 offset0:19 offset1:20
	;; [unrolled: 3-line block ×3, first 2 shown]
	s_waitcnt lgkmcnt(0)
	v_fma_f64 v[22:23], -v[36:37], v[70:71], v[22:23]
	v_fma_f64 v[20:21], -v[36:37], v[72:73], v[20:21]
	;; [unrolled: 1-line block ×4, first 2 shown]
	ds_read2_b64 v[70:73], v64 offset0:23 offset1:24
	ds_read2_b64 v[74:77], v64 offset0:25 offset1:26
	v_fma_f64 v[14:15], -v[36:37], v[78:79], v[14:15]
	v_fma_f64 v[12:13], -v[36:37], v[80:81], v[12:13]
	v_fma_f64 v[58:59], -v[36:37], v[60:61], v[58:59]
	s_waitcnt lgkmcnt(0)
	v_fma_f64 v[10:11], -v[36:37], v[70:71], v[10:11]
	v_fma_f64 v[8:9], -v[36:37], v[72:73], v[8:9]
	;; [unrolled: 1-line block ×4, first 2 shown]
.LBB54_182:
	s_or_b64 exec, exec, s[0:1]
	v_lshl_add_u32 v60, v65, 3, v64
	s_barrier
	ds_write_b64 v60, v[34:35]
	s_waitcnt lgkmcnt(0)
	s_barrier
	ds_read_b64 v[60:61], v64 offset:88
	s_cmp_lt_i32 s18, 13
	v_mov_b32_e32 v62, 11
	s_cbranch_scc1 .LBB54_185
; %bb.183:
	v_add_u32_e32 v69, 0x60, v64
	s_mov_b32 s0, 12
	v_mov_b32_e32 v62, 11
.LBB54_184:                             ; =>This Inner Loop Header: Depth=1
	ds_read_b64 v[70:71], v69
	v_mov_b32_e32 v72, s0
	s_add_i32 s0, s0, 1
	v_add_u32_e32 v69, 8, v69
	s_cmp_lg_u32 s18, s0
	s_waitcnt lgkmcnt(0)
	v_cmp_lt_f64_e64 vcc, |v[60:61]|, |v[70:71]|
	v_cndmask_b32_e32 v61, v61, v71, vcc
	v_cndmask_b32_e32 v60, v60, v70, vcc
	;; [unrolled: 1-line block ×3, first 2 shown]
	s_cbranch_scc1 .LBB54_184
.LBB54_185:
	s_waitcnt lgkmcnt(0)
	v_cmp_eq_f64_e32 vcc, 0, v[60:61]
	s_and_saveexec_b64 s[0:1], vcc
	s_xor_b64 s[0:1], exec, s[0:1]
; %bb.186:
	v_cmp_ne_u32_e32 vcc, 0, v68
	v_cndmask_b32_e32 v68, 12, v68, vcc
; %bb.187:
	s_andn2_saveexec_b64 s[0:1], s[0:1]
; %bb.188:
	v_div_scale_f64 v[70:71], s[2:3], v[60:61], v[60:61], 1.0
	v_rcp_f64_e32 v[72:73], v[70:71]
	v_div_scale_f64 v[74:75], vcc, 1.0, v[60:61], 1.0
	v_fma_f64 v[76:77], -v[70:71], v[72:73], 1.0
	v_fmac_f64_e32 v[72:73], v[72:73], v[76:77]
	v_fma_f64 v[76:77], -v[70:71], v[72:73], 1.0
	v_fmac_f64_e32 v[72:73], v[72:73], v[76:77]
	v_mul_f64 v[76:77], v[74:75], v[72:73]
	v_fma_f64 v[70:71], -v[70:71], v[76:77], v[74:75]
	v_div_fmas_f64 v[70:71], v[70:71], v[72:73], v[76:77]
	v_div_fixup_f64 v[60:61], v[70:71], v[60:61], 1.0
; %bb.189:
	s_or_b64 exec, exec, s[0:1]
	v_cmp_ne_u32_e32 vcc, v65, v62
	s_and_saveexec_b64 s[0:1], vcc
	s_xor_b64 s[0:1], exec, s[0:1]
	s_cbranch_execz .LBB54_195
; %bb.190:
	v_cmp_eq_u32_e32 vcc, 11, v65
	s_and_saveexec_b64 s[2:3], vcc
	s_cbranch_execz .LBB54_194
; %bb.191:
	v_cmp_ne_u32_e32 vcc, 11, v62
	s_xor_b64 s[14:15], s[6:7], -1
	s_and_b64 s[16:17], s[14:15], vcc
	s_and_saveexec_b64 s[14:15], s[16:17]
	s_cbranch_execz .LBB54_193
; %bb.192:
	v_ashrrev_i32_e32 v63, 31, v62
	v_lshlrev_b64 v[70:71], 2, v[62:63]
	v_add_co_u32_e32 v70, vcc, v4, v70
	v_addc_co_u32_e32 v71, vcc, v5, v71, vcc
	flat_load_dword v63, v[70:71]
	flat_load_dword v65, v[4:5] offset:44
	s_waitcnt vmcnt(0) lgkmcnt(0)
	flat_store_dword v[4:5], v63 offset:44
	flat_store_dword v[70:71], v65
.LBB54_193:
	s_or_b64 exec, exec, s[14:15]
	v_mov_b32_e32 v63, v62
	v_mov_b32_e32 v65, v62
.LBB54_194:
	s_or_b64 exec, exec, s[2:3]
.LBB54_195:
	s_andn2_saveexec_b64 s[0:1], s[0:1]
	s_cbranch_execz .LBB54_197
; %bb.196:
	v_mov_b32_e32 v70, v32
	v_mov_b32_e32 v71, v33
	v_mov_b32_e32 v72, v30
	v_mov_b32_e32 v73, v31
	ds_write2_b64 v64, v[70:71], v[72:73] offset0:12 offset1:13
	v_mov_b32_e32 v70, v26
	v_mov_b32_e32 v71, v27
	v_mov_b32_e32 v72, v28
	v_mov_b32_e32 v73, v29
	ds_write2_b64 v64, v[70:71], v[72:73] offset0:14 offset1:15
	;; [unrolled: 5-line block ×7, first 2 shown]
	v_mov_b32_e32 v70, v0
	v_mov_b32_e32 v71, v1
	;; [unrolled: 1-line block ×3, first 2 shown]
	ds_write2_b64 v64, v[70:71], v[58:59] offset0:26 offset1:27
.LBB54_197:
	s_or_b64 exec, exec, s[0:1]
	v_cmp_lt_i32_e32 vcc, 11, v65
	s_waitcnt lgkmcnt(0)
	s_barrier
	s_and_saveexec_b64 s[0:1], vcc
	s_cbranch_execz .LBB54_199
; %bb.198:
	ds_read2_b64 v[70:73], v64 offset0:12 offset1:13
	ds_read2_b64 v[74:77], v64 offset0:14 offset1:15
	v_mul_f64 v[34:35], v[60:61], v[34:35]
	ds_read2_b64 v[78:81], v64 offset0:16 offset1:17
	s_waitcnt lgkmcnt(0)
	v_fma_f64 v[32:33], -v[34:35], v[70:71], v[32:33]
	v_fma_f64 v[30:31], -v[34:35], v[72:73], v[30:31]
	ds_read2_b64 v[70:73], v64 offset0:18 offset1:19
	v_fma_f64 v[26:27], -v[34:35], v[74:75], v[26:27]
	v_fma_f64 v[28:29], -v[34:35], v[76:77], v[28:29]
	ds_read2_b64 v[74:77], v64 offset0:20 offset1:21
	v_fma_f64 v[24:25], -v[34:35], v[78:79], v[24:25]
	v_fma_f64 v[22:23], -v[34:35], v[80:81], v[22:23]
	s_waitcnt lgkmcnt(0)
	v_fma_f64 v[20:21], -v[34:35], v[70:71], v[20:21]
	v_fma_f64 v[18:19], -v[34:35], v[72:73], v[18:19]
	ds_read2_b64 v[70:73], v64 offset0:22 offset1:23
	v_fma_f64 v[16:17], -v[34:35], v[74:75], v[16:17]
	ds_read2_b64 v[78:81], v64 offset0:24 offset1:25
	;; [unrolled: 2-line block ×3, first 2 shown]
	s_waitcnt lgkmcnt(0)
	v_fma_f64 v[12:13], -v[34:35], v[70:71], v[12:13]
	v_fma_f64 v[10:11], -v[34:35], v[72:73], v[10:11]
	;; [unrolled: 1-line block ×6, first 2 shown]
.LBB54_199:
	s_or_b64 exec, exec, s[0:1]
	v_lshl_add_u32 v60, v65, 3, v64
	s_barrier
	ds_write_b64 v60, v[32:33]
	s_waitcnt lgkmcnt(0)
	s_barrier
	ds_read_b64 v[60:61], v64 offset:96
	s_cmp_lt_i32 s18, 14
	v_mov_b32_e32 v62, 12
	s_cbranch_scc1 .LBB54_202
; %bb.200:
	v_add_u32_e32 v69, 0x68, v64
	s_mov_b32 s0, 13
	v_mov_b32_e32 v62, 12
.LBB54_201:                             ; =>This Inner Loop Header: Depth=1
	ds_read_b64 v[70:71], v69
	v_mov_b32_e32 v72, s0
	s_add_i32 s0, s0, 1
	v_add_u32_e32 v69, 8, v69
	s_cmp_lg_u32 s18, s0
	s_waitcnt lgkmcnt(0)
	v_cmp_lt_f64_e64 vcc, |v[60:61]|, |v[70:71]|
	v_cndmask_b32_e32 v61, v61, v71, vcc
	v_cndmask_b32_e32 v60, v60, v70, vcc
	;; [unrolled: 1-line block ×3, first 2 shown]
	s_cbranch_scc1 .LBB54_201
.LBB54_202:
	s_waitcnt lgkmcnt(0)
	v_cmp_eq_f64_e32 vcc, 0, v[60:61]
	s_and_saveexec_b64 s[0:1], vcc
	s_xor_b64 s[0:1], exec, s[0:1]
; %bb.203:
	v_cmp_ne_u32_e32 vcc, 0, v68
	v_cndmask_b32_e32 v68, 13, v68, vcc
; %bb.204:
	s_andn2_saveexec_b64 s[0:1], s[0:1]
; %bb.205:
	v_div_scale_f64 v[70:71], s[2:3], v[60:61], v[60:61], 1.0
	v_rcp_f64_e32 v[72:73], v[70:71]
	v_div_scale_f64 v[74:75], vcc, 1.0, v[60:61], 1.0
	v_fma_f64 v[76:77], -v[70:71], v[72:73], 1.0
	v_fmac_f64_e32 v[72:73], v[72:73], v[76:77]
	v_fma_f64 v[76:77], -v[70:71], v[72:73], 1.0
	v_fmac_f64_e32 v[72:73], v[72:73], v[76:77]
	v_mul_f64 v[76:77], v[74:75], v[72:73]
	v_fma_f64 v[70:71], -v[70:71], v[76:77], v[74:75]
	v_div_fmas_f64 v[70:71], v[70:71], v[72:73], v[76:77]
	v_div_fixup_f64 v[60:61], v[70:71], v[60:61], 1.0
; %bb.206:
	s_or_b64 exec, exec, s[0:1]
	v_cmp_ne_u32_e32 vcc, v65, v62
	s_and_saveexec_b64 s[0:1], vcc
	s_xor_b64 s[0:1], exec, s[0:1]
	s_cbranch_execz .LBB54_212
; %bb.207:
	v_cmp_eq_u32_e32 vcc, 12, v65
	s_and_saveexec_b64 s[2:3], vcc
	s_cbranch_execz .LBB54_211
; %bb.208:
	v_cmp_ne_u32_e32 vcc, 12, v62
	s_xor_b64 s[14:15], s[6:7], -1
	s_and_b64 s[16:17], s[14:15], vcc
	s_and_saveexec_b64 s[14:15], s[16:17]
	s_cbranch_execz .LBB54_210
; %bb.209:
	v_ashrrev_i32_e32 v63, 31, v62
	v_lshlrev_b64 v[70:71], 2, v[62:63]
	v_add_co_u32_e32 v70, vcc, v4, v70
	v_addc_co_u32_e32 v71, vcc, v5, v71, vcc
	flat_load_dword v63, v[70:71]
	flat_load_dword v65, v[4:5] offset:48
	s_waitcnt vmcnt(0) lgkmcnt(0)
	flat_store_dword v[4:5], v63 offset:48
	flat_store_dword v[70:71], v65
.LBB54_210:
	s_or_b64 exec, exec, s[14:15]
	v_mov_b32_e32 v63, v62
	v_mov_b32_e32 v65, v62
.LBB54_211:
	s_or_b64 exec, exec, s[2:3]
.LBB54_212:
	s_andn2_saveexec_b64 s[0:1], s[0:1]
	s_cbranch_execz .LBB54_214
; %bb.213:
	v_mov_b32_e32 v65, 12
	ds_write2_b64 v64, v[30:31], v[26:27] offset0:13 offset1:14
	ds_write2_b64 v64, v[28:29], v[24:25] offset0:15 offset1:16
	ds_write2_b64 v64, v[22:23], v[20:21] offset0:17 offset1:18
	ds_write2_b64 v64, v[18:19], v[16:17] offset0:19 offset1:20
	ds_write2_b64 v64, v[14:15], v[12:13] offset0:21 offset1:22
	ds_write2_b64 v64, v[10:11], v[8:9] offset0:23 offset1:24
	ds_write2_b64 v64, v[6:7], v[0:1] offset0:25 offset1:26
	ds_write_b64 v64, v[58:59] offset:216
.LBB54_214:
	s_or_b64 exec, exec, s[0:1]
	v_cmp_lt_i32_e32 vcc, 12, v65
	s_waitcnt lgkmcnt(0)
	s_barrier
	s_and_saveexec_b64 s[0:1], vcc
	s_cbranch_execz .LBB54_216
; %bb.215:
	ds_read2_b64 v[70:73], v64 offset0:13 offset1:14
	ds_read2_b64 v[74:77], v64 offset0:15 offset1:16
	v_mul_f64 v[32:33], v[60:61], v[32:33]
	ds_read2_b64 v[78:81], v64 offset0:17 offset1:18
	ds_read_b64 v[60:61], v64 offset:216
	s_waitcnt lgkmcnt(0)
	v_fma_f64 v[30:31], -v[32:33], v[70:71], v[30:31]
	v_fma_f64 v[26:27], -v[32:33], v[72:73], v[26:27]
	ds_read2_b64 v[70:73], v64 offset0:19 offset1:20
	v_fma_f64 v[28:29], -v[32:33], v[74:75], v[28:29]
	v_fma_f64 v[24:25], -v[32:33], v[76:77], v[24:25]
	;; [unrolled: 1-line block ×3, first 2 shown]
	ds_read2_b64 v[74:77], v64 offset0:21 offset1:22
	v_fma_f64 v[20:21], -v[32:33], v[80:81], v[20:21]
	s_waitcnt lgkmcnt(0)
	v_fma_f64 v[18:19], -v[32:33], v[70:71], v[18:19]
	v_fma_f64 v[16:17], -v[32:33], v[72:73], v[16:17]
	ds_read2_b64 v[70:73], v64 offset0:23 offset1:24
	ds_read2_b64 v[78:81], v64 offset0:25 offset1:26
	v_fma_f64 v[14:15], -v[32:33], v[74:75], v[14:15]
	v_fma_f64 v[12:13], -v[32:33], v[76:77], v[12:13]
	;; [unrolled: 1-line block ×3, first 2 shown]
	s_waitcnt lgkmcnt(0)
	v_fma_f64 v[10:11], -v[32:33], v[70:71], v[10:11]
	v_fma_f64 v[8:9], -v[32:33], v[72:73], v[8:9]
	;; [unrolled: 1-line block ×4, first 2 shown]
.LBB54_216:
	s_or_b64 exec, exec, s[0:1]
	v_lshl_add_u32 v60, v65, 3, v64
	s_barrier
	ds_write_b64 v60, v[30:31]
	s_waitcnt lgkmcnt(0)
	s_barrier
	ds_read_b64 v[60:61], v64 offset:104
	s_cmp_lt_i32 s18, 15
	v_mov_b32_e32 v62, 13
	s_cbranch_scc1 .LBB54_219
; %bb.217:
	v_add_u32_e32 v69, 0x70, v64
	s_mov_b32 s0, 14
	v_mov_b32_e32 v62, 13
.LBB54_218:                             ; =>This Inner Loop Header: Depth=1
	ds_read_b64 v[70:71], v69
	v_mov_b32_e32 v72, s0
	s_add_i32 s0, s0, 1
	v_add_u32_e32 v69, 8, v69
	s_cmp_lg_u32 s18, s0
	s_waitcnt lgkmcnt(0)
	v_cmp_lt_f64_e64 vcc, |v[60:61]|, |v[70:71]|
	v_cndmask_b32_e32 v61, v61, v71, vcc
	v_cndmask_b32_e32 v60, v60, v70, vcc
	;; [unrolled: 1-line block ×3, first 2 shown]
	s_cbranch_scc1 .LBB54_218
.LBB54_219:
	s_waitcnt lgkmcnt(0)
	v_cmp_eq_f64_e32 vcc, 0, v[60:61]
	s_and_saveexec_b64 s[0:1], vcc
	s_xor_b64 s[0:1], exec, s[0:1]
; %bb.220:
	v_cmp_ne_u32_e32 vcc, 0, v68
	v_cndmask_b32_e32 v68, 14, v68, vcc
; %bb.221:
	s_andn2_saveexec_b64 s[0:1], s[0:1]
; %bb.222:
	v_div_scale_f64 v[70:71], s[2:3], v[60:61], v[60:61], 1.0
	v_rcp_f64_e32 v[72:73], v[70:71]
	v_div_scale_f64 v[74:75], vcc, 1.0, v[60:61], 1.0
	v_fma_f64 v[76:77], -v[70:71], v[72:73], 1.0
	v_fmac_f64_e32 v[72:73], v[72:73], v[76:77]
	v_fma_f64 v[76:77], -v[70:71], v[72:73], 1.0
	v_fmac_f64_e32 v[72:73], v[72:73], v[76:77]
	v_mul_f64 v[76:77], v[74:75], v[72:73]
	v_fma_f64 v[70:71], -v[70:71], v[76:77], v[74:75]
	v_div_fmas_f64 v[70:71], v[70:71], v[72:73], v[76:77]
	v_div_fixup_f64 v[60:61], v[70:71], v[60:61], 1.0
; %bb.223:
	s_or_b64 exec, exec, s[0:1]
	v_cmp_ne_u32_e32 vcc, v65, v62
	s_and_saveexec_b64 s[0:1], vcc
	s_xor_b64 s[0:1], exec, s[0:1]
	s_cbranch_execz .LBB54_229
; %bb.224:
	v_cmp_eq_u32_e32 vcc, 13, v65
	s_and_saveexec_b64 s[2:3], vcc
	s_cbranch_execz .LBB54_228
; %bb.225:
	v_cmp_ne_u32_e32 vcc, 13, v62
	s_xor_b64 s[14:15], s[6:7], -1
	s_and_b64 s[16:17], s[14:15], vcc
	s_and_saveexec_b64 s[14:15], s[16:17]
	s_cbranch_execz .LBB54_227
; %bb.226:
	v_ashrrev_i32_e32 v63, 31, v62
	v_lshlrev_b64 v[70:71], 2, v[62:63]
	v_add_co_u32_e32 v70, vcc, v4, v70
	v_addc_co_u32_e32 v71, vcc, v5, v71, vcc
	flat_load_dword v63, v[70:71]
	flat_load_dword v65, v[4:5] offset:52
	s_waitcnt vmcnt(0) lgkmcnt(0)
	flat_store_dword v[4:5], v63 offset:52
	flat_store_dword v[70:71], v65
.LBB54_227:
	s_or_b64 exec, exec, s[14:15]
	v_mov_b32_e32 v63, v62
	v_mov_b32_e32 v65, v62
.LBB54_228:
	s_or_b64 exec, exec, s[2:3]
.LBB54_229:
	s_andn2_saveexec_b64 s[0:1], s[0:1]
	s_cbranch_execz .LBB54_231
; %bb.230:
	v_mov_b32_e32 v70, v26
	v_mov_b32_e32 v71, v27
	v_mov_b32_e32 v72, v28
	v_mov_b32_e32 v73, v29
	ds_write2_b64 v64, v[70:71], v[72:73] offset0:14 offset1:15
	v_mov_b32_e32 v70, v24
	v_mov_b32_e32 v71, v25
	v_mov_b32_e32 v72, v22
	v_mov_b32_e32 v73, v23
	ds_write2_b64 v64, v[70:71], v[72:73] offset0:16 offset1:17
	;; [unrolled: 5-line block ×6, first 2 shown]
	v_mov_b32_e32 v70, v0
	v_mov_b32_e32 v71, v1
	;; [unrolled: 1-line block ×3, first 2 shown]
	ds_write2_b64 v64, v[70:71], v[58:59] offset0:26 offset1:27
.LBB54_231:
	s_or_b64 exec, exec, s[0:1]
	v_cmp_lt_i32_e32 vcc, 13, v65
	s_waitcnt lgkmcnt(0)
	s_barrier
	s_and_saveexec_b64 s[0:1], vcc
	s_cbranch_execz .LBB54_233
; %bb.232:
	ds_read2_b64 v[70:73], v64 offset0:14 offset1:15
	ds_read2_b64 v[74:77], v64 offset0:16 offset1:17
	v_mul_f64 v[30:31], v[60:61], v[30:31]
	ds_read2_b64 v[78:81], v64 offset0:18 offset1:19
	s_waitcnt lgkmcnt(0)
	v_fma_f64 v[26:27], -v[30:31], v[70:71], v[26:27]
	v_fma_f64 v[28:29], -v[30:31], v[72:73], v[28:29]
	ds_read2_b64 v[70:73], v64 offset0:20 offset1:21
	v_fma_f64 v[24:25], -v[30:31], v[74:75], v[24:25]
	v_fma_f64 v[22:23], -v[30:31], v[76:77], v[22:23]
	;; [unrolled: 1-line block ×4, first 2 shown]
	ds_read2_b64 v[74:77], v64 offset0:22 offset1:23
	ds_read2_b64 v[78:81], v64 offset0:24 offset1:25
	s_waitcnt lgkmcnt(0)
	v_fma_f64 v[16:17], -v[30:31], v[70:71], v[16:17]
	v_fma_f64 v[14:15], -v[30:31], v[72:73], v[14:15]
	ds_read2_b64 v[70:73], v64 offset0:26 offset1:27
	v_fma_f64 v[12:13], -v[30:31], v[74:75], v[12:13]
	v_fma_f64 v[10:11], -v[30:31], v[76:77], v[10:11]
	;; [unrolled: 1-line block ×4, first 2 shown]
	s_waitcnt lgkmcnt(0)
	v_fma_f64 v[0:1], -v[30:31], v[70:71], v[0:1]
	v_fma_f64 v[58:59], -v[30:31], v[72:73], v[58:59]
.LBB54_233:
	s_or_b64 exec, exec, s[0:1]
	v_lshl_add_u32 v60, v65, 3, v64
	s_barrier
	ds_write_b64 v60, v[26:27]
	s_waitcnt lgkmcnt(0)
	s_barrier
	ds_read_b64 v[60:61], v64 offset:112
	s_cmp_lt_i32 s18, 16
	v_mov_b32_e32 v62, 14
	s_cbranch_scc1 .LBB54_236
; %bb.234:
	v_add_u32_e32 v69, 0x78, v64
	s_mov_b32 s0, 15
	v_mov_b32_e32 v62, 14
.LBB54_235:                             ; =>This Inner Loop Header: Depth=1
	ds_read_b64 v[70:71], v69
	v_mov_b32_e32 v72, s0
	s_add_i32 s0, s0, 1
	v_add_u32_e32 v69, 8, v69
	s_cmp_lg_u32 s18, s0
	s_waitcnt lgkmcnt(0)
	v_cmp_lt_f64_e64 vcc, |v[60:61]|, |v[70:71]|
	v_cndmask_b32_e32 v61, v61, v71, vcc
	v_cndmask_b32_e32 v60, v60, v70, vcc
	;; [unrolled: 1-line block ×3, first 2 shown]
	s_cbranch_scc1 .LBB54_235
.LBB54_236:
	s_waitcnt lgkmcnt(0)
	v_cmp_eq_f64_e32 vcc, 0, v[60:61]
	s_and_saveexec_b64 s[0:1], vcc
	s_xor_b64 s[0:1], exec, s[0:1]
; %bb.237:
	v_cmp_ne_u32_e32 vcc, 0, v68
	v_cndmask_b32_e32 v68, 15, v68, vcc
; %bb.238:
	s_andn2_saveexec_b64 s[0:1], s[0:1]
; %bb.239:
	v_div_scale_f64 v[70:71], s[2:3], v[60:61], v[60:61], 1.0
	v_rcp_f64_e32 v[72:73], v[70:71]
	v_div_scale_f64 v[74:75], vcc, 1.0, v[60:61], 1.0
	v_fma_f64 v[76:77], -v[70:71], v[72:73], 1.0
	v_fmac_f64_e32 v[72:73], v[72:73], v[76:77]
	v_fma_f64 v[76:77], -v[70:71], v[72:73], 1.0
	v_fmac_f64_e32 v[72:73], v[72:73], v[76:77]
	v_mul_f64 v[76:77], v[74:75], v[72:73]
	v_fma_f64 v[70:71], -v[70:71], v[76:77], v[74:75]
	v_div_fmas_f64 v[70:71], v[70:71], v[72:73], v[76:77]
	v_div_fixup_f64 v[60:61], v[70:71], v[60:61], 1.0
; %bb.240:
	s_or_b64 exec, exec, s[0:1]
	v_cmp_ne_u32_e32 vcc, v65, v62
	s_and_saveexec_b64 s[0:1], vcc
	s_xor_b64 s[0:1], exec, s[0:1]
	s_cbranch_execz .LBB54_246
; %bb.241:
	v_cmp_eq_u32_e32 vcc, 14, v65
	s_and_saveexec_b64 s[2:3], vcc
	s_cbranch_execz .LBB54_245
; %bb.242:
	v_cmp_ne_u32_e32 vcc, 14, v62
	s_xor_b64 s[14:15], s[6:7], -1
	s_and_b64 s[16:17], s[14:15], vcc
	s_and_saveexec_b64 s[14:15], s[16:17]
	s_cbranch_execz .LBB54_244
; %bb.243:
	v_ashrrev_i32_e32 v63, 31, v62
	v_lshlrev_b64 v[70:71], 2, v[62:63]
	v_add_co_u32_e32 v70, vcc, v4, v70
	v_addc_co_u32_e32 v71, vcc, v5, v71, vcc
	flat_load_dword v63, v[70:71]
	flat_load_dword v65, v[4:5] offset:56
	s_waitcnt vmcnt(0) lgkmcnt(0)
	flat_store_dword v[4:5], v63 offset:56
	flat_store_dword v[70:71], v65
.LBB54_244:
	s_or_b64 exec, exec, s[14:15]
	v_mov_b32_e32 v63, v62
	v_mov_b32_e32 v65, v62
.LBB54_245:
	s_or_b64 exec, exec, s[2:3]
.LBB54_246:
	s_andn2_saveexec_b64 s[0:1], s[0:1]
	s_cbranch_execz .LBB54_248
; %bb.247:
	v_mov_b32_e32 v65, 14
	ds_write2_b64 v64, v[28:29], v[24:25] offset0:15 offset1:16
	ds_write2_b64 v64, v[22:23], v[20:21] offset0:17 offset1:18
	;; [unrolled: 1-line block ×6, first 2 shown]
	ds_write_b64 v64, v[58:59] offset:216
.LBB54_248:
	s_or_b64 exec, exec, s[0:1]
	v_cmp_lt_i32_e32 vcc, 14, v65
	s_waitcnt lgkmcnt(0)
	s_barrier
	s_and_saveexec_b64 s[0:1], vcc
	s_cbranch_execz .LBB54_250
; %bb.249:
	ds_read2_b64 v[70:73], v64 offset0:15 offset1:16
	ds_read2_b64 v[74:77], v64 offset0:17 offset1:18
	ds_read2_b64 v[78:81], v64 offset0:19 offset1:20
	v_mul_f64 v[26:27], v[60:61], v[26:27]
	ds_read_b64 v[60:61], v64 offset:216
	s_waitcnt lgkmcnt(0)
	v_fma_f64 v[28:29], -v[26:27], v[70:71], v[28:29]
	v_fma_f64 v[24:25], -v[26:27], v[72:73], v[24:25]
	ds_read2_b64 v[70:73], v64 offset0:21 offset1:22
	v_fma_f64 v[22:23], -v[26:27], v[74:75], v[22:23]
	v_fma_f64 v[20:21], -v[26:27], v[76:77], v[20:21]
	;; [unrolled: 1-line block ×4, first 2 shown]
	ds_read2_b64 v[74:77], v64 offset0:23 offset1:24
	ds_read2_b64 v[78:81], v64 offset0:25 offset1:26
	s_waitcnt lgkmcnt(0)
	v_fma_f64 v[14:15], -v[26:27], v[70:71], v[14:15]
	v_fma_f64 v[12:13], -v[26:27], v[72:73], v[12:13]
	;; [unrolled: 1-line block ×7, first 2 shown]
.LBB54_250:
	s_or_b64 exec, exec, s[0:1]
	v_lshl_add_u32 v60, v65, 3, v64
	s_barrier
	ds_write_b64 v60, v[28:29]
	s_waitcnt lgkmcnt(0)
	s_barrier
	ds_read_b64 v[60:61], v64 offset:120
	s_cmp_lt_i32 s18, 17
	v_mov_b32_e32 v62, 15
	s_cbranch_scc1 .LBB54_253
; %bb.251:
	v_add_u32_e32 v69, 0x80, v64
	s_mov_b32 s0, 16
	v_mov_b32_e32 v62, 15
.LBB54_252:                             ; =>This Inner Loop Header: Depth=1
	ds_read_b64 v[70:71], v69
	v_mov_b32_e32 v72, s0
	s_add_i32 s0, s0, 1
	v_add_u32_e32 v69, 8, v69
	s_cmp_lg_u32 s18, s0
	s_waitcnt lgkmcnt(0)
	v_cmp_lt_f64_e64 vcc, |v[60:61]|, |v[70:71]|
	v_cndmask_b32_e32 v61, v61, v71, vcc
	v_cndmask_b32_e32 v60, v60, v70, vcc
	;; [unrolled: 1-line block ×3, first 2 shown]
	s_cbranch_scc1 .LBB54_252
.LBB54_253:
	s_waitcnt lgkmcnt(0)
	v_cmp_eq_f64_e32 vcc, 0, v[60:61]
	s_and_saveexec_b64 s[0:1], vcc
	s_xor_b64 s[0:1], exec, s[0:1]
; %bb.254:
	v_cmp_ne_u32_e32 vcc, 0, v68
	v_cndmask_b32_e32 v68, 16, v68, vcc
; %bb.255:
	s_andn2_saveexec_b64 s[0:1], s[0:1]
; %bb.256:
	v_div_scale_f64 v[70:71], s[2:3], v[60:61], v[60:61], 1.0
	v_rcp_f64_e32 v[72:73], v[70:71]
	v_div_scale_f64 v[74:75], vcc, 1.0, v[60:61], 1.0
	v_fma_f64 v[76:77], -v[70:71], v[72:73], 1.0
	v_fmac_f64_e32 v[72:73], v[72:73], v[76:77]
	v_fma_f64 v[76:77], -v[70:71], v[72:73], 1.0
	v_fmac_f64_e32 v[72:73], v[72:73], v[76:77]
	v_mul_f64 v[76:77], v[74:75], v[72:73]
	v_fma_f64 v[70:71], -v[70:71], v[76:77], v[74:75]
	v_div_fmas_f64 v[70:71], v[70:71], v[72:73], v[76:77]
	v_div_fixup_f64 v[60:61], v[70:71], v[60:61], 1.0
; %bb.257:
	s_or_b64 exec, exec, s[0:1]
	v_cmp_ne_u32_e32 vcc, v65, v62
	s_and_saveexec_b64 s[0:1], vcc
	s_xor_b64 s[0:1], exec, s[0:1]
	s_cbranch_execz .LBB54_263
; %bb.258:
	v_cmp_eq_u32_e32 vcc, 15, v65
	s_and_saveexec_b64 s[2:3], vcc
	s_cbranch_execz .LBB54_262
; %bb.259:
	v_cmp_ne_u32_e32 vcc, 15, v62
	s_xor_b64 s[14:15], s[6:7], -1
	s_and_b64 s[16:17], s[14:15], vcc
	s_and_saveexec_b64 s[14:15], s[16:17]
	s_cbranch_execz .LBB54_261
; %bb.260:
	v_ashrrev_i32_e32 v63, 31, v62
	v_lshlrev_b64 v[70:71], 2, v[62:63]
	v_add_co_u32_e32 v70, vcc, v4, v70
	v_addc_co_u32_e32 v71, vcc, v5, v71, vcc
	flat_load_dword v63, v[70:71]
	flat_load_dword v65, v[4:5] offset:60
	s_waitcnt vmcnt(0) lgkmcnt(0)
	flat_store_dword v[4:5], v63 offset:60
	flat_store_dword v[70:71], v65
.LBB54_261:
	s_or_b64 exec, exec, s[14:15]
	v_mov_b32_e32 v63, v62
	v_mov_b32_e32 v65, v62
.LBB54_262:
	s_or_b64 exec, exec, s[2:3]
.LBB54_263:
	s_andn2_saveexec_b64 s[0:1], s[0:1]
	s_cbranch_execz .LBB54_265
; %bb.264:
	v_mov_b32_e32 v70, v24
	v_mov_b32_e32 v71, v25
	v_mov_b32_e32 v72, v22
	v_mov_b32_e32 v73, v23
	ds_write2_b64 v64, v[70:71], v[72:73] offset0:16 offset1:17
	v_mov_b32_e32 v70, v20
	v_mov_b32_e32 v71, v21
	v_mov_b32_e32 v72, v18
	v_mov_b32_e32 v73, v19
	ds_write2_b64 v64, v[70:71], v[72:73] offset0:18 offset1:19
	;; [unrolled: 5-line block ×5, first 2 shown]
	v_mov_b32_e32 v70, v0
	v_mov_b32_e32 v71, v1
	;; [unrolled: 1-line block ×3, first 2 shown]
	ds_write2_b64 v64, v[70:71], v[58:59] offset0:26 offset1:27
.LBB54_265:
	s_or_b64 exec, exec, s[0:1]
	v_cmp_lt_i32_e32 vcc, 15, v65
	s_waitcnt lgkmcnt(0)
	s_barrier
	s_and_saveexec_b64 s[0:1], vcc
	s_cbranch_execz .LBB54_267
; %bb.266:
	ds_read2_b64 v[70:73], v64 offset0:16 offset1:17
	ds_read2_b64 v[74:77], v64 offset0:18 offset1:19
	;; [unrolled: 1-line block ×3, first 2 shown]
	v_mul_f64 v[28:29], v[60:61], v[28:29]
	s_waitcnt lgkmcnt(0)
	v_fma_f64 v[24:25], -v[28:29], v[70:71], v[24:25]
	v_fma_f64 v[22:23], -v[28:29], v[72:73], v[22:23]
	ds_read2_b64 v[70:73], v64 offset0:22 offset1:23
	v_fma_f64 v[20:21], -v[28:29], v[74:75], v[20:21]
	v_fma_f64 v[18:19], -v[28:29], v[76:77], v[18:19]
	;; [unrolled: 1-line block ×3, first 2 shown]
	ds_read2_b64 v[74:77], v64 offset0:24 offset1:25
	v_fma_f64 v[14:15], -v[28:29], v[80:81], v[14:15]
	ds_read2_b64 v[78:81], v64 offset0:26 offset1:27
	s_waitcnt lgkmcnt(0)
	v_fma_f64 v[12:13], -v[28:29], v[70:71], v[12:13]
	v_fma_f64 v[10:11], -v[28:29], v[72:73], v[10:11]
	;; [unrolled: 1-line block ×6, first 2 shown]
.LBB54_267:
	s_or_b64 exec, exec, s[0:1]
	v_lshl_add_u32 v60, v65, 3, v64
	s_barrier
	ds_write_b64 v60, v[24:25]
	s_waitcnt lgkmcnt(0)
	s_barrier
	ds_read_b64 v[60:61], v64 offset:128
	s_cmp_lt_i32 s18, 18
	v_mov_b32_e32 v62, 16
	s_cbranch_scc1 .LBB54_270
; %bb.268:
	v_add_u32_e32 v69, 0x88, v64
	s_mov_b32 s0, 17
	v_mov_b32_e32 v62, 16
.LBB54_269:                             ; =>This Inner Loop Header: Depth=1
	ds_read_b64 v[70:71], v69
	v_mov_b32_e32 v72, s0
	s_add_i32 s0, s0, 1
	v_add_u32_e32 v69, 8, v69
	s_cmp_lg_u32 s18, s0
	s_waitcnt lgkmcnt(0)
	v_cmp_lt_f64_e64 vcc, |v[60:61]|, |v[70:71]|
	v_cndmask_b32_e32 v61, v61, v71, vcc
	v_cndmask_b32_e32 v60, v60, v70, vcc
	;; [unrolled: 1-line block ×3, first 2 shown]
	s_cbranch_scc1 .LBB54_269
.LBB54_270:
	s_waitcnt lgkmcnt(0)
	v_cmp_eq_f64_e32 vcc, 0, v[60:61]
	s_and_saveexec_b64 s[0:1], vcc
	s_xor_b64 s[0:1], exec, s[0:1]
; %bb.271:
	v_cmp_ne_u32_e32 vcc, 0, v68
	v_cndmask_b32_e32 v68, 17, v68, vcc
; %bb.272:
	s_andn2_saveexec_b64 s[0:1], s[0:1]
; %bb.273:
	v_div_scale_f64 v[70:71], s[2:3], v[60:61], v[60:61], 1.0
	v_rcp_f64_e32 v[72:73], v[70:71]
	v_div_scale_f64 v[74:75], vcc, 1.0, v[60:61], 1.0
	v_fma_f64 v[76:77], -v[70:71], v[72:73], 1.0
	v_fmac_f64_e32 v[72:73], v[72:73], v[76:77]
	v_fma_f64 v[76:77], -v[70:71], v[72:73], 1.0
	v_fmac_f64_e32 v[72:73], v[72:73], v[76:77]
	v_mul_f64 v[76:77], v[74:75], v[72:73]
	v_fma_f64 v[70:71], -v[70:71], v[76:77], v[74:75]
	v_div_fmas_f64 v[70:71], v[70:71], v[72:73], v[76:77]
	v_div_fixup_f64 v[60:61], v[70:71], v[60:61], 1.0
; %bb.274:
	s_or_b64 exec, exec, s[0:1]
	v_cmp_ne_u32_e32 vcc, v65, v62
	s_and_saveexec_b64 s[0:1], vcc
	s_xor_b64 s[0:1], exec, s[0:1]
	s_cbranch_execz .LBB54_280
; %bb.275:
	v_cmp_eq_u32_e32 vcc, 16, v65
	s_and_saveexec_b64 s[2:3], vcc
	s_cbranch_execz .LBB54_279
; %bb.276:
	v_cmp_ne_u32_e32 vcc, 16, v62
	s_xor_b64 s[14:15], s[6:7], -1
	s_and_b64 s[16:17], s[14:15], vcc
	s_and_saveexec_b64 s[14:15], s[16:17]
	s_cbranch_execz .LBB54_278
; %bb.277:
	v_ashrrev_i32_e32 v63, 31, v62
	v_lshlrev_b64 v[70:71], 2, v[62:63]
	v_add_co_u32_e32 v70, vcc, v4, v70
	v_addc_co_u32_e32 v71, vcc, v5, v71, vcc
	flat_load_dword v63, v[70:71]
	flat_load_dword v65, v[4:5] offset:64
	s_waitcnt vmcnt(0) lgkmcnt(0)
	flat_store_dword v[4:5], v63 offset:64
	flat_store_dword v[70:71], v65
.LBB54_278:
	s_or_b64 exec, exec, s[14:15]
	v_mov_b32_e32 v63, v62
	v_mov_b32_e32 v65, v62
.LBB54_279:
	s_or_b64 exec, exec, s[2:3]
.LBB54_280:
	s_andn2_saveexec_b64 s[0:1], s[0:1]
	s_cbranch_execz .LBB54_282
; %bb.281:
	v_mov_b32_e32 v65, 16
	ds_write2_b64 v64, v[22:23], v[20:21] offset0:17 offset1:18
	ds_write2_b64 v64, v[18:19], v[16:17] offset0:19 offset1:20
	;; [unrolled: 1-line block ×5, first 2 shown]
	ds_write_b64 v64, v[58:59] offset:216
.LBB54_282:
	s_or_b64 exec, exec, s[0:1]
	v_cmp_lt_i32_e32 vcc, 16, v65
	s_waitcnt lgkmcnt(0)
	s_barrier
	s_and_saveexec_b64 s[0:1], vcc
	s_cbranch_execz .LBB54_284
; %bb.283:
	ds_read2_b64 v[70:73], v64 offset0:17 offset1:18
	ds_read2_b64 v[74:77], v64 offset0:19 offset1:20
	v_mul_f64 v[24:25], v[60:61], v[24:25]
	ds_read2_b64 v[78:81], v64 offset0:21 offset1:22
	ds_read_b64 v[60:61], v64 offset:216
	s_waitcnt lgkmcnt(0)
	v_fma_f64 v[22:23], -v[24:25], v[70:71], v[22:23]
	v_fma_f64 v[20:21], -v[24:25], v[72:73], v[20:21]
	ds_read2_b64 v[70:73], v64 offset0:23 offset1:24
	v_fma_f64 v[18:19], -v[24:25], v[74:75], v[18:19]
	v_fma_f64 v[16:17], -v[24:25], v[76:77], v[16:17]
	ds_read2_b64 v[74:77], v64 offset0:25 offset1:26
	v_fma_f64 v[14:15], -v[24:25], v[78:79], v[14:15]
	v_fma_f64 v[12:13], -v[24:25], v[80:81], v[12:13]
	s_waitcnt lgkmcnt(0)
	v_fma_f64 v[10:11], -v[24:25], v[70:71], v[10:11]
	v_fma_f64 v[8:9], -v[24:25], v[72:73], v[8:9]
	v_fma_f64 v[6:7], -v[24:25], v[74:75], v[6:7]
	v_fma_f64 v[0:1], -v[24:25], v[76:77], v[0:1]
	v_fma_f64 v[58:59], -v[24:25], v[60:61], v[58:59]
.LBB54_284:
	s_or_b64 exec, exec, s[0:1]
	v_lshl_add_u32 v60, v65, 3, v64
	s_barrier
	ds_write_b64 v60, v[22:23]
	s_waitcnt lgkmcnt(0)
	s_barrier
	ds_read_b64 v[60:61], v64 offset:136
	s_cmp_lt_i32 s18, 19
	v_mov_b32_e32 v62, 17
	s_cbranch_scc1 .LBB54_287
; %bb.285:
	v_add_u32_e32 v69, 0x90, v64
	s_mov_b32 s0, 18
	v_mov_b32_e32 v62, 17
.LBB54_286:                             ; =>This Inner Loop Header: Depth=1
	ds_read_b64 v[70:71], v69
	v_mov_b32_e32 v72, s0
	s_add_i32 s0, s0, 1
	v_add_u32_e32 v69, 8, v69
	s_cmp_lg_u32 s18, s0
	s_waitcnt lgkmcnt(0)
	v_cmp_lt_f64_e64 vcc, |v[60:61]|, |v[70:71]|
	v_cndmask_b32_e32 v61, v61, v71, vcc
	v_cndmask_b32_e32 v60, v60, v70, vcc
	;; [unrolled: 1-line block ×3, first 2 shown]
	s_cbranch_scc1 .LBB54_286
.LBB54_287:
	s_waitcnt lgkmcnt(0)
	v_cmp_eq_f64_e32 vcc, 0, v[60:61]
	s_and_saveexec_b64 s[0:1], vcc
	s_xor_b64 s[0:1], exec, s[0:1]
; %bb.288:
	v_cmp_ne_u32_e32 vcc, 0, v68
	v_cndmask_b32_e32 v68, 18, v68, vcc
; %bb.289:
	s_andn2_saveexec_b64 s[0:1], s[0:1]
; %bb.290:
	v_div_scale_f64 v[70:71], s[2:3], v[60:61], v[60:61], 1.0
	v_rcp_f64_e32 v[72:73], v[70:71]
	v_div_scale_f64 v[74:75], vcc, 1.0, v[60:61], 1.0
	v_fma_f64 v[76:77], -v[70:71], v[72:73], 1.0
	v_fmac_f64_e32 v[72:73], v[72:73], v[76:77]
	v_fma_f64 v[76:77], -v[70:71], v[72:73], 1.0
	v_fmac_f64_e32 v[72:73], v[72:73], v[76:77]
	v_mul_f64 v[76:77], v[74:75], v[72:73]
	v_fma_f64 v[70:71], -v[70:71], v[76:77], v[74:75]
	v_div_fmas_f64 v[70:71], v[70:71], v[72:73], v[76:77]
	v_div_fixup_f64 v[60:61], v[70:71], v[60:61], 1.0
; %bb.291:
	s_or_b64 exec, exec, s[0:1]
	v_cmp_ne_u32_e32 vcc, v65, v62
	s_and_saveexec_b64 s[0:1], vcc
	s_xor_b64 s[0:1], exec, s[0:1]
	s_cbranch_execz .LBB54_297
; %bb.292:
	v_cmp_eq_u32_e32 vcc, 17, v65
	s_and_saveexec_b64 s[2:3], vcc
	s_cbranch_execz .LBB54_296
; %bb.293:
	v_cmp_ne_u32_e32 vcc, 17, v62
	s_xor_b64 s[14:15], s[6:7], -1
	s_and_b64 s[16:17], s[14:15], vcc
	s_and_saveexec_b64 s[14:15], s[16:17]
	s_cbranch_execz .LBB54_295
; %bb.294:
	v_ashrrev_i32_e32 v63, 31, v62
	v_lshlrev_b64 v[70:71], 2, v[62:63]
	v_add_co_u32_e32 v70, vcc, v4, v70
	v_addc_co_u32_e32 v71, vcc, v5, v71, vcc
	flat_load_dword v63, v[70:71]
	flat_load_dword v65, v[4:5] offset:68
	s_waitcnt vmcnt(0) lgkmcnt(0)
	flat_store_dword v[4:5], v63 offset:68
	flat_store_dword v[70:71], v65
.LBB54_295:
	s_or_b64 exec, exec, s[14:15]
	v_mov_b32_e32 v63, v62
	v_mov_b32_e32 v65, v62
.LBB54_296:
	s_or_b64 exec, exec, s[2:3]
.LBB54_297:
	s_andn2_saveexec_b64 s[0:1], s[0:1]
	s_cbranch_execz .LBB54_299
; %bb.298:
	v_mov_b32_e32 v70, v20
	v_mov_b32_e32 v71, v21
	v_mov_b32_e32 v72, v18
	v_mov_b32_e32 v73, v19
	ds_write2_b64 v64, v[70:71], v[72:73] offset0:18 offset1:19
	v_mov_b32_e32 v70, v16
	v_mov_b32_e32 v71, v17
	v_mov_b32_e32 v72, v14
	v_mov_b32_e32 v73, v15
	ds_write2_b64 v64, v[70:71], v[72:73] offset0:20 offset1:21
	;; [unrolled: 5-line block ×4, first 2 shown]
	v_mov_b32_e32 v70, v0
	v_mov_b32_e32 v71, v1
	;; [unrolled: 1-line block ×3, first 2 shown]
	ds_write2_b64 v64, v[70:71], v[58:59] offset0:26 offset1:27
.LBB54_299:
	s_or_b64 exec, exec, s[0:1]
	v_cmp_lt_i32_e32 vcc, 17, v65
	s_waitcnt lgkmcnt(0)
	s_barrier
	s_and_saveexec_b64 s[0:1], vcc
	s_cbranch_execz .LBB54_301
; %bb.300:
	ds_read2_b64 v[70:73], v64 offset0:18 offset1:19
	ds_read2_b64 v[74:77], v64 offset0:20 offset1:21
	v_mul_f64 v[22:23], v[60:61], v[22:23]
	ds_read2_b64 v[78:81], v64 offset0:24 offset1:25
	s_waitcnt lgkmcnt(0)
	v_fma_f64 v[20:21], -v[22:23], v[70:71], v[20:21]
	v_fma_f64 v[18:19], -v[22:23], v[72:73], v[18:19]
	ds_read2_b64 v[70:73], v64 offset0:22 offset1:23
	v_fma_f64 v[16:17], -v[22:23], v[74:75], v[16:17]
	v_fma_f64 v[14:15], -v[22:23], v[76:77], v[14:15]
	ds_read2_b64 v[74:77], v64 offset0:26 offset1:27
	v_fma_f64 v[8:9], -v[22:23], v[78:79], v[8:9]
	s_waitcnt lgkmcnt(0)
	v_fma_f64 v[12:13], -v[22:23], v[70:71], v[12:13]
	v_fma_f64 v[10:11], -v[22:23], v[72:73], v[10:11]
	;; [unrolled: 1-line block ×5, first 2 shown]
.LBB54_301:
	s_or_b64 exec, exec, s[0:1]
	v_lshl_add_u32 v60, v65, 3, v64
	s_barrier
	ds_write_b64 v60, v[20:21]
	s_waitcnt lgkmcnt(0)
	s_barrier
	ds_read_b64 v[60:61], v64 offset:144
	s_cmp_lt_i32 s18, 20
	v_mov_b32_e32 v62, 18
	s_cbranch_scc1 .LBB54_304
; %bb.302:
	v_add_u32_e32 v69, 0x98, v64
	s_mov_b32 s0, 19
	v_mov_b32_e32 v62, 18
.LBB54_303:                             ; =>This Inner Loop Header: Depth=1
	ds_read_b64 v[70:71], v69
	v_mov_b32_e32 v72, s0
	s_add_i32 s0, s0, 1
	v_add_u32_e32 v69, 8, v69
	s_cmp_lg_u32 s18, s0
	s_waitcnt lgkmcnt(0)
	v_cmp_lt_f64_e64 vcc, |v[60:61]|, |v[70:71]|
	v_cndmask_b32_e32 v61, v61, v71, vcc
	v_cndmask_b32_e32 v60, v60, v70, vcc
	;; [unrolled: 1-line block ×3, first 2 shown]
	s_cbranch_scc1 .LBB54_303
.LBB54_304:
	s_waitcnt lgkmcnt(0)
	v_cmp_eq_f64_e32 vcc, 0, v[60:61]
	s_and_saveexec_b64 s[0:1], vcc
	s_xor_b64 s[0:1], exec, s[0:1]
; %bb.305:
	v_cmp_ne_u32_e32 vcc, 0, v68
	v_cndmask_b32_e32 v68, 19, v68, vcc
; %bb.306:
	s_andn2_saveexec_b64 s[0:1], s[0:1]
; %bb.307:
	v_div_scale_f64 v[70:71], s[2:3], v[60:61], v[60:61], 1.0
	v_rcp_f64_e32 v[72:73], v[70:71]
	v_div_scale_f64 v[74:75], vcc, 1.0, v[60:61], 1.0
	v_fma_f64 v[76:77], -v[70:71], v[72:73], 1.0
	v_fmac_f64_e32 v[72:73], v[72:73], v[76:77]
	v_fma_f64 v[76:77], -v[70:71], v[72:73], 1.0
	v_fmac_f64_e32 v[72:73], v[72:73], v[76:77]
	v_mul_f64 v[76:77], v[74:75], v[72:73]
	v_fma_f64 v[70:71], -v[70:71], v[76:77], v[74:75]
	v_div_fmas_f64 v[70:71], v[70:71], v[72:73], v[76:77]
	v_div_fixup_f64 v[60:61], v[70:71], v[60:61], 1.0
; %bb.308:
	s_or_b64 exec, exec, s[0:1]
	v_cmp_ne_u32_e32 vcc, v65, v62
	s_and_saveexec_b64 s[0:1], vcc
	s_xor_b64 s[0:1], exec, s[0:1]
	s_cbranch_execz .LBB54_314
; %bb.309:
	v_cmp_eq_u32_e32 vcc, 18, v65
	s_and_saveexec_b64 s[2:3], vcc
	s_cbranch_execz .LBB54_313
; %bb.310:
	v_cmp_ne_u32_e32 vcc, 18, v62
	s_xor_b64 s[14:15], s[6:7], -1
	s_and_b64 s[16:17], s[14:15], vcc
	s_and_saveexec_b64 s[14:15], s[16:17]
	s_cbranch_execz .LBB54_312
; %bb.311:
	v_ashrrev_i32_e32 v63, 31, v62
	v_lshlrev_b64 v[70:71], 2, v[62:63]
	v_add_co_u32_e32 v70, vcc, v4, v70
	v_addc_co_u32_e32 v71, vcc, v5, v71, vcc
	flat_load_dword v63, v[70:71]
	flat_load_dword v65, v[4:5] offset:72
	s_waitcnt vmcnt(0) lgkmcnt(0)
	flat_store_dword v[4:5], v63 offset:72
	flat_store_dword v[70:71], v65
.LBB54_312:
	s_or_b64 exec, exec, s[14:15]
	v_mov_b32_e32 v63, v62
	v_mov_b32_e32 v65, v62
.LBB54_313:
	s_or_b64 exec, exec, s[2:3]
.LBB54_314:
	s_andn2_saveexec_b64 s[0:1], s[0:1]
	s_cbranch_execz .LBB54_316
; %bb.315:
	v_mov_b32_e32 v65, 18
	ds_write2_b64 v64, v[18:19], v[16:17] offset0:19 offset1:20
	ds_write2_b64 v64, v[14:15], v[12:13] offset0:21 offset1:22
	;; [unrolled: 1-line block ×4, first 2 shown]
	ds_write_b64 v64, v[58:59] offset:216
.LBB54_316:
	s_or_b64 exec, exec, s[0:1]
	v_cmp_lt_i32_e32 vcc, 18, v65
	s_waitcnt lgkmcnt(0)
	s_barrier
	s_and_saveexec_b64 s[0:1], vcc
	s_cbranch_execz .LBB54_318
; %bb.317:
	ds_read2_b64 v[70:73], v64 offset0:19 offset1:20
	ds_read2_b64 v[74:77], v64 offset0:21 offset1:22
	v_mul_f64 v[20:21], v[60:61], v[20:21]
	ds_read_b64 v[60:61], v64 offset:216
	ds_read2_b64 v[78:81], v64 offset0:25 offset1:26
	s_waitcnt lgkmcnt(0)
	v_fma_f64 v[18:19], -v[20:21], v[70:71], v[18:19]
	v_fma_f64 v[16:17], -v[20:21], v[72:73], v[16:17]
	ds_read2_b64 v[70:73], v64 offset0:23 offset1:24
	v_fma_f64 v[14:15], -v[20:21], v[74:75], v[14:15]
	v_fma_f64 v[12:13], -v[20:21], v[76:77], v[12:13]
	;; [unrolled: 1-line block ×4, first 2 shown]
	s_waitcnt lgkmcnt(0)
	v_fma_f64 v[10:11], -v[20:21], v[70:71], v[10:11]
	v_fma_f64 v[8:9], -v[20:21], v[72:73], v[8:9]
	;; [unrolled: 1-line block ×3, first 2 shown]
.LBB54_318:
	s_or_b64 exec, exec, s[0:1]
	v_lshl_add_u32 v60, v65, 3, v64
	s_barrier
	ds_write_b64 v60, v[18:19]
	s_waitcnt lgkmcnt(0)
	s_barrier
	ds_read_b64 v[60:61], v64 offset:152
	s_cmp_lt_i32 s18, 21
	v_mov_b32_e32 v62, 19
	s_cbranch_scc1 .LBB54_321
; %bb.319:
	v_add_u32_e32 v69, 0xa0, v64
	s_mov_b32 s0, 20
	v_mov_b32_e32 v62, 19
.LBB54_320:                             ; =>This Inner Loop Header: Depth=1
	ds_read_b64 v[70:71], v69
	v_mov_b32_e32 v72, s0
	s_add_i32 s0, s0, 1
	v_add_u32_e32 v69, 8, v69
	s_cmp_lg_u32 s18, s0
	s_waitcnt lgkmcnt(0)
	v_cmp_lt_f64_e64 vcc, |v[60:61]|, |v[70:71]|
	v_cndmask_b32_e32 v61, v61, v71, vcc
	v_cndmask_b32_e32 v60, v60, v70, vcc
	;; [unrolled: 1-line block ×3, first 2 shown]
	s_cbranch_scc1 .LBB54_320
.LBB54_321:
	s_waitcnt lgkmcnt(0)
	v_cmp_eq_f64_e32 vcc, 0, v[60:61]
	s_and_saveexec_b64 s[0:1], vcc
	s_xor_b64 s[0:1], exec, s[0:1]
; %bb.322:
	v_cmp_ne_u32_e32 vcc, 0, v68
	v_cndmask_b32_e32 v68, 20, v68, vcc
; %bb.323:
	s_andn2_saveexec_b64 s[0:1], s[0:1]
; %bb.324:
	v_div_scale_f64 v[70:71], s[2:3], v[60:61], v[60:61], 1.0
	v_rcp_f64_e32 v[72:73], v[70:71]
	v_div_scale_f64 v[74:75], vcc, 1.0, v[60:61], 1.0
	v_fma_f64 v[76:77], -v[70:71], v[72:73], 1.0
	v_fmac_f64_e32 v[72:73], v[72:73], v[76:77]
	v_fma_f64 v[76:77], -v[70:71], v[72:73], 1.0
	v_fmac_f64_e32 v[72:73], v[72:73], v[76:77]
	v_mul_f64 v[76:77], v[74:75], v[72:73]
	v_fma_f64 v[70:71], -v[70:71], v[76:77], v[74:75]
	v_div_fmas_f64 v[70:71], v[70:71], v[72:73], v[76:77]
	v_div_fixup_f64 v[60:61], v[70:71], v[60:61], 1.0
; %bb.325:
	s_or_b64 exec, exec, s[0:1]
	v_cmp_ne_u32_e32 vcc, v65, v62
	s_and_saveexec_b64 s[0:1], vcc
	s_xor_b64 s[0:1], exec, s[0:1]
	s_cbranch_execz .LBB54_331
; %bb.326:
	v_cmp_eq_u32_e32 vcc, 19, v65
	s_and_saveexec_b64 s[2:3], vcc
	s_cbranch_execz .LBB54_330
; %bb.327:
	v_cmp_ne_u32_e32 vcc, 19, v62
	s_xor_b64 s[14:15], s[6:7], -1
	s_and_b64 s[16:17], s[14:15], vcc
	s_and_saveexec_b64 s[14:15], s[16:17]
	s_cbranch_execz .LBB54_329
; %bb.328:
	v_ashrrev_i32_e32 v63, 31, v62
	v_lshlrev_b64 v[70:71], 2, v[62:63]
	v_add_co_u32_e32 v70, vcc, v4, v70
	v_addc_co_u32_e32 v71, vcc, v5, v71, vcc
	flat_load_dword v63, v[70:71]
	flat_load_dword v65, v[4:5] offset:76
	s_waitcnt vmcnt(0) lgkmcnt(0)
	flat_store_dword v[4:5], v63 offset:76
	flat_store_dword v[70:71], v65
.LBB54_329:
	s_or_b64 exec, exec, s[14:15]
	v_mov_b32_e32 v63, v62
	v_mov_b32_e32 v65, v62
.LBB54_330:
	s_or_b64 exec, exec, s[2:3]
.LBB54_331:
	s_andn2_saveexec_b64 s[0:1], s[0:1]
	s_cbranch_execz .LBB54_333
; %bb.332:
	v_mov_b32_e32 v70, v16
	v_mov_b32_e32 v71, v17
	v_mov_b32_e32 v72, v14
	v_mov_b32_e32 v73, v15
	ds_write2_b64 v64, v[70:71], v[72:73] offset0:20 offset1:21
	v_mov_b32_e32 v70, v12
	v_mov_b32_e32 v71, v13
	v_mov_b32_e32 v72, v10
	v_mov_b32_e32 v73, v11
	ds_write2_b64 v64, v[70:71], v[72:73] offset0:22 offset1:23
	v_mov_b32_e32 v70, v8
	v_mov_b32_e32 v71, v9
	v_mov_b32_e32 v72, v6
	v_mov_b32_e32 v73, v7
	ds_write2_b64 v64, v[70:71], v[72:73] offset0:24 offset1:25
	v_mov_b32_e32 v70, v0
	v_mov_b32_e32 v71, v1
	;; [unrolled: 1-line block ×3, first 2 shown]
	ds_write2_b64 v64, v[70:71], v[58:59] offset0:26 offset1:27
.LBB54_333:
	s_or_b64 exec, exec, s[0:1]
	v_cmp_lt_i32_e32 vcc, 19, v65
	s_waitcnt lgkmcnt(0)
	s_barrier
	s_and_saveexec_b64 s[0:1], vcc
	s_cbranch_execz .LBB54_335
; %bb.334:
	ds_read2_b64 v[70:73], v64 offset0:20 offset1:21
	ds_read2_b64 v[74:77], v64 offset0:22 offset1:23
	v_mul_f64 v[18:19], v[60:61], v[18:19]
	ds_read2_b64 v[78:81], v64 offset0:24 offset1:25
	s_waitcnt lgkmcnt(0)
	v_fma_f64 v[16:17], -v[18:19], v[70:71], v[16:17]
	v_fma_f64 v[14:15], -v[18:19], v[72:73], v[14:15]
	ds_read2_b64 v[70:73], v64 offset0:26 offset1:27
	v_fma_f64 v[12:13], -v[18:19], v[74:75], v[12:13]
	v_fma_f64 v[10:11], -v[18:19], v[76:77], v[10:11]
	;; [unrolled: 1-line block ×4, first 2 shown]
	s_waitcnt lgkmcnt(0)
	v_fma_f64 v[0:1], -v[18:19], v[70:71], v[0:1]
	v_fma_f64 v[58:59], -v[18:19], v[72:73], v[58:59]
.LBB54_335:
	s_or_b64 exec, exec, s[0:1]
	v_lshl_add_u32 v60, v65, 3, v64
	s_barrier
	ds_write_b64 v60, v[16:17]
	s_waitcnt lgkmcnt(0)
	s_barrier
	ds_read_b64 v[60:61], v64 offset:160
	s_cmp_lt_i32 s18, 22
	v_mov_b32_e32 v62, 20
	s_cbranch_scc1 .LBB54_338
; %bb.336:
	v_add_u32_e32 v69, 0xa8, v64
	s_mov_b32 s0, 21
	v_mov_b32_e32 v62, 20
.LBB54_337:                             ; =>This Inner Loop Header: Depth=1
	ds_read_b64 v[70:71], v69
	v_mov_b32_e32 v72, s0
	s_add_i32 s0, s0, 1
	v_add_u32_e32 v69, 8, v69
	s_cmp_lg_u32 s18, s0
	s_waitcnt lgkmcnt(0)
	v_cmp_lt_f64_e64 vcc, |v[60:61]|, |v[70:71]|
	v_cndmask_b32_e32 v61, v61, v71, vcc
	v_cndmask_b32_e32 v60, v60, v70, vcc
	;; [unrolled: 1-line block ×3, first 2 shown]
	s_cbranch_scc1 .LBB54_337
.LBB54_338:
	s_waitcnt lgkmcnt(0)
	v_cmp_eq_f64_e32 vcc, 0, v[60:61]
	s_and_saveexec_b64 s[0:1], vcc
	s_xor_b64 s[0:1], exec, s[0:1]
; %bb.339:
	v_cmp_ne_u32_e32 vcc, 0, v68
	v_cndmask_b32_e32 v68, 21, v68, vcc
; %bb.340:
	s_andn2_saveexec_b64 s[0:1], s[0:1]
; %bb.341:
	v_div_scale_f64 v[70:71], s[2:3], v[60:61], v[60:61], 1.0
	v_rcp_f64_e32 v[72:73], v[70:71]
	v_div_scale_f64 v[74:75], vcc, 1.0, v[60:61], 1.0
	v_fma_f64 v[76:77], -v[70:71], v[72:73], 1.0
	v_fmac_f64_e32 v[72:73], v[72:73], v[76:77]
	v_fma_f64 v[76:77], -v[70:71], v[72:73], 1.0
	v_fmac_f64_e32 v[72:73], v[72:73], v[76:77]
	v_mul_f64 v[76:77], v[74:75], v[72:73]
	v_fma_f64 v[70:71], -v[70:71], v[76:77], v[74:75]
	v_div_fmas_f64 v[70:71], v[70:71], v[72:73], v[76:77]
	v_div_fixup_f64 v[60:61], v[70:71], v[60:61], 1.0
; %bb.342:
	s_or_b64 exec, exec, s[0:1]
	v_cmp_ne_u32_e32 vcc, v65, v62
	s_and_saveexec_b64 s[0:1], vcc
	s_xor_b64 s[0:1], exec, s[0:1]
	s_cbranch_execz .LBB54_348
; %bb.343:
	v_cmp_eq_u32_e32 vcc, 20, v65
	s_and_saveexec_b64 s[2:3], vcc
	s_cbranch_execz .LBB54_347
; %bb.344:
	v_cmp_ne_u32_e32 vcc, 20, v62
	s_xor_b64 s[14:15], s[6:7], -1
	s_and_b64 s[16:17], s[14:15], vcc
	s_and_saveexec_b64 s[14:15], s[16:17]
	s_cbranch_execz .LBB54_346
; %bb.345:
	v_ashrrev_i32_e32 v63, 31, v62
	v_lshlrev_b64 v[70:71], 2, v[62:63]
	v_add_co_u32_e32 v70, vcc, v4, v70
	v_addc_co_u32_e32 v71, vcc, v5, v71, vcc
	flat_load_dword v63, v[70:71]
	flat_load_dword v65, v[4:5] offset:80
	s_waitcnt vmcnt(0) lgkmcnt(0)
	flat_store_dword v[4:5], v63 offset:80
	flat_store_dword v[70:71], v65
.LBB54_346:
	s_or_b64 exec, exec, s[14:15]
	v_mov_b32_e32 v63, v62
	v_mov_b32_e32 v65, v62
.LBB54_347:
	s_or_b64 exec, exec, s[2:3]
.LBB54_348:
	s_andn2_saveexec_b64 s[0:1], s[0:1]
	s_cbranch_execz .LBB54_350
; %bb.349:
	v_mov_b32_e32 v65, 20
	ds_write2_b64 v64, v[14:15], v[12:13] offset0:21 offset1:22
	ds_write2_b64 v64, v[10:11], v[8:9] offset0:23 offset1:24
	;; [unrolled: 1-line block ×3, first 2 shown]
	ds_write_b64 v64, v[58:59] offset:216
.LBB54_350:
	s_or_b64 exec, exec, s[0:1]
	v_cmp_lt_i32_e32 vcc, 20, v65
	s_waitcnt lgkmcnt(0)
	s_barrier
	s_and_saveexec_b64 s[0:1], vcc
	s_cbranch_execz .LBB54_352
; %bb.351:
	ds_read2_b64 v[70:73], v64 offset0:21 offset1:22
	ds_read2_b64 v[74:77], v64 offset0:23 offset1:24
	v_mul_f64 v[16:17], v[60:61], v[16:17]
	ds_read2_b64 v[78:81], v64 offset0:25 offset1:26
	ds_read_b64 v[60:61], v64 offset:216
	s_waitcnt lgkmcnt(0)
	v_fma_f64 v[14:15], -v[16:17], v[70:71], v[14:15]
	v_fma_f64 v[12:13], -v[16:17], v[72:73], v[12:13]
	;; [unrolled: 1-line block ×7, first 2 shown]
.LBB54_352:
	s_or_b64 exec, exec, s[0:1]
	v_lshl_add_u32 v60, v65, 3, v64
	s_barrier
	ds_write_b64 v60, v[14:15]
	s_waitcnt lgkmcnt(0)
	s_barrier
	ds_read_b64 v[60:61], v64 offset:168
	s_cmp_lt_i32 s18, 23
	v_mov_b32_e32 v62, 21
	s_cbranch_scc1 .LBB54_355
; %bb.353:
	v_add_u32_e32 v69, 0xb0, v64
	s_mov_b32 s0, 22
	v_mov_b32_e32 v62, 21
.LBB54_354:                             ; =>This Inner Loop Header: Depth=1
	ds_read_b64 v[70:71], v69
	v_mov_b32_e32 v72, s0
	s_add_i32 s0, s0, 1
	v_add_u32_e32 v69, 8, v69
	s_cmp_lg_u32 s18, s0
	s_waitcnt lgkmcnt(0)
	v_cmp_lt_f64_e64 vcc, |v[60:61]|, |v[70:71]|
	v_cndmask_b32_e32 v61, v61, v71, vcc
	v_cndmask_b32_e32 v60, v60, v70, vcc
	;; [unrolled: 1-line block ×3, first 2 shown]
	s_cbranch_scc1 .LBB54_354
.LBB54_355:
	s_waitcnt lgkmcnt(0)
	v_cmp_eq_f64_e32 vcc, 0, v[60:61]
	s_and_saveexec_b64 s[0:1], vcc
	s_xor_b64 s[0:1], exec, s[0:1]
; %bb.356:
	v_cmp_ne_u32_e32 vcc, 0, v68
	v_cndmask_b32_e32 v68, 22, v68, vcc
; %bb.357:
	s_andn2_saveexec_b64 s[0:1], s[0:1]
; %bb.358:
	v_div_scale_f64 v[70:71], s[2:3], v[60:61], v[60:61], 1.0
	v_rcp_f64_e32 v[72:73], v[70:71]
	v_div_scale_f64 v[74:75], vcc, 1.0, v[60:61], 1.0
	v_fma_f64 v[76:77], -v[70:71], v[72:73], 1.0
	v_fmac_f64_e32 v[72:73], v[72:73], v[76:77]
	v_fma_f64 v[76:77], -v[70:71], v[72:73], 1.0
	v_fmac_f64_e32 v[72:73], v[72:73], v[76:77]
	v_mul_f64 v[76:77], v[74:75], v[72:73]
	v_fma_f64 v[70:71], -v[70:71], v[76:77], v[74:75]
	v_div_fmas_f64 v[70:71], v[70:71], v[72:73], v[76:77]
	v_div_fixup_f64 v[60:61], v[70:71], v[60:61], 1.0
; %bb.359:
	s_or_b64 exec, exec, s[0:1]
	v_cmp_ne_u32_e32 vcc, v65, v62
	s_and_saveexec_b64 s[0:1], vcc
	s_xor_b64 s[0:1], exec, s[0:1]
	s_cbranch_execz .LBB54_365
; %bb.360:
	v_cmp_eq_u32_e32 vcc, 21, v65
	s_and_saveexec_b64 s[2:3], vcc
	s_cbranch_execz .LBB54_364
; %bb.361:
	v_cmp_ne_u32_e32 vcc, 21, v62
	s_xor_b64 s[14:15], s[6:7], -1
	s_and_b64 s[16:17], s[14:15], vcc
	s_and_saveexec_b64 s[14:15], s[16:17]
	s_cbranch_execz .LBB54_363
; %bb.362:
	v_ashrrev_i32_e32 v63, 31, v62
	v_lshlrev_b64 v[70:71], 2, v[62:63]
	v_add_co_u32_e32 v70, vcc, v4, v70
	v_addc_co_u32_e32 v71, vcc, v5, v71, vcc
	flat_load_dword v63, v[70:71]
	flat_load_dword v65, v[4:5] offset:84
	s_waitcnt vmcnt(0) lgkmcnt(0)
	flat_store_dword v[4:5], v63 offset:84
	flat_store_dword v[70:71], v65
.LBB54_363:
	s_or_b64 exec, exec, s[14:15]
	v_mov_b32_e32 v63, v62
	v_mov_b32_e32 v65, v62
.LBB54_364:
	s_or_b64 exec, exec, s[2:3]
.LBB54_365:
	s_andn2_saveexec_b64 s[0:1], s[0:1]
	s_cbranch_execz .LBB54_367
; %bb.366:
	v_mov_b32_e32 v70, v12
	v_mov_b32_e32 v71, v13
	;; [unrolled: 1-line block ×4, first 2 shown]
	ds_write2_b64 v64, v[70:71], v[72:73] offset0:22 offset1:23
	v_mov_b32_e32 v70, v8
	v_mov_b32_e32 v71, v9
	;; [unrolled: 1-line block ×4, first 2 shown]
	ds_write2_b64 v64, v[70:71], v[72:73] offset0:24 offset1:25
	v_mov_b32_e32 v70, v0
	v_mov_b32_e32 v71, v1
	;; [unrolled: 1-line block ×3, first 2 shown]
	ds_write2_b64 v64, v[70:71], v[58:59] offset0:26 offset1:27
.LBB54_367:
	s_or_b64 exec, exec, s[0:1]
	v_cmp_lt_i32_e32 vcc, 21, v65
	s_waitcnt lgkmcnt(0)
	s_barrier
	s_and_saveexec_b64 s[0:1], vcc
	s_cbranch_execz .LBB54_369
; %bb.368:
	ds_read2_b64 v[70:73], v64 offset0:22 offset1:23
	ds_read2_b64 v[74:77], v64 offset0:24 offset1:25
	;; [unrolled: 1-line block ×3, first 2 shown]
	v_mul_f64 v[14:15], v[60:61], v[14:15]
	s_waitcnt lgkmcnt(0)
	v_fma_f64 v[12:13], -v[14:15], v[70:71], v[12:13]
	v_fma_f64 v[10:11], -v[14:15], v[72:73], v[10:11]
	;; [unrolled: 1-line block ×6, first 2 shown]
.LBB54_369:
	s_or_b64 exec, exec, s[0:1]
	v_lshl_add_u32 v60, v65, 3, v64
	s_barrier
	ds_write_b64 v60, v[12:13]
	s_waitcnt lgkmcnt(0)
	s_barrier
	ds_read_b64 v[60:61], v64 offset:176
	s_cmp_lt_i32 s18, 24
	v_mov_b32_e32 v62, 22
	s_cbranch_scc1 .LBB54_372
; %bb.370:
	v_add_u32_e32 v69, 0xb8, v64
	s_mov_b32 s0, 23
	v_mov_b32_e32 v62, 22
.LBB54_371:                             ; =>This Inner Loop Header: Depth=1
	ds_read_b64 v[70:71], v69
	v_mov_b32_e32 v72, s0
	s_add_i32 s0, s0, 1
	v_add_u32_e32 v69, 8, v69
	s_cmp_lg_u32 s18, s0
	s_waitcnt lgkmcnt(0)
	v_cmp_lt_f64_e64 vcc, |v[60:61]|, |v[70:71]|
	v_cndmask_b32_e32 v61, v61, v71, vcc
	v_cndmask_b32_e32 v60, v60, v70, vcc
	;; [unrolled: 1-line block ×3, first 2 shown]
	s_cbranch_scc1 .LBB54_371
.LBB54_372:
	s_waitcnt lgkmcnt(0)
	v_cmp_eq_f64_e32 vcc, 0, v[60:61]
	s_and_saveexec_b64 s[0:1], vcc
	s_xor_b64 s[0:1], exec, s[0:1]
; %bb.373:
	v_cmp_ne_u32_e32 vcc, 0, v68
	v_cndmask_b32_e32 v68, 23, v68, vcc
; %bb.374:
	s_andn2_saveexec_b64 s[0:1], s[0:1]
; %bb.375:
	v_div_scale_f64 v[70:71], s[2:3], v[60:61], v[60:61], 1.0
	v_rcp_f64_e32 v[72:73], v[70:71]
	v_div_scale_f64 v[74:75], vcc, 1.0, v[60:61], 1.0
	v_fma_f64 v[76:77], -v[70:71], v[72:73], 1.0
	v_fmac_f64_e32 v[72:73], v[72:73], v[76:77]
	v_fma_f64 v[76:77], -v[70:71], v[72:73], 1.0
	v_fmac_f64_e32 v[72:73], v[72:73], v[76:77]
	v_mul_f64 v[76:77], v[74:75], v[72:73]
	v_fma_f64 v[70:71], -v[70:71], v[76:77], v[74:75]
	v_div_fmas_f64 v[70:71], v[70:71], v[72:73], v[76:77]
	v_div_fixup_f64 v[60:61], v[70:71], v[60:61], 1.0
; %bb.376:
	s_or_b64 exec, exec, s[0:1]
	v_cmp_ne_u32_e32 vcc, v65, v62
	s_and_saveexec_b64 s[0:1], vcc
	s_xor_b64 s[0:1], exec, s[0:1]
	s_cbranch_execz .LBB54_382
; %bb.377:
	v_cmp_eq_u32_e32 vcc, 22, v65
	s_and_saveexec_b64 s[2:3], vcc
	s_cbranch_execz .LBB54_381
; %bb.378:
	v_cmp_ne_u32_e32 vcc, 22, v62
	s_xor_b64 s[14:15], s[6:7], -1
	s_and_b64 s[16:17], s[14:15], vcc
	s_and_saveexec_b64 s[14:15], s[16:17]
	s_cbranch_execz .LBB54_380
; %bb.379:
	v_ashrrev_i32_e32 v63, 31, v62
	v_lshlrev_b64 v[70:71], 2, v[62:63]
	v_add_co_u32_e32 v70, vcc, v4, v70
	v_addc_co_u32_e32 v71, vcc, v5, v71, vcc
	flat_load_dword v63, v[70:71]
	flat_load_dword v65, v[4:5] offset:88
	s_waitcnt vmcnt(0) lgkmcnt(0)
	flat_store_dword v[4:5], v63 offset:88
	flat_store_dword v[70:71], v65
.LBB54_380:
	s_or_b64 exec, exec, s[14:15]
	v_mov_b32_e32 v63, v62
	v_mov_b32_e32 v65, v62
.LBB54_381:
	s_or_b64 exec, exec, s[2:3]
.LBB54_382:
	s_andn2_saveexec_b64 s[0:1], s[0:1]
	s_cbranch_execz .LBB54_384
; %bb.383:
	v_mov_b32_e32 v65, 22
	ds_write2_b64 v64, v[10:11], v[8:9] offset0:23 offset1:24
	ds_write2_b64 v64, v[6:7], v[0:1] offset0:25 offset1:26
	ds_write_b64 v64, v[58:59] offset:216
.LBB54_384:
	s_or_b64 exec, exec, s[0:1]
	v_cmp_lt_i32_e32 vcc, 22, v65
	s_waitcnt lgkmcnt(0)
	s_barrier
	s_and_saveexec_b64 s[0:1], vcc
	s_cbranch_execz .LBB54_386
; %bb.385:
	ds_read2_b64 v[70:73], v64 offset0:23 offset1:24
	ds_read2_b64 v[74:77], v64 offset0:25 offset1:26
	v_mul_f64 v[12:13], v[60:61], v[12:13]
	ds_read_b64 v[60:61], v64 offset:216
	s_waitcnt lgkmcnt(0)
	v_fma_f64 v[10:11], -v[12:13], v[70:71], v[10:11]
	v_fma_f64 v[8:9], -v[12:13], v[72:73], v[8:9]
	;; [unrolled: 1-line block ×5, first 2 shown]
.LBB54_386:
	s_or_b64 exec, exec, s[0:1]
	v_lshl_add_u32 v60, v65, 3, v64
	s_barrier
	ds_write_b64 v60, v[10:11]
	s_waitcnt lgkmcnt(0)
	s_barrier
	ds_read_b64 v[60:61], v64 offset:184
	s_cmp_lt_i32 s18, 25
	v_mov_b32_e32 v62, 23
	s_cbranch_scc1 .LBB54_389
; %bb.387:
	v_add_u32_e32 v69, 0xc0, v64
	s_mov_b32 s0, 24
	v_mov_b32_e32 v62, 23
.LBB54_388:                             ; =>This Inner Loop Header: Depth=1
	ds_read_b64 v[70:71], v69
	v_mov_b32_e32 v72, s0
	s_add_i32 s0, s0, 1
	v_add_u32_e32 v69, 8, v69
	s_cmp_lg_u32 s18, s0
	s_waitcnt lgkmcnt(0)
	v_cmp_lt_f64_e64 vcc, |v[60:61]|, |v[70:71]|
	v_cndmask_b32_e32 v61, v61, v71, vcc
	v_cndmask_b32_e32 v60, v60, v70, vcc
	;; [unrolled: 1-line block ×3, first 2 shown]
	s_cbranch_scc1 .LBB54_388
.LBB54_389:
	s_waitcnt lgkmcnt(0)
	v_cmp_eq_f64_e32 vcc, 0, v[60:61]
	s_and_saveexec_b64 s[0:1], vcc
	s_xor_b64 s[0:1], exec, s[0:1]
; %bb.390:
	v_cmp_ne_u32_e32 vcc, 0, v68
	v_cndmask_b32_e32 v68, 24, v68, vcc
; %bb.391:
	s_andn2_saveexec_b64 s[0:1], s[0:1]
; %bb.392:
	v_div_scale_f64 v[70:71], s[2:3], v[60:61], v[60:61], 1.0
	v_rcp_f64_e32 v[72:73], v[70:71]
	v_div_scale_f64 v[74:75], vcc, 1.0, v[60:61], 1.0
	v_fma_f64 v[76:77], -v[70:71], v[72:73], 1.0
	v_fmac_f64_e32 v[72:73], v[72:73], v[76:77]
	v_fma_f64 v[76:77], -v[70:71], v[72:73], 1.0
	v_fmac_f64_e32 v[72:73], v[72:73], v[76:77]
	v_mul_f64 v[76:77], v[74:75], v[72:73]
	v_fma_f64 v[70:71], -v[70:71], v[76:77], v[74:75]
	v_div_fmas_f64 v[70:71], v[70:71], v[72:73], v[76:77]
	v_div_fixup_f64 v[60:61], v[70:71], v[60:61], 1.0
; %bb.393:
	s_or_b64 exec, exec, s[0:1]
	v_cmp_ne_u32_e32 vcc, v65, v62
	s_and_saveexec_b64 s[0:1], vcc
	s_xor_b64 s[0:1], exec, s[0:1]
	s_cbranch_execz .LBB54_399
; %bb.394:
	v_cmp_eq_u32_e32 vcc, 23, v65
	s_and_saveexec_b64 s[2:3], vcc
	s_cbranch_execz .LBB54_398
; %bb.395:
	v_cmp_ne_u32_e32 vcc, 23, v62
	s_xor_b64 s[14:15], s[6:7], -1
	s_and_b64 s[16:17], s[14:15], vcc
	s_and_saveexec_b64 s[14:15], s[16:17]
	s_cbranch_execz .LBB54_397
; %bb.396:
	v_ashrrev_i32_e32 v63, 31, v62
	v_lshlrev_b64 v[70:71], 2, v[62:63]
	v_add_co_u32_e32 v70, vcc, v4, v70
	v_addc_co_u32_e32 v71, vcc, v5, v71, vcc
	flat_load_dword v63, v[70:71]
	flat_load_dword v65, v[4:5] offset:92
	s_waitcnt vmcnt(0) lgkmcnt(0)
	flat_store_dword v[4:5], v63 offset:92
	flat_store_dword v[70:71], v65
.LBB54_397:
	s_or_b64 exec, exec, s[14:15]
	v_mov_b32_e32 v63, v62
	v_mov_b32_e32 v65, v62
.LBB54_398:
	s_or_b64 exec, exec, s[2:3]
.LBB54_399:
	s_andn2_saveexec_b64 s[0:1], s[0:1]
	s_cbranch_execz .LBB54_401
; %bb.400:
	v_mov_b32_e32 v70, v8
	v_mov_b32_e32 v71, v9
	;; [unrolled: 1-line block ×4, first 2 shown]
	ds_write2_b64 v64, v[70:71], v[72:73] offset0:24 offset1:25
	v_mov_b32_e32 v70, v0
	v_mov_b32_e32 v71, v1
	;; [unrolled: 1-line block ×3, first 2 shown]
	ds_write2_b64 v64, v[70:71], v[58:59] offset0:26 offset1:27
.LBB54_401:
	s_or_b64 exec, exec, s[0:1]
	v_cmp_lt_i32_e32 vcc, 23, v65
	s_waitcnt lgkmcnt(0)
	s_barrier
	s_and_saveexec_b64 s[0:1], vcc
	s_cbranch_execz .LBB54_403
; %bb.402:
	ds_read2_b64 v[70:73], v64 offset0:24 offset1:25
	ds_read2_b64 v[74:77], v64 offset0:26 offset1:27
	v_mul_f64 v[10:11], v[60:61], v[10:11]
	s_waitcnt lgkmcnt(0)
	v_fma_f64 v[8:9], -v[10:11], v[70:71], v[8:9]
	v_fma_f64 v[6:7], -v[10:11], v[72:73], v[6:7]
	;; [unrolled: 1-line block ×4, first 2 shown]
.LBB54_403:
	s_or_b64 exec, exec, s[0:1]
	v_lshl_add_u32 v60, v65, 3, v64
	s_barrier
	ds_write_b64 v60, v[8:9]
	s_waitcnt lgkmcnt(0)
	s_barrier
	ds_read_b64 v[60:61], v64 offset:192
	s_cmp_lt_i32 s18, 26
	v_mov_b32_e32 v62, 24
	s_cbranch_scc1 .LBB54_406
; %bb.404:
	v_add_u32_e32 v69, 0xc8, v64
	s_mov_b32 s0, 25
	v_mov_b32_e32 v62, 24
.LBB54_405:                             ; =>This Inner Loop Header: Depth=1
	ds_read_b64 v[70:71], v69
	v_mov_b32_e32 v72, s0
	s_add_i32 s0, s0, 1
	v_add_u32_e32 v69, 8, v69
	s_cmp_lg_u32 s18, s0
	s_waitcnt lgkmcnt(0)
	v_cmp_lt_f64_e64 vcc, |v[60:61]|, |v[70:71]|
	v_cndmask_b32_e32 v61, v61, v71, vcc
	v_cndmask_b32_e32 v60, v60, v70, vcc
	;; [unrolled: 1-line block ×3, first 2 shown]
	s_cbranch_scc1 .LBB54_405
.LBB54_406:
	s_waitcnt lgkmcnt(0)
	v_cmp_eq_f64_e32 vcc, 0, v[60:61]
	s_and_saveexec_b64 s[0:1], vcc
	s_xor_b64 s[0:1], exec, s[0:1]
; %bb.407:
	v_cmp_ne_u32_e32 vcc, 0, v68
	v_cndmask_b32_e32 v68, 25, v68, vcc
; %bb.408:
	s_andn2_saveexec_b64 s[0:1], s[0:1]
; %bb.409:
	v_div_scale_f64 v[70:71], s[2:3], v[60:61], v[60:61], 1.0
	v_rcp_f64_e32 v[72:73], v[70:71]
	v_div_scale_f64 v[74:75], vcc, 1.0, v[60:61], 1.0
	v_fma_f64 v[76:77], -v[70:71], v[72:73], 1.0
	v_fmac_f64_e32 v[72:73], v[72:73], v[76:77]
	v_fma_f64 v[76:77], -v[70:71], v[72:73], 1.0
	v_fmac_f64_e32 v[72:73], v[72:73], v[76:77]
	v_mul_f64 v[76:77], v[74:75], v[72:73]
	v_fma_f64 v[70:71], -v[70:71], v[76:77], v[74:75]
	v_div_fmas_f64 v[70:71], v[70:71], v[72:73], v[76:77]
	v_div_fixup_f64 v[60:61], v[70:71], v[60:61], 1.0
; %bb.410:
	s_or_b64 exec, exec, s[0:1]
	v_cmp_ne_u32_e32 vcc, v65, v62
	s_and_saveexec_b64 s[0:1], vcc
	s_xor_b64 s[0:1], exec, s[0:1]
	s_cbranch_execz .LBB54_416
; %bb.411:
	v_cmp_eq_u32_e32 vcc, 24, v65
	s_and_saveexec_b64 s[2:3], vcc
	s_cbranch_execz .LBB54_415
; %bb.412:
	v_cmp_ne_u32_e32 vcc, 24, v62
	s_xor_b64 s[14:15], s[6:7], -1
	s_and_b64 s[16:17], s[14:15], vcc
	s_and_saveexec_b64 s[14:15], s[16:17]
	s_cbranch_execz .LBB54_414
; %bb.413:
	v_ashrrev_i32_e32 v63, 31, v62
	v_lshlrev_b64 v[70:71], 2, v[62:63]
	v_add_co_u32_e32 v70, vcc, v4, v70
	v_addc_co_u32_e32 v71, vcc, v5, v71, vcc
	flat_load_dword v63, v[70:71]
	flat_load_dword v65, v[4:5] offset:96
	s_waitcnt vmcnt(0) lgkmcnt(0)
	flat_store_dword v[4:5], v63 offset:96
	flat_store_dword v[70:71], v65
.LBB54_414:
	s_or_b64 exec, exec, s[14:15]
	v_mov_b32_e32 v63, v62
	v_mov_b32_e32 v65, v62
.LBB54_415:
	s_or_b64 exec, exec, s[2:3]
.LBB54_416:
	s_andn2_saveexec_b64 s[0:1], s[0:1]
	s_cbranch_execz .LBB54_418
; %bb.417:
	v_mov_b32_e32 v65, 24
	ds_write2_b64 v64, v[6:7], v[0:1] offset0:25 offset1:26
	ds_write_b64 v64, v[58:59] offset:216
.LBB54_418:
	s_or_b64 exec, exec, s[0:1]
	v_cmp_lt_i32_e32 vcc, 24, v65
	s_waitcnt lgkmcnt(0)
	s_barrier
	s_and_saveexec_b64 s[0:1], vcc
	s_cbranch_execz .LBB54_420
; %bb.419:
	ds_read2_b64 v[70:73], v64 offset0:25 offset1:26
	ds_read_b64 v[74:75], v64 offset:216
	v_mul_f64 v[8:9], v[60:61], v[8:9]
	s_waitcnt lgkmcnt(0)
	v_fma_f64 v[6:7], -v[8:9], v[70:71], v[6:7]
	v_fma_f64 v[0:1], -v[8:9], v[72:73], v[0:1]
	;; [unrolled: 1-line block ×3, first 2 shown]
.LBB54_420:
	s_or_b64 exec, exec, s[0:1]
	v_lshl_add_u32 v60, v65, 3, v64
	s_barrier
	ds_write_b64 v60, v[6:7]
	s_waitcnt lgkmcnt(0)
	s_barrier
	ds_read_b64 v[60:61], v64 offset:200
	s_cmp_lt_i32 s18, 27
	v_mov_b32_e32 v62, 25
	s_cbranch_scc1 .LBB54_423
; %bb.421:
	v_add_u32_e32 v69, 0xd0, v64
	s_mov_b32 s0, 26
	v_mov_b32_e32 v62, 25
.LBB54_422:                             ; =>This Inner Loop Header: Depth=1
	ds_read_b64 v[70:71], v69
	v_mov_b32_e32 v72, s0
	s_add_i32 s0, s0, 1
	v_add_u32_e32 v69, 8, v69
	s_cmp_lg_u32 s18, s0
	s_waitcnt lgkmcnt(0)
	v_cmp_lt_f64_e64 vcc, |v[60:61]|, |v[70:71]|
	v_cndmask_b32_e32 v61, v61, v71, vcc
	v_cndmask_b32_e32 v60, v60, v70, vcc
	;; [unrolled: 1-line block ×3, first 2 shown]
	s_cbranch_scc1 .LBB54_422
.LBB54_423:
	s_waitcnt lgkmcnt(0)
	v_cmp_eq_f64_e32 vcc, 0, v[60:61]
	s_and_saveexec_b64 s[0:1], vcc
	s_xor_b64 s[0:1], exec, s[0:1]
; %bb.424:
	v_cmp_ne_u32_e32 vcc, 0, v68
	v_cndmask_b32_e32 v68, 26, v68, vcc
; %bb.425:
	s_andn2_saveexec_b64 s[0:1], s[0:1]
; %bb.426:
	v_div_scale_f64 v[70:71], s[2:3], v[60:61], v[60:61], 1.0
	v_rcp_f64_e32 v[72:73], v[70:71]
	v_div_scale_f64 v[74:75], vcc, 1.0, v[60:61], 1.0
	v_fma_f64 v[76:77], -v[70:71], v[72:73], 1.0
	v_fmac_f64_e32 v[72:73], v[72:73], v[76:77]
	v_fma_f64 v[76:77], -v[70:71], v[72:73], 1.0
	v_fmac_f64_e32 v[72:73], v[72:73], v[76:77]
	v_mul_f64 v[76:77], v[74:75], v[72:73]
	v_fma_f64 v[70:71], -v[70:71], v[76:77], v[74:75]
	v_div_fmas_f64 v[70:71], v[70:71], v[72:73], v[76:77]
	v_div_fixup_f64 v[60:61], v[70:71], v[60:61], 1.0
; %bb.427:
	s_or_b64 exec, exec, s[0:1]
	v_cmp_ne_u32_e32 vcc, v65, v62
	s_and_saveexec_b64 s[0:1], vcc
	s_xor_b64 s[0:1], exec, s[0:1]
	s_cbranch_execz .LBB54_433
; %bb.428:
	v_cmp_eq_u32_e32 vcc, 25, v65
	s_and_saveexec_b64 s[2:3], vcc
	s_cbranch_execz .LBB54_432
; %bb.429:
	v_cmp_ne_u32_e32 vcc, 25, v62
	s_xor_b64 s[14:15], s[6:7], -1
	s_and_b64 s[16:17], s[14:15], vcc
	s_and_saveexec_b64 s[14:15], s[16:17]
	s_cbranch_execz .LBB54_431
; %bb.430:
	v_ashrrev_i32_e32 v63, 31, v62
	v_lshlrev_b64 v[70:71], 2, v[62:63]
	v_add_co_u32_e32 v70, vcc, v4, v70
	v_addc_co_u32_e32 v71, vcc, v5, v71, vcc
	flat_load_dword v63, v[70:71]
	flat_load_dword v65, v[4:5] offset:100
	s_waitcnt vmcnt(0) lgkmcnt(0)
	flat_store_dword v[4:5], v63 offset:100
	flat_store_dword v[70:71], v65
.LBB54_431:
	s_or_b64 exec, exec, s[14:15]
	v_mov_b32_e32 v63, v62
	v_mov_b32_e32 v65, v62
.LBB54_432:
	s_or_b64 exec, exec, s[2:3]
.LBB54_433:
	s_andn2_saveexec_b64 s[0:1], s[0:1]
	s_cbranch_execz .LBB54_435
; %bb.434:
	v_mov_b32_e32 v70, v0
	v_mov_b32_e32 v71, v1
	v_mov_b32_e32 v65, 25
	ds_write2_b64 v64, v[70:71], v[58:59] offset0:26 offset1:27
.LBB54_435:
	s_or_b64 exec, exec, s[0:1]
	v_cmp_lt_i32_e32 vcc, 25, v65
	s_waitcnt lgkmcnt(0)
	s_barrier
	s_and_saveexec_b64 s[0:1], vcc
	s_cbranch_execz .LBB54_437
; %bb.436:
	ds_read2_b64 v[70:73], v64 offset0:26 offset1:27
	v_mul_f64 v[6:7], v[60:61], v[6:7]
	s_waitcnt lgkmcnt(0)
	v_fma_f64 v[0:1], -v[6:7], v[70:71], v[0:1]
	v_fma_f64 v[58:59], -v[6:7], v[72:73], v[58:59]
.LBB54_437:
	s_or_b64 exec, exec, s[0:1]
	v_lshl_add_u32 v60, v65, 3, v64
	s_barrier
	ds_write_b64 v60, v[0:1]
	s_waitcnt lgkmcnt(0)
	s_barrier
	ds_read_b64 v[60:61], v64 offset:208
	s_cmp_lt_i32 s18, 28
	v_mov_b32_e32 v62, 26
	s_cbranch_scc1 .LBB54_440
; %bb.438:
	v_add_u32_e32 v69, 0xd8, v64
	s_mov_b32 s0, 27
	v_mov_b32_e32 v62, 26
.LBB54_439:                             ; =>This Inner Loop Header: Depth=1
	ds_read_b64 v[70:71], v69
	v_mov_b32_e32 v72, s0
	s_add_i32 s0, s0, 1
	v_add_u32_e32 v69, 8, v69
	s_cmp_lg_u32 s18, s0
	s_waitcnt lgkmcnt(0)
	v_cmp_lt_f64_e64 vcc, |v[60:61]|, |v[70:71]|
	v_cndmask_b32_e32 v61, v61, v71, vcc
	v_cndmask_b32_e32 v60, v60, v70, vcc
	;; [unrolled: 1-line block ×3, first 2 shown]
	s_cbranch_scc1 .LBB54_439
.LBB54_440:
	s_waitcnt lgkmcnt(0)
	v_cmp_eq_f64_e32 vcc, 0, v[60:61]
	s_and_saveexec_b64 s[0:1], vcc
	s_xor_b64 s[0:1], exec, s[0:1]
; %bb.441:
	v_cmp_ne_u32_e32 vcc, 0, v68
	v_cndmask_b32_e32 v68, 27, v68, vcc
; %bb.442:
	s_andn2_saveexec_b64 s[0:1], s[0:1]
; %bb.443:
	v_div_scale_f64 v[70:71], s[2:3], v[60:61], v[60:61], 1.0
	v_rcp_f64_e32 v[72:73], v[70:71]
	v_div_scale_f64 v[74:75], vcc, 1.0, v[60:61], 1.0
	v_fma_f64 v[76:77], -v[70:71], v[72:73], 1.0
	v_fmac_f64_e32 v[72:73], v[72:73], v[76:77]
	v_fma_f64 v[76:77], -v[70:71], v[72:73], 1.0
	v_fmac_f64_e32 v[72:73], v[72:73], v[76:77]
	v_mul_f64 v[76:77], v[74:75], v[72:73]
	v_fma_f64 v[70:71], -v[70:71], v[76:77], v[74:75]
	v_div_fmas_f64 v[70:71], v[70:71], v[72:73], v[76:77]
	v_div_fixup_f64 v[60:61], v[70:71], v[60:61], 1.0
; %bb.444:
	s_or_b64 exec, exec, s[0:1]
	v_cmp_ne_u32_e32 vcc, v65, v62
	s_and_saveexec_b64 s[0:1], vcc
	s_xor_b64 s[0:1], exec, s[0:1]
	s_cbranch_execz .LBB54_450
; %bb.445:
	v_cmp_eq_u32_e32 vcc, 26, v65
	s_and_saveexec_b64 s[2:3], vcc
	s_cbranch_execz .LBB54_449
; %bb.446:
	v_cmp_ne_u32_e32 vcc, 26, v62
	s_xor_b64 s[14:15], s[6:7], -1
	s_and_b64 s[16:17], s[14:15], vcc
	s_and_saveexec_b64 s[14:15], s[16:17]
	s_cbranch_execz .LBB54_448
; %bb.447:
	v_ashrrev_i32_e32 v63, 31, v62
	v_lshlrev_b64 v[70:71], 2, v[62:63]
	v_add_co_u32_e32 v70, vcc, v4, v70
	v_addc_co_u32_e32 v71, vcc, v5, v71, vcc
	flat_load_dword v63, v[70:71]
	flat_load_dword v65, v[4:5] offset:104
	s_waitcnt vmcnt(0) lgkmcnt(0)
	flat_store_dword v[4:5], v63 offset:104
	flat_store_dword v[70:71], v65
.LBB54_448:
	s_or_b64 exec, exec, s[14:15]
	v_mov_b32_e32 v63, v62
	v_mov_b32_e32 v65, v62
.LBB54_449:
	s_or_b64 exec, exec, s[2:3]
.LBB54_450:
	s_andn2_saveexec_b64 s[0:1], s[0:1]
	s_cbranch_execz .LBB54_452
; %bb.451:
	v_mov_b32_e32 v65, 26
	ds_write_b64 v64, v[58:59] offset:216
.LBB54_452:
	s_or_b64 exec, exec, s[0:1]
	v_cmp_lt_i32_e32 vcc, 26, v65
	s_waitcnt lgkmcnt(0)
	s_barrier
	s_and_saveexec_b64 s[0:1], vcc
	s_cbranch_execz .LBB54_454
; %bb.453:
	ds_read_b64 v[70:71], v64 offset:216
	v_mul_f64 v[0:1], v[60:61], v[0:1]
	s_waitcnt lgkmcnt(0)
	v_fma_f64 v[58:59], -v[0:1], v[70:71], v[58:59]
.LBB54_454:
	s_or_b64 exec, exec, s[0:1]
	v_lshl_add_u32 v60, v65, 3, v64
	s_barrier
	ds_write_b64 v60, v[58:59]
	s_waitcnt lgkmcnt(0)
	s_barrier
	ds_read_b64 v[60:61], v64 offset:216
	s_cmp_lt_i32 s18, 29
	v_mov_b32_e32 v62, 27
	s_cbranch_scc1 .LBB54_457
; %bb.455:
	v_add_u32_e32 v64, 0xe0, v64
	s_mov_b32 s0, 28
	v_mov_b32_e32 v62, 27
.LBB54_456:                             ; =>This Inner Loop Header: Depth=1
	ds_read_b64 v[70:71], v64
	v_mov_b32_e32 v69, s0
	s_add_i32 s0, s0, 1
	v_add_u32_e32 v64, 8, v64
	s_cmp_lg_u32 s18, s0
	s_waitcnt lgkmcnt(0)
	v_cmp_lt_f64_e64 vcc, |v[60:61]|, |v[70:71]|
	v_cndmask_b32_e32 v61, v61, v71, vcc
	v_cndmask_b32_e32 v60, v60, v70, vcc
	;; [unrolled: 1-line block ×3, first 2 shown]
	s_cbranch_scc1 .LBB54_456
.LBB54_457:
	s_waitcnt lgkmcnt(0)
	v_cmp_eq_f64_e32 vcc, 0, v[60:61]
	s_and_saveexec_b64 s[0:1], vcc
	s_xor_b64 s[0:1], exec, s[0:1]
; %bb.458:
	v_cmp_ne_u32_e32 vcc, 0, v68
	v_cndmask_b32_e32 v68, 28, v68, vcc
; %bb.459:
	s_andn2_saveexec_b64 s[0:1], s[0:1]
; %bb.460:
	v_div_scale_f64 v[70:71], s[2:3], v[60:61], v[60:61], 1.0
	v_rcp_f64_e32 v[72:73], v[70:71]
	v_div_scale_f64 v[74:75], vcc, 1.0, v[60:61], 1.0
	v_fma_f64 v[76:77], -v[70:71], v[72:73], 1.0
	v_fmac_f64_e32 v[72:73], v[72:73], v[76:77]
	v_fma_f64 v[76:77], -v[70:71], v[72:73], 1.0
	v_fmac_f64_e32 v[72:73], v[72:73], v[76:77]
	v_mul_f64 v[76:77], v[74:75], v[72:73]
	v_fma_f64 v[70:71], -v[70:71], v[76:77], v[74:75]
	v_div_fmas_f64 v[70:71], v[70:71], v[72:73], v[76:77]
	v_div_fixup_f64 v[60:61], v[70:71], v[60:61], 1.0
; %bb.461:
	s_or_b64 exec, exec, s[0:1]
	v_cmp_ne_u32_e32 vcc, v65, v62
	v_mov_b32_e32 v64, 27
	s_and_saveexec_b64 s[0:1], vcc
	s_cbranch_execz .LBB54_467
; %bb.462:
	v_cmp_eq_u32_e32 vcc, 27, v65
	s_and_saveexec_b64 s[2:3], vcc
	s_cbranch_execz .LBB54_466
; %bb.463:
	v_cmp_ne_u32_e32 vcc, 27, v62
	s_xor_b64 s[6:7], s[6:7], -1
	s_and_b64 s[14:15], s[6:7], vcc
	s_and_saveexec_b64 s[6:7], s[14:15]
	s_cbranch_execz .LBB54_465
; %bb.464:
	v_ashrrev_i32_e32 v63, 31, v62
	v_lshlrev_b64 v[64:65], 2, v[62:63]
	v_add_co_u32_e32 v64, vcc, v4, v64
	v_addc_co_u32_e32 v65, vcc, v5, v65, vcc
	flat_load_dword v63, v[64:65]
	flat_load_dword v69, v[4:5] offset:108
	s_waitcnt vmcnt(0) lgkmcnt(0)
	flat_store_dword v[4:5], v63 offset:108
	flat_store_dword v[64:65], v69
.LBB54_465:
	s_or_b64 exec, exec, s[6:7]
	v_mov_b32_e32 v63, v62
	v_mov_b32_e32 v65, v62
.LBB54_466:
	s_or_b64 exec, exec, s[2:3]
	v_mov_b32_e32 v64, v65
.LBB54_467:
	s_or_b64 exec, exec, s[0:1]
	s_load_dwordx8 s[0:7], s[4:5], 0x28
	v_cmp_gt_i32_e32 vcc, 28, v64
	v_ashrrev_i32_e32 v65, 31, v64
	s_waitcnt lgkmcnt(0)
	s_barrier
	s_barrier
	s_and_saveexec_b64 s[14:15], vcc
	s_cbranch_execz .LBB54_469
; %bb.468:
	v_mul_lo_u32 v62, v3, s4
	v_mul_lo_u32 v69, v2, s5
	v_mad_u64_u32 v[4:5], s[4:5], v2, s4, 0
	s_lshl_b64 s[2:3], s[2:3], 2
	v_add3_u32 v5, v5, v69, v62
	s_add_u32 s0, s2, s0
	v_lshlrev_b64 v[4:5], 2, v[4:5]
	s_addc_u32 s1, s3, s1
	v_mov_b32_e32 v62, s1
	v_add_co_u32_e32 v69, vcc, s0, v4
	v_addc_co_u32_e32 v62, vcc, v62, v5, vcc
	v_lshlrev_b64 v[4:5], 2, v[64:65]
	v_add_co_u32_e32 v4, vcc, v69, v4
	v_addc_co_u32_e32 v5, vcc, v62, v5, vcc
	v_add3_u32 v62, v63, s13, 1
	global_store_dword v[4:5], v62, off
.LBB54_469:
	s_or_b64 exec, exec, s[14:15]
	v_cmp_eq_u32_e32 vcc, 0, v64
	s_and_saveexec_b64 s[2:3], vcc
	s_cbranch_execz .LBB54_472
; %bb.470:
	v_lshlrev_b64 v[2:3], 2, v[2:3]
	v_mov_b32_e32 v4, s7
	v_add_co_u32_e32 v2, vcc, s6, v2
	v_addc_co_u32_e32 v3, vcc, v4, v3, vcc
	global_load_dword v4, v[2:3], off
	v_cmp_lt_i32_e64 s[0:1], 0, v68
	s_waitcnt vmcnt(0)
	v_cmp_eq_u32_e32 vcc, 0, v4
	s_and_b64 s[0:1], vcc, s[0:1]
	s_and_b64 exec, exec, s[0:1]
	s_cbranch_execz .LBB54_472
; %bb.471:
	v_add_u32_e32 v4, s13, v68
	global_store_dword v[2:3], v4, off
.LBB54_472:
	s_or_b64 exec, exec, s[2:3]
	v_mul_f64 v[2:3], v[60:61], v[58:59]
	v_cmp_lt_i32_e32 vcc, 27, v64
	v_lshlrev_b64 v[4:5], 3, v[64:65]
	v_cndmask_b32_e32 v3, v59, v3, vcc
	v_cndmask_b32_e32 v2, v58, v2, vcc
	v_add_co_u32_e32 v4, vcc, v66, v4
	v_addc_co_u32_e32 v5, vcc, v67, v5, vcc
	global_store_dwordx2 v[4:5], v[56:57], off
	v_mov_b32_e32 v56, s11
	v_add_co_u32_e32 v4, vcc, s10, v4
	v_addc_co_u32_e32 v5, vcc, v5, v56, vcc
	global_store_dwordx2 v[4:5], v[54:55], off
	v_add_u32_e32 v4, s12, v64
	v_ashrrev_i32_e32 v5, 31, v4
	v_lshlrev_b64 v[54:55], 3, v[4:5]
	v_add_co_u32_e32 v54, vcc, v66, v54
	v_add_u32_e32 v4, s8, v4
	v_addc_co_u32_e32 v55, vcc, v67, v55, vcc
	v_ashrrev_i32_e32 v5, 31, v4
	global_store_dwordx2 v[54:55], v[52:53], off
	v_lshlrev_b64 v[52:53], 3, v[4:5]
	v_add_co_u32_e32 v52, vcc, v66, v52
	v_add_u32_e32 v4, s8, v4
	v_addc_co_u32_e32 v53, vcc, v67, v53, vcc
	v_ashrrev_i32_e32 v5, 31, v4
	global_store_dwordx2 v[52:53], v[50:51], off
	;; [unrolled: 6-line block ×24, first 2 shown]
	v_lshlrev_b64 v[6:7], 3, v[4:5]
	v_add_co_u32_e32 v6, vcc, v66, v6
	v_addc_co_u32_e32 v7, vcc, v67, v7, vcc
	global_store_dwordx2 v[6:7], v[0:1], off
	v_add_u32_e32 v0, s8, v4
	v_ashrrev_i32_e32 v1, 31, v0
	v_lshlrev_b64 v[0:1], 3, v[0:1]
	v_add_co_u32_e32 v0, vcc, v66, v0
	v_addc_co_u32_e32 v1, vcc, v67, v1, vcc
	global_store_dwordx2 v[0:1], v[2:3], off
.LBB54_473:
	s_endpgm
	.section	.rodata,"a",@progbits
	.p2align	6, 0x0
	.amdhsa_kernel _ZN9rocsolver6v33100L18getf2_small_kernelILi28EdiiPKPdEEvT1_T3_lS5_lPS5_llPT2_S5_S5_S7_l
		.amdhsa_group_segment_fixed_size 0
		.amdhsa_private_segment_fixed_size 0
		.amdhsa_kernarg_size 352
		.amdhsa_user_sgpr_count 6
		.amdhsa_user_sgpr_private_segment_buffer 1
		.amdhsa_user_sgpr_dispatch_ptr 0
		.amdhsa_user_sgpr_queue_ptr 0
		.amdhsa_user_sgpr_kernarg_segment_ptr 1
		.amdhsa_user_sgpr_dispatch_id 0
		.amdhsa_user_sgpr_flat_scratch_init 0
		.amdhsa_user_sgpr_kernarg_preload_length 0
		.amdhsa_user_sgpr_kernarg_preload_offset 0
		.amdhsa_user_sgpr_private_segment_size 0
		.amdhsa_uses_dynamic_stack 0
		.amdhsa_system_sgpr_private_segment_wavefront_offset 0
		.amdhsa_system_sgpr_workgroup_id_x 1
		.amdhsa_system_sgpr_workgroup_id_y 1
		.amdhsa_system_sgpr_workgroup_id_z 0
		.amdhsa_system_sgpr_workgroup_info 0
		.amdhsa_system_vgpr_workitem_id 1
		.amdhsa_next_free_vgpr 96
		.amdhsa_next_free_sgpr 22
		.amdhsa_accum_offset 96
		.amdhsa_reserve_vcc 1
		.amdhsa_reserve_flat_scratch 0
		.amdhsa_float_round_mode_32 0
		.amdhsa_float_round_mode_16_64 0
		.amdhsa_float_denorm_mode_32 3
		.amdhsa_float_denorm_mode_16_64 3
		.amdhsa_dx10_clamp 1
		.amdhsa_ieee_mode 1
		.amdhsa_fp16_overflow 0
		.amdhsa_tg_split 0
		.amdhsa_exception_fp_ieee_invalid_op 0
		.amdhsa_exception_fp_denorm_src 0
		.amdhsa_exception_fp_ieee_div_zero 0
		.amdhsa_exception_fp_ieee_overflow 0
		.amdhsa_exception_fp_ieee_underflow 0
		.amdhsa_exception_fp_ieee_inexact 0
		.amdhsa_exception_int_div_zero 0
	.end_amdhsa_kernel
	.section	.text._ZN9rocsolver6v33100L18getf2_small_kernelILi28EdiiPKPdEEvT1_T3_lS5_lPS5_llPT2_S5_S5_S7_l,"axG",@progbits,_ZN9rocsolver6v33100L18getf2_small_kernelILi28EdiiPKPdEEvT1_T3_lS5_lPS5_llPT2_S5_S5_S7_l,comdat
.Lfunc_end54:
	.size	_ZN9rocsolver6v33100L18getf2_small_kernelILi28EdiiPKPdEEvT1_T3_lS5_lPS5_llPT2_S5_S5_S7_l, .Lfunc_end54-_ZN9rocsolver6v33100L18getf2_small_kernelILi28EdiiPKPdEEvT1_T3_lS5_lPS5_llPT2_S5_S5_S7_l
                                        ; -- End function
	.section	.AMDGPU.csdata,"",@progbits
; Kernel info:
; codeLenInByte = 21044
; NumSgprs: 26
; NumVgprs: 96
; NumAgprs: 0
; TotalNumVgprs: 96
; ScratchSize: 0
; MemoryBound: 0
; FloatMode: 240
; IeeeMode: 1
; LDSByteSize: 0 bytes/workgroup (compile time only)
; SGPRBlocks: 3
; VGPRBlocks: 11
; NumSGPRsForWavesPerEU: 26
; NumVGPRsForWavesPerEU: 96
; AccumOffset: 96
; Occupancy: 5
; WaveLimiterHint : 1
; COMPUTE_PGM_RSRC2:SCRATCH_EN: 0
; COMPUTE_PGM_RSRC2:USER_SGPR: 6
; COMPUTE_PGM_RSRC2:TRAP_HANDLER: 0
; COMPUTE_PGM_RSRC2:TGID_X_EN: 1
; COMPUTE_PGM_RSRC2:TGID_Y_EN: 1
; COMPUTE_PGM_RSRC2:TGID_Z_EN: 0
; COMPUTE_PGM_RSRC2:TIDIG_COMP_CNT: 1
; COMPUTE_PGM_RSRC3_GFX90A:ACCUM_OFFSET: 23
; COMPUTE_PGM_RSRC3_GFX90A:TG_SPLIT: 0
	.section	.text._ZN9rocsolver6v33100L23getf2_npvt_small_kernelILi28EdiiPKPdEEvT1_T3_lS5_lPT2_S5_S5_,"axG",@progbits,_ZN9rocsolver6v33100L23getf2_npvt_small_kernelILi28EdiiPKPdEEvT1_T3_lS5_lPT2_S5_S5_,comdat
	.globl	_ZN9rocsolver6v33100L23getf2_npvt_small_kernelILi28EdiiPKPdEEvT1_T3_lS5_lPT2_S5_S5_ ; -- Begin function _ZN9rocsolver6v33100L23getf2_npvt_small_kernelILi28EdiiPKPdEEvT1_T3_lS5_lPT2_S5_S5_
	.p2align	8
	.type	_ZN9rocsolver6v33100L23getf2_npvt_small_kernelILi28EdiiPKPdEEvT1_T3_lS5_lPT2_S5_S5_,@function
_ZN9rocsolver6v33100L23getf2_npvt_small_kernelILi28EdiiPKPdEEvT1_T3_lS5_lPT2_S5_S5_: ; @_ZN9rocsolver6v33100L23getf2_npvt_small_kernelILi28EdiiPKPdEEvT1_T3_lS5_lPT2_S5_S5_
; %bb.0:
	s_load_dword s0, s[4:5], 0x44
	s_load_dwordx2 s[8:9], s[4:5], 0x30
	v_bfe_u32 v114, v0, 10, 10
	s_waitcnt lgkmcnt(0)
	s_lshr_b32 s6, s0, 16
	s_mul_i32 s7, s7, s6
	v_add_u32_e32 v2, s7, v114
	v_cmp_gt_i32_e32 vcc, s8, v2
	s_and_saveexec_b64 s[0:1], vcc
	s_cbranch_execz .LBB55_143
; %bb.1:
	s_load_dwordx4 s[12:15], s[4:5], 0x8
	s_load_dword s0, s[4:5], 0x18
	v_ashrrev_i32_e32 v3, 31, v2
	v_lshlrev_b64 v[4:5], 3, v[2:3]
	v_and_b32_e32 v170, 0x3ff, v0
	s_waitcnt lgkmcnt(0)
	v_mov_b32_e32 v1, s13
	v_add_co_u32_e32 v4, vcc, s12, v4
	v_addc_co_u32_e32 v5, vcc, v1, v5, vcc
	global_load_dwordx2 v[4:5], v[4:5], off
	s_add_i32 s7, s0, s0
	s_lshl_b64 s[2:3], s[14:15], 3
	v_add_u32_e32 v0, s7, v170
	v_mov_b32_e32 v26, s3
	v_ashrrev_i32_e32 v1, 31, v0
	v_add_u32_e32 v6, s0, v0
	v_lshlrev_b64 v[0:1], 3, v[0:1]
	v_ashrrev_i32_e32 v7, 31, v6
	v_add_u32_e32 v8, s0, v6
	v_lshlrev_b64 v[6:7], 3, v[6:7]
	;; [unrolled: 3-line block ×9, first 2 shown]
	v_ashrrev_i32_e32 v23, 31, v22
	v_lshlrev_b64 v[24:25], 3, v[22:23]
	v_lshlrev_b32_e32 v56, 3, v170
	s_ashr_i32 s1, s0, 31
	s_mulk_i32 s6, 0xe0
	s_waitcnt vmcnt(0)
	v_add_co_u32_e32 v54, vcc, s2, v4
	v_addc_co_u32_e32 v55, vcc, v5, v26, vcc
	v_add_co_u32_e32 v0, vcc, v54, v0
	v_addc_co_u32_e32 v1, vcc, v55, v1, vcc
	;; [unrolled: 2-line block ×10, first 2 shown]
	v_add_co_u32_e32 v20, vcc, v54, v24
	v_add_u32_e32 v24, s0, v22
	v_addc_co_u32_e32 v21, vcc, v55, v25, vcc
	v_ashrrev_i32_e32 v25, 31, v24
	v_lshlrev_b64 v[22:23], 3, v[24:25]
	v_add_u32_e32 v26, s0, v24
	v_add_co_u32_e32 v22, vcc, v54, v22
	v_ashrrev_i32_e32 v27, 31, v26
	v_addc_co_u32_e32 v23, vcc, v55, v23, vcc
	v_lshlrev_b64 v[24:25], 3, v[26:27]
	v_add_u32_e32 v28, s0, v26
	v_add_co_u32_e32 v24, vcc, v54, v24
	v_ashrrev_i32_e32 v29, 31, v28
	v_addc_co_u32_e32 v25, vcc, v55, v25, vcc
	;; [unrolled: 5-line block ×15, first 2 shown]
	v_lshlrev_b64 v[52:53], 3, v[52:53]
	v_add_co_u32_e32 v52, vcc, v54, v52
	v_addc_co_u32_e32 v53, vcc, v55, v53, vcc
	v_add_co_u32_e32 v54, vcc, v54, v56
	v_addc_co_u32_e32 v55, vcc, 0, v55, vcc
	s_lshl_b64 s[0:1], s[0:1], 3
	v_mov_b32_e32 v57, s1
	v_add_co_u32_e32 v56, vcc, s0, v54
	v_addc_co_u32_e32 v57, vcc, v55, v57, vcc
	global_load_dwordx2 v[58:59], v[54:55], off
	global_load_dwordx2 v[84:85], v[56:57], off
	;; [unrolled: 1-line block ×28, first 2 shown]
	s_movk_i32 s0, 0xe0
	s_add_i32 s1, s6, 0
	v_mad_u32_u24 v169, v114, s0, 0
	v_lshl_add_u32 v168, v114, 3, s1
	v_cmp_ne_u32_e64 s[2:3], 0, v170
	v_cmp_eq_u32_e64 s[0:1], 0, v170
	s_and_saveexec_b64 s[6:7], s[0:1]
	s_cbranch_execz .LBB55_4
; %bb.2:
	s_waitcnt vmcnt(27)
	ds_write_b64 v168, v[58:59]
	s_waitcnt vmcnt(25)
	ds_write2_b64 v169, v[84:85], v[110:111] offset0:1 offset1:2
	s_waitcnt vmcnt(23)
	ds_write2_b64 v169, v[82:83], v[108:109] offset0:3 offset1:4
	;; [unrolled: 2-line block ×13, first 2 shown]
	s_waitcnt vmcnt(0)
	ds_write_b64 v169, v[112:113] offset:216
	ds_read_b64 v[114:115], v168
	s_waitcnt lgkmcnt(0)
	v_cmp_neq_f64_e32 vcc, 0, v[114:115]
	s_and_b64 exec, exec, vcc
	s_cbranch_execz .LBB55_4
; %bb.3:
	v_div_scale_f64 v[116:117], s[10:11], v[114:115], v[114:115], 1.0
	v_rcp_f64_e32 v[118:119], v[116:117]
	v_div_scale_f64 v[120:121], vcc, 1.0, v[114:115], 1.0
	v_fma_f64 v[122:123], -v[116:117], v[118:119], 1.0
	v_fmac_f64_e32 v[118:119], v[118:119], v[122:123]
	v_fma_f64 v[122:123], -v[116:117], v[118:119], 1.0
	v_fmac_f64_e32 v[118:119], v[118:119], v[122:123]
	v_mul_f64 v[122:123], v[120:121], v[118:119]
	v_fma_f64 v[116:117], -v[116:117], v[122:123], v[120:121]
	v_div_fmas_f64 v[116:117], v[116:117], v[118:119], v[122:123]
	v_div_fixup_f64 v[114:115], v[116:117], v[114:115], 1.0
	ds_write_b64 v168, v[114:115]
.LBB55_4:
	s_or_b64 exec, exec, s[6:7]
	s_waitcnt lgkmcnt(0)
	s_barrier
	ds_read_b64 v[114:115], v168
	s_and_saveexec_b64 s[6:7], s[2:3]
	s_cbranch_execz .LBB55_6
; %bb.5:
	ds_read2_b64 v[116:119], v169 offset0:1 offset1:2
	ds_read2_b64 v[120:123], v169 offset0:3 offset1:4
	s_waitcnt vmcnt(27) lgkmcnt(2)
	v_mul_f64 v[58:59], v[114:115], v[58:59]
	ds_read2_b64 v[124:127], v169 offset0:5 offset1:6
	s_waitcnt vmcnt(26) lgkmcnt(2)
	v_fma_f64 v[84:85], -v[58:59], v[116:117], v[84:85]
	s_waitcnt vmcnt(25)
	v_fma_f64 v[110:111], -v[58:59], v[118:119], v[110:111]
	ds_read2_b64 v[116:119], v169 offset0:7 offset1:8
	s_waitcnt vmcnt(24) lgkmcnt(2)
	v_fma_f64 v[82:83], -v[58:59], v[120:121], v[82:83]
	s_waitcnt vmcnt(23)
	v_fma_f64 v[108:109], -v[58:59], v[122:123], v[108:109]
	;; [unrolled: 5-line block ×4, first 2 shown]
	s_waitcnt vmcnt(18) lgkmcnt(1)
	v_fma_f64 v[76:77], -v[58:59], v[120:121], v[76:77]
	ds_read2_b64 v[116:119], v169 offset0:13 offset1:14
	s_waitcnt vmcnt(17)
	v_fma_f64 v[102:103], -v[58:59], v[122:123], v[102:103]
	ds_read2_b64 v[120:123], v169 offset0:15 offset1:16
	s_waitcnt vmcnt(16) lgkmcnt(2)
	v_fma_f64 v[74:75], -v[58:59], v[124:125], v[74:75]
	s_waitcnt vmcnt(15)
	v_fma_f64 v[100:101], -v[58:59], v[126:127], v[100:101]
	s_waitcnt vmcnt(14) lgkmcnt(1)
	v_fma_f64 v[72:73], -v[58:59], v[116:117], v[72:73]
	ds_read2_b64 v[124:127], v169 offset0:17 offset1:18
	s_waitcnt vmcnt(13)
	v_fma_f64 v[98:99], -v[58:59], v[118:119], v[98:99]
	ds_read2_b64 v[116:119], v169 offset0:19 offset1:20
	s_waitcnt vmcnt(12) lgkmcnt(2)
	v_fma_f64 v[70:71], -v[58:59], v[120:121], v[70:71]
	s_waitcnt vmcnt(11)
	v_fma_f64 v[96:97], -v[58:59], v[122:123], v[96:97]
	ds_read2_b64 v[120:123], v169 offset0:21 offset1:22
	s_waitcnt vmcnt(10) lgkmcnt(2)
	v_fma_f64 v[68:69], -v[58:59], v[124:125], v[68:69]
	s_waitcnt vmcnt(9)
	v_fma_f64 v[94:95], -v[58:59], v[126:127], v[94:95]
	s_waitcnt vmcnt(8) lgkmcnt(1)
	v_fma_f64 v[66:67], -v[58:59], v[116:117], v[66:67]
	s_waitcnt vmcnt(7)
	v_fma_f64 v[92:93], -v[58:59], v[118:119], v[92:93]
	ds_read2_b64 v[116:119], v169 offset0:23 offset1:24
	s_waitcnt vmcnt(6) lgkmcnt(1)
	v_fma_f64 v[64:65], -v[58:59], v[120:121], v[64:65]
	ds_read2_b64 v[124:127], v169 offset0:25 offset1:26
	ds_read_b64 v[120:121], v169 offset:216
	s_waitcnt vmcnt(5)
	v_fma_f64 v[90:91], -v[58:59], v[122:123], v[90:91]
	s_waitcnt vmcnt(4) lgkmcnt(2)
	v_fma_f64 v[62:63], -v[58:59], v[116:117], v[62:63]
	s_waitcnt vmcnt(3)
	v_fma_f64 v[88:89], -v[58:59], v[118:119], v[88:89]
	s_waitcnt vmcnt(2) lgkmcnt(1)
	v_fma_f64 v[60:61], -v[58:59], v[124:125], v[60:61]
	s_waitcnt vmcnt(1)
	v_fma_f64 v[86:87], -v[58:59], v[126:127], v[86:87]
	s_waitcnt vmcnt(0) lgkmcnt(0)
	v_fma_f64 v[112:113], -v[58:59], v[120:121], v[112:113]
.LBB55_6:
	s_or_b64 exec, exec, s[6:7]
	v_cmp_eq_u32_e32 vcc, 1, v170
	s_waitcnt lgkmcnt(0)
	s_barrier
	s_and_saveexec_b64 s[2:3], vcc
	s_cbranch_execz .LBB55_9
; %bb.7:
	s_waitcnt vmcnt(25)
	v_mov_b32_e32 v116, v110
	v_mov_b32_e32 v117, v111
	s_waitcnt vmcnt(24)
	v_mov_b32_e32 v118, v82
	v_mov_b32_e32 v119, v83
	ds_write_b64 v168, v[84:85]
	ds_write2_b64 v169, v[116:117], v[118:119] offset0:2 offset1:3
	s_waitcnt vmcnt(23)
	v_mov_b32_e32 v116, v108
	v_mov_b32_e32 v117, v109
	s_waitcnt vmcnt(22)
	v_mov_b32_e32 v118, v80
	v_mov_b32_e32 v119, v81
	ds_write2_b64 v169, v[116:117], v[118:119] offset0:4 offset1:5
	s_waitcnt vmcnt(21)
	v_mov_b32_e32 v116, v106
	v_mov_b32_e32 v117, v107
	s_waitcnt vmcnt(20)
	v_mov_b32_e32 v118, v78
	v_mov_b32_e32 v119, v79
	;; [unrolled: 7-line block ×11, first 2 shown]
	ds_write2_b64 v169, v[116:117], v[118:119] offset0:24 offset1:25
	s_waitcnt vmcnt(1)
	v_mov_b32_e32 v116, v86
	v_mov_b32_e32 v117, v87
	s_waitcnt vmcnt(0)
	ds_write2_b64 v169, v[116:117], v[112:113] offset0:26 offset1:27
	ds_read_b64 v[116:117], v168
	s_waitcnt lgkmcnt(0)
	v_cmp_neq_f64_e32 vcc, 0, v[116:117]
	s_and_b64 exec, exec, vcc
	s_cbranch_execz .LBB55_9
; %bb.8:
	v_div_scale_f64 v[118:119], s[6:7], v[116:117], v[116:117], 1.0
	v_rcp_f64_e32 v[120:121], v[118:119]
	v_div_scale_f64 v[122:123], vcc, 1.0, v[116:117], 1.0
	v_fma_f64 v[124:125], -v[118:119], v[120:121], 1.0
	v_fmac_f64_e32 v[120:121], v[120:121], v[124:125]
	v_fma_f64 v[124:125], -v[118:119], v[120:121], 1.0
	v_fmac_f64_e32 v[120:121], v[120:121], v[124:125]
	v_mul_f64 v[124:125], v[122:123], v[120:121]
	v_fma_f64 v[118:119], -v[118:119], v[124:125], v[122:123]
	v_div_fmas_f64 v[118:119], v[118:119], v[120:121], v[124:125]
	v_div_fixup_f64 v[116:117], v[118:119], v[116:117], 1.0
	ds_write_b64 v168, v[116:117]
.LBB55_9:
	s_or_b64 exec, exec, s[2:3]
	s_waitcnt lgkmcnt(0)
	s_barrier
	ds_read_b64 v[116:117], v168
	v_cmp_lt_u32_e32 vcc, 1, v170
	s_and_saveexec_b64 s[2:3], vcc
	s_cbranch_execz .LBB55_11
; %bb.10:
	ds_read2_b64 v[118:121], v169 offset0:2 offset1:3
	ds_read2_b64 v[122:125], v169 offset0:4 offset1:5
	s_waitcnt vmcnt(26) lgkmcnt(2)
	v_mul_f64 v[84:85], v[116:117], v[84:85]
	ds_read2_b64 v[126:129], v169 offset0:6 offset1:7
	s_waitcnt vmcnt(25) lgkmcnt(2)
	v_fma_f64 v[110:111], -v[84:85], v[118:119], v[110:111]
	s_waitcnt vmcnt(24)
	v_fma_f64 v[82:83], -v[84:85], v[120:121], v[82:83]
	ds_read2_b64 v[118:121], v169 offset0:8 offset1:9
	s_waitcnt vmcnt(23) lgkmcnt(2)
	v_fma_f64 v[108:109], -v[84:85], v[122:123], v[108:109]
	s_waitcnt vmcnt(22)
	v_fma_f64 v[80:81], -v[84:85], v[124:125], v[80:81]
	s_waitcnt vmcnt(21) lgkmcnt(1)
	v_fma_f64 v[106:107], -v[84:85], v[126:127], v[106:107]
	ds_read2_b64 v[122:125], v169 offset0:10 offset1:11
	s_waitcnt vmcnt(20)
	v_fma_f64 v[78:79], -v[84:85], v[128:129], v[78:79]
	ds_read2_b64 v[126:129], v169 offset0:12 offset1:13
	s_waitcnt vmcnt(19) lgkmcnt(2)
	v_fma_f64 v[104:105], -v[84:85], v[118:119], v[104:105]
	s_waitcnt vmcnt(18)
	v_fma_f64 v[76:77], -v[84:85], v[120:121], v[76:77]
	ds_read2_b64 v[118:121], v169 offset0:14 offset1:15
	s_waitcnt vmcnt(17) lgkmcnt(2)
	v_fma_f64 v[102:103], -v[84:85], v[122:123], v[102:103]
	;; [unrolled: 5-line block ×3, first 2 shown]
	s_waitcnt vmcnt(14)
	v_fma_f64 v[72:73], -v[84:85], v[128:129], v[72:73]
	s_waitcnt vmcnt(13) lgkmcnt(1)
	v_fma_f64 v[98:99], -v[84:85], v[118:119], v[98:99]
	ds_read2_b64 v[126:129], v169 offset0:18 offset1:19
	s_waitcnt vmcnt(12)
	v_fma_f64 v[70:71], -v[84:85], v[120:121], v[70:71]
	ds_read2_b64 v[118:121], v169 offset0:20 offset1:21
	s_waitcnt vmcnt(11) lgkmcnt(2)
	v_fma_f64 v[96:97], -v[84:85], v[122:123], v[96:97]
	s_waitcnt vmcnt(10)
	v_fma_f64 v[68:69], -v[84:85], v[124:125], v[68:69]
	s_waitcnt vmcnt(9) lgkmcnt(1)
	v_fma_f64 v[94:95], -v[84:85], v[126:127], v[94:95]
	s_waitcnt vmcnt(8)
	v_fma_f64 v[66:67], -v[84:85], v[128:129], v[66:67]
	ds_read2_b64 v[122:125], v169 offset0:22 offset1:23
	ds_read2_b64 v[126:129], v169 offset0:24 offset1:25
	s_waitcnt vmcnt(7) lgkmcnt(2)
	v_fma_f64 v[92:93], -v[84:85], v[118:119], v[92:93]
	s_waitcnt vmcnt(6)
	v_fma_f64 v[64:65], -v[84:85], v[120:121], v[64:65]
	ds_read2_b64 v[118:121], v169 offset0:26 offset1:27
	s_waitcnt vmcnt(5) lgkmcnt(2)
	v_fma_f64 v[90:91], -v[84:85], v[122:123], v[90:91]
	s_waitcnt vmcnt(4)
	v_fma_f64 v[62:63], -v[84:85], v[124:125], v[62:63]
	s_waitcnt vmcnt(3) lgkmcnt(1)
	v_fma_f64 v[88:89], -v[84:85], v[126:127], v[88:89]
	s_waitcnt vmcnt(2)
	v_fma_f64 v[60:61], -v[84:85], v[128:129], v[60:61]
	;; [unrolled: 4-line block ×3, first 2 shown]
.LBB55_11:
	s_or_b64 exec, exec, s[2:3]
	v_cmp_eq_u32_e32 vcc, 2, v170
	s_waitcnt lgkmcnt(0)
	s_barrier
	s_and_saveexec_b64 s[2:3], vcc
	s_cbranch_execz .LBB55_14
; %bb.12:
	s_waitcnt vmcnt(25)
	ds_write_b64 v168, v[110:111]
	s_waitcnt vmcnt(23)
	ds_write2_b64 v169, v[82:83], v[108:109] offset0:3 offset1:4
	s_waitcnt vmcnt(21)
	ds_write2_b64 v169, v[80:81], v[106:107] offset0:5 offset1:6
	s_waitcnt vmcnt(19)
	ds_write2_b64 v169, v[78:79], v[104:105] offset0:7 offset1:8
	s_waitcnt vmcnt(17)
	ds_write2_b64 v169, v[76:77], v[102:103] offset0:9 offset1:10
	s_waitcnt vmcnt(15)
	ds_write2_b64 v169, v[74:75], v[100:101] offset0:11 offset1:12
	s_waitcnt vmcnt(13)
	ds_write2_b64 v169, v[72:73], v[98:99] offset0:13 offset1:14
	s_waitcnt vmcnt(11)
	ds_write2_b64 v169, v[70:71], v[96:97] offset0:15 offset1:16
	s_waitcnt vmcnt(9)
	ds_write2_b64 v169, v[68:69], v[94:95] offset0:17 offset1:18
	s_waitcnt vmcnt(7)
	ds_write2_b64 v169, v[66:67], v[92:93] offset0:19 offset1:20
	s_waitcnt vmcnt(5)
	ds_write2_b64 v169, v[64:65], v[90:91] offset0:21 offset1:22
	s_waitcnt vmcnt(3)
	ds_write2_b64 v169, v[62:63], v[88:89] offset0:23 offset1:24
	s_waitcnt vmcnt(1)
	ds_write2_b64 v169, v[60:61], v[86:87] offset0:25 offset1:26
	s_waitcnt vmcnt(0)
	ds_write_b64 v169, v[112:113] offset:216
	ds_read_b64 v[118:119], v168
	s_waitcnt lgkmcnt(0)
	v_cmp_neq_f64_e32 vcc, 0, v[118:119]
	s_and_b64 exec, exec, vcc
	s_cbranch_execz .LBB55_14
; %bb.13:
	v_div_scale_f64 v[120:121], s[6:7], v[118:119], v[118:119], 1.0
	v_rcp_f64_e32 v[122:123], v[120:121]
	v_div_scale_f64 v[124:125], vcc, 1.0, v[118:119], 1.0
	v_fma_f64 v[126:127], -v[120:121], v[122:123], 1.0
	v_fmac_f64_e32 v[122:123], v[122:123], v[126:127]
	v_fma_f64 v[126:127], -v[120:121], v[122:123], 1.0
	v_fmac_f64_e32 v[122:123], v[122:123], v[126:127]
	v_mul_f64 v[126:127], v[124:125], v[122:123]
	v_fma_f64 v[120:121], -v[120:121], v[126:127], v[124:125]
	v_div_fmas_f64 v[120:121], v[120:121], v[122:123], v[126:127]
	v_div_fixup_f64 v[118:119], v[120:121], v[118:119], 1.0
	ds_write_b64 v168, v[118:119]
.LBB55_14:
	s_or_b64 exec, exec, s[2:3]
	s_waitcnt lgkmcnt(0)
	s_barrier
	ds_read_b64 v[118:119], v168
	v_cmp_lt_u32_e32 vcc, 2, v170
	s_and_saveexec_b64 s[2:3], vcc
	s_cbranch_execz .LBB55_16
; %bb.15:
	ds_read2_b64 v[120:123], v169 offset0:3 offset1:4
	ds_read2_b64 v[124:127], v169 offset0:5 offset1:6
	s_waitcnt vmcnt(25) lgkmcnt(2)
	v_mul_f64 v[110:111], v[118:119], v[110:111]
	ds_read2_b64 v[128:131], v169 offset0:7 offset1:8
	s_waitcnt vmcnt(24) lgkmcnt(2)
	v_fma_f64 v[82:83], -v[110:111], v[120:121], v[82:83]
	s_waitcnt vmcnt(23)
	v_fma_f64 v[108:109], -v[110:111], v[122:123], v[108:109]
	ds_read2_b64 v[120:123], v169 offset0:9 offset1:10
	s_waitcnt vmcnt(22) lgkmcnt(2)
	v_fma_f64 v[80:81], -v[110:111], v[124:125], v[80:81]
	s_waitcnt vmcnt(21)
	v_fma_f64 v[106:107], -v[110:111], v[126:127], v[106:107]
	s_waitcnt vmcnt(20) lgkmcnt(1)
	v_fma_f64 v[78:79], -v[110:111], v[128:129], v[78:79]
	ds_read2_b64 v[124:127], v169 offset0:11 offset1:12
	s_waitcnt vmcnt(19)
	v_fma_f64 v[104:105], -v[110:111], v[130:131], v[104:105]
	ds_read2_b64 v[128:131], v169 offset0:13 offset1:14
	s_waitcnt vmcnt(18) lgkmcnt(2)
	v_fma_f64 v[76:77], -v[110:111], v[120:121], v[76:77]
	s_waitcnt vmcnt(17)
	v_fma_f64 v[102:103], -v[110:111], v[122:123], v[102:103]
	ds_read2_b64 v[120:123], v169 offset0:15 offset1:16
	s_waitcnt vmcnt(16) lgkmcnt(2)
	v_fma_f64 v[74:75], -v[110:111], v[124:125], v[74:75]
	;; [unrolled: 5-line block ×3, first 2 shown]
	s_waitcnt vmcnt(13)
	v_fma_f64 v[98:99], -v[110:111], v[130:131], v[98:99]
	s_waitcnt vmcnt(12) lgkmcnt(1)
	v_fma_f64 v[70:71], -v[110:111], v[120:121], v[70:71]
	ds_read2_b64 v[128:131], v169 offset0:19 offset1:20
	s_waitcnt vmcnt(11)
	v_fma_f64 v[96:97], -v[110:111], v[122:123], v[96:97]
	ds_read2_b64 v[120:123], v169 offset0:21 offset1:22
	s_waitcnt vmcnt(10) lgkmcnt(2)
	v_fma_f64 v[68:69], -v[110:111], v[124:125], v[68:69]
	s_waitcnt vmcnt(9)
	v_fma_f64 v[94:95], -v[110:111], v[126:127], v[94:95]
	s_waitcnt vmcnt(8) lgkmcnt(1)
	v_fma_f64 v[66:67], -v[110:111], v[128:129], v[66:67]
	s_waitcnt vmcnt(7)
	v_fma_f64 v[92:93], -v[110:111], v[130:131], v[92:93]
	ds_read2_b64 v[124:127], v169 offset0:23 offset1:24
	ds_read2_b64 v[128:131], v169 offset0:25 offset1:26
	s_waitcnt vmcnt(6) lgkmcnt(2)
	v_fma_f64 v[64:65], -v[110:111], v[120:121], v[64:65]
	ds_read_b64 v[120:121], v169 offset:216
	s_waitcnt vmcnt(5)
	v_fma_f64 v[90:91], -v[110:111], v[122:123], v[90:91]
	s_waitcnt vmcnt(4) lgkmcnt(2)
	v_fma_f64 v[62:63], -v[110:111], v[124:125], v[62:63]
	s_waitcnt vmcnt(3)
	v_fma_f64 v[88:89], -v[110:111], v[126:127], v[88:89]
	s_waitcnt vmcnt(2) lgkmcnt(1)
	v_fma_f64 v[60:61], -v[110:111], v[128:129], v[60:61]
	;; [unrolled: 4-line block ×3, first 2 shown]
.LBB55_16:
	s_or_b64 exec, exec, s[2:3]
	v_cmp_eq_u32_e32 vcc, 3, v170
	s_waitcnt lgkmcnt(0)
	s_barrier
	s_and_saveexec_b64 s[2:3], vcc
	s_cbranch_execz .LBB55_19
; %bb.17:
	s_waitcnt vmcnt(23)
	v_mov_b32_e32 v120, v108
	v_mov_b32_e32 v121, v109
	s_waitcnt vmcnt(22)
	v_mov_b32_e32 v122, v80
	v_mov_b32_e32 v123, v81
	ds_write_b64 v168, v[82:83]
	ds_write2_b64 v169, v[120:121], v[122:123] offset0:4 offset1:5
	s_waitcnt vmcnt(21)
	v_mov_b32_e32 v120, v106
	v_mov_b32_e32 v121, v107
	s_waitcnt vmcnt(20)
	v_mov_b32_e32 v122, v78
	v_mov_b32_e32 v123, v79
	ds_write2_b64 v169, v[120:121], v[122:123] offset0:6 offset1:7
	s_waitcnt vmcnt(19)
	v_mov_b32_e32 v120, v104
	v_mov_b32_e32 v121, v105
	s_waitcnt vmcnt(18)
	v_mov_b32_e32 v122, v76
	v_mov_b32_e32 v123, v77
	;; [unrolled: 7-line block ×10, first 2 shown]
	ds_write2_b64 v169, v[120:121], v[122:123] offset0:24 offset1:25
	s_waitcnt vmcnt(1)
	v_mov_b32_e32 v120, v86
	v_mov_b32_e32 v121, v87
	s_waitcnt vmcnt(0)
	ds_write2_b64 v169, v[120:121], v[112:113] offset0:26 offset1:27
	ds_read_b64 v[120:121], v168
	s_waitcnt lgkmcnt(0)
	v_cmp_neq_f64_e32 vcc, 0, v[120:121]
	s_and_b64 exec, exec, vcc
	s_cbranch_execz .LBB55_19
; %bb.18:
	v_div_scale_f64 v[122:123], s[6:7], v[120:121], v[120:121], 1.0
	v_rcp_f64_e32 v[124:125], v[122:123]
	v_div_scale_f64 v[126:127], vcc, 1.0, v[120:121], 1.0
	v_fma_f64 v[128:129], -v[122:123], v[124:125], 1.0
	v_fmac_f64_e32 v[124:125], v[124:125], v[128:129]
	v_fma_f64 v[128:129], -v[122:123], v[124:125], 1.0
	v_fmac_f64_e32 v[124:125], v[124:125], v[128:129]
	v_mul_f64 v[128:129], v[126:127], v[124:125]
	v_fma_f64 v[122:123], -v[122:123], v[128:129], v[126:127]
	v_div_fmas_f64 v[122:123], v[122:123], v[124:125], v[128:129]
	v_div_fixup_f64 v[120:121], v[122:123], v[120:121], 1.0
	ds_write_b64 v168, v[120:121]
.LBB55_19:
	s_or_b64 exec, exec, s[2:3]
	s_waitcnt lgkmcnt(0)
	s_barrier
	ds_read_b64 v[120:121], v168
	v_cmp_lt_u32_e32 vcc, 3, v170
	s_and_saveexec_b64 s[2:3], vcc
	s_cbranch_execz .LBB55_21
; %bb.20:
	ds_read2_b64 v[122:125], v169 offset0:4 offset1:5
	ds_read2_b64 v[126:129], v169 offset0:6 offset1:7
	;; [unrolled: 1-line block ×3, first 2 shown]
	s_waitcnt vmcnt(24) lgkmcnt(3)
	v_mul_f64 v[82:83], v[120:121], v[82:83]
	s_waitcnt vmcnt(23) lgkmcnt(2)
	v_fma_f64 v[108:109], -v[82:83], v[122:123], v[108:109]
	s_waitcnt vmcnt(22)
	v_fma_f64 v[80:81], -v[82:83], v[124:125], v[80:81]
	ds_read2_b64 v[122:125], v169 offset0:10 offset1:11
	s_waitcnt vmcnt(21) lgkmcnt(2)
	v_fma_f64 v[106:107], -v[82:83], v[126:127], v[106:107]
	s_waitcnt vmcnt(20)
	v_fma_f64 v[78:79], -v[82:83], v[128:129], v[78:79]
	s_waitcnt vmcnt(19) lgkmcnt(1)
	v_fma_f64 v[104:105], -v[82:83], v[130:131], v[104:105]
	ds_read2_b64 v[126:129], v169 offset0:12 offset1:13
	s_waitcnt vmcnt(18)
	v_fma_f64 v[76:77], -v[82:83], v[132:133], v[76:77]
	ds_read2_b64 v[130:133], v169 offset0:14 offset1:15
	s_waitcnt vmcnt(17) lgkmcnt(2)
	v_fma_f64 v[102:103], -v[82:83], v[122:123], v[102:103]
	s_waitcnt vmcnt(16)
	v_fma_f64 v[74:75], -v[82:83], v[124:125], v[74:75]
	s_waitcnt vmcnt(15) lgkmcnt(1)
	v_fma_f64 v[100:101], -v[82:83], v[126:127], v[100:101]
	ds_read2_b64 v[122:125], v169 offset0:16 offset1:17
	s_waitcnt vmcnt(14)
	v_fma_f64 v[72:73], -v[82:83], v[128:129], v[72:73]
	ds_read2_b64 v[126:129], v169 offset0:18 offset1:19
	s_waitcnt vmcnt(13) lgkmcnt(2)
	v_fma_f64 v[98:99], -v[82:83], v[130:131], v[98:99]
	s_waitcnt vmcnt(12)
	v_fma_f64 v[70:71], -v[82:83], v[132:133], v[70:71]
	ds_read2_b64 v[130:133], v169 offset0:20 offset1:21
	s_waitcnt vmcnt(11) lgkmcnt(2)
	v_fma_f64 v[96:97], -v[82:83], v[122:123], v[96:97]
	;; [unrolled: 5-line block ×3, first 2 shown]
	s_waitcnt vmcnt(8)
	v_fma_f64 v[66:67], -v[82:83], v[128:129], v[66:67]
	s_waitcnt vmcnt(7) lgkmcnt(1)
	v_fma_f64 v[92:93], -v[82:83], v[130:131], v[92:93]
	ds_read2_b64 v[126:129], v169 offset0:24 offset1:25
	s_waitcnt vmcnt(6)
	v_fma_f64 v[64:65], -v[82:83], v[132:133], v[64:65]
	ds_read2_b64 v[130:133], v169 offset0:26 offset1:27
	s_waitcnt vmcnt(5) lgkmcnt(2)
	v_fma_f64 v[90:91], -v[82:83], v[122:123], v[90:91]
	s_waitcnt vmcnt(4)
	v_fma_f64 v[62:63], -v[82:83], v[124:125], v[62:63]
	s_waitcnt vmcnt(3) lgkmcnt(1)
	v_fma_f64 v[88:89], -v[82:83], v[126:127], v[88:89]
	s_waitcnt vmcnt(2)
	v_fma_f64 v[60:61], -v[82:83], v[128:129], v[60:61]
	;; [unrolled: 4-line block ×3, first 2 shown]
.LBB55_21:
	s_or_b64 exec, exec, s[2:3]
	v_cmp_eq_u32_e32 vcc, 4, v170
	s_waitcnt lgkmcnt(0)
	s_barrier
	s_and_saveexec_b64 s[2:3], vcc
	s_cbranch_execz .LBB55_24
; %bb.22:
	s_waitcnt vmcnt(23)
	ds_write_b64 v168, v[108:109]
	s_waitcnt vmcnt(21)
	ds_write2_b64 v169, v[80:81], v[106:107] offset0:5 offset1:6
	s_waitcnt vmcnt(19)
	ds_write2_b64 v169, v[78:79], v[104:105] offset0:7 offset1:8
	;; [unrolled: 2-line block ×11, first 2 shown]
	s_waitcnt vmcnt(0)
	ds_write_b64 v169, v[112:113] offset:216
	ds_read_b64 v[122:123], v168
	s_waitcnt lgkmcnt(0)
	v_cmp_neq_f64_e32 vcc, 0, v[122:123]
	s_and_b64 exec, exec, vcc
	s_cbranch_execz .LBB55_24
; %bb.23:
	v_div_scale_f64 v[124:125], s[6:7], v[122:123], v[122:123], 1.0
	v_rcp_f64_e32 v[126:127], v[124:125]
	v_div_scale_f64 v[128:129], vcc, 1.0, v[122:123], 1.0
	v_fma_f64 v[130:131], -v[124:125], v[126:127], 1.0
	v_fmac_f64_e32 v[126:127], v[126:127], v[130:131]
	v_fma_f64 v[130:131], -v[124:125], v[126:127], 1.0
	v_fmac_f64_e32 v[126:127], v[126:127], v[130:131]
	v_mul_f64 v[130:131], v[128:129], v[126:127]
	v_fma_f64 v[124:125], -v[124:125], v[130:131], v[128:129]
	v_div_fmas_f64 v[124:125], v[124:125], v[126:127], v[130:131]
	v_div_fixup_f64 v[122:123], v[124:125], v[122:123], 1.0
	ds_write_b64 v168, v[122:123]
.LBB55_24:
	s_or_b64 exec, exec, s[2:3]
	s_waitcnt lgkmcnt(0)
	s_barrier
	ds_read_b64 v[122:123], v168
	v_cmp_lt_u32_e32 vcc, 4, v170
	s_and_saveexec_b64 s[2:3], vcc
	s_cbranch_execz .LBB55_26
; %bb.25:
	ds_read2_b64 v[124:127], v169 offset0:5 offset1:6
	ds_read2_b64 v[128:131], v169 offset0:7 offset1:8
	;; [unrolled: 1-line block ×3, first 2 shown]
	s_waitcnt vmcnt(23) lgkmcnt(3)
	v_mul_f64 v[108:109], v[122:123], v[108:109]
	s_waitcnt vmcnt(22) lgkmcnt(2)
	v_fma_f64 v[80:81], -v[108:109], v[124:125], v[80:81]
	s_waitcnt vmcnt(21)
	v_fma_f64 v[106:107], -v[108:109], v[126:127], v[106:107]
	ds_read2_b64 v[124:127], v169 offset0:11 offset1:12
	s_waitcnt vmcnt(20) lgkmcnt(2)
	v_fma_f64 v[78:79], -v[108:109], v[128:129], v[78:79]
	s_waitcnt vmcnt(19)
	v_fma_f64 v[104:105], -v[108:109], v[130:131], v[104:105]
	s_waitcnt vmcnt(18) lgkmcnt(1)
	v_fma_f64 v[76:77], -v[108:109], v[132:133], v[76:77]
	ds_read2_b64 v[128:131], v169 offset0:13 offset1:14
	s_waitcnt vmcnt(17)
	v_fma_f64 v[102:103], -v[108:109], v[134:135], v[102:103]
	ds_read2_b64 v[132:135], v169 offset0:15 offset1:16
	s_waitcnt vmcnt(16) lgkmcnt(2)
	v_fma_f64 v[74:75], -v[108:109], v[124:125], v[74:75]
	s_waitcnt vmcnt(15)
	v_fma_f64 v[100:101], -v[108:109], v[126:127], v[100:101]
	s_waitcnt vmcnt(14) lgkmcnt(1)
	v_fma_f64 v[72:73], -v[108:109], v[128:129], v[72:73]
	ds_read2_b64 v[124:127], v169 offset0:17 offset1:18
	s_waitcnt vmcnt(13)
	v_fma_f64 v[98:99], -v[108:109], v[130:131], v[98:99]
	ds_read2_b64 v[128:131], v169 offset0:19 offset1:20
	s_waitcnt vmcnt(12) lgkmcnt(2)
	v_fma_f64 v[70:71], -v[108:109], v[132:133], v[70:71]
	s_waitcnt vmcnt(11)
	v_fma_f64 v[96:97], -v[108:109], v[134:135], v[96:97]
	ds_read2_b64 v[132:135], v169 offset0:21 offset1:22
	s_waitcnt vmcnt(10) lgkmcnt(2)
	v_fma_f64 v[68:69], -v[108:109], v[124:125], v[68:69]
	s_waitcnt vmcnt(9)
	v_fma_f64 v[94:95], -v[108:109], v[126:127], v[94:95]
	ds_read2_b64 v[124:127], v169 offset0:23 offset1:24
	s_waitcnt vmcnt(8) lgkmcnt(2)
	v_fma_f64 v[66:67], -v[108:109], v[128:129], v[66:67]
	s_waitcnt vmcnt(7)
	v_fma_f64 v[92:93], -v[108:109], v[130:131], v[92:93]
	s_waitcnt vmcnt(6) lgkmcnt(1)
	v_fma_f64 v[64:65], -v[108:109], v[132:133], v[64:65]
	ds_read2_b64 v[128:131], v169 offset0:25 offset1:26
	ds_read_b64 v[132:133], v169 offset:216
	s_waitcnt vmcnt(5)
	v_fma_f64 v[90:91], -v[108:109], v[134:135], v[90:91]
	s_waitcnt vmcnt(4) lgkmcnt(2)
	v_fma_f64 v[62:63], -v[108:109], v[124:125], v[62:63]
	s_waitcnt vmcnt(3)
	v_fma_f64 v[88:89], -v[108:109], v[126:127], v[88:89]
	s_waitcnt vmcnt(2) lgkmcnt(1)
	v_fma_f64 v[60:61], -v[108:109], v[128:129], v[60:61]
	;; [unrolled: 4-line block ×3, first 2 shown]
.LBB55_26:
	s_or_b64 exec, exec, s[2:3]
	v_cmp_eq_u32_e32 vcc, 5, v170
	s_waitcnt lgkmcnt(0)
	s_barrier
	s_and_saveexec_b64 s[2:3], vcc
	s_cbranch_execz .LBB55_29
; %bb.27:
	s_waitcnt vmcnt(21)
	v_mov_b32_e32 v124, v106
	v_mov_b32_e32 v125, v107
	s_waitcnt vmcnt(20)
	v_mov_b32_e32 v126, v78
	v_mov_b32_e32 v127, v79
	ds_write_b64 v168, v[80:81]
	ds_write2_b64 v169, v[124:125], v[126:127] offset0:6 offset1:7
	s_waitcnt vmcnt(19)
	v_mov_b32_e32 v124, v104
	v_mov_b32_e32 v125, v105
	s_waitcnt vmcnt(18)
	v_mov_b32_e32 v126, v76
	v_mov_b32_e32 v127, v77
	ds_write2_b64 v169, v[124:125], v[126:127] offset0:8 offset1:9
	s_waitcnt vmcnt(17)
	v_mov_b32_e32 v124, v102
	v_mov_b32_e32 v125, v103
	s_waitcnt vmcnt(16)
	v_mov_b32_e32 v126, v74
	v_mov_b32_e32 v127, v75
	;; [unrolled: 7-line block ×9, first 2 shown]
	ds_write2_b64 v169, v[124:125], v[126:127] offset0:24 offset1:25
	s_waitcnt vmcnt(1)
	v_mov_b32_e32 v124, v86
	v_mov_b32_e32 v125, v87
	s_waitcnt vmcnt(0)
	ds_write2_b64 v169, v[124:125], v[112:113] offset0:26 offset1:27
	ds_read_b64 v[124:125], v168
	s_waitcnt lgkmcnt(0)
	v_cmp_neq_f64_e32 vcc, 0, v[124:125]
	s_and_b64 exec, exec, vcc
	s_cbranch_execz .LBB55_29
; %bb.28:
	v_div_scale_f64 v[126:127], s[6:7], v[124:125], v[124:125], 1.0
	v_rcp_f64_e32 v[128:129], v[126:127]
	v_div_scale_f64 v[130:131], vcc, 1.0, v[124:125], 1.0
	v_fma_f64 v[132:133], -v[126:127], v[128:129], 1.0
	v_fmac_f64_e32 v[128:129], v[128:129], v[132:133]
	v_fma_f64 v[132:133], -v[126:127], v[128:129], 1.0
	v_fmac_f64_e32 v[128:129], v[128:129], v[132:133]
	v_mul_f64 v[132:133], v[130:131], v[128:129]
	v_fma_f64 v[126:127], -v[126:127], v[132:133], v[130:131]
	v_div_fmas_f64 v[126:127], v[126:127], v[128:129], v[132:133]
	v_div_fixup_f64 v[124:125], v[126:127], v[124:125], 1.0
	ds_write_b64 v168, v[124:125]
.LBB55_29:
	s_or_b64 exec, exec, s[2:3]
	s_waitcnt lgkmcnt(0)
	s_barrier
	ds_read_b64 v[124:125], v168
	v_cmp_lt_u32_e32 vcc, 5, v170
	s_and_saveexec_b64 s[2:3], vcc
	s_cbranch_execz .LBB55_31
; %bb.30:
	ds_read2_b64 v[126:129], v169 offset0:6 offset1:7
	ds_read2_b64 v[130:133], v169 offset0:8 offset1:9
	s_waitcnt vmcnt(22) lgkmcnt(2)
	v_mul_f64 v[80:81], v[124:125], v[80:81]
	ds_read2_b64 v[134:137], v169 offset0:10 offset1:11
	s_waitcnt vmcnt(21) lgkmcnt(2)
	v_fma_f64 v[106:107], -v[80:81], v[126:127], v[106:107]
	s_waitcnt vmcnt(20)
	v_fma_f64 v[78:79], -v[80:81], v[128:129], v[78:79]
	ds_read2_b64 v[126:129], v169 offset0:12 offset1:13
	s_waitcnt vmcnt(19) lgkmcnt(2)
	v_fma_f64 v[104:105], -v[80:81], v[130:131], v[104:105]
	s_waitcnt vmcnt(18)
	v_fma_f64 v[76:77], -v[80:81], v[132:133], v[76:77]
	;; [unrolled: 5-line block ×4, first 2 shown]
	s_waitcnt vmcnt(13) lgkmcnt(1)
	v_fma_f64 v[98:99], -v[80:81], v[130:131], v[98:99]
	ds_read2_b64 v[126:129], v169 offset0:18 offset1:19
	s_waitcnt vmcnt(12)
	v_fma_f64 v[70:71], -v[80:81], v[132:133], v[70:71]
	ds_read2_b64 v[130:133], v169 offset0:20 offset1:21
	s_waitcnt vmcnt(11) lgkmcnt(2)
	v_fma_f64 v[96:97], -v[80:81], v[134:135], v[96:97]
	s_waitcnt vmcnt(10)
	v_fma_f64 v[68:69], -v[80:81], v[136:137], v[68:69]
	s_waitcnt vmcnt(9) lgkmcnt(1)
	v_fma_f64 v[94:95], -v[80:81], v[126:127], v[94:95]
	s_waitcnt vmcnt(8)
	v_fma_f64 v[66:67], -v[80:81], v[128:129], v[66:67]
	ds_read2_b64 v[126:129], v169 offset0:22 offset1:23
	ds_read2_b64 v[134:137], v169 offset0:24 offset1:25
	s_waitcnt vmcnt(7) lgkmcnt(2)
	v_fma_f64 v[92:93], -v[80:81], v[130:131], v[92:93]
	s_waitcnt vmcnt(6)
	v_fma_f64 v[64:65], -v[80:81], v[132:133], v[64:65]
	ds_read2_b64 v[130:133], v169 offset0:26 offset1:27
	s_waitcnt vmcnt(5) lgkmcnt(2)
	v_fma_f64 v[90:91], -v[80:81], v[126:127], v[90:91]
	s_waitcnt vmcnt(4)
	v_fma_f64 v[62:63], -v[80:81], v[128:129], v[62:63]
	s_waitcnt vmcnt(3) lgkmcnt(1)
	v_fma_f64 v[88:89], -v[80:81], v[134:135], v[88:89]
	s_waitcnt vmcnt(2)
	v_fma_f64 v[60:61], -v[80:81], v[136:137], v[60:61]
	;; [unrolled: 4-line block ×3, first 2 shown]
.LBB55_31:
	s_or_b64 exec, exec, s[2:3]
	v_cmp_eq_u32_e32 vcc, 6, v170
	s_waitcnt lgkmcnt(0)
	s_barrier
	s_and_saveexec_b64 s[2:3], vcc
	s_cbranch_execz .LBB55_34
; %bb.32:
	s_waitcnt vmcnt(21)
	ds_write_b64 v168, v[106:107]
	s_waitcnt vmcnt(19)
	ds_write2_b64 v169, v[78:79], v[104:105] offset0:7 offset1:8
	s_waitcnt vmcnt(17)
	ds_write2_b64 v169, v[76:77], v[102:103] offset0:9 offset1:10
	;; [unrolled: 2-line block ×10, first 2 shown]
	s_waitcnt vmcnt(0)
	ds_write_b64 v169, v[112:113] offset:216
	ds_read_b64 v[126:127], v168
	s_waitcnt lgkmcnt(0)
	v_cmp_neq_f64_e32 vcc, 0, v[126:127]
	s_and_b64 exec, exec, vcc
	s_cbranch_execz .LBB55_34
; %bb.33:
	v_div_scale_f64 v[128:129], s[6:7], v[126:127], v[126:127], 1.0
	v_rcp_f64_e32 v[130:131], v[128:129]
	v_div_scale_f64 v[132:133], vcc, 1.0, v[126:127], 1.0
	v_fma_f64 v[134:135], -v[128:129], v[130:131], 1.0
	v_fmac_f64_e32 v[130:131], v[130:131], v[134:135]
	v_fma_f64 v[134:135], -v[128:129], v[130:131], 1.0
	v_fmac_f64_e32 v[130:131], v[130:131], v[134:135]
	v_mul_f64 v[134:135], v[132:133], v[130:131]
	v_fma_f64 v[128:129], -v[128:129], v[134:135], v[132:133]
	v_div_fmas_f64 v[128:129], v[128:129], v[130:131], v[134:135]
	v_div_fixup_f64 v[126:127], v[128:129], v[126:127], 1.0
	ds_write_b64 v168, v[126:127]
.LBB55_34:
	s_or_b64 exec, exec, s[2:3]
	s_waitcnt lgkmcnt(0)
	s_barrier
	ds_read_b64 v[126:127], v168
	v_cmp_lt_u32_e32 vcc, 6, v170
	s_and_saveexec_b64 s[2:3], vcc
	s_cbranch_execz .LBB55_36
; %bb.35:
	ds_read2_b64 v[128:131], v169 offset0:7 offset1:8
	ds_read2_b64 v[132:135], v169 offset0:9 offset1:10
	s_waitcnt vmcnt(21) lgkmcnt(2)
	v_mul_f64 v[106:107], v[126:127], v[106:107]
	ds_read2_b64 v[136:139], v169 offset0:11 offset1:12
	s_waitcnt vmcnt(20) lgkmcnt(2)
	v_fma_f64 v[78:79], -v[106:107], v[128:129], v[78:79]
	s_waitcnt vmcnt(19)
	v_fma_f64 v[104:105], -v[106:107], v[130:131], v[104:105]
	ds_read2_b64 v[128:131], v169 offset0:13 offset1:14
	s_waitcnt vmcnt(18) lgkmcnt(2)
	v_fma_f64 v[76:77], -v[106:107], v[132:133], v[76:77]
	s_waitcnt vmcnt(17)
	v_fma_f64 v[102:103], -v[106:107], v[134:135], v[102:103]
	;; [unrolled: 5-line block ×4, first 2 shown]
	s_waitcnt vmcnt(12) lgkmcnt(1)
	v_fma_f64 v[70:71], -v[106:107], v[132:133], v[70:71]
	ds_read2_b64 v[128:131], v169 offset0:19 offset1:20
	s_waitcnt vmcnt(11)
	v_fma_f64 v[96:97], -v[106:107], v[134:135], v[96:97]
	ds_read2_b64 v[132:135], v169 offset0:21 offset1:22
	s_waitcnt vmcnt(10) lgkmcnt(2)
	v_fma_f64 v[68:69], -v[106:107], v[136:137], v[68:69]
	s_waitcnt vmcnt(9)
	v_fma_f64 v[94:95], -v[106:107], v[138:139], v[94:95]
	s_waitcnt vmcnt(8) lgkmcnt(1)
	v_fma_f64 v[66:67], -v[106:107], v[128:129], v[66:67]
	s_waitcnt vmcnt(7)
	v_fma_f64 v[92:93], -v[106:107], v[130:131], v[92:93]
	ds_read2_b64 v[128:131], v169 offset0:23 offset1:24
	ds_read2_b64 v[136:139], v169 offset0:25 offset1:26
	s_waitcnt vmcnt(6) lgkmcnt(2)
	v_fma_f64 v[64:65], -v[106:107], v[132:133], v[64:65]
	ds_read_b64 v[132:133], v169 offset:216
	s_waitcnt vmcnt(5)
	v_fma_f64 v[90:91], -v[106:107], v[134:135], v[90:91]
	s_waitcnt vmcnt(4) lgkmcnt(2)
	v_fma_f64 v[62:63], -v[106:107], v[128:129], v[62:63]
	s_waitcnt vmcnt(3)
	v_fma_f64 v[88:89], -v[106:107], v[130:131], v[88:89]
	s_waitcnt vmcnt(2) lgkmcnt(1)
	v_fma_f64 v[60:61], -v[106:107], v[136:137], v[60:61]
	;; [unrolled: 4-line block ×3, first 2 shown]
.LBB55_36:
	s_or_b64 exec, exec, s[2:3]
	v_cmp_eq_u32_e32 vcc, 7, v170
	s_waitcnt lgkmcnt(0)
	s_barrier
	s_and_saveexec_b64 s[2:3], vcc
	s_cbranch_execz .LBB55_39
; %bb.37:
	s_waitcnt vmcnt(19)
	v_mov_b32_e32 v128, v104
	v_mov_b32_e32 v129, v105
	s_waitcnt vmcnt(18)
	v_mov_b32_e32 v130, v76
	v_mov_b32_e32 v131, v77
	ds_write_b64 v168, v[78:79]
	ds_write2_b64 v169, v[128:129], v[130:131] offset0:8 offset1:9
	s_waitcnt vmcnt(17)
	v_mov_b32_e32 v128, v102
	v_mov_b32_e32 v129, v103
	s_waitcnt vmcnt(16)
	v_mov_b32_e32 v130, v74
	v_mov_b32_e32 v131, v75
	ds_write2_b64 v169, v[128:129], v[130:131] offset0:10 offset1:11
	s_waitcnt vmcnt(15)
	v_mov_b32_e32 v128, v100
	v_mov_b32_e32 v129, v101
	s_waitcnt vmcnt(14)
	v_mov_b32_e32 v130, v72
	v_mov_b32_e32 v131, v73
	;; [unrolled: 7-line block ×8, first 2 shown]
	ds_write2_b64 v169, v[128:129], v[130:131] offset0:24 offset1:25
	s_waitcnt vmcnt(1)
	v_mov_b32_e32 v128, v86
	v_mov_b32_e32 v129, v87
	s_waitcnt vmcnt(0)
	ds_write2_b64 v169, v[128:129], v[112:113] offset0:26 offset1:27
	ds_read_b64 v[128:129], v168
	s_waitcnt lgkmcnt(0)
	v_cmp_neq_f64_e32 vcc, 0, v[128:129]
	s_and_b64 exec, exec, vcc
	s_cbranch_execz .LBB55_39
; %bb.38:
	v_div_scale_f64 v[130:131], s[6:7], v[128:129], v[128:129], 1.0
	v_rcp_f64_e32 v[132:133], v[130:131]
	v_div_scale_f64 v[134:135], vcc, 1.0, v[128:129], 1.0
	v_fma_f64 v[136:137], -v[130:131], v[132:133], 1.0
	v_fmac_f64_e32 v[132:133], v[132:133], v[136:137]
	v_fma_f64 v[136:137], -v[130:131], v[132:133], 1.0
	v_fmac_f64_e32 v[132:133], v[132:133], v[136:137]
	v_mul_f64 v[136:137], v[134:135], v[132:133]
	v_fma_f64 v[130:131], -v[130:131], v[136:137], v[134:135]
	v_div_fmas_f64 v[130:131], v[130:131], v[132:133], v[136:137]
	v_div_fixup_f64 v[128:129], v[130:131], v[128:129], 1.0
	ds_write_b64 v168, v[128:129]
.LBB55_39:
	s_or_b64 exec, exec, s[2:3]
	s_waitcnt lgkmcnt(0)
	s_barrier
	ds_read_b64 v[128:129], v168
	v_cmp_lt_u32_e32 vcc, 7, v170
	s_and_saveexec_b64 s[2:3], vcc
	s_cbranch_execz .LBB55_41
; %bb.40:
	ds_read2_b64 v[130:133], v169 offset0:8 offset1:9
	ds_read2_b64 v[134:137], v169 offset0:10 offset1:11
	s_waitcnt vmcnt(20) lgkmcnt(2)
	v_mul_f64 v[78:79], v[128:129], v[78:79]
	ds_read2_b64 v[138:141], v169 offset0:12 offset1:13
	s_waitcnt vmcnt(19) lgkmcnt(2)
	v_fma_f64 v[104:105], -v[78:79], v[130:131], v[104:105]
	s_waitcnt vmcnt(18)
	v_fma_f64 v[76:77], -v[78:79], v[132:133], v[76:77]
	ds_read2_b64 v[130:133], v169 offset0:14 offset1:15
	s_waitcnt vmcnt(17) lgkmcnt(2)
	v_fma_f64 v[102:103], -v[78:79], v[134:135], v[102:103]
	s_waitcnt vmcnt(16)
	v_fma_f64 v[74:75], -v[78:79], v[136:137], v[74:75]
	s_waitcnt vmcnt(15) lgkmcnt(1)
	v_fma_f64 v[100:101], -v[78:79], v[138:139], v[100:101]
	ds_read2_b64 v[134:137], v169 offset0:16 offset1:17
	s_waitcnt vmcnt(14)
	v_fma_f64 v[72:73], -v[78:79], v[140:141], v[72:73]
	ds_read2_b64 v[138:141], v169 offset0:18 offset1:19
	s_waitcnt vmcnt(13) lgkmcnt(2)
	v_fma_f64 v[98:99], -v[78:79], v[130:131], v[98:99]
	s_waitcnt vmcnt(12)
	v_fma_f64 v[70:71], -v[78:79], v[132:133], v[70:71]
	ds_read2_b64 v[130:133], v169 offset0:20 offset1:21
	s_waitcnt vmcnt(11) lgkmcnt(2)
	v_fma_f64 v[96:97], -v[78:79], v[134:135], v[96:97]
	;; [unrolled: 5-line block ×3, first 2 shown]
	s_waitcnt vmcnt(8)
	v_fma_f64 v[66:67], -v[78:79], v[140:141], v[66:67]
	s_waitcnt vmcnt(7) lgkmcnt(1)
	v_fma_f64 v[92:93], -v[78:79], v[130:131], v[92:93]
	ds_read2_b64 v[138:141], v169 offset0:24 offset1:25
	s_waitcnt vmcnt(6)
	v_fma_f64 v[64:65], -v[78:79], v[132:133], v[64:65]
	ds_read2_b64 v[130:133], v169 offset0:26 offset1:27
	s_waitcnt vmcnt(5) lgkmcnt(2)
	v_fma_f64 v[90:91], -v[78:79], v[134:135], v[90:91]
	s_waitcnt vmcnt(4)
	v_fma_f64 v[62:63], -v[78:79], v[136:137], v[62:63]
	s_waitcnt vmcnt(3) lgkmcnt(1)
	v_fma_f64 v[88:89], -v[78:79], v[138:139], v[88:89]
	s_waitcnt vmcnt(2)
	v_fma_f64 v[60:61], -v[78:79], v[140:141], v[60:61]
	;; [unrolled: 4-line block ×3, first 2 shown]
.LBB55_41:
	s_or_b64 exec, exec, s[2:3]
	v_cmp_eq_u32_e32 vcc, 8, v170
	s_waitcnt lgkmcnt(0)
	s_barrier
	s_and_saveexec_b64 s[2:3], vcc
	s_cbranch_execz .LBB55_44
; %bb.42:
	s_waitcnt vmcnt(19)
	ds_write_b64 v168, v[104:105]
	s_waitcnt vmcnt(17)
	ds_write2_b64 v169, v[76:77], v[102:103] offset0:9 offset1:10
	s_waitcnt vmcnt(15)
	ds_write2_b64 v169, v[74:75], v[100:101] offset0:11 offset1:12
	;; [unrolled: 2-line block ×9, first 2 shown]
	s_waitcnt vmcnt(0)
	ds_write_b64 v169, v[112:113] offset:216
	ds_read_b64 v[130:131], v168
	s_waitcnt lgkmcnt(0)
	v_cmp_neq_f64_e32 vcc, 0, v[130:131]
	s_and_b64 exec, exec, vcc
	s_cbranch_execz .LBB55_44
; %bb.43:
	v_div_scale_f64 v[132:133], s[6:7], v[130:131], v[130:131], 1.0
	v_rcp_f64_e32 v[134:135], v[132:133]
	v_div_scale_f64 v[136:137], vcc, 1.0, v[130:131], 1.0
	v_fma_f64 v[138:139], -v[132:133], v[134:135], 1.0
	v_fmac_f64_e32 v[134:135], v[134:135], v[138:139]
	v_fma_f64 v[138:139], -v[132:133], v[134:135], 1.0
	v_fmac_f64_e32 v[134:135], v[134:135], v[138:139]
	v_mul_f64 v[138:139], v[136:137], v[134:135]
	v_fma_f64 v[132:133], -v[132:133], v[138:139], v[136:137]
	v_div_fmas_f64 v[132:133], v[132:133], v[134:135], v[138:139]
	v_div_fixup_f64 v[130:131], v[132:133], v[130:131], 1.0
	ds_write_b64 v168, v[130:131]
.LBB55_44:
	s_or_b64 exec, exec, s[2:3]
	s_waitcnt lgkmcnt(0)
	s_barrier
	ds_read_b64 v[130:131], v168
	v_cmp_lt_u32_e32 vcc, 8, v170
	s_and_saveexec_b64 s[2:3], vcc
	s_cbranch_execz .LBB55_46
; %bb.45:
	ds_read2_b64 v[132:135], v169 offset0:9 offset1:10
	ds_read2_b64 v[136:139], v169 offset0:11 offset1:12
	s_waitcnt vmcnt(19) lgkmcnt(2)
	v_mul_f64 v[104:105], v[130:131], v[104:105]
	ds_read2_b64 v[140:143], v169 offset0:13 offset1:14
	s_waitcnt vmcnt(18) lgkmcnt(2)
	v_fma_f64 v[76:77], -v[104:105], v[132:133], v[76:77]
	s_waitcnt vmcnt(17)
	v_fma_f64 v[102:103], -v[104:105], v[134:135], v[102:103]
	ds_read2_b64 v[132:135], v169 offset0:15 offset1:16
	s_waitcnt vmcnt(16) lgkmcnt(2)
	v_fma_f64 v[74:75], -v[104:105], v[136:137], v[74:75]
	s_waitcnt vmcnt(15)
	v_fma_f64 v[100:101], -v[104:105], v[138:139], v[100:101]
	s_waitcnt vmcnt(14) lgkmcnt(1)
	v_fma_f64 v[72:73], -v[104:105], v[140:141], v[72:73]
	ds_read2_b64 v[136:139], v169 offset0:17 offset1:18
	s_waitcnt vmcnt(13)
	v_fma_f64 v[98:99], -v[104:105], v[142:143], v[98:99]
	ds_read2_b64 v[140:143], v169 offset0:19 offset1:20
	s_waitcnt vmcnt(12) lgkmcnt(2)
	v_fma_f64 v[70:71], -v[104:105], v[132:133], v[70:71]
	s_waitcnt vmcnt(11)
	v_fma_f64 v[96:97], -v[104:105], v[134:135], v[96:97]
	ds_read2_b64 v[132:135], v169 offset0:21 offset1:22
	s_waitcnt vmcnt(10) lgkmcnt(2)
	v_fma_f64 v[68:69], -v[104:105], v[136:137], v[68:69]
	;; [unrolled: 5-line block ×3, first 2 shown]
	s_waitcnt vmcnt(7)
	v_fma_f64 v[92:93], -v[104:105], v[142:143], v[92:93]
	s_waitcnt vmcnt(6) lgkmcnt(1)
	v_fma_f64 v[64:65], -v[104:105], v[132:133], v[64:65]
	ds_read2_b64 v[140:143], v169 offset0:25 offset1:26
	ds_read_b64 v[132:133], v169 offset:216
	s_waitcnt vmcnt(5)
	v_fma_f64 v[90:91], -v[104:105], v[134:135], v[90:91]
	s_waitcnt vmcnt(4) lgkmcnt(2)
	v_fma_f64 v[62:63], -v[104:105], v[136:137], v[62:63]
	s_waitcnt vmcnt(3)
	v_fma_f64 v[88:89], -v[104:105], v[138:139], v[88:89]
	s_waitcnt vmcnt(2) lgkmcnt(1)
	v_fma_f64 v[60:61], -v[104:105], v[140:141], v[60:61]
	s_waitcnt vmcnt(1)
	v_fma_f64 v[86:87], -v[104:105], v[142:143], v[86:87]
	s_waitcnt vmcnt(0) lgkmcnt(0)
	v_fma_f64 v[112:113], -v[104:105], v[132:133], v[112:113]
.LBB55_46:
	s_or_b64 exec, exec, s[2:3]
	v_cmp_eq_u32_e32 vcc, 9, v170
	s_waitcnt lgkmcnt(0)
	s_barrier
	s_and_saveexec_b64 s[2:3], vcc
	s_cbranch_execz .LBB55_49
; %bb.47:
	s_waitcnt vmcnt(17)
	v_mov_b32_e32 v132, v102
	v_mov_b32_e32 v133, v103
	s_waitcnt vmcnt(16)
	v_mov_b32_e32 v134, v74
	v_mov_b32_e32 v135, v75
	ds_write_b64 v168, v[76:77]
	ds_write2_b64 v169, v[132:133], v[134:135] offset0:10 offset1:11
	s_waitcnt vmcnt(15)
	v_mov_b32_e32 v132, v100
	v_mov_b32_e32 v133, v101
	s_waitcnt vmcnt(14)
	v_mov_b32_e32 v134, v72
	v_mov_b32_e32 v135, v73
	ds_write2_b64 v169, v[132:133], v[134:135] offset0:12 offset1:13
	s_waitcnt vmcnt(13)
	v_mov_b32_e32 v132, v98
	v_mov_b32_e32 v133, v99
	s_waitcnt vmcnt(12)
	v_mov_b32_e32 v134, v70
	v_mov_b32_e32 v135, v71
	ds_write2_b64 v169, v[132:133], v[134:135] offset0:14 offset1:15
	s_waitcnt vmcnt(11)
	v_mov_b32_e32 v132, v96
	v_mov_b32_e32 v133, v97
	s_waitcnt vmcnt(10)
	v_mov_b32_e32 v134, v68
	v_mov_b32_e32 v135, v69
	ds_write2_b64 v169, v[132:133], v[134:135] offset0:16 offset1:17
	s_waitcnt vmcnt(9)
	v_mov_b32_e32 v132, v94
	v_mov_b32_e32 v133, v95
	s_waitcnt vmcnt(8)
	v_mov_b32_e32 v134, v66
	v_mov_b32_e32 v135, v67
	ds_write2_b64 v169, v[132:133], v[134:135] offset0:18 offset1:19
	s_waitcnt vmcnt(7)
	v_mov_b32_e32 v132, v92
	v_mov_b32_e32 v133, v93
	s_waitcnt vmcnt(6)
	v_mov_b32_e32 v134, v64
	v_mov_b32_e32 v135, v65
	ds_write2_b64 v169, v[132:133], v[134:135] offset0:20 offset1:21
	s_waitcnt vmcnt(5)
	v_mov_b32_e32 v132, v90
	v_mov_b32_e32 v133, v91
	s_waitcnt vmcnt(4)
	v_mov_b32_e32 v134, v62
	v_mov_b32_e32 v135, v63
	ds_write2_b64 v169, v[132:133], v[134:135] offset0:22 offset1:23
	s_waitcnt vmcnt(3)
	v_mov_b32_e32 v132, v88
	v_mov_b32_e32 v133, v89
	s_waitcnt vmcnt(2)
	v_mov_b32_e32 v134, v60
	v_mov_b32_e32 v135, v61
	ds_write2_b64 v169, v[132:133], v[134:135] offset0:24 offset1:25
	s_waitcnt vmcnt(1)
	v_mov_b32_e32 v132, v86
	v_mov_b32_e32 v133, v87
	s_waitcnt vmcnt(0)
	ds_write2_b64 v169, v[132:133], v[112:113] offset0:26 offset1:27
	ds_read_b64 v[132:133], v168
	s_waitcnt lgkmcnt(0)
	v_cmp_neq_f64_e32 vcc, 0, v[132:133]
	s_and_b64 exec, exec, vcc
	s_cbranch_execz .LBB55_49
; %bb.48:
	v_div_scale_f64 v[134:135], s[6:7], v[132:133], v[132:133], 1.0
	v_rcp_f64_e32 v[136:137], v[134:135]
	v_div_scale_f64 v[138:139], vcc, 1.0, v[132:133], 1.0
	v_fma_f64 v[140:141], -v[134:135], v[136:137], 1.0
	v_fmac_f64_e32 v[136:137], v[136:137], v[140:141]
	v_fma_f64 v[140:141], -v[134:135], v[136:137], 1.0
	v_fmac_f64_e32 v[136:137], v[136:137], v[140:141]
	v_mul_f64 v[140:141], v[138:139], v[136:137]
	v_fma_f64 v[134:135], -v[134:135], v[140:141], v[138:139]
	v_div_fmas_f64 v[134:135], v[134:135], v[136:137], v[140:141]
	v_div_fixup_f64 v[132:133], v[134:135], v[132:133], 1.0
	ds_write_b64 v168, v[132:133]
.LBB55_49:
	s_or_b64 exec, exec, s[2:3]
	s_waitcnt lgkmcnt(0)
	s_barrier
	ds_read_b64 v[132:133], v168
	v_cmp_lt_u32_e32 vcc, 9, v170
	s_and_saveexec_b64 s[2:3], vcc
	s_cbranch_execz .LBB55_51
; %bb.50:
	ds_read2_b64 v[134:137], v169 offset0:10 offset1:11
	ds_read2_b64 v[138:141], v169 offset0:12 offset1:13
	;; [unrolled: 1-line block ×3, first 2 shown]
	s_waitcnt vmcnt(18) lgkmcnt(3)
	v_mul_f64 v[76:77], v[132:133], v[76:77]
	s_waitcnt vmcnt(17) lgkmcnt(2)
	v_fma_f64 v[102:103], -v[76:77], v[134:135], v[102:103]
	s_waitcnt vmcnt(16)
	v_fma_f64 v[74:75], -v[76:77], v[136:137], v[74:75]
	ds_read2_b64 v[134:137], v169 offset0:16 offset1:17
	s_waitcnt vmcnt(15) lgkmcnt(2)
	v_fma_f64 v[100:101], -v[76:77], v[138:139], v[100:101]
	s_waitcnt vmcnt(14)
	v_fma_f64 v[72:73], -v[76:77], v[140:141], v[72:73]
	s_waitcnt vmcnt(13) lgkmcnt(1)
	v_fma_f64 v[98:99], -v[76:77], v[142:143], v[98:99]
	ds_read2_b64 v[138:141], v169 offset0:18 offset1:19
	s_waitcnt vmcnt(12)
	v_fma_f64 v[70:71], -v[76:77], v[144:145], v[70:71]
	ds_read2_b64 v[142:145], v169 offset0:20 offset1:21
	s_waitcnt vmcnt(11) lgkmcnt(2)
	v_fma_f64 v[96:97], -v[76:77], v[134:135], v[96:97]
	s_waitcnt vmcnt(10)
	v_fma_f64 v[68:69], -v[76:77], v[136:137], v[68:69]
	s_waitcnt vmcnt(9) lgkmcnt(1)
	v_fma_f64 v[94:95], -v[76:77], v[138:139], v[94:95]
	s_waitcnt vmcnt(8)
	v_fma_f64 v[66:67], -v[76:77], v[140:141], v[66:67]
	ds_read2_b64 v[134:137], v169 offset0:22 offset1:23
	ds_read2_b64 v[138:141], v169 offset0:24 offset1:25
	s_waitcnt vmcnt(7) lgkmcnt(2)
	v_fma_f64 v[92:93], -v[76:77], v[142:143], v[92:93]
	s_waitcnt vmcnt(6)
	v_fma_f64 v[64:65], -v[76:77], v[144:145], v[64:65]
	ds_read2_b64 v[142:145], v169 offset0:26 offset1:27
	s_waitcnt vmcnt(5) lgkmcnt(2)
	v_fma_f64 v[90:91], -v[76:77], v[134:135], v[90:91]
	s_waitcnt vmcnt(4)
	v_fma_f64 v[62:63], -v[76:77], v[136:137], v[62:63]
	s_waitcnt vmcnt(3) lgkmcnt(1)
	v_fma_f64 v[88:89], -v[76:77], v[138:139], v[88:89]
	s_waitcnt vmcnt(2)
	v_fma_f64 v[60:61], -v[76:77], v[140:141], v[60:61]
	s_waitcnt vmcnt(1) lgkmcnt(0)
	v_fma_f64 v[86:87], -v[76:77], v[142:143], v[86:87]
	s_waitcnt vmcnt(0)
	v_fma_f64 v[112:113], -v[76:77], v[144:145], v[112:113]
.LBB55_51:
	s_or_b64 exec, exec, s[2:3]
	v_cmp_eq_u32_e32 vcc, 10, v170
	s_waitcnt lgkmcnt(0)
	s_barrier
	s_and_saveexec_b64 s[2:3], vcc
	s_cbranch_execz .LBB55_54
; %bb.52:
	s_waitcnt vmcnt(17)
	ds_write_b64 v168, v[102:103]
	s_waitcnt vmcnt(15)
	ds_write2_b64 v169, v[74:75], v[100:101] offset0:11 offset1:12
	s_waitcnt vmcnt(13)
	ds_write2_b64 v169, v[72:73], v[98:99] offset0:13 offset1:14
	;; [unrolled: 2-line block ×8, first 2 shown]
	s_waitcnt vmcnt(0)
	ds_write_b64 v169, v[112:113] offset:216
	ds_read_b64 v[134:135], v168
	s_waitcnt lgkmcnt(0)
	v_cmp_neq_f64_e32 vcc, 0, v[134:135]
	s_and_b64 exec, exec, vcc
	s_cbranch_execz .LBB55_54
; %bb.53:
	v_div_scale_f64 v[136:137], s[6:7], v[134:135], v[134:135], 1.0
	v_rcp_f64_e32 v[138:139], v[136:137]
	v_div_scale_f64 v[140:141], vcc, 1.0, v[134:135], 1.0
	v_fma_f64 v[142:143], -v[136:137], v[138:139], 1.0
	v_fmac_f64_e32 v[138:139], v[138:139], v[142:143]
	v_fma_f64 v[142:143], -v[136:137], v[138:139], 1.0
	v_fmac_f64_e32 v[138:139], v[138:139], v[142:143]
	v_mul_f64 v[142:143], v[140:141], v[138:139]
	v_fma_f64 v[136:137], -v[136:137], v[142:143], v[140:141]
	v_div_fmas_f64 v[136:137], v[136:137], v[138:139], v[142:143]
	v_div_fixup_f64 v[134:135], v[136:137], v[134:135], 1.0
	ds_write_b64 v168, v[134:135]
.LBB55_54:
	s_or_b64 exec, exec, s[2:3]
	s_waitcnt lgkmcnt(0)
	s_barrier
	ds_read_b64 v[134:135], v168
	v_cmp_lt_u32_e32 vcc, 10, v170
	s_and_saveexec_b64 s[2:3], vcc
	s_cbranch_execz .LBB55_56
; %bb.55:
	ds_read2_b64 v[136:139], v169 offset0:11 offset1:12
	ds_read2_b64 v[140:143], v169 offset0:13 offset1:14
	;; [unrolled: 1-line block ×3, first 2 shown]
	s_waitcnt vmcnt(17) lgkmcnt(3)
	v_mul_f64 v[102:103], v[134:135], v[102:103]
	s_waitcnt vmcnt(16) lgkmcnt(2)
	v_fma_f64 v[74:75], -v[102:103], v[136:137], v[74:75]
	s_waitcnt vmcnt(15)
	v_fma_f64 v[100:101], -v[102:103], v[138:139], v[100:101]
	ds_read2_b64 v[136:139], v169 offset0:17 offset1:18
	s_waitcnt vmcnt(14) lgkmcnt(2)
	v_fma_f64 v[72:73], -v[102:103], v[140:141], v[72:73]
	s_waitcnt vmcnt(13)
	v_fma_f64 v[98:99], -v[102:103], v[142:143], v[98:99]
	s_waitcnt vmcnt(12) lgkmcnt(1)
	v_fma_f64 v[70:71], -v[102:103], v[144:145], v[70:71]
	ds_read2_b64 v[140:143], v169 offset0:19 offset1:20
	s_waitcnt vmcnt(11)
	v_fma_f64 v[96:97], -v[102:103], v[146:147], v[96:97]
	ds_read2_b64 v[144:147], v169 offset0:21 offset1:22
	s_waitcnt vmcnt(10) lgkmcnt(2)
	v_fma_f64 v[68:69], -v[102:103], v[136:137], v[68:69]
	s_waitcnt vmcnt(9)
	v_fma_f64 v[94:95], -v[102:103], v[138:139], v[94:95]
	s_waitcnt vmcnt(8) lgkmcnt(1)
	v_fma_f64 v[66:67], -v[102:103], v[140:141], v[66:67]
	s_waitcnt vmcnt(7)
	v_fma_f64 v[92:93], -v[102:103], v[142:143], v[92:93]
	ds_read2_b64 v[136:139], v169 offset0:23 offset1:24
	ds_read2_b64 v[140:143], v169 offset0:25 offset1:26
	s_waitcnt vmcnt(6) lgkmcnt(2)
	v_fma_f64 v[64:65], -v[102:103], v[144:145], v[64:65]
	ds_read_b64 v[144:145], v169 offset:216
	s_waitcnt vmcnt(5)
	v_fma_f64 v[90:91], -v[102:103], v[146:147], v[90:91]
	s_waitcnt vmcnt(4) lgkmcnt(2)
	v_fma_f64 v[62:63], -v[102:103], v[136:137], v[62:63]
	s_waitcnt vmcnt(3)
	v_fma_f64 v[88:89], -v[102:103], v[138:139], v[88:89]
	s_waitcnt vmcnt(2) lgkmcnt(1)
	v_fma_f64 v[60:61], -v[102:103], v[140:141], v[60:61]
	;; [unrolled: 4-line block ×3, first 2 shown]
.LBB55_56:
	s_or_b64 exec, exec, s[2:3]
	v_cmp_eq_u32_e32 vcc, 11, v170
	s_waitcnt lgkmcnt(0)
	s_barrier
	s_and_saveexec_b64 s[2:3], vcc
	s_cbranch_execz .LBB55_59
; %bb.57:
	s_waitcnt vmcnt(15)
	v_mov_b32_e32 v136, v100
	v_mov_b32_e32 v137, v101
	s_waitcnt vmcnt(14)
	v_mov_b32_e32 v138, v72
	v_mov_b32_e32 v139, v73
	ds_write_b64 v168, v[74:75]
	ds_write2_b64 v169, v[136:137], v[138:139] offset0:12 offset1:13
	s_waitcnt vmcnt(13)
	v_mov_b32_e32 v136, v98
	v_mov_b32_e32 v137, v99
	s_waitcnt vmcnt(12)
	v_mov_b32_e32 v138, v70
	v_mov_b32_e32 v139, v71
	ds_write2_b64 v169, v[136:137], v[138:139] offset0:14 offset1:15
	s_waitcnt vmcnt(11)
	v_mov_b32_e32 v136, v96
	v_mov_b32_e32 v137, v97
	s_waitcnt vmcnt(10)
	v_mov_b32_e32 v138, v68
	v_mov_b32_e32 v139, v69
	;; [unrolled: 7-line block ×6, first 2 shown]
	ds_write2_b64 v169, v[136:137], v[138:139] offset0:24 offset1:25
	s_waitcnt vmcnt(1)
	v_mov_b32_e32 v136, v86
	v_mov_b32_e32 v137, v87
	s_waitcnt vmcnt(0)
	ds_write2_b64 v169, v[136:137], v[112:113] offset0:26 offset1:27
	ds_read_b64 v[136:137], v168
	s_waitcnt lgkmcnt(0)
	v_cmp_neq_f64_e32 vcc, 0, v[136:137]
	s_and_b64 exec, exec, vcc
	s_cbranch_execz .LBB55_59
; %bb.58:
	v_div_scale_f64 v[138:139], s[6:7], v[136:137], v[136:137], 1.0
	v_rcp_f64_e32 v[140:141], v[138:139]
	v_div_scale_f64 v[142:143], vcc, 1.0, v[136:137], 1.0
	v_fma_f64 v[144:145], -v[138:139], v[140:141], 1.0
	v_fmac_f64_e32 v[140:141], v[140:141], v[144:145]
	v_fma_f64 v[144:145], -v[138:139], v[140:141], 1.0
	v_fmac_f64_e32 v[140:141], v[140:141], v[144:145]
	v_mul_f64 v[144:145], v[142:143], v[140:141]
	v_fma_f64 v[138:139], -v[138:139], v[144:145], v[142:143]
	v_div_fmas_f64 v[138:139], v[138:139], v[140:141], v[144:145]
	v_div_fixup_f64 v[136:137], v[138:139], v[136:137], 1.0
	ds_write_b64 v168, v[136:137]
.LBB55_59:
	s_or_b64 exec, exec, s[2:3]
	s_waitcnt lgkmcnt(0)
	s_barrier
	ds_read_b64 v[136:137], v168
	v_cmp_lt_u32_e32 vcc, 11, v170
	s_and_saveexec_b64 s[2:3], vcc
	s_cbranch_execz .LBB55_61
; %bb.60:
	ds_read2_b64 v[138:141], v169 offset0:12 offset1:13
	ds_read2_b64 v[142:145], v169 offset0:14 offset1:15
	s_waitcnt vmcnt(16) lgkmcnt(2)
	v_mul_f64 v[74:75], v[136:137], v[74:75]
	ds_read2_b64 v[146:149], v169 offset0:16 offset1:17
	s_waitcnt vmcnt(15) lgkmcnt(2)
	v_fma_f64 v[100:101], -v[74:75], v[138:139], v[100:101]
	s_waitcnt vmcnt(14)
	v_fma_f64 v[72:73], -v[74:75], v[140:141], v[72:73]
	ds_read2_b64 v[138:141], v169 offset0:18 offset1:19
	s_waitcnt vmcnt(13) lgkmcnt(2)
	v_fma_f64 v[98:99], -v[74:75], v[142:143], v[98:99]
	s_waitcnt vmcnt(12)
	v_fma_f64 v[70:71], -v[74:75], v[144:145], v[70:71]
	;; [unrolled: 5-line block ×3, first 2 shown]
	s_waitcnt vmcnt(9) lgkmcnt(1)
	v_fma_f64 v[94:95], -v[74:75], v[138:139], v[94:95]
	s_waitcnt vmcnt(8)
	v_fma_f64 v[66:67], -v[74:75], v[140:141], v[66:67]
	ds_read2_b64 v[138:141], v169 offset0:22 offset1:23
	s_waitcnt vmcnt(7) lgkmcnt(1)
	v_fma_f64 v[92:93], -v[74:75], v[142:143], v[92:93]
	ds_read2_b64 v[146:149], v169 offset0:24 offset1:25
	s_waitcnt vmcnt(6)
	v_fma_f64 v[64:65], -v[74:75], v[144:145], v[64:65]
	ds_read2_b64 v[142:145], v169 offset0:26 offset1:27
	s_waitcnt vmcnt(5) lgkmcnt(2)
	v_fma_f64 v[90:91], -v[74:75], v[138:139], v[90:91]
	s_waitcnt vmcnt(4)
	v_fma_f64 v[62:63], -v[74:75], v[140:141], v[62:63]
	s_waitcnt vmcnt(3) lgkmcnt(1)
	v_fma_f64 v[88:89], -v[74:75], v[146:147], v[88:89]
	s_waitcnt vmcnt(2)
	v_fma_f64 v[60:61], -v[74:75], v[148:149], v[60:61]
	;; [unrolled: 4-line block ×3, first 2 shown]
.LBB55_61:
	s_or_b64 exec, exec, s[2:3]
	v_cmp_eq_u32_e32 vcc, 12, v170
	s_waitcnt lgkmcnt(0)
	s_barrier
	s_and_saveexec_b64 s[2:3], vcc
	s_cbranch_execz .LBB55_64
; %bb.62:
	s_waitcnt vmcnt(15)
	ds_write_b64 v168, v[100:101]
	s_waitcnt vmcnt(13)
	ds_write2_b64 v169, v[72:73], v[98:99] offset0:13 offset1:14
	s_waitcnt vmcnt(11)
	ds_write2_b64 v169, v[70:71], v[96:97] offset0:15 offset1:16
	;; [unrolled: 2-line block ×7, first 2 shown]
	s_waitcnt vmcnt(0)
	ds_write_b64 v169, v[112:113] offset:216
	ds_read_b64 v[138:139], v168
	s_waitcnt lgkmcnt(0)
	v_cmp_neq_f64_e32 vcc, 0, v[138:139]
	s_and_b64 exec, exec, vcc
	s_cbranch_execz .LBB55_64
; %bb.63:
	v_div_scale_f64 v[140:141], s[6:7], v[138:139], v[138:139], 1.0
	v_rcp_f64_e32 v[142:143], v[140:141]
	v_div_scale_f64 v[144:145], vcc, 1.0, v[138:139], 1.0
	v_fma_f64 v[146:147], -v[140:141], v[142:143], 1.0
	v_fmac_f64_e32 v[142:143], v[142:143], v[146:147]
	v_fma_f64 v[146:147], -v[140:141], v[142:143], 1.0
	v_fmac_f64_e32 v[142:143], v[142:143], v[146:147]
	v_mul_f64 v[146:147], v[144:145], v[142:143]
	v_fma_f64 v[140:141], -v[140:141], v[146:147], v[144:145]
	v_div_fmas_f64 v[140:141], v[140:141], v[142:143], v[146:147]
	v_div_fixup_f64 v[138:139], v[140:141], v[138:139], 1.0
	ds_write_b64 v168, v[138:139]
.LBB55_64:
	s_or_b64 exec, exec, s[2:3]
	s_waitcnt lgkmcnt(0)
	s_barrier
	ds_read_b64 v[138:139], v168
	v_cmp_lt_u32_e32 vcc, 12, v170
	s_and_saveexec_b64 s[2:3], vcc
	s_cbranch_execz .LBB55_66
; %bb.65:
	ds_read2_b64 v[140:143], v169 offset0:13 offset1:14
	ds_read2_b64 v[144:147], v169 offset0:15 offset1:16
	s_waitcnt vmcnt(15) lgkmcnt(2)
	v_mul_f64 v[100:101], v[138:139], v[100:101]
	ds_read2_b64 v[148:151], v169 offset0:17 offset1:18
	s_waitcnt vmcnt(14) lgkmcnt(2)
	v_fma_f64 v[72:73], -v[100:101], v[140:141], v[72:73]
	s_waitcnt vmcnt(13)
	v_fma_f64 v[98:99], -v[100:101], v[142:143], v[98:99]
	ds_read2_b64 v[140:143], v169 offset0:19 offset1:20
	s_waitcnt vmcnt(12) lgkmcnt(2)
	v_fma_f64 v[70:71], -v[100:101], v[144:145], v[70:71]
	s_waitcnt vmcnt(11)
	v_fma_f64 v[96:97], -v[100:101], v[146:147], v[96:97]
	ds_read2_b64 v[144:147], v169 offset0:21 offset1:22
	s_waitcnt vmcnt(10) lgkmcnt(2)
	v_fma_f64 v[68:69], -v[100:101], v[148:149], v[68:69]
	s_waitcnt vmcnt(9)
	v_fma_f64 v[94:95], -v[100:101], v[150:151], v[94:95]
	s_waitcnt vmcnt(8) lgkmcnt(1)
	v_fma_f64 v[66:67], -v[100:101], v[140:141], v[66:67]
	s_waitcnt vmcnt(7)
	v_fma_f64 v[92:93], -v[100:101], v[142:143], v[92:93]
	ds_read2_b64 v[140:143], v169 offset0:23 offset1:24
	s_waitcnt vmcnt(6) lgkmcnt(1)
	v_fma_f64 v[64:65], -v[100:101], v[144:145], v[64:65]
	ds_read2_b64 v[148:151], v169 offset0:25 offset1:26
	ds_read_b64 v[144:145], v169 offset:216
	s_waitcnt vmcnt(5)
	v_fma_f64 v[90:91], -v[100:101], v[146:147], v[90:91]
	s_waitcnt vmcnt(4) lgkmcnt(2)
	v_fma_f64 v[62:63], -v[100:101], v[140:141], v[62:63]
	s_waitcnt vmcnt(3)
	v_fma_f64 v[88:89], -v[100:101], v[142:143], v[88:89]
	s_waitcnt vmcnt(2) lgkmcnt(1)
	v_fma_f64 v[60:61], -v[100:101], v[148:149], v[60:61]
	s_waitcnt vmcnt(1)
	v_fma_f64 v[86:87], -v[100:101], v[150:151], v[86:87]
	s_waitcnt vmcnt(0) lgkmcnt(0)
	v_fma_f64 v[112:113], -v[100:101], v[144:145], v[112:113]
.LBB55_66:
	s_or_b64 exec, exec, s[2:3]
	v_cmp_eq_u32_e32 vcc, 13, v170
	s_waitcnt lgkmcnt(0)
	s_barrier
	s_and_saveexec_b64 s[2:3], vcc
	s_cbranch_execz .LBB55_69
; %bb.67:
	s_waitcnt vmcnt(13)
	v_mov_b32_e32 v140, v98
	v_mov_b32_e32 v141, v99
	s_waitcnt vmcnt(12)
	v_mov_b32_e32 v142, v70
	v_mov_b32_e32 v143, v71
	ds_write_b64 v168, v[72:73]
	ds_write2_b64 v169, v[140:141], v[142:143] offset0:14 offset1:15
	s_waitcnt vmcnt(11)
	v_mov_b32_e32 v140, v96
	v_mov_b32_e32 v141, v97
	s_waitcnt vmcnt(10)
	v_mov_b32_e32 v142, v68
	v_mov_b32_e32 v143, v69
	ds_write2_b64 v169, v[140:141], v[142:143] offset0:16 offset1:17
	s_waitcnt vmcnt(9)
	v_mov_b32_e32 v140, v94
	v_mov_b32_e32 v141, v95
	s_waitcnt vmcnt(8)
	v_mov_b32_e32 v142, v66
	v_mov_b32_e32 v143, v67
	;; [unrolled: 7-line block ×5, first 2 shown]
	ds_write2_b64 v169, v[140:141], v[142:143] offset0:24 offset1:25
	s_waitcnt vmcnt(1)
	v_mov_b32_e32 v140, v86
	v_mov_b32_e32 v141, v87
	s_waitcnt vmcnt(0)
	ds_write2_b64 v169, v[140:141], v[112:113] offset0:26 offset1:27
	ds_read_b64 v[140:141], v168
	s_waitcnt lgkmcnt(0)
	v_cmp_neq_f64_e32 vcc, 0, v[140:141]
	s_and_b64 exec, exec, vcc
	s_cbranch_execz .LBB55_69
; %bb.68:
	v_div_scale_f64 v[142:143], s[6:7], v[140:141], v[140:141], 1.0
	v_rcp_f64_e32 v[144:145], v[142:143]
	v_div_scale_f64 v[146:147], vcc, 1.0, v[140:141], 1.0
	v_fma_f64 v[148:149], -v[142:143], v[144:145], 1.0
	v_fmac_f64_e32 v[144:145], v[144:145], v[148:149]
	v_fma_f64 v[148:149], -v[142:143], v[144:145], 1.0
	v_fmac_f64_e32 v[144:145], v[144:145], v[148:149]
	v_mul_f64 v[148:149], v[146:147], v[144:145]
	v_fma_f64 v[142:143], -v[142:143], v[148:149], v[146:147]
	v_div_fmas_f64 v[142:143], v[142:143], v[144:145], v[148:149]
	v_div_fixup_f64 v[140:141], v[142:143], v[140:141], 1.0
	ds_write_b64 v168, v[140:141]
.LBB55_69:
	s_or_b64 exec, exec, s[2:3]
	s_waitcnt lgkmcnt(0)
	s_barrier
	ds_read_b64 v[140:141], v168
	v_cmp_lt_u32_e32 vcc, 13, v170
	s_and_saveexec_b64 s[2:3], vcc
	s_cbranch_execz .LBB55_71
; %bb.70:
	ds_read2_b64 v[142:145], v169 offset0:14 offset1:15
	ds_read2_b64 v[146:149], v169 offset0:16 offset1:17
	s_waitcnt vmcnt(14) lgkmcnt(2)
	v_mul_f64 v[72:73], v[140:141], v[72:73]
	ds_read2_b64 v[150:153], v169 offset0:18 offset1:19
	s_waitcnt vmcnt(13) lgkmcnt(2)
	v_fma_f64 v[98:99], -v[72:73], v[142:143], v[98:99]
	s_waitcnt vmcnt(12)
	v_fma_f64 v[70:71], -v[72:73], v[144:145], v[70:71]
	ds_read2_b64 v[142:145], v169 offset0:20 offset1:21
	s_waitcnt vmcnt(11) lgkmcnt(2)
	v_fma_f64 v[96:97], -v[72:73], v[146:147], v[96:97]
	s_waitcnt vmcnt(10)
	v_fma_f64 v[68:69], -v[72:73], v[148:149], v[68:69]
	s_waitcnt vmcnt(9) lgkmcnt(1)
	v_fma_f64 v[94:95], -v[72:73], v[150:151], v[94:95]
	s_waitcnt vmcnt(8)
	v_fma_f64 v[66:67], -v[72:73], v[152:153], v[66:67]
	ds_read2_b64 v[146:149], v169 offset0:22 offset1:23
	ds_read2_b64 v[150:153], v169 offset0:24 offset1:25
	s_waitcnt vmcnt(7) lgkmcnt(2)
	v_fma_f64 v[92:93], -v[72:73], v[142:143], v[92:93]
	s_waitcnt vmcnt(6)
	v_fma_f64 v[64:65], -v[72:73], v[144:145], v[64:65]
	ds_read2_b64 v[142:145], v169 offset0:26 offset1:27
	s_waitcnt vmcnt(5) lgkmcnt(2)
	v_fma_f64 v[90:91], -v[72:73], v[146:147], v[90:91]
	s_waitcnt vmcnt(4)
	v_fma_f64 v[62:63], -v[72:73], v[148:149], v[62:63]
	s_waitcnt vmcnt(3) lgkmcnt(1)
	v_fma_f64 v[88:89], -v[72:73], v[150:151], v[88:89]
	s_waitcnt vmcnt(2)
	v_fma_f64 v[60:61], -v[72:73], v[152:153], v[60:61]
	;; [unrolled: 4-line block ×3, first 2 shown]
.LBB55_71:
	s_or_b64 exec, exec, s[2:3]
	v_cmp_eq_u32_e32 vcc, 14, v170
	s_waitcnt lgkmcnt(0)
	s_barrier
	s_and_saveexec_b64 s[2:3], vcc
	s_cbranch_execz .LBB55_74
; %bb.72:
	s_waitcnt vmcnt(13)
	ds_write_b64 v168, v[98:99]
	s_waitcnt vmcnt(11)
	ds_write2_b64 v169, v[70:71], v[96:97] offset0:15 offset1:16
	s_waitcnt vmcnt(9)
	ds_write2_b64 v169, v[68:69], v[94:95] offset0:17 offset1:18
	;; [unrolled: 2-line block ×6, first 2 shown]
	s_waitcnt vmcnt(0)
	ds_write_b64 v169, v[112:113] offset:216
	ds_read_b64 v[142:143], v168
	s_waitcnt lgkmcnt(0)
	v_cmp_neq_f64_e32 vcc, 0, v[142:143]
	s_and_b64 exec, exec, vcc
	s_cbranch_execz .LBB55_74
; %bb.73:
	v_div_scale_f64 v[144:145], s[6:7], v[142:143], v[142:143], 1.0
	v_rcp_f64_e32 v[146:147], v[144:145]
	v_div_scale_f64 v[148:149], vcc, 1.0, v[142:143], 1.0
	v_fma_f64 v[150:151], -v[144:145], v[146:147], 1.0
	v_fmac_f64_e32 v[146:147], v[146:147], v[150:151]
	v_fma_f64 v[150:151], -v[144:145], v[146:147], 1.0
	v_fmac_f64_e32 v[146:147], v[146:147], v[150:151]
	v_mul_f64 v[150:151], v[148:149], v[146:147]
	v_fma_f64 v[144:145], -v[144:145], v[150:151], v[148:149]
	v_div_fmas_f64 v[144:145], v[144:145], v[146:147], v[150:151]
	v_div_fixup_f64 v[142:143], v[144:145], v[142:143], 1.0
	ds_write_b64 v168, v[142:143]
.LBB55_74:
	s_or_b64 exec, exec, s[2:3]
	s_waitcnt lgkmcnt(0)
	s_barrier
	ds_read_b64 v[142:143], v168
	v_cmp_lt_u32_e32 vcc, 14, v170
	s_and_saveexec_b64 s[2:3], vcc
	s_cbranch_execz .LBB55_76
; %bb.75:
	ds_read2_b64 v[144:147], v169 offset0:15 offset1:16
	ds_read2_b64 v[148:151], v169 offset0:17 offset1:18
	s_waitcnt vmcnt(13) lgkmcnt(2)
	v_mul_f64 v[98:99], v[142:143], v[98:99]
	ds_read2_b64 v[152:155], v169 offset0:19 offset1:20
	s_waitcnt vmcnt(12) lgkmcnt(2)
	v_fma_f64 v[70:71], -v[98:99], v[144:145], v[70:71]
	s_waitcnt vmcnt(11)
	v_fma_f64 v[96:97], -v[98:99], v[146:147], v[96:97]
	ds_read2_b64 v[144:147], v169 offset0:21 offset1:22
	s_waitcnt vmcnt(10) lgkmcnt(2)
	v_fma_f64 v[68:69], -v[98:99], v[148:149], v[68:69]
	s_waitcnt vmcnt(9)
	v_fma_f64 v[94:95], -v[98:99], v[150:151], v[94:95]
	s_waitcnt vmcnt(8) lgkmcnt(1)
	v_fma_f64 v[66:67], -v[98:99], v[152:153], v[66:67]
	s_waitcnt vmcnt(7)
	v_fma_f64 v[92:93], -v[98:99], v[154:155], v[92:93]
	ds_read2_b64 v[148:151], v169 offset0:23 offset1:24
	ds_read2_b64 v[152:155], v169 offset0:25 offset1:26
	s_waitcnt vmcnt(6) lgkmcnt(2)
	v_fma_f64 v[64:65], -v[98:99], v[144:145], v[64:65]
	ds_read_b64 v[144:145], v169 offset:216
	s_waitcnt vmcnt(5)
	v_fma_f64 v[90:91], -v[98:99], v[146:147], v[90:91]
	s_waitcnt vmcnt(4) lgkmcnt(2)
	v_fma_f64 v[62:63], -v[98:99], v[148:149], v[62:63]
	s_waitcnt vmcnt(3)
	v_fma_f64 v[88:89], -v[98:99], v[150:151], v[88:89]
	s_waitcnt vmcnt(2) lgkmcnt(1)
	v_fma_f64 v[60:61], -v[98:99], v[152:153], v[60:61]
	;; [unrolled: 4-line block ×3, first 2 shown]
.LBB55_76:
	s_or_b64 exec, exec, s[2:3]
	v_cmp_eq_u32_e32 vcc, 15, v170
	s_waitcnt lgkmcnt(0)
	s_barrier
	s_and_saveexec_b64 s[2:3], vcc
	s_cbranch_execz .LBB55_79
; %bb.77:
	s_waitcnt vmcnt(11)
	v_mov_b32_e32 v144, v96
	v_mov_b32_e32 v145, v97
	s_waitcnt vmcnt(10)
	v_mov_b32_e32 v146, v68
	v_mov_b32_e32 v147, v69
	ds_write_b64 v168, v[70:71]
	ds_write2_b64 v169, v[144:145], v[146:147] offset0:16 offset1:17
	s_waitcnt vmcnt(9)
	v_mov_b32_e32 v144, v94
	v_mov_b32_e32 v145, v95
	s_waitcnt vmcnt(8)
	v_mov_b32_e32 v146, v66
	v_mov_b32_e32 v147, v67
	ds_write2_b64 v169, v[144:145], v[146:147] offset0:18 offset1:19
	s_waitcnt vmcnt(7)
	v_mov_b32_e32 v144, v92
	v_mov_b32_e32 v145, v93
	s_waitcnt vmcnt(6)
	v_mov_b32_e32 v146, v64
	v_mov_b32_e32 v147, v65
	;; [unrolled: 7-line block ×4, first 2 shown]
	ds_write2_b64 v169, v[144:145], v[146:147] offset0:24 offset1:25
	s_waitcnt vmcnt(1)
	v_mov_b32_e32 v144, v86
	v_mov_b32_e32 v145, v87
	s_waitcnt vmcnt(0)
	ds_write2_b64 v169, v[144:145], v[112:113] offset0:26 offset1:27
	ds_read_b64 v[144:145], v168
	s_waitcnt lgkmcnt(0)
	v_cmp_neq_f64_e32 vcc, 0, v[144:145]
	s_and_b64 exec, exec, vcc
	s_cbranch_execz .LBB55_79
; %bb.78:
	v_div_scale_f64 v[146:147], s[6:7], v[144:145], v[144:145], 1.0
	v_rcp_f64_e32 v[148:149], v[146:147]
	v_div_scale_f64 v[150:151], vcc, 1.0, v[144:145], 1.0
	v_fma_f64 v[152:153], -v[146:147], v[148:149], 1.0
	v_fmac_f64_e32 v[148:149], v[148:149], v[152:153]
	v_fma_f64 v[152:153], -v[146:147], v[148:149], 1.0
	v_fmac_f64_e32 v[148:149], v[148:149], v[152:153]
	v_mul_f64 v[152:153], v[150:151], v[148:149]
	v_fma_f64 v[146:147], -v[146:147], v[152:153], v[150:151]
	v_div_fmas_f64 v[146:147], v[146:147], v[148:149], v[152:153]
	v_div_fixup_f64 v[144:145], v[146:147], v[144:145], 1.0
	ds_write_b64 v168, v[144:145]
.LBB55_79:
	s_or_b64 exec, exec, s[2:3]
	s_waitcnt lgkmcnt(0)
	s_barrier
	ds_read_b64 v[144:145], v168
	v_cmp_lt_u32_e32 vcc, 15, v170
	s_and_saveexec_b64 s[2:3], vcc
	s_cbranch_execz .LBB55_81
; %bb.80:
	ds_read2_b64 v[146:149], v169 offset0:16 offset1:17
	ds_read2_b64 v[150:153], v169 offset0:18 offset1:19
	;; [unrolled: 1-line block ×3, first 2 shown]
	s_waitcnt vmcnt(12) lgkmcnt(3)
	v_mul_f64 v[70:71], v[144:145], v[70:71]
	s_waitcnt vmcnt(11) lgkmcnt(2)
	v_fma_f64 v[96:97], -v[70:71], v[146:147], v[96:97]
	s_waitcnt vmcnt(10)
	v_fma_f64 v[68:69], -v[70:71], v[148:149], v[68:69]
	ds_read2_b64 v[146:149], v169 offset0:22 offset1:23
	s_waitcnt vmcnt(9) lgkmcnt(2)
	v_fma_f64 v[94:95], -v[70:71], v[150:151], v[94:95]
	s_waitcnt vmcnt(8)
	v_fma_f64 v[66:67], -v[70:71], v[152:153], v[66:67]
	s_waitcnt vmcnt(7) lgkmcnt(1)
	v_fma_f64 v[92:93], -v[70:71], v[154:155], v[92:93]
	ds_read2_b64 v[150:153], v169 offset0:24 offset1:25
	s_waitcnt vmcnt(6)
	v_fma_f64 v[64:65], -v[70:71], v[156:157], v[64:65]
	ds_read2_b64 v[154:157], v169 offset0:26 offset1:27
	s_waitcnt vmcnt(5) lgkmcnt(2)
	v_fma_f64 v[90:91], -v[70:71], v[146:147], v[90:91]
	s_waitcnt vmcnt(4)
	v_fma_f64 v[62:63], -v[70:71], v[148:149], v[62:63]
	s_waitcnt vmcnt(3) lgkmcnt(1)
	v_fma_f64 v[88:89], -v[70:71], v[150:151], v[88:89]
	s_waitcnt vmcnt(2)
	v_fma_f64 v[60:61], -v[70:71], v[152:153], v[60:61]
	;; [unrolled: 4-line block ×3, first 2 shown]
.LBB55_81:
	s_or_b64 exec, exec, s[2:3]
	v_cmp_eq_u32_e32 vcc, 16, v170
	s_waitcnt lgkmcnt(0)
	s_barrier
	s_and_saveexec_b64 s[2:3], vcc
	s_cbranch_execz .LBB55_84
; %bb.82:
	s_waitcnt vmcnt(11)
	ds_write_b64 v168, v[96:97]
	s_waitcnt vmcnt(9)
	ds_write2_b64 v169, v[68:69], v[94:95] offset0:17 offset1:18
	s_waitcnt vmcnt(7)
	ds_write2_b64 v169, v[66:67], v[92:93] offset0:19 offset1:20
	;; [unrolled: 2-line block ×5, first 2 shown]
	s_waitcnt vmcnt(0)
	ds_write_b64 v169, v[112:113] offset:216
	ds_read_b64 v[146:147], v168
	s_waitcnt lgkmcnt(0)
	v_cmp_neq_f64_e32 vcc, 0, v[146:147]
	s_and_b64 exec, exec, vcc
	s_cbranch_execz .LBB55_84
; %bb.83:
	v_div_scale_f64 v[148:149], s[6:7], v[146:147], v[146:147], 1.0
	v_rcp_f64_e32 v[150:151], v[148:149]
	v_div_scale_f64 v[152:153], vcc, 1.0, v[146:147], 1.0
	v_fma_f64 v[154:155], -v[148:149], v[150:151], 1.0
	v_fmac_f64_e32 v[150:151], v[150:151], v[154:155]
	v_fma_f64 v[154:155], -v[148:149], v[150:151], 1.0
	v_fmac_f64_e32 v[150:151], v[150:151], v[154:155]
	v_mul_f64 v[154:155], v[152:153], v[150:151]
	v_fma_f64 v[148:149], -v[148:149], v[154:155], v[152:153]
	v_div_fmas_f64 v[148:149], v[148:149], v[150:151], v[154:155]
	v_div_fixup_f64 v[146:147], v[148:149], v[146:147], 1.0
	ds_write_b64 v168, v[146:147]
.LBB55_84:
	s_or_b64 exec, exec, s[2:3]
	s_waitcnt lgkmcnt(0)
	s_barrier
	ds_read_b64 v[146:147], v168
	v_cmp_lt_u32_e32 vcc, 16, v170
	s_and_saveexec_b64 s[2:3], vcc
	s_cbranch_execz .LBB55_86
; %bb.85:
	ds_read2_b64 v[148:151], v169 offset0:17 offset1:18
	ds_read2_b64 v[152:155], v169 offset0:19 offset1:20
	;; [unrolled: 1-line block ×3, first 2 shown]
	s_waitcnt vmcnt(11) lgkmcnt(3)
	v_mul_f64 v[96:97], v[146:147], v[96:97]
	s_waitcnt vmcnt(10) lgkmcnt(2)
	v_fma_f64 v[68:69], -v[96:97], v[148:149], v[68:69]
	s_waitcnt vmcnt(9)
	v_fma_f64 v[94:95], -v[96:97], v[150:151], v[94:95]
	ds_read2_b64 v[148:151], v169 offset0:23 offset1:24
	s_waitcnt vmcnt(8) lgkmcnt(2)
	v_fma_f64 v[66:67], -v[96:97], v[152:153], v[66:67]
	s_waitcnt vmcnt(7)
	v_fma_f64 v[92:93], -v[96:97], v[154:155], v[92:93]
	s_waitcnt vmcnt(6) lgkmcnt(1)
	v_fma_f64 v[64:65], -v[96:97], v[156:157], v[64:65]
	ds_read2_b64 v[152:155], v169 offset0:25 offset1:26
	ds_read_b64 v[156:157], v169 offset:216
	s_waitcnt vmcnt(5)
	v_fma_f64 v[90:91], -v[96:97], v[158:159], v[90:91]
	s_waitcnt vmcnt(4) lgkmcnt(2)
	v_fma_f64 v[62:63], -v[96:97], v[148:149], v[62:63]
	s_waitcnt vmcnt(3)
	v_fma_f64 v[88:89], -v[96:97], v[150:151], v[88:89]
	s_waitcnt vmcnt(2) lgkmcnt(1)
	v_fma_f64 v[60:61], -v[96:97], v[152:153], v[60:61]
	;; [unrolled: 4-line block ×3, first 2 shown]
.LBB55_86:
	s_or_b64 exec, exec, s[2:3]
	v_cmp_eq_u32_e32 vcc, 17, v170
	s_waitcnt lgkmcnt(0)
	s_barrier
	s_and_saveexec_b64 s[2:3], vcc
	s_cbranch_execz .LBB55_89
; %bb.87:
	s_waitcnt vmcnt(9)
	v_mov_b32_e32 v148, v94
	v_mov_b32_e32 v149, v95
	s_waitcnt vmcnt(8)
	v_mov_b32_e32 v150, v66
	v_mov_b32_e32 v151, v67
	ds_write_b64 v168, v[68:69]
	ds_write2_b64 v169, v[148:149], v[150:151] offset0:18 offset1:19
	s_waitcnt vmcnt(7)
	v_mov_b32_e32 v148, v92
	v_mov_b32_e32 v149, v93
	s_waitcnt vmcnt(6)
	v_mov_b32_e32 v150, v64
	v_mov_b32_e32 v151, v65
	ds_write2_b64 v169, v[148:149], v[150:151] offset0:20 offset1:21
	s_waitcnt vmcnt(5)
	v_mov_b32_e32 v148, v90
	v_mov_b32_e32 v149, v91
	s_waitcnt vmcnt(4)
	v_mov_b32_e32 v150, v62
	v_mov_b32_e32 v151, v63
	;; [unrolled: 7-line block ×3, first 2 shown]
	ds_write2_b64 v169, v[148:149], v[150:151] offset0:24 offset1:25
	s_waitcnt vmcnt(1)
	v_mov_b32_e32 v148, v86
	v_mov_b32_e32 v149, v87
	s_waitcnt vmcnt(0)
	ds_write2_b64 v169, v[148:149], v[112:113] offset0:26 offset1:27
	ds_read_b64 v[148:149], v168
	s_waitcnt lgkmcnt(0)
	v_cmp_neq_f64_e32 vcc, 0, v[148:149]
	s_and_b64 exec, exec, vcc
	s_cbranch_execz .LBB55_89
; %bb.88:
	v_div_scale_f64 v[150:151], s[6:7], v[148:149], v[148:149], 1.0
	v_rcp_f64_e32 v[152:153], v[150:151]
	v_div_scale_f64 v[154:155], vcc, 1.0, v[148:149], 1.0
	v_fma_f64 v[156:157], -v[150:151], v[152:153], 1.0
	v_fmac_f64_e32 v[152:153], v[152:153], v[156:157]
	v_fma_f64 v[156:157], -v[150:151], v[152:153], 1.0
	v_fmac_f64_e32 v[152:153], v[152:153], v[156:157]
	v_mul_f64 v[156:157], v[154:155], v[152:153]
	v_fma_f64 v[150:151], -v[150:151], v[156:157], v[154:155]
	v_div_fmas_f64 v[150:151], v[150:151], v[152:153], v[156:157]
	v_div_fixup_f64 v[148:149], v[150:151], v[148:149], 1.0
	ds_write_b64 v168, v[148:149]
.LBB55_89:
	s_or_b64 exec, exec, s[2:3]
	s_waitcnt lgkmcnt(0)
	s_barrier
	ds_read_b64 v[148:149], v168
	v_cmp_lt_u32_e32 vcc, 17, v170
	s_and_saveexec_b64 s[2:3], vcc
	s_cbranch_execz .LBB55_91
; %bb.90:
	ds_read2_b64 v[150:153], v169 offset0:18 offset1:19
	ds_read2_b64 v[154:157], v169 offset0:20 offset1:21
	s_waitcnt vmcnt(10) lgkmcnt(2)
	v_mul_f64 v[68:69], v[148:149], v[68:69]
	ds_read2_b64 v[158:161], v169 offset0:24 offset1:25
	s_waitcnt vmcnt(9) lgkmcnt(2)
	v_fma_f64 v[94:95], -v[68:69], v[150:151], v[94:95]
	s_waitcnt vmcnt(8)
	v_fma_f64 v[66:67], -v[68:69], v[152:153], v[66:67]
	ds_read2_b64 v[150:153], v169 offset0:22 offset1:23
	s_waitcnt vmcnt(7) lgkmcnt(2)
	v_fma_f64 v[92:93], -v[68:69], v[154:155], v[92:93]
	s_waitcnt vmcnt(6)
	v_fma_f64 v[64:65], -v[68:69], v[156:157], v[64:65]
	ds_read2_b64 v[154:157], v169 offset0:26 offset1:27
	s_waitcnt vmcnt(3) lgkmcnt(2)
	v_fma_f64 v[88:89], -v[68:69], v[158:159], v[88:89]
	s_waitcnt lgkmcnt(1)
	v_fma_f64 v[90:91], -v[68:69], v[150:151], v[90:91]
	v_fma_f64 v[62:63], -v[68:69], v[152:153], v[62:63]
	s_waitcnt vmcnt(2)
	v_fma_f64 v[60:61], -v[68:69], v[160:161], v[60:61]
	s_waitcnt vmcnt(1) lgkmcnt(0)
	v_fma_f64 v[86:87], -v[68:69], v[154:155], v[86:87]
	s_waitcnt vmcnt(0)
	v_fma_f64 v[112:113], -v[68:69], v[156:157], v[112:113]
.LBB55_91:
	s_or_b64 exec, exec, s[2:3]
	v_cmp_eq_u32_e32 vcc, 18, v170
	s_waitcnt lgkmcnt(0)
	s_barrier
	s_and_saveexec_b64 s[2:3], vcc
	s_cbranch_execz .LBB55_94
; %bb.92:
	s_waitcnt vmcnt(9)
	ds_write_b64 v168, v[94:95]
	s_waitcnt vmcnt(7)
	ds_write2_b64 v169, v[66:67], v[92:93] offset0:19 offset1:20
	s_waitcnt vmcnt(5)
	ds_write2_b64 v169, v[64:65], v[90:91] offset0:21 offset1:22
	;; [unrolled: 2-line block ×4, first 2 shown]
	s_waitcnt vmcnt(0)
	ds_write_b64 v169, v[112:113] offset:216
	ds_read_b64 v[150:151], v168
	s_waitcnt lgkmcnt(0)
	v_cmp_neq_f64_e32 vcc, 0, v[150:151]
	s_and_b64 exec, exec, vcc
	s_cbranch_execz .LBB55_94
; %bb.93:
	v_div_scale_f64 v[152:153], s[6:7], v[150:151], v[150:151], 1.0
	v_rcp_f64_e32 v[154:155], v[152:153]
	v_div_scale_f64 v[156:157], vcc, 1.0, v[150:151], 1.0
	v_fma_f64 v[158:159], -v[152:153], v[154:155], 1.0
	v_fmac_f64_e32 v[154:155], v[154:155], v[158:159]
	v_fma_f64 v[158:159], -v[152:153], v[154:155], 1.0
	v_fmac_f64_e32 v[154:155], v[154:155], v[158:159]
	v_mul_f64 v[158:159], v[156:157], v[154:155]
	v_fma_f64 v[152:153], -v[152:153], v[158:159], v[156:157]
	v_div_fmas_f64 v[152:153], v[152:153], v[154:155], v[158:159]
	v_div_fixup_f64 v[150:151], v[152:153], v[150:151], 1.0
	ds_write_b64 v168, v[150:151]
.LBB55_94:
	s_or_b64 exec, exec, s[2:3]
	s_waitcnt lgkmcnt(0)
	s_barrier
	ds_read_b64 v[150:151], v168
	v_cmp_lt_u32_e32 vcc, 18, v170
	s_and_saveexec_b64 s[2:3], vcc
	s_cbranch_execz .LBB55_96
; %bb.95:
	ds_read2_b64 v[152:155], v169 offset0:19 offset1:20
	ds_read2_b64 v[156:159], v169 offset0:21 offset1:22
	s_waitcnt vmcnt(9) lgkmcnt(2)
	v_mul_f64 v[94:95], v[150:151], v[94:95]
	ds_read2_b64 v[160:163], v169 offset0:25 offset1:26
	s_waitcnt vmcnt(8) lgkmcnt(2)
	v_fma_f64 v[66:67], -v[94:95], v[152:153], v[66:67]
	s_waitcnt vmcnt(7)
	v_fma_f64 v[92:93], -v[94:95], v[154:155], v[92:93]
	ds_read2_b64 v[152:155], v169 offset0:23 offset1:24
	s_waitcnt vmcnt(6) lgkmcnt(2)
	v_fma_f64 v[64:65], -v[94:95], v[156:157], v[64:65]
	ds_read_b64 v[156:157], v169 offset:216
	s_waitcnt vmcnt(5)
	v_fma_f64 v[90:91], -v[94:95], v[158:159], v[90:91]
	s_waitcnt vmcnt(2) lgkmcnt(2)
	v_fma_f64 v[60:61], -v[94:95], v[160:161], v[60:61]
	s_waitcnt lgkmcnt(1)
	v_fma_f64 v[62:63], -v[94:95], v[152:153], v[62:63]
	v_fma_f64 v[88:89], -v[94:95], v[154:155], v[88:89]
	s_waitcnt vmcnt(1)
	v_fma_f64 v[86:87], -v[94:95], v[162:163], v[86:87]
	s_waitcnt vmcnt(0) lgkmcnt(0)
	v_fma_f64 v[112:113], -v[94:95], v[156:157], v[112:113]
.LBB55_96:
	s_or_b64 exec, exec, s[2:3]
	v_cmp_eq_u32_e32 vcc, 19, v170
	s_waitcnt lgkmcnt(0)
	s_barrier
	s_and_saveexec_b64 s[2:3], vcc
	s_cbranch_execz .LBB55_99
; %bb.97:
	s_waitcnt vmcnt(7)
	v_mov_b32_e32 v152, v92
	v_mov_b32_e32 v153, v93
	s_waitcnt vmcnt(6)
	v_mov_b32_e32 v154, v64
	v_mov_b32_e32 v155, v65
	ds_write_b64 v168, v[66:67]
	ds_write2_b64 v169, v[152:153], v[154:155] offset0:20 offset1:21
	s_waitcnt vmcnt(5)
	v_mov_b32_e32 v152, v90
	v_mov_b32_e32 v153, v91
	s_waitcnt vmcnt(4)
	v_mov_b32_e32 v154, v62
	v_mov_b32_e32 v155, v63
	ds_write2_b64 v169, v[152:153], v[154:155] offset0:22 offset1:23
	s_waitcnt vmcnt(3)
	v_mov_b32_e32 v152, v88
	v_mov_b32_e32 v153, v89
	s_waitcnt vmcnt(2)
	v_mov_b32_e32 v154, v60
	v_mov_b32_e32 v155, v61
	ds_write2_b64 v169, v[152:153], v[154:155] offset0:24 offset1:25
	s_waitcnt vmcnt(1)
	v_mov_b32_e32 v152, v86
	v_mov_b32_e32 v153, v87
	s_waitcnt vmcnt(0)
	ds_write2_b64 v169, v[152:153], v[112:113] offset0:26 offset1:27
	ds_read_b64 v[152:153], v168
	s_waitcnt lgkmcnt(0)
	v_cmp_neq_f64_e32 vcc, 0, v[152:153]
	s_and_b64 exec, exec, vcc
	s_cbranch_execz .LBB55_99
; %bb.98:
	v_div_scale_f64 v[154:155], s[6:7], v[152:153], v[152:153], 1.0
	v_rcp_f64_e32 v[156:157], v[154:155]
	v_div_scale_f64 v[158:159], vcc, 1.0, v[152:153], 1.0
	v_fma_f64 v[160:161], -v[154:155], v[156:157], 1.0
	v_fmac_f64_e32 v[156:157], v[156:157], v[160:161]
	v_fma_f64 v[160:161], -v[154:155], v[156:157], 1.0
	v_fmac_f64_e32 v[156:157], v[156:157], v[160:161]
	v_mul_f64 v[160:161], v[158:159], v[156:157]
	v_fma_f64 v[154:155], -v[154:155], v[160:161], v[158:159]
	v_div_fmas_f64 v[154:155], v[154:155], v[156:157], v[160:161]
	v_div_fixup_f64 v[152:153], v[154:155], v[152:153], 1.0
	ds_write_b64 v168, v[152:153]
.LBB55_99:
	s_or_b64 exec, exec, s[2:3]
	s_waitcnt lgkmcnt(0)
	s_barrier
	ds_read_b64 v[152:153], v168
	v_cmp_lt_u32_e32 vcc, 19, v170
	s_and_saveexec_b64 s[2:3], vcc
	s_cbranch_execz .LBB55_101
; %bb.100:
	ds_read2_b64 v[154:157], v169 offset0:20 offset1:21
	s_waitcnt vmcnt(8) lgkmcnt(1)
	v_mul_f64 v[66:67], v[152:153], v[66:67]
	s_waitcnt vmcnt(7) lgkmcnt(0)
	v_fma_f64 v[92:93], -v[66:67], v[154:155], v[92:93]
	s_waitcnt vmcnt(6)
	v_fma_f64 v[64:65], -v[66:67], v[156:157], v[64:65]
	ds_read2_b64 v[154:157], v169 offset0:22 offset1:23
	s_waitcnt vmcnt(5) lgkmcnt(0)
	v_fma_f64 v[90:91], -v[66:67], v[154:155], v[90:91]
	s_waitcnt vmcnt(4)
	v_fma_f64 v[62:63], -v[66:67], v[156:157], v[62:63]
	ds_read2_b64 v[154:157], v169 offset0:24 offset1:25
	;; [unrolled: 5-line block ×3, first 2 shown]
	s_waitcnt vmcnt(1) lgkmcnt(0)
	v_fma_f64 v[86:87], -v[66:67], v[154:155], v[86:87]
	s_waitcnt vmcnt(0)
	v_fma_f64 v[112:113], -v[66:67], v[156:157], v[112:113]
.LBB55_101:
	s_or_b64 exec, exec, s[2:3]
	v_cmp_eq_u32_e32 vcc, 20, v170
	s_waitcnt lgkmcnt(0)
	s_barrier
	s_and_saveexec_b64 s[2:3], vcc
	s_cbranch_execz .LBB55_104
; %bb.102:
	s_waitcnt vmcnt(7)
	ds_write_b64 v168, v[92:93]
	s_waitcnt vmcnt(5)
	ds_write2_b64 v169, v[64:65], v[90:91] offset0:21 offset1:22
	s_waitcnt vmcnt(3)
	ds_write2_b64 v169, v[62:63], v[88:89] offset0:23 offset1:24
	;; [unrolled: 2-line block ×3, first 2 shown]
	s_waitcnt vmcnt(0)
	ds_write_b64 v169, v[112:113] offset:216
	ds_read_b64 v[154:155], v168
	s_waitcnt lgkmcnt(0)
	v_cmp_neq_f64_e32 vcc, 0, v[154:155]
	s_and_b64 exec, exec, vcc
	s_cbranch_execz .LBB55_104
; %bb.103:
	v_div_scale_f64 v[156:157], s[6:7], v[154:155], v[154:155], 1.0
	v_rcp_f64_e32 v[158:159], v[156:157]
	v_div_scale_f64 v[160:161], vcc, 1.0, v[154:155], 1.0
	v_fma_f64 v[162:163], -v[156:157], v[158:159], 1.0
	v_fmac_f64_e32 v[158:159], v[158:159], v[162:163]
	v_fma_f64 v[162:163], -v[156:157], v[158:159], 1.0
	v_fmac_f64_e32 v[158:159], v[158:159], v[162:163]
	v_mul_f64 v[162:163], v[160:161], v[158:159]
	v_fma_f64 v[156:157], -v[156:157], v[162:163], v[160:161]
	v_div_fmas_f64 v[156:157], v[156:157], v[158:159], v[162:163]
	v_div_fixup_f64 v[154:155], v[156:157], v[154:155], 1.0
	ds_write_b64 v168, v[154:155]
.LBB55_104:
	s_or_b64 exec, exec, s[2:3]
	s_waitcnt lgkmcnt(0)
	s_barrier
	ds_read_b64 v[154:155], v168
	v_cmp_lt_u32_e32 vcc, 20, v170
	s_and_saveexec_b64 s[2:3], vcc
	s_cbranch_execz .LBB55_106
; %bb.105:
	ds_read2_b64 v[156:159], v169 offset0:21 offset1:22
	ds_read2_b64 v[160:163], v169 offset0:23 offset1:24
	s_waitcnt vmcnt(7) lgkmcnt(2)
	v_mul_f64 v[92:93], v[154:155], v[92:93]
	ds_read2_b64 v[164:167], v169 offset0:25 offset1:26
	s_waitcnt vmcnt(6) lgkmcnt(2)
	v_fma_f64 v[64:65], -v[92:93], v[156:157], v[64:65]
	ds_read_b64 v[156:157], v169 offset:216
	s_waitcnt vmcnt(5)
	v_fma_f64 v[90:91], -v[92:93], v[158:159], v[90:91]
	s_waitcnt vmcnt(4) lgkmcnt(2)
	v_fma_f64 v[62:63], -v[92:93], v[160:161], v[62:63]
	s_waitcnt vmcnt(3)
	v_fma_f64 v[88:89], -v[92:93], v[162:163], v[88:89]
	s_waitcnt vmcnt(2) lgkmcnt(1)
	v_fma_f64 v[60:61], -v[92:93], v[164:165], v[60:61]
	;; [unrolled: 4-line block ×3, first 2 shown]
.LBB55_106:
	s_or_b64 exec, exec, s[2:3]
	v_cmp_eq_u32_e32 vcc, 21, v170
	s_waitcnt lgkmcnt(0)
	s_barrier
	s_and_saveexec_b64 s[2:3], vcc
	s_cbranch_execz .LBB55_109
; %bb.107:
	s_waitcnt vmcnt(5)
	v_mov_b32_e32 v156, v90
	v_mov_b32_e32 v157, v91
	s_waitcnt vmcnt(4)
	v_mov_b32_e32 v158, v62
	v_mov_b32_e32 v159, v63
	ds_write_b64 v168, v[64:65]
	ds_write2_b64 v169, v[156:157], v[158:159] offset0:22 offset1:23
	s_waitcnt vmcnt(3)
	v_mov_b32_e32 v156, v88
	v_mov_b32_e32 v157, v89
	s_waitcnt vmcnt(2)
	v_mov_b32_e32 v158, v60
	v_mov_b32_e32 v159, v61
	ds_write2_b64 v169, v[156:157], v[158:159] offset0:24 offset1:25
	s_waitcnt vmcnt(1)
	v_mov_b32_e32 v156, v86
	v_mov_b32_e32 v157, v87
	s_waitcnt vmcnt(0)
	ds_write2_b64 v169, v[156:157], v[112:113] offset0:26 offset1:27
	ds_read_b64 v[156:157], v168
	s_waitcnt lgkmcnt(0)
	v_cmp_neq_f64_e32 vcc, 0, v[156:157]
	s_and_b64 exec, exec, vcc
	s_cbranch_execz .LBB55_109
; %bb.108:
	v_div_scale_f64 v[158:159], s[6:7], v[156:157], v[156:157], 1.0
	v_rcp_f64_e32 v[160:161], v[158:159]
	v_div_scale_f64 v[162:163], vcc, 1.0, v[156:157], 1.0
	v_fma_f64 v[164:165], -v[158:159], v[160:161], 1.0
	v_fmac_f64_e32 v[160:161], v[160:161], v[164:165]
	v_fma_f64 v[164:165], -v[158:159], v[160:161], 1.0
	v_fmac_f64_e32 v[160:161], v[160:161], v[164:165]
	v_mul_f64 v[164:165], v[162:163], v[160:161]
	v_fma_f64 v[158:159], -v[158:159], v[164:165], v[162:163]
	v_div_fmas_f64 v[158:159], v[158:159], v[160:161], v[164:165]
	v_div_fixup_f64 v[156:157], v[158:159], v[156:157], 1.0
	ds_write_b64 v168, v[156:157]
.LBB55_109:
	s_or_b64 exec, exec, s[2:3]
	s_waitcnt lgkmcnt(0)
	s_barrier
	ds_read_b64 v[156:157], v168
	v_cmp_lt_u32_e32 vcc, 21, v170
	s_and_saveexec_b64 s[2:3], vcc
	s_cbranch_execz .LBB55_111
; %bb.110:
	ds_read2_b64 v[158:161], v169 offset0:22 offset1:23
	ds_read2_b64 v[162:165], v169 offset0:24 offset1:25
	;; [unrolled: 1-line block ×3, first 2 shown]
	s_waitcnt vmcnt(6) lgkmcnt(3)
	v_mul_f64 v[64:65], v[156:157], v[64:65]
	s_waitcnt vmcnt(5) lgkmcnt(2)
	v_fma_f64 v[90:91], -v[64:65], v[158:159], v[90:91]
	s_waitcnt vmcnt(4)
	v_fma_f64 v[62:63], -v[64:65], v[160:161], v[62:63]
	s_waitcnt vmcnt(3) lgkmcnt(1)
	v_fma_f64 v[88:89], -v[64:65], v[162:163], v[88:89]
	s_waitcnt vmcnt(2)
	v_fma_f64 v[60:61], -v[64:65], v[164:165], v[60:61]
	;; [unrolled: 4-line block ×3, first 2 shown]
.LBB55_111:
	s_or_b64 exec, exec, s[2:3]
	v_cmp_eq_u32_e32 vcc, 22, v170
	s_waitcnt lgkmcnt(0)
	s_barrier
	s_and_saveexec_b64 s[2:3], vcc
	s_cbranch_execz .LBB55_114
; %bb.112:
	s_waitcnt vmcnt(5)
	ds_write_b64 v168, v[90:91]
	s_waitcnt vmcnt(3)
	ds_write2_b64 v169, v[62:63], v[88:89] offset0:23 offset1:24
	s_waitcnt vmcnt(1)
	ds_write2_b64 v169, v[60:61], v[86:87] offset0:25 offset1:26
	s_waitcnt vmcnt(0)
	ds_write_b64 v169, v[112:113] offset:216
	ds_read_b64 v[158:159], v168
	s_waitcnt lgkmcnt(0)
	v_cmp_neq_f64_e32 vcc, 0, v[158:159]
	s_and_b64 exec, exec, vcc
	s_cbranch_execz .LBB55_114
; %bb.113:
	v_div_scale_f64 v[160:161], s[6:7], v[158:159], v[158:159], 1.0
	v_rcp_f64_e32 v[162:163], v[160:161]
	v_div_scale_f64 v[164:165], vcc, 1.0, v[158:159], 1.0
	v_fma_f64 v[166:167], -v[160:161], v[162:163], 1.0
	v_fmac_f64_e32 v[162:163], v[162:163], v[166:167]
	v_fma_f64 v[166:167], -v[160:161], v[162:163], 1.0
	v_fmac_f64_e32 v[162:163], v[162:163], v[166:167]
	v_mul_f64 v[166:167], v[164:165], v[162:163]
	v_fma_f64 v[160:161], -v[160:161], v[166:167], v[164:165]
	v_div_fmas_f64 v[160:161], v[160:161], v[162:163], v[166:167]
	v_div_fixup_f64 v[158:159], v[160:161], v[158:159], 1.0
	ds_write_b64 v168, v[158:159]
.LBB55_114:
	s_or_b64 exec, exec, s[2:3]
	s_waitcnt lgkmcnt(0)
	s_barrier
	ds_read_b64 v[158:159], v168
	v_cmp_lt_u32_e32 vcc, 22, v170
	s_and_saveexec_b64 s[2:3], vcc
	s_cbranch_execz .LBB55_116
; %bb.115:
	ds_read2_b64 v[160:163], v169 offset0:23 offset1:24
	ds_read2_b64 v[164:167], v169 offset0:25 offset1:26
	ds_read_b64 v[172:173], v169 offset:216
	s_waitcnt vmcnt(5) lgkmcnt(3)
	v_mul_f64 v[90:91], v[158:159], v[90:91]
	s_waitcnt vmcnt(4) lgkmcnt(2)
	v_fma_f64 v[62:63], -v[90:91], v[160:161], v[62:63]
	s_waitcnt vmcnt(3)
	v_fma_f64 v[88:89], -v[90:91], v[162:163], v[88:89]
	s_waitcnt vmcnt(2) lgkmcnt(1)
	v_fma_f64 v[60:61], -v[90:91], v[164:165], v[60:61]
	s_waitcnt vmcnt(1)
	v_fma_f64 v[86:87], -v[90:91], v[166:167], v[86:87]
	s_waitcnt vmcnt(0) lgkmcnt(0)
	v_fma_f64 v[112:113], -v[90:91], v[172:173], v[112:113]
.LBB55_116:
	s_or_b64 exec, exec, s[2:3]
	v_cmp_eq_u32_e32 vcc, 23, v170
	s_waitcnt lgkmcnt(0)
	s_barrier
	s_and_saveexec_b64 s[2:3], vcc
	s_cbranch_execz .LBB55_119
; %bb.117:
	s_waitcnt vmcnt(3)
	v_mov_b32_e32 v160, v88
	v_mov_b32_e32 v161, v89
	s_waitcnt vmcnt(2)
	v_mov_b32_e32 v162, v60
	v_mov_b32_e32 v163, v61
	ds_write_b64 v168, v[62:63]
	ds_write2_b64 v169, v[160:161], v[162:163] offset0:24 offset1:25
	s_waitcnt vmcnt(1)
	v_mov_b32_e32 v160, v86
	v_mov_b32_e32 v161, v87
	s_waitcnt vmcnt(0)
	ds_write2_b64 v169, v[160:161], v[112:113] offset0:26 offset1:27
	ds_read_b64 v[160:161], v168
	s_waitcnt lgkmcnt(0)
	v_cmp_neq_f64_e32 vcc, 0, v[160:161]
	s_and_b64 exec, exec, vcc
	s_cbranch_execz .LBB55_119
; %bb.118:
	v_div_scale_f64 v[162:163], s[6:7], v[160:161], v[160:161], 1.0
	v_rcp_f64_e32 v[164:165], v[162:163]
	v_div_scale_f64 v[166:167], vcc, 1.0, v[160:161], 1.0
	v_fma_f64 v[172:173], -v[162:163], v[164:165], 1.0
	v_fmac_f64_e32 v[164:165], v[164:165], v[172:173]
	v_fma_f64 v[172:173], -v[162:163], v[164:165], 1.0
	v_fmac_f64_e32 v[164:165], v[164:165], v[172:173]
	v_mul_f64 v[172:173], v[166:167], v[164:165]
	v_fma_f64 v[162:163], -v[162:163], v[172:173], v[166:167]
	v_div_fmas_f64 v[162:163], v[162:163], v[164:165], v[172:173]
	v_div_fixup_f64 v[160:161], v[162:163], v[160:161], 1.0
	ds_write_b64 v168, v[160:161]
.LBB55_119:
	s_or_b64 exec, exec, s[2:3]
	s_waitcnt lgkmcnt(0)
	s_barrier
	ds_read_b64 v[160:161], v168
	v_cmp_lt_u32_e32 vcc, 23, v170
	s_and_saveexec_b64 s[2:3], vcc
	s_cbranch_execz .LBB55_121
; %bb.120:
	ds_read2_b64 v[162:165], v169 offset0:24 offset1:25
	ds_read2_b64 v[172:175], v169 offset0:26 offset1:27
	s_waitcnt vmcnt(4) lgkmcnt(2)
	v_mul_f64 v[62:63], v[160:161], v[62:63]
	s_waitcnt vmcnt(3) lgkmcnt(1)
	v_fma_f64 v[88:89], -v[62:63], v[162:163], v[88:89]
	s_waitcnt vmcnt(2)
	v_fma_f64 v[60:61], -v[62:63], v[164:165], v[60:61]
	s_waitcnt vmcnt(1) lgkmcnt(0)
	v_fma_f64 v[86:87], -v[62:63], v[172:173], v[86:87]
	s_waitcnt vmcnt(0)
	v_fma_f64 v[112:113], -v[62:63], v[174:175], v[112:113]
.LBB55_121:
	s_or_b64 exec, exec, s[2:3]
	v_cmp_eq_u32_e32 vcc, 24, v170
	s_waitcnt lgkmcnt(0)
	s_barrier
	s_and_saveexec_b64 s[2:3], vcc
	s_cbranch_execz .LBB55_124
; %bb.122:
	s_waitcnt vmcnt(3)
	ds_write_b64 v168, v[88:89]
	s_waitcnt vmcnt(1)
	ds_write2_b64 v169, v[60:61], v[86:87] offset0:25 offset1:26
	s_waitcnt vmcnt(0)
	ds_write_b64 v169, v[112:113] offset:216
	ds_read_b64 v[162:163], v168
	s_waitcnt lgkmcnt(0)
	v_cmp_neq_f64_e32 vcc, 0, v[162:163]
	s_and_b64 exec, exec, vcc
	s_cbranch_execz .LBB55_124
; %bb.123:
	v_div_scale_f64 v[164:165], s[6:7], v[162:163], v[162:163], 1.0
	v_rcp_f64_e32 v[166:167], v[164:165]
	v_div_scale_f64 v[172:173], vcc, 1.0, v[162:163], 1.0
	v_fma_f64 v[174:175], -v[164:165], v[166:167], 1.0
	v_fmac_f64_e32 v[166:167], v[166:167], v[174:175]
	v_fma_f64 v[174:175], -v[164:165], v[166:167], 1.0
	v_fmac_f64_e32 v[166:167], v[166:167], v[174:175]
	v_mul_f64 v[174:175], v[172:173], v[166:167]
	v_fma_f64 v[164:165], -v[164:165], v[174:175], v[172:173]
	v_div_fmas_f64 v[164:165], v[164:165], v[166:167], v[174:175]
	v_div_fixup_f64 v[162:163], v[164:165], v[162:163], 1.0
	ds_write_b64 v168, v[162:163]
.LBB55_124:
	s_or_b64 exec, exec, s[2:3]
	s_waitcnt lgkmcnt(0)
	s_barrier
	ds_read_b64 v[162:163], v168
	v_cmp_lt_u32_e32 vcc, 24, v170
	s_and_saveexec_b64 s[2:3], vcc
	s_cbranch_execz .LBB55_126
; %bb.125:
	ds_read2_b64 v[164:167], v169 offset0:25 offset1:26
	ds_read_b64 v[172:173], v169 offset:216
	s_waitcnt vmcnt(3) lgkmcnt(2)
	v_mul_f64 v[88:89], v[162:163], v[88:89]
	s_waitcnt vmcnt(2) lgkmcnt(1)
	v_fma_f64 v[60:61], -v[88:89], v[164:165], v[60:61]
	s_waitcnt vmcnt(1)
	v_fma_f64 v[86:87], -v[88:89], v[166:167], v[86:87]
	s_waitcnt vmcnt(0) lgkmcnt(0)
	v_fma_f64 v[112:113], -v[88:89], v[172:173], v[112:113]
.LBB55_126:
	s_or_b64 exec, exec, s[2:3]
	v_cmp_eq_u32_e32 vcc, 25, v170
	s_waitcnt lgkmcnt(0)
	s_barrier
	s_and_saveexec_b64 s[2:3], vcc
	s_cbranch_execz .LBB55_129
; %bb.127:
	s_waitcnt vmcnt(1)
	v_mov_b32_e32 v164, v86
	v_mov_b32_e32 v165, v87
	ds_write_b64 v168, v[60:61]
	s_waitcnt vmcnt(0)
	ds_write2_b64 v169, v[164:165], v[112:113] offset0:26 offset1:27
	ds_read_b64 v[164:165], v168
	s_waitcnt lgkmcnt(0)
	v_cmp_neq_f64_e32 vcc, 0, v[164:165]
	s_and_b64 exec, exec, vcc
	s_cbranch_execz .LBB55_129
; %bb.128:
	v_div_scale_f64 v[166:167], s[6:7], v[164:165], v[164:165], 1.0
	v_rcp_f64_e32 v[172:173], v[166:167]
	v_div_scale_f64 v[174:175], vcc, 1.0, v[164:165], 1.0
	v_fma_f64 v[176:177], -v[166:167], v[172:173], 1.0
	v_fmac_f64_e32 v[172:173], v[172:173], v[176:177]
	v_fma_f64 v[176:177], -v[166:167], v[172:173], 1.0
	v_fmac_f64_e32 v[172:173], v[172:173], v[176:177]
	v_mul_f64 v[176:177], v[174:175], v[172:173]
	v_fma_f64 v[166:167], -v[166:167], v[176:177], v[174:175]
	v_div_fmas_f64 v[166:167], v[166:167], v[172:173], v[176:177]
	v_div_fixup_f64 v[164:165], v[166:167], v[164:165], 1.0
	ds_write_b64 v168, v[164:165]
.LBB55_129:
	s_or_b64 exec, exec, s[2:3]
	s_waitcnt lgkmcnt(0)
	s_barrier
	ds_read_b64 v[164:165], v168
	v_cmp_lt_u32_e32 vcc, 25, v170
	s_and_saveexec_b64 s[2:3], vcc
	s_cbranch_execz .LBB55_131
; %bb.130:
	ds_read2_b64 v[172:175], v169 offset0:26 offset1:27
	s_waitcnt vmcnt(2) lgkmcnt(1)
	v_mul_f64 v[60:61], v[164:165], v[60:61]
	s_waitcnt vmcnt(1) lgkmcnt(0)
	v_fma_f64 v[86:87], -v[60:61], v[172:173], v[86:87]
	s_waitcnt vmcnt(0)
	v_fma_f64 v[112:113], -v[60:61], v[174:175], v[112:113]
.LBB55_131:
	s_or_b64 exec, exec, s[2:3]
	v_cmp_eq_u32_e32 vcc, 26, v170
	s_waitcnt lgkmcnt(0)
	s_barrier
	s_and_saveexec_b64 s[2:3], vcc
	s_cbranch_execz .LBB55_134
; %bb.132:
	s_waitcnt vmcnt(1)
	ds_write_b64 v168, v[86:87]
	s_waitcnt vmcnt(0)
	ds_write_b64 v169, v[112:113] offset:216
	ds_read_b64 v[166:167], v168
	s_waitcnt lgkmcnt(0)
	v_cmp_neq_f64_e32 vcc, 0, v[166:167]
	s_and_b64 exec, exec, vcc
	s_cbranch_execz .LBB55_134
; %bb.133:
	v_div_scale_f64 v[172:173], s[6:7], v[166:167], v[166:167], 1.0
	v_rcp_f64_e32 v[174:175], v[172:173]
	v_div_scale_f64 v[176:177], vcc, 1.0, v[166:167], 1.0
	v_fma_f64 v[178:179], -v[172:173], v[174:175], 1.0
	v_fmac_f64_e32 v[174:175], v[174:175], v[178:179]
	v_fma_f64 v[178:179], -v[172:173], v[174:175], 1.0
	v_fmac_f64_e32 v[174:175], v[174:175], v[178:179]
	v_mul_f64 v[178:179], v[176:177], v[174:175]
	v_fma_f64 v[172:173], -v[172:173], v[178:179], v[176:177]
	v_div_fmas_f64 v[172:173], v[172:173], v[174:175], v[178:179]
	v_div_fixup_f64 v[166:167], v[172:173], v[166:167], 1.0
	ds_write_b64 v168, v[166:167]
.LBB55_134:
	s_or_b64 exec, exec, s[2:3]
	s_waitcnt lgkmcnt(0)
	s_barrier
	ds_read_b64 v[166:167], v168
	v_cmp_lt_u32_e32 vcc, 26, v170
	s_and_saveexec_b64 s[2:3], vcc
	s_cbranch_execz .LBB55_136
; %bb.135:
	ds_read_b64 v[172:173], v169 offset:216
	s_waitcnt vmcnt(1) lgkmcnt(1)
	v_mul_f64 v[86:87], v[166:167], v[86:87]
	s_waitcnt vmcnt(0) lgkmcnt(0)
	v_fma_f64 v[112:113], -v[86:87], v[172:173], v[112:113]
.LBB55_136:
	s_or_b64 exec, exec, s[2:3]
	v_cmp_eq_u32_e32 vcc, 27, v170
	s_waitcnt lgkmcnt(0)
	s_barrier
	s_and_saveexec_b64 s[2:3], vcc
	s_cbranch_execz .LBB55_139
; %bb.137:
	s_waitcnt vmcnt(0)
	v_cmp_neq_f64_e32 vcc, 0, v[112:113]
	ds_write_b64 v168, v[112:113]
	s_and_b64 exec, exec, vcc
	s_cbranch_execz .LBB55_139
; %bb.138:
	v_div_scale_f64 v[172:173], s[6:7], v[112:113], v[112:113], 1.0
	v_rcp_f64_e32 v[174:175], v[172:173]
	v_div_scale_f64 v[176:177], vcc, 1.0, v[112:113], 1.0
	v_fma_f64 v[178:179], -v[172:173], v[174:175], 1.0
	v_fmac_f64_e32 v[174:175], v[174:175], v[178:179]
	v_fma_f64 v[178:179], -v[172:173], v[174:175], 1.0
	v_fmac_f64_e32 v[174:175], v[174:175], v[178:179]
	v_mul_f64 v[178:179], v[176:177], v[174:175]
	v_fma_f64 v[172:173], -v[172:173], v[178:179], v[176:177]
	v_div_fmas_f64 v[172:173], v[172:173], v[174:175], v[178:179]
	v_div_fixup_f64 v[172:173], v[172:173], v[112:113], 1.0
	ds_write_b64 v168, v[172:173]
.LBB55_139:
	s_or_b64 exec, exec, s[2:3]
	s_waitcnt lgkmcnt(0)
	s_barrier
	ds_read_b64 v[168:169], v168
	s_waitcnt lgkmcnt(0)
	s_barrier
	s_and_saveexec_b64 s[2:3], s[0:1]
	s_cbranch_execz .LBB55_142
; %bb.140:
	v_cmp_eq_f64_e32 vcc, 0, v[114:115]
	v_cmp_neq_f64_e64 s[0:1], 0, v[116:117]
	v_cndmask_b32_e64 v114, 0, 1, vcc
	s_or_b64 vcc, s[0:1], vcc
	v_cndmask_b32_e32 v114, 2, v114, vcc
	v_cmp_eq_f64_e32 vcc, 0, v[118:119]
	v_cmp_eq_u32_e64 s[0:1], 0, v114
	s_and_b64 s[0:1], vcc, s[0:1]
	v_cndmask_b32_e64 v114, v114, 3, s[0:1]
	v_cmp_eq_f64_e32 vcc, 0, v[120:121]
	v_cmp_eq_u32_e64 s[0:1], 0, v114
	s_and_b64 s[0:1], vcc, s[0:1]
	v_cndmask_b32_e64 v114, v114, 4, s[0:1]
	;; [unrolled: 4-line block ×4, first 2 shown]
	v_cmp_eq_f64_e32 vcc, 0, v[126:127]
	v_cmp_eq_u32_e64 s[0:1], 0, v114
	s_load_dwordx2 s[4:5], s[4:5], 0x28
	s_and_b64 s[0:1], vcc, s[0:1]
	v_cndmask_b32_e64 v114, v114, 7, s[0:1]
	v_cmp_eq_f64_e32 vcc, 0, v[128:129]
	v_cmp_eq_u32_e64 s[0:1], 0, v114
	s_and_b64 s[0:1], vcc, s[0:1]
	v_lshlrev_b64 v[2:3], 2, v[2:3]
	v_cndmask_b32_e64 v114, v114, 8, s[0:1]
	s_waitcnt lgkmcnt(0)
	v_mov_b32_e32 v115, s5
	v_add_co_u32_e64 v2, s[0:1], s4, v2
	v_addc_co_u32_e64 v3, s[0:1], v115, v3, s[0:1]
	global_load_dword v115, v[2:3], off
	v_cmp_eq_f64_e32 vcc, 0, v[130:131]
	v_cmp_eq_u32_e64 s[0:1], 0, v114
	s_and_b64 s[0:1], vcc, s[0:1]
	v_cndmask_b32_e64 v114, v114, 9, s[0:1]
	v_cmp_eq_f64_e32 vcc, 0, v[132:133]
	v_cmp_eq_u32_e64 s[0:1], 0, v114
	s_and_b64 s[0:1], vcc, s[0:1]
	v_cndmask_b32_e64 v114, v114, 10, s[0:1]
	;; [unrolled: 4-line block ×20, first 2 shown]
	s_waitcnt vmcnt(0)
	v_cmp_eq_u32_e32 vcc, 0, v115
	v_cmp_ne_u32_e64 s[0:1], 0, v114
	s_and_b64 s[0:1], vcc, s[0:1]
	s_and_b64 exec, exec, s[0:1]
	s_cbranch_execz .LBB55_142
; %bb.141:
	v_add_u32_e32 v114, s9, v114
	global_store_dword v[2:3], v114, off
.LBB55_142:
	s_or_b64 exec, exec, s[2:3]
	s_waitcnt vmcnt(0)
	v_mul_f64 v[2:3], v[168:169], v[112:113]
	v_cmp_lt_u32_e32 vcc, 27, v170
	v_cndmask_b32_e32 v3, v113, v3, vcc
	v_cndmask_b32_e32 v2, v112, v2, vcc
	global_store_dwordx2 v[54:55], v[58:59], off
	global_store_dwordx2 v[56:57], v[84:85], off
	;; [unrolled: 1-line block ×28, first 2 shown]
.LBB55_143:
	s_endpgm
	.section	.rodata,"a",@progbits
	.p2align	6, 0x0
	.amdhsa_kernel _ZN9rocsolver6v33100L23getf2_npvt_small_kernelILi28EdiiPKPdEEvT1_T3_lS5_lPT2_S5_S5_
		.amdhsa_group_segment_fixed_size 0
		.amdhsa_private_segment_fixed_size 0
		.amdhsa_kernarg_size 312
		.amdhsa_user_sgpr_count 6
		.amdhsa_user_sgpr_private_segment_buffer 1
		.amdhsa_user_sgpr_dispatch_ptr 0
		.amdhsa_user_sgpr_queue_ptr 0
		.amdhsa_user_sgpr_kernarg_segment_ptr 1
		.amdhsa_user_sgpr_dispatch_id 0
		.amdhsa_user_sgpr_flat_scratch_init 0
		.amdhsa_user_sgpr_kernarg_preload_length 0
		.amdhsa_user_sgpr_kernarg_preload_offset 0
		.amdhsa_user_sgpr_private_segment_size 0
		.amdhsa_uses_dynamic_stack 0
		.amdhsa_system_sgpr_private_segment_wavefront_offset 0
		.amdhsa_system_sgpr_workgroup_id_x 1
		.amdhsa_system_sgpr_workgroup_id_y 1
		.amdhsa_system_sgpr_workgroup_id_z 0
		.amdhsa_system_sgpr_workgroup_info 0
		.amdhsa_system_vgpr_workitem_id 1
		.amdhsa_next_free_vgpr 180
		.amdhsa_next_free_sgpr 16
		.amdhsa_accum_offset 180
		.amdhsa_reserve_vcc 1
		.amdhsa_reserve_flat_scratch 0
		.amdhsa_float_round_mode_32 0
		.amdhsa_float_round_mode_16_64 0
		.amdhsa_float_denorm_mode_32 3
		.amdhsa_float_denorm_mode_16_64 3
		.amdhsa_dx10_clamp 1
		.amdhsa_ieee_mode 1
		.amdhsa_fp16_overflow 0
		.amdhsa_tg_split 0
		.amdhsa_exception_fp_ieee_invalid_op 0
		.amdhsa_exception_fp_denorm_src 0
		.amdhsa_exception_fp_ieee_div_zero 0
		.amdhsa_exception_fp_ieee_overflow 0
		.amdhsa_exception_fp_ieee_underflow 0
		.amdhsa_exception_fp_ieee_inexact 0
		.amdhsa_exception_int_div_zero 0
	.end_amdhsa_kernel
	.section	.text._ZN9rocsolver6v33100L23getf2_npvt_small_kernelILi28EdiiPKPdEEvT1_T3_lS5_lPT2_S5_S5_,"axG",@progbits,_ZN9rocsolver6v33100L23getf2_npvt_small_kernelILi28EdiiPKPdEEvT1_T3_lS5_lPT2_S5_S5_,comdat
.Lfunc_end55:
	.size	_ZN9rocsolver6v33100L23getf2_npvt_small_kernelILi28EdiiPKPdEEvT1_T3_lS5_lPT2_S5_S5_, .Lfunc_end55-_ZN9rocsolver6v33100L23getf2_npvt_small_kernelILi28EdiiPKPdEEvT1_T3_lS5_lPT2_S5_S5_
                                        ; -- End function
	.section	.AMDGPU.csdata,"",@progbits
; Kernel info:
; codeLenInByte = 17392
; NumSgprs: 20
; NumVgprs: 180
; NumAgprs: 0
; TotalNumVgprs: 180
; ScratchSize: 0
; MemoryBound: 0
; FloatMode: 240
; IeeeMode: 1
; LDSByteSize: 0 bytes/workgroup (compile time only)
; SGPRBlocks: 2
; VGPRBlocks: 22
; NumSGPRsForWavesPerEU: 20
; NumVGPRsForWavesPerEU: 180
; AccumOffset: 180
; Occupancy: 2
; WaveLimiterHint : 1
; COMPUTE_PGM_RSRC2:SCRATCH_EN: 0
; COMPUTE_PGM_RSRC2:USER_SGPR: 6
; COMPUTE_PGM_RSRC2:TRAP_HANDLER: 0
; COMPUTE_PGM_RSRC2:TGID_X_EN: 1
; COMPUTE_PGM_RSRC2:TGID_Y_EN: 1
; COMPUTE_PGM_RSRC2:TGID_Z_EN: 0
; COMPUTE_PGM_RSRC2:TIDIG_COMP_CNT: 1
; COMPUTE_PGM_RSRC3_GFX90A:ACCUM_OFFSET: 44
; COMPUTE_PGM_RSRC3_GFX90A:TG_SPLIT: 0
	.section	.text._ZN9rocsolver6v33100L18getf2_small_kernelILi29EdiiPKPdEEvT1_T3_lS5_lPS5_llPT2_S5_S5_S7_l,"axG",@progbits,_ZN9rocsolver6v33100L18getf2_small_kernelILi29EdiiPKPdEEvT1_T3_lS5_lPS5_llPT2_S5_S5_S7_l,comdat
	.globl	_ZN9rocsolver6v33100L18getf2_small_kernelILi29EdiiPKPdEEvT1_T3_lS5_lPS5_llPT2_S5_S5_S7_l ; -- Begin function _ZN9rocsolver6v33100L18getf2_small_kernelILi29EdiiPKPdEEvT1_T3_lS5_lPS5_llPT2_S5_S5_S7_l
	.p2align	8
	.type	_ZN9rocsolver6v33100L18getf2_small_kernelILi29EdiiPKPdEEvT1_T3_lS5_lPS5_llPT2_S5_S5_S7_l,@function
_ZN9rocsolver6v33100L18getf2_small_kernelILi29EdiiPKPdEEvT1_T3_lS5_lPS5_llPT2_S5_S5_S7_l: ; @_ZN9rocsolver6v33100L18getf2_small_kernelILi29EdiiPKPdEEvT1_T3_lS5_lPS5_llPT2_S5_S5_S7_l
; %bb.0:
	s_load_dword s0, s[4:5], 0x6c
	s_load_dwordx2 s[12:13], s[4:5], 0x48
	v_bfe_u32 v62, v0, 10, 10
	s_waitcnt lgkmcnt(0)
	s_lshr_b32 s0, s0, 16
	s_mul_i32 s7, s7, s0
	v_add_u32_e32 v2, s7, v62
	v_cmp_gt_i32_e32 vcc, s12, v2
	s_and_saveexec_b64 s[0:1], vcc
	s_cbranch_execz .LBB56_490
; %bb.1:
	s_load_dwordx4 s[0:3], s[4:5], 0x8
	s_load_dwordx4 s[8:11], s[4:5], 0x50
	v_ashrrev_i32_e32 v3, 31, v2
	v_lshlrev_b64 v[4:5], 3, v[2:3]
	s_waitcnt lgkmcnt(0)
	v_mov_b32_e32 v1, s1
	v_add_co_u32_e32 v4, vcc, s0, v4
	v_addc_co_u32_e32 v5, vcc, v1, v5, vcc
	global_load_dwordx2 v[6:7], v[4:5], off
	s_cmp_eq_u64 s[8:9], 0
	s_cselect_b64 s[6:7], -1, 0
	s_and_b64 vcc, exec, s[6:7]
	v_pk_mov_b32 v[4:5], 0, 0
	s_cbranch_vccnz .LBB56_3
; %bb.2:
	v_mul_lo_u32 v1, v3, s10
	v_mul_lo_u32 v8, v2, s11
	v_mad_u64_u32 v[4:5], s[0:1], v2, s10, 0
	v_add3_u32 v5, v5, v8, v1
	v_lshlrev_b64 v[4:5], 2, v[4:5]
	v_mov_b32_e32 v1, s9
	v_add_co_u32_e32 v4, vcc, s8, v4
	v_addc_co_u32_e32 v5, vcc, v1, v5, vcc
.LBB56_3:
	s_load_dword s8, s[4:5], 0x18
	s_load_dword s18, s[4:5], 0x0
	s_lshl_b64 s[0:1], s[2:3], 3
	v_and_b32_e32 v70, 0x3ff, v0
	v_mov_b32_e32 v1, s1
	s_waitcnt lgkmcnt(0)
	s_add_i32 s12, s8, s8
	s_waitcnt vmcnt(0)
	v_add_co_u32_e32 v68, vcc, s0, v6
	v_add_u32_e32 v0, s12, v70
	v_addc_co_u32_e32 v69, vcc, v7, v1, vcc
	v_ashrrev_i32_e32 v1, 31, v0
	v_lshlrev_b64 v[6:7], 3, v[0:1]
	v_add_u32_e32 v0, s8, v0
	v_add_co_u32_e32 v6, vcc, v68, v6
	v_ashrrev_i32_e32 v1, 31, v0
	v_addc_co_u32_e32 v7, vcc, v69, v7, vcc
	v_lshlrev_b64 v[8:9], 3, v[0:1]
	v_add_u32_e32 v0, s8, v0
	v_add_co_u32_e32 v8, vcc, v68, v8
	v_ashrrev_i32_e32 v1, 31, v0
	v_addc_co_u32_e32 v9, vcc, v69, v9, vcc
	;; [unrolled: 5-line block ×26, first 2 shown]
	v_lshlrev_b64 v[0:1], 3, v[0:1]
	v_add_co_u32_e32 v94, vcc, v68, v0
	v_addc_co_u32_e32 v95, vcc, v69, v1, vcc
	v_lshlrev_b32_e32 v63, 3, v70
	v_add_co_u32_e32 v0, vcc, v68, v63
	s_ashr_i32 s9, s8, 31
	v_addc_co_u32_e32 v1, vcc, 0, v69, vcc
	s_lshl_b64 s[10:11], s[8:9], 3
	v_mov_b32_e32 v28, s11
	v_add_co_u32_e32 v96, vcc, s10, v0
	v_addc_co_u32_e32 v97, vcc, v1, v28, vcc
	global_load_dwordx2 v[58:59], v[0:1], off
	global_load_dwordx2 v[56:57], v[96:97], off
	;; [unrolled: 1-line block ×15, first 2 shown]
                                        ; kill: killed $vgpr6 killed $vgpr7
                                        ; kill: killed $vgpr96 killed $vgpr97
                                        ; kill: killed $vgpr10 killed $vgpr11
                                        ; kill: killed $vgpr14 killed $vgpr15
                                        ; kill: killed $vgpr18 killed $vgpr19
                                        ; kill: killed $vgpr22 killed $vgpr23
                                        ; kill: killed $vgpr26 killed $vgpr27
                                        ; kill: killed $vgpr60 killed $vgpr61
                                        ; kill: killed $vgpr8 killed $vgpr9
                                        ; kill: killed $vgpr12 killed $vgpr13
                                        ; kill: killed $vgpr16 killed $vgpr17
                                        ; kill: killed $vgpr20 killed $vgpr21
                                        ; kill: killed $vgpr24 killed $vgpr25
                                        ; kill: killed $vgpr30 killed $vgpr31
                                        ; kill: killed $vgpr0 killed $vgpr1
	s_nop 0
	global_load_dwordx2 v[30:31], v[64:65], off
	global_load_dwordx2 v[26:27], v[66:67], off
	;; [unrolled: 1-line block ×14, first 2 shown]
	s_max_i32 s0, s18, 29
	v_mul_lo_u32 v64, s0, v62
	v_lshl_add_u32 v66, v64, 3, 0
	v_add_u32_e32 v62, v66, v63
	s_cmp_lt_i32 s18, 2
	v_lshlrev_b32_e32 v71, 3, v64
	v_mov_b32_e32 v64, 0
	s_waitcnt vmcnt(28)
	ds_write_b64 v62, v[58:59]
	s_waitcnt lgkmcnt(0)
	s_barrier
	ds_read_b64 v[62:63], v66
	s_cbranch_scc1 .LBB56_6
; %bb.4:
	v_add3_u32 v65, v71, 0, 8
	s_mov_b32 s0, 1
	v_mov_b32_e32 v64, 0
.LBB56_5:                               ; =>This Inner Loop Header: Depth=1
	ds_read_b64 v[72:73], v65
	v_mov_b32_e32 v67, s0
	s_add_i32 s0, s0, 1
	v_add_u32_e32 v65, 8, v65
	s_cmp_eq_u32 s18, s0
	s_waitcnt lgkmcnt(0)
	v_cmp_lt_f64_e64 vcc, |v[62:63]|, |v[72:73]|
	v_cndmask_b32_e32 v63, v63, v73, vcc
	v_cndmask_b32_e32 v62, v62, v72, vcc
	v_cndmask_b32_e32 v64, v64, v67, vcc
	s_cbranch_scc0 .LBB56_5
.LBB56_6:
	v_cmp_ne_u32_e32 vcc, v70, v64
                                        ; implicit-def: $vgpr67
	s_and_saveexec_b64 s[0:1], vcc
	s_xor_b64 s[0:1], exec, s[0:1]
	s_cbranch_execz .LBB56_12
; %bb.7:
	v_cmp_eq_u32_e32 vcc, 0, v70
	s_and_saveexec_b64 s[2:3], vcc
	s_cbranch_execz .LBB56_11
; %bb.8:
	v_cmp_ne_u32_e32 vcc, 0, v64
	s_xor_b64 s[14:15], s[6:7], -1
	s_and_b64 s[16:17], s[14:15], vcc
	s_and_saveexec_b64 s[14:15], s[16:17]
	s_cbranch_execz .LBB56_10
; %bb.9:
	v_ashrrev_i32_e32 v65, 31, v64
	v_lshlrev_b64 v[72:73], 2, v[64:65]
	v_add_co_u32_e32 v72, vcc, v4, v72
	v_addc_co_u32_e32 v73, vcc, v5, v73, vcc
	flat_load_dword v65, v[72:73]
	flat_load_dword v67, v[4:5]
	s_waitcnt vmcnt(0) lgkmcnt(0)
	flat_store_dword v[4:5], v65
	flat_store_dword v[72:73], v67
.LBB56_10:
	s_or_b64 exec, exec, s[14:15]
	v_mov_b32_e32 v70, v64
.LBB56_11:
	s_or_b64 exec, exec, s[2:3]
	v_mov_b32_e32 v67, v70
                                        ; implicit-def: $vgpr70
.LBB56_12:
	s_or_saveexec_b64 s[0:1], s[0:1]
	v_mov_b32_e32 v65, v67
	s_xor_b64 exec, exec, s[0:1]
	s_cbranch_execz .LBB56_14
; %bb.13:
	v_mov_b32_e32 v67, 0
	v_mov_b32_e32 v65, v70
	s_waitcnt vmcnt(0)
	ds_write2_b64 v66, v[56:57], v[54:55] offset0:1 offset1:2
	ds_write2_b64 v66, v[52:53], v[50:51] offset0:3 offset1:4
	;; [unrolled: 1-line block ×14, first 2 shown]
.LBB56_14:
	s_or_b64 exec, exec, s[0:1]
	s_waitcnt lgkmcnt(0)
	v_cmp_eq_f64_e64 s[0:1], 0, v[62:63]
	v_cmp_lt_i32_e32 vcc, 0, v67
	s_barrier
	s_and_saveexec_b64 s[2:3], vcc
	s_cbranch_execz .LBB56_16
; %bb.15:
	v_div_scale_f64 v[72:73], s[14:15], v[62:63], v[62:63], 1.0
	v_rcp_f64_e32 v[74:75], v[72:73]
	v_div_scale_f64 v[76:77], vcc, 1.0, v[62:63], 1.0
	ds_read2_b64 v[80:83], v66 offset0:5 offset1:6
	v_fma_f64 v[78:79], -v[72:73], v[74:75], 1.0
	v_fmac_f64_e32 v[74:75], v[74:75], v[78:79]
	v_fma_f64 v[78:79], -v[72:73], v[74:75], 1.0
	v_fmac_f64_e32 v[74:75], v[74:75], v[78:79]
	v_mul_f64 v[78:79], v[76:77], v[74:75]
	v_fma_f64 v[72:73], -v[72:73], v[78:79], v[76:77]
	v_div_fmas_f64 v[72:73], v[72:73], v[74:75], v[78:79]
	v_div_fixup_f64 v[76:77], v[72:73], v[62:63], 1.0
	ds_read2_b64 v[72:75], v66 offset0:1 offset1:2
	v_cndmask_b32_e64 v63, v77, v63, s[0:1]
	v_cndmask_b32_e64 v62, v76, v62, s[0:1]
	ds_read2_b64 v[76:79], v66 offset0:3 offset1:4
	v_mul_f64 v[58:59], v[62:63], v[58:59]
	s_waitcnt vmcnt(0) lgkmcnt(0)
	v_fma_f64 v[56:57], -v[58:59], v[72:73], v[56:57]
	v_fma_f64 v[54:55], -v[58:59], v[74:75], v[54:55]
	ds_read2_b64 v[72:75], v66 offset0:7 offset1:8
	v_fma_f64 v[52:53], -v[58:59], v[76:77], v[52:53]
	v_fma_f64 v[50:51], -v[58:59], v[78:79], v[50:51]
	ds_read2_b64 v[76:79], v66 offset0:9 offset1:10
	;; [unrolled: 3-line block ×3, first 2 shown]
	s_waitcnt lgkmcnt(2)
	v_fma_f64 v[44:45], -v[58:59], v[72:73], v[44:45]
	v_fma_f64 v[42:43], -v[58:59], v[74:75], v[42:43]
	s_waitcnt lgkmcnt(1)
	v_fma_f64 v[40:41], -v[58:59], v[76:77], v[40:41]
	ds_read2_b64 v[72:75], v66 offset0:13 offset1:14
	v_fma_f64 v[38:39], -v[58:59], v[78:79], v[38:39]
	ds_read2_b64 v[76:79], v66 offset0:15 offset1:16
	s_waitcnt lgkmcnt(2)
	v_fma_f64 v[36:37], -v[58:59], v[80:81], v[36:37]
	v_fma_f64 v[34:35], -v[58:59], v[82:83], v[34:35]
	s_waitcnt lgkmcnt(1)
	v_fma_f64 v[32:33], -v[58:59], v[72:73], v[32:33]
	ds_read2_b64 v[80:83], v66 offset0:17 offset1:18
	v_fma_f64 v[28:29], -v[58:59], v[74:75], v[28:29]
	ds_read2_b64 v[72:75], v66 offset0:19 offset1:20
	s_waitcnt lgkmcnt(2)
	v_fma_f64 v[30:31], -v[58:59], v[76:77], v[30:31]
	v_fma_f64 v[26:27], -v[58:59], v[78:79], v[26:27]
	ds_read2_b64 v[76:79], v66 offset0:21 offset1:22
	s_waitcnt lgkmcnt(2)
	v_fma_f64 v[24:25], -v[58:59], v[80:81], v[24:25]
	v_fma_f64 v[22:23], -v[58:59], v[82:83], v[22:23]
	s_waitcnt lgkmcnt(1)
	v_fma_f64 v[20:21], -v[58:59], v[72:73], v[20:21]
	v_fma_f64 v[18:19], -v[58:59], v[74:75], v[18:19]
	ds_read2_b64 v[72:75], v66 offset0:23 offset1:24
	s_waitcnt lgkmcnt(1)
	v_fma_f64 v[16:17], -v[58:59], v[76:77], v[16:17]
	ds_read2_b64 v[80:83], v66 offset0:25 offset1:26
	v_fma_f64 v[14:15], -v[58:59], v[78:79], v[14:15]
	ds_read2_b64 v[76:79], v66 offset0:27 offset1:28
	s_waitcnt lgkmcnt(2)
	v_fma_f64 v[12:13], -v[58:59], v[72:73], v[12:13]
	v_fma_f64 v[10:11], -v[58:59], v[74:75], v[10:11]
	s_waitcnt lgkmcnt(1)
	v_fma_f64 v[8:9], -v[58:59], v[80:81], v[8:9]
	v_fma_f64 v[6:7], -v[58:59], v[82:83], v[6:7]
	;; [unrolled: 3-line block ×3, first 2 shown]
.LBB56_16:
	s_or_b64 exec, exec, s[2:3]
	v_lshl_add_u32 v62, v67, 3, v66
	s_barrier
	s_waitcnt vmcnt(0)
	ds_write_b64 v62, v[56:57]
	s_waitcnt lgkmcnt(0)
	s_barrier
	ds_read_b64 v[62:63], v66 offset:8
	s_cmp_lt_i32 s18, 3
	v_mov_b32_e32 v64, 1
	s_cbranch_scc1 .LBB56_19
; %bb.17:
	v_add3_u32 v70, v71, 0, 16
	s_mov_b32 s2, 2
	v_mov_b32_e32 v64, 1
.LBB56_18:                              ; =>This Inner Loop Header: Depth=1
	ds_read_b64 v[72:73], v70
	v_mov_b32_e32 v74, s2
	s_add_i32 s2, s2, 1
	v_add_u32_e32 v70, 8, v70
	s_cmp_lg_u32 s18, s2
	s_waitcnt lgkmcnt(0)
	v_cmp_lt_f64_e64 vcc, |v[62:63]|, |v[72:73]|
	v_cndmask_b32_e32 v63, v63, v73, vcc
	v_cndmask_b32_e32 v62, v62, v72, vcc
	;; [unrolled: 1-line block ×3, first 2 shown]
	s_cbranch_scc1 .LBB56_18
.LBB56_19:
	v_cmp_ne_u32_e32 vcc, v67, v64
	s_and_saveexec_b64 s[2:3], vcc
	s_xor_b64 s[2:3], exec, s[2:3]
	s_cbranch_execz .LBB56_25
; %bb.20:
	v_cmp_eq_u32_e32 vcc, 1, v67
	s_and_saveexec_b64 s[14:15], vcc
	s_cbranch_execz .LBB56_24
; %bb.21:
	v_cmp_ne_u32_e32 vcc, 1, v64
	s_xor_b64 s[16:17], s[6:7], -1
	s_and_b64 s[20:21], s[16:17], vcc
	s_and_saveexec_b64 s[16:17], s[20:21]
	s_cbranch_execz .LBB56_23
; %bb.22:
	v_ashrrev_i32_e32 v65, 31, v64
	v_lshlrev_b64 v[72:73], 2, v[64:65]
	v_add_co_u32_e32 v72, vcc, v4, v72
	v_addc_co_u32_e32 v73, vcc, v5, v73, vcc
	flat_load_dword v65, v[72:73]
	flat_load_dword v67, v[4:5] offset:4
	s_waitcnt vmcnt(0) lgkmcnt(0)
	flat_store_dword v[4:5], v65 offset:4
	flat_store_dword v[72:73], v67
.LBB56_23:
	s_or_b64 exec, exec, s[16:17]
	v_mov_b32_e32 v65, v64
	v_mov_b32_e32 v67, v64
.LBB56_24:
	s_or_b64 exec, exec, s[14:15]
.LBB56_25:
	s_andn2_saveexec_b64 s[2:3], s[2:3]
	s_cbranch_execz .LBB56_27
; %bb.26:
	v_mov_b32_e32 v72, v54
	v_mov_b32_e32 v73, v55
	v_mov_b32_e32 v74, v52
	v_mov_b32_e32 v75, v53
	ds_write2_b64 v66, v[72:73], v[74:75] offset0:2 offset1:3
	v_mov_b32_e32 v72, v50
	v_mov_b32_e32 v73, v51
	v_mov_b32_e32 v74, v48
	v_mov_b32_e32 v75, v49
	ds_write2_b64 v66, v[72:73], v[74:75] offset0:4 offset1:5
	;; [unrolled: 5-line block ×12, first 2 shown]
	v_mov_b32_e32 v72, v6
	v_mov_b32_e32 v73, v7
	;; [unrolled: 1-line block ×5, first 2 shown]
	ds_write2_b64 v66, v[72:73], v[74:75] offset0:26 offset1:27
	ds_write_b64 v66, v[60:61] offset:224
.LBB56_27:
	s_or_b64 exec, exec, s[2:3]
	s_waitcnt lgkmcnt(0)
	v_cmp_neq_f64_e64 s[2:3], 0, v[62:63]
	v_cmp_lt_i32_e32 vcc, 1, v67
	s_barrier
	s_and_saveexec_b64 s[14:15], vcc
	s_cbranch_execz .LBB56_29
; %bb.28:
	v_div_scale_f64 v[72:73], s[16:17], v[62:63], v[62:63], 1.0
	v_rcp_f64_e32 v[74:75], v[72:73]
	v_div_scale_f64 v[76:77], vcc, 1.0, v[62:63], 1.0
	ds_read2_b64 v[80:83], v66 offset0:6 offset1:7
	v_fma_f64 v[78:79], -v[72:73], v[74:75], 1.0
	v_fmac_f64_e32 v[74:75], v[74:75], v[78:79]
	v_fma_f64 v[78:79], -v[72:73], v[74:75], 1.0
	v_fmac_f64_e32 v[74:75], v[74:75], v[78:79]
	v_mul_f64 v[78:79], v[76:77], v[74:75]
	v_fma_f64 v[72:73], -v[72:73], v[78:79], v[76:77]
	v_div_fmas_f64 v[72:73], v[72:73], v[74:75], v[78:79]
	v_div_fixup_f64 v[76:77], v[72:73], v[62:63], 1.0
	ds_read2_b64 v[72:75], v66 offset0:2 offset1:3
	v_cndmask_b32_e64 v63, v63, v77, s[2:3]
	v_cndmask_b32_e64 v62, v62, v76, s[2:3]
	ds_read2_b64 v[76:79], v66 offset0:4 offset1:5
	v_mul_f64 v[56:57], v[62:63], v[56:57]
	s_waitcnt lgkmcnt(0)
	v_fma_f64 v[54:55], -v[56:57], v[72:73], v[54:55]
	v_fma_f64 v[52:53], -v[56:57], v[74:75], v[52:53]
	ds_read2_b64 v[72:75], v66 offset0:8 offset1:9
	v_fma_f64 v[50:51], -v[56:57], v[76:77], v[50:51]
	v_fma_f64 v[48:49], -v[56:57], v[78:79], v[48:49]
	;; [unrolled: 1-line block ×3, first 2 shown]
	ds_read2_b64 v[76:79], v66 offset0:10 offset1:11
	v_fma_f64 v[44:45], -v[56:57], v[82:83], v[44:45]
	ds_read2_b64 v[80:83], v66 offset0:12 offset1:13
	s_waitcnt lgkmcnt(0)
	v_fma_f64 v[42:43], -v[56:57], v[72:73], v[42:43]
	v_fma_f64 v[40:41], -v[56:57], v[74:75], v[40:41]
	ds_read2_b64 v[72:75], v66 offset0:14 offset1:15
	v_fma_f64 v[38:39], -v[56:57], v[76:77], v[38:39]
	v_fma_f64 v[36:37], -v[56:57], v[78:79], v[36:37]
	ds_read2_b64 v[76:79], v66 offset0:16 offset1:17
	v_fma_f64 v[34:35], -v[56:57], v[80:81], v[34:35]
	v_fma_f64 v[32:33], -v[56:57], v[82:83], v[32:33]
	s_waitcnt lgkmcnt(0)
	v_fma_f64 v[28:29], -v[56:57], v[72:73], v[28:29]
	ds_read2_b64 v[80:83], v66 offset0:18 offset1:19
	v_fma_f64 v[30:31], -v[56:57], v[74:75], v[30:31]
	ds_read2_b64 v[72:75], v66 offset0:20 offset1:21
	v_fma_f64 v[26:27], -v[56:57], v[76:77], v[26:27]
	v_fma_f64 v[24:25], -v[56:57], v[78:79], v[24:25]
	s_waitcnt lgkmcnt(0)
	v_fma_f64 v[22:23], -v[56:57], v[80:81], v[22:23]
	ds_read2_b64 v[76:79], v66 offset0:22 offset1:23
	v_fma_f64 v[20:21], -v[56:57], v[82:83], v[20:21]
	v_fma_f64 v[18:19], -v[56:57], v[72:73], v[18:19]
	v_fma_f64 v[16:17], -v[56:57], v[74:75], v[16:17]
	ds_read2_b64 v[72:75], v66 offset0:24 offset1:25
	ds_read2_b64 v[80:83], v66 offset0:26 offset1:27
	ds_read_b64 v[62:63], v66 offset:224
	s_waitcnt lgkmcnt(0)
	v_fma_f64 v[14:15], -v[56:57], v[76:77], v[14:15]
	v_fma_f64 v[12:13], -v[56:57], v[78:79], v[12:13]
	;; [unrolled: 1-line block ×7, first 2 shown]
.LBB56_29:
	s_or_b64 exec, exec, s[14:15]
	v_lshl_add_u32 v62, v67, 3, v66
	s_barrier
	ds_write_b64 v62, v[54:55]
	s_waitcnt lgkmcnt(0)
	s_barrier
	ds_read_b64 v[62:63], v66 offset:16
	s_mov_b32 s9, 3
	s_cmp_lt_i32 s18, 4
	v_mov_b32_e32 v64, 2
	s_cbranch_scc1 .LBB56_32
; %bb.30:
	v_add3_u32 v70, v71, 0, 24
	v_mov_b32_e32 v64, 2
.LBB56_31:                              ; =>This Inner Loop Header: Depth=1
	ds_read_b64 v[72:73], v70
	v_mov_b32_e32 v74, s9
	s_add_i32 s9, s9, 1
	v_add_u32_e32 v70, 8, v70
	s_cmp_lg_u32 s18, s9
	s_waitcnt lgkmcnt(0)
	v_cmp_lt_f64_e64 vcc, |v[62:63]|, |v[72:73]|
	v_cndmask_b32_e32 v63, v63, v73, vcc
	v_cndmask_b32_e32 v62, v62, v72, vcc
	;; [unrolled: 1-line block ×3, first 2 shown]
	s_cbranch_scc1 .LBB56_31
.LBB56_32:
	v_cndmask_b32_e64 v70, 2, 1, s[0:1]
	v_cndmask_b32_e64 v72, 0, 1, s[0:1]
	;; [unrolled: 1-line block ×3, first 2 shown]
	s_waitcnt lgkmcnt(0)
	v_cmp_eq_f64_e32 vcc, 0, v[62:63]
	s_and_saveexec_b64 s[0:1], vcc
	s_xor_b64 s[0:1], exec, s[0:1]
; %bb.33:
	v_cmp_ne_u32_e32 vcc, 0, v70
	v_cndmask_b32_e32 v70, 3, v70, vcc
; %bb.34:
	s_andn2_saveexec_b64 s[0:1], s[0:1]
; %bb.35:
	v_div_scale_f64 v[72:73], s[2:3], v[62:63], v[62:63], 1.0
	v_rcp_f64_e32 v[74:75], v[72:73]
	v_div_scale_f64 v[76:77], vcc, 1.0, v[62:63], 1.0
	v_fma_f64 v[78:79], -v[72:73], v[74:75], 1.0
	v_fmac_f64_e32 v[74:75], v[74:75], v[78:79]
	v_fma_f64 v[78:79], -v[72:73], v[74:75], 1.0
	v_fmac_f64_e32 v[74:75], v[74:75], v[78:79]
	v_mul_f64 v[78:79], v[76:77], v[74:75]
	v_fma_f64 v[72:73], -v[72:73], v[78:79], v[76:77]
	v_div_fmas_f64 v[72:73], v[72:73], v[74:75], v[78:79]
	v_div_fixup_f64 v[62:63], v[72:73], v[62:63], 1.0
; %bb.36:
	s_or_b64 exec, exec, s[0:1]
	v_cmp_ne_u32_e32 vcc, v67, v64
	s_and_saveexec_b64 s[0:1], vcc
	s_xor_b64 s[0:1], exec, s[0:1]
	s_cbranch_execz .LBB56_42
; %bb.37:
	v_cmp_eq_u32_e32 vcc, 2, v67
	s_and_saveexec_b64 s[2:3], vcc
	s_cbranch_execz .LBB56_41
; %bb.38:
	v_cmp_ne_u32_e32 vcc, 2, v64
	s_xor_b64 s[14:15], s[6:7], -1
	s_and_b64 s[16:17], s[14:15], vcc
	s_and_saveexec_b64 s[14:15], s[16:17]
	s_cbranch_execz .LBB56_40
; %bb.39:
	v_ashrrev_i32_e32 v65, 31, v64
	v_lshlrev_b64 v[72:73], 2, v[64:65]
	v_add_co_u32_e32 v72, vcc, v4, v72
	v_addc_co_u32_e32 v73, vcc, v5, v73, vcc
	flat_load_dword v65, v[72:73]
	flat_load_dword v67, v[4:5] offset:8
	s_waitcnt vmcnt(0) lgkmcnt(0)
	flat_store_dword v[4:5], v65 offset:8
	flat_store_dword v[72:73], v67
.LBB56_40:
	s_or_b64 exec, exec, s[14:15]
	v_mov_b32_e32 v65, v64
	v_mov_b32_e32 v67, v64
.LBB56_41:
	s_or_b64 exec, exec, s[2:3]
.LBB56_42:
	s_andn2_saveexec_b64 s[0:1], s[0:1]
	s_cbranch_execz .LBB56_44
; %bb.43:
	v_mov_b32_e32 v67, 2
	ds_write2_b64 v66, v[52:53], v[50:51] offset0:3 offset1:4
	ds_write2_b64 v66, v[48:49], v[46:47] offset0:5 offset1:6
	;; [unrolled: 1-line block ×13, first 2 shown]
.LBB56_44:
	s_or_b64 exec, exec, s[0:1]
	v_cmp_lt_i32_e32 vcc, 2, v67
	s_waitcnt lgkmcnt(0)
	s_barrier
	s_and_saveexec_b64 s[0:1], vcc
	s_cbranch_execz .LBB56_46
; %bb.45:
	ds_read2_b64 v[72:75], v66 offset0:3 offset1:4
	ds_read2_b64 v[76:79], v66 offset0:5 offset1:6
	v_mul_f64 v[54:55], v[62:63], v[54:55]
	ds_read2_b64 v[80:83], v66 offset0:7 offset1:8
	s_waitcnt lgkmcnt(0)
	v_fma_f64 v[52:53], -v[54:55], v[72:73], v[52:53]
	v_fma_f64 v[50:51], -v[54:55], v[74:75], v[50:51]
	ds_read2_b64 v[72:75], v66 offset0:9 offset1:10
	v_fma_f64 v[48:49], -v[54:55], v[76:77], v[48:49]
	v_fma_f64 v[46:47], -v[54:55], v[78:79], v[46:47]
	;; [unrolled: 1-line block ×3, first 2 shown]
	ds_read2_b64 v[76:79], v66 offset0:11 offset1:12
	v_fma_f64 v[42:43], -v[54:55], v[82:83], v[42:43]
	ds_read2_b64 v[80:83], v66 offset0:13 offset1:14
	s_waitcnt lgkmcnt(0)
	v_fma_f64 v[40:41], -v[54:55], v[72:73], v[40:41]
	v_fma_f64 v[38:39], -v[54:55], v[74:75], v[38:39]
	ds_read2_b64 v[72:75], v66 offset0:15 offset1:16
	v_fma_f64 v[36:37], -v[54:55], v[76:77], v[36:37]
	v_fma_f64 v[34:35], -v[54:55], v[78:79], v[34:35]
	ds_read2_b64 v[76:79], v66 offset0:17 offset1:18
	v_fma_f64 v[32:33], -v[54:55], v[80:81], v[32:33]
	v_fma_f64 v[28:29], -v[54:55], v[82:83], v[28:29]
	s_waitcnt lgkmcnt(0)
	v_fma_f64 v[30:31], -v[54:55], v[72:73], v[30:31]
	ds_read2_b64 v[80:83], v66 offset0:19 offset1:20
	v_fma_f64 v[26:27], -v[54:55], v[74:75], v[26:27]
	ds_read2_b64 v[72:75], v66 offset0:21 offset1:22
	v_fma_f64 v[24:25], -v[54:55], v[76:77], v[24:25]
	v_fma_f64 v[22:23], -v[54:55], v[78:79], v[22:23]
	s_waitcnt lgkmcnt(0)
	v_fma_f64 v[20:21], -v[54:55], v[80:81], v[20:21]
	v_fma_f64 v[18:19], -v[54:55], v[82:83], v[18:19]
	ds_read2_b64 v[76:79], v66 offset0:23 offset1:24
	ds_read2_b64 v[80:83], v66 offset0:25 offset1:26
	v_fma_f64 v[16:17], -v[54:55], v[72:73], v[16:17]
	v_fma_f64 v[14:15], -v[54:55], v[74:75], v[14:15]
	ds_read2_b64 v[72:75], v66 offset0:27 offset1:28
	s_waitcnt lgkmcnt(0)
	v_fma_f64 v[12:13], -v[54:55], v[76:77], v[12:13]
	v_fma_f64 v[10:11], -v[54:55], v[78:79], v[10:11]
	;; [unrolled: 1-line block ×6, first 2 shown]
.LBB56_46:
	s_or_b64 exec, exec, s[0:1]
	v_lshl_add_u32 v62, v67, 3, v66
	s_barrier
	ds_write_b64 v62, v[52:53]
	s_waitcnt lgkmcnt(0)
	s_barrier
	ds_read_b64 v[62:63], v66 offset:24
	s_cmp_lt_i32 s18, 5
	v_mov_b32_e32 v64, 3
	s_cbranch_scc1 .LBB56_49
; %bb.47:
	v_add3_u32 v72, v71, 0, 32
	s_mov_b32 s0, 4
	v_mov_b32_e32 v64, 3
.LBB56_48:                              ; =>This Inner Loop Header: Depth=1
	ds_read_b64 v[74:75], v72
	v_mov_b32_e32 v73, s0
	s_add_i32 s0, s0, 1
	v_add_u32_e32 v72, 8, v72
	s_cmp_lg_u32 s18, s0
	s_waitcnt lgkmcnt(0)
	v_cmp_lt_f64_e64 vcc, |v[62:63]|, |v[74:75]|
	v_cndmask_b32_e32 v63, v63, v75, vcc
	v_cndmask_b32_e32 v62, v62, v74, vcc
	;; [unrolled: 1-line block ×3, first 2 shown]
	s_cbranch_scc1 .LBB56_48
.LBB56_49:
	s_waitcnt lgkmcnt(0)
	v_cmp_eq_f64_e32 vcc, 0, v[62:63]
	s_and_saveexec_b64 s[0:1], vcc
	s_xor_b64 s[0:1], exec, s[0:1]
; %bb.50:
	v_cmp_ne_u32_e32 vcc, 0, v70
	v_cndmask_b32_e32 v70, 4, v70, vcc
; %bb.51:
	s_andn2_saveexec_b64 s[0:1], s[0:1]
; %bb.52:
	v_div_scale_f64 v[72:73], s[2:3], v[62:63], v[62:63], 1.0
	v_rcp_f64_e32 v[74:75], v[72:73]
	v_div_scale_f64 v[76:77], vcc, 1.0, v[62:63], 1.0
	v_fma_f64 v[78:79], -v[72:73], v[74:75], 1.0
	v_fmac_f64_e32 v[74:75], v[74:75], v[78:79]
	v_fma_f64 v[78:79], -v[72:73], v[74:75], 1.0
	v_fmac_f64_e32 v[74:75], v[74:75], v[78:79]
	v_mul_f64 v[78:79], v[76:77], v[74:75]
	v_fma_f64 v[72:73], -v[72:73], v[78:79], v[76:77]
	v_div_fmas_f64 v[72:73], v[72:73], v[74:75], v[78:79]
	v_div_fixup_f64 v[62:63], v[72:73], v[62:63], 1.0
; %bb.53:
	s_or_b64 exec, exec, s[0:1]
	v_cmp_ne_u32_e32 vcc, v67, v64
	s_and_saveexec_b64 s[0:1], vcc
	s_xor_b64 s[0:1], exec, s[0:1]
	s_cbranch_execz .LBB56_59
; %bb.54:
	v_cmp_eq_u32_e32 vcc, 3, v67
	s_and_saveexec_b64 s[2:3], vcc
	s_cbranch_execz .LBB56_58
; %bb.55:
	v_cmp_ne_u32_e32 vcc, 3, v64
	s_xor_b64 s[14:15], s[6:7], -1
	s_and_b64 s[16:17], s[14:15], vcc
	s_and_saveexec_b64 s[14:15], s[16:17]
	s_cbranch_execz .LBB56_57
; %bb.56:
	v_ashrrev_i32_e32 v65, 31, v64
	v_lshlrev_b64 v[72:73], 2, v[64:65]
	v_add_co_u32_e32 v72, vcc, v4, v72
	v_addc_co_u32_e32 v73, vcc, v5, v73, vcc
	flat_load_dword v65, v[72:73]
	flat_load_dword v67, v[4:5] offset:12
	s_waitcnt vmcnt(0) lgkmcnt(0)
	flat_store_dword v[4:5], v65 offset:12
	flat_store_dword v[72:73], v67
.LBB56_57:
	s_or_b64 exec, exec, s[14:15]
	v_mov_b32_e32 v65, v64
	v_mov_b32_e32 v67, v64
.LBB56_58:
	s_or_b64 exec, exec, s[2:3]
.LBB56_59:
	s_andn2_saveexec_b64 s[0:1], s[0:1]
	s_cbranch_execz .LBB56_61
; %bb.60:
	v_mov_b32_e32 v72, v50
	v_mov_b32_e32 v73, v51
	v_mov_b32_e32 v74, v48
	v_mov_b32_e32 v75, v49
	ds_write2_b64 v66, v[72:73], v[74:75] offset0:4 offset1:5
	v_mov_b32_e32 v72, v46
	v_mov_b32_e32 v73, v47
	v_mov_b32_e32 v74, v44
	v_mov_b32_e32 v75, v45
	ds_write2_b64 v66, v[72:73], v[74:75] offset0:6 offset1:7
	;; [unrolled: 5-line block ×11, first 2 shown]
	v_mov_b32_e32 v72, v6
	v_mov_b32_e32 v73, v7
	;; [unrolled: 1-line block ×5, first 2 shown]
	ds_write2_b64 v66, v[72:73], v[74:75] offset0:26 offset1:27
	ds_write_b64 v66, v[60:61] offset:224
.LBB56_61:
	s_or_b64 exec, exec, s[0:1]
	v_cmp_lt_i32_e32 vcc, 3, v67
	s_waitcnt lgkmcnt(0)
	s_barrier
	s_and_saveexec_b64 s[0:1], vcc
	s_cbranch_execz .LBB56_63
; %bb.62:
	ds_read2_b64 v[72:75], v66 offset0:4 offset1:5
	ds_read2_b64 v[76:79], v66 offset0:6 offset1:7
	;; [unrolled: 1-line block ×3, first 2 shown]
	v_mul_f64 v[52:53], v[62:63], v[52:53]
	ds_read_b64 v[62:63], v66 offset:224
	s_waitcnt lgkmcnt(0)
	v_fma_f64 v[50:51], -v[52:53], v[72:73], v[50:51]
	v_fma_f64 v[48:49], -v[52:53], v[74:75], v[48:49]
	ds_read2_b64 v[72:75], v66 offset0:10 offset1:11
	v_fma_f64 v[46:47], -v[52:53], v[76:77], v[46:47]
	v_fma_f64 v[44:45], -v[52:53], v[78:79], v[44:45]
	;; [unrolled: 1-line block ×3, first 2 shown]
	ds_read2_b64 v[76:79], v66 offset0:12 offset1:13
	v_fma_f64 v[40:41], -v[52:53], v[82:83], v[40:41]
	ds_read2_b64 v[80:83], v66 offset0:14 offset1:15
	s_waitcnt lgkmcnt(0)
	v_fma_f64 v[38:39], -v[52:53], v[72:73], v[38:39]
	v_fma_f64 v[36:37], -v[52:53], v[74:75], v[36:37]
	;; [unrolled: 1-line block ×3, first 2 shown]
	ds_read2_b64 v[72:75], v66 offset0:16 offset1:17
	v_fma_f64 v[32:33], -v[52:53], v[78:79], v[32:33]
	ds_read2_b64 v[76:79], v66 offset0:18 offset1:19
	v_fma_f64 v[28:29], -v[52:53], v[80:81], v[28:29]
	v_fma_f64 v[30:31], -v[52:53], v[82:83], v[30:31]
	ds_read2_b64 v[80:83], v66 offset0:20 offset1:21
	s_waitcnt lgkmcnt(0)
	v_fma_f64 v[26:27], -v[52:53], v[72:73], v[26:27]
	v_fma_f64 v[24:25], -v[52:53], v[74:75], v[24:25]
	ds_read2_b64 v[72:75], v66 offset0:22 offset1:23
	v_fma_f64 v[22:23], -v[52:53], v[76:77], v[22:23]
	v_fma_f64 v[20:21], -v[52:53], v[78:79], v[20:21]
	;; [unrolled: 1-line block ×4, first 2 shown]
	ds_read2_b64 v[76:79], v66 offset0:24 offset1:25
	ds_read2_b64 v[80:83], v66 offset0:26 offset1:27
	s_waitcnt lgkmcnt(0)
	v_fma_f64 v[14:15], -v[52:53], v[72:73], v[14:15]
	v_fma_f64 v[12:13], -v[52:53], v[74:75], v[12:13]
	;; [unrolled: 1-line block ×7, first 2 shown]
.LBB56_63:
	s_or_b64 exec, exec, s[0:1]
	v_lshl_add_u32 v62, v67, 3, v66
	s_barrier
	ds_write_b64 v62, v[50:51]
	s_waitcnt lgkmcnt(0)
	s_barrier
	ds_read_b64 v[62:63], v66 offset:32
	s_cmp_lt_i32 s18, 6
	v_mov_b32_e32 v64, 4
	s_cbranch_scc1 .LBB56_66
; %bb.64:
	v_add3_u32 v72, v71, 0, 40
	s_mov_b32 s0, 5
	v_mov_b32_e32 v64, 4
.LBB56_65:                              ; =>This Inner Loop Header: Depth=1
	ds_read_b64 v[74:75], v72
	v_mov_b32_e32 v73, s0
	s_add_i32 s0, s0, 1
	v_add_u32_e32 v72, 8, v72
	s_cmp_lg_u32 s18, s0
	s_waitcnt lgkmcnt(0)
	v_cmp_lt_f64_e64 vcc, |v[62:63]|, |v[74:75]|
	v_cndmask_b32_e32 v63, v63, v75, vcc
	v_cndmask_b32_e32 v62, v62, v74, vcc
	v_cndmask_b32_e32 v64, v64, v73, vcc
	s_cbranch_scc1 .LBB56_65
.LBB56_66:
	s_waitcnt lgkmcnt(0)
	v_cmp_eq_f64_e32 vcc, 0, v[62:63]
	s_and_saveexec_b64 s[0:1], vcc
	s_xor_b64 s[0:1], exec, s[0:1]
; %bb.67:
	v_cmp_ne_u32_e32 vcc, 0, v70
	v_cndmask_b32_e32 v70, 5, v70, vcc
; %bb.68:
	s_andn2_saveexec_b64 s[0:1], s[0:1]
; %bb.69:
	v_div_scale_f64 v[72:73], s[2:3], v[62:63], v[62:63], 1.0
	v_rcp_f64_e32 v[74:75], v[72:73]
	v_div_scale_f64 v[76:77], vcc, 1.0, v[62:63], 1.0
	v_fma_f64 v[78:79], -v[72:73], v[74:75], 1.0
	v_fmac_f64_e32 v[74:75], v[74:75], v[78:79]
	v_fma_f64 v[78:79], -v[72:73], v[74:75], 1.0
	v_fmac_f64_e32 v[74:75], v[74:75], v[78:79]
	v_mul_f64 v[78:79], v[76:77], v[74:75]
	v_fma_f64 v[72:73], -v[72:73], v[78:79], v[76:77]
	v_div_fmas_f64 v[72:73], v[72:73], v[74:75], v[78:79]
	v_div_fixup_f64 v[62:63], v[72:73], v[62:63], 1.0
; %bb.70:
	s_or_b64 exec, exec, s[0:1]
	v_cmp_ne_u32_e32 vcc, v67, v64
	s_and_saveexec_b64 s[0:1], vcc
	s_xor_b64 s[0:1], exec, s[0:1]
	s_cbranch_execz .LBB56_76
; %bb.71:
	v_cmp_eq_u32_e32 vcc, 4, v67
	s_and_saveexec_b64 s[2:3], vcc
	s_cbranch_execz .LBB56_75
; %bb.72:
	v_cmp_ne_u32_e32 vcc, 4, v64
	s_xor_b64 s[14:15], s[6:7], -1
	s_and_b64 s[16:17], s[14:15], vcc
	s_and_saveexec_b64 s[14:15], s[16:17]
	s_cbranch_execz .LBB56_74
; %bb.73:
	v_ashrrev_i32_e32 v65, 31, v64
	v_lshlrev_b64 v[72:73], 2, v[64:65]
	v_add_co_u32_e32 v72, vcc, v4, v72
	v_addc_co_u32_e32 v73, vcc, v5, v73, vcc
	flat_load_dword v65, v[72:73]
	flat_load_dword v67, v[4:5] offset:16
	s_waitcnt vmcnt(0) lgkmcnt(0)
	flat_store_dword v[4:5], v65 offset:16
	flat_store_dword v[72:73], v67
.LBB56_74:
	s_or_b64 exec, exec, s[14:15]
	v_mov_b32_e32 v65, v64
	v_mov_b32_e32 v67, v64
.LBB56_75:
	s_or_b64 exec, exec, s[2:3]
.LBB56_76:
	s_andn2_saveexec_b64 s[0:1], s[0:1]
	s_cbranch_execz .LBB56_78
; %bb.77:
	v_mov_b32_e32 v67, 4
	ds_write2_b64 v66, v[48:49], v[46:47] offset0:5 offset1:6
	ds_write2_b64 v66, v[44:45], v[42:43] offset0:7 offset1:8
	;; [unrolled: 1-line block ×12, first 2 shown]
.LBB56_78:
	s_or_b64 exec, exec, s[0:1]
	v_cmp_lt_i32_e32 vcc, 4, v67
	s_waitcnt lgkmcnt(0)
	s_barrier
	s_and_saveexec_b64 s[0:1], vcc
	s_cbranch_execz .LBB56_80
; %bb.79:
	ds_read2_b64 v[72:75], v66 offset0:5 offset1:6
	ds_read2_b64 v[76:79], v66 offset0:7 offset1:8
	;; [unrolled: 1-line block ×3, first 2 shown]
	v_mul_f64 v[50:51], v[62:63], v[50:51]
	s_waitcnt lgkmcnt(0)
	v_fma_f64 v[48:49], -v[50:51], v[72:73], v[48:49]
	v_fma_f64 v[46:47], -v[50:51], v[74:75], v[46:47]
	ds_read2_b64 v[72:75], v66 offset0:11 offset1:12
	v_fma_f64 v[44:45], -v[50:51], v[76:77], v[44:45]
	v_fma_f64 v[42:43], -v[50:51], v[78:79], v[42:43]
	;; [unrolled: 1-line block ×3, first 2 shown]
	ds_read2_b64 v[76:79], v66 offset0:13 offset1:14
	v_fma_f64 v[38:39], -v[50:51], v[82:83], v[38:39]
	ds_read2_b64 v[80:83], v66 offset0:15 offset1:16
	s_waitcnt lgkmcnt(0)
	v_fma_f64 v[36:37], -v[50:51], v[72:73], v[36:37]
	v_fma_f64 v[34:35], -v[50:51], v[74:75], v[34:35]
	;; [unrolled: 1-line block ×3, first 2 shown]
	ds_read2_b64 v[72:75], v66 offset0:17 offset1:18
	v_fma_f64 v[28:29], -v[50:51], v[78:79], v[28:29]
	ds_read2_b64 v[76:79], v66 offset0:19 offset1:20
	v_fma_f64 v[30:31], -v[50:51], v[80:81], v[30:31]
	v_fma_f64 v[26:27], -v[50:51], v[82:83], v[26:27]
	ds_read2_b64 v[80:83], v66 offset0:21 offset1:22
	s_waitcnt lgkmcnt(0)
	v_fma_f64 v[24:25], -v[50:51], v[72:73], v[24:25]
	v_fma_f64 v[22:23], -v[50:51], v[74:75], v[22:23]
	ds_read2_b64 v[72:75], v66 offset0:23 offset1:24
	v_fma_f64 v[20:21], -v[50:51], v[76:77], v[20:21]
	v_fma_f64 v[18:19], -v[50:51], v[78:79], v[18:19]
	;; [unrolled: 1-line block ×3, first 2 shown]
	ds_read2_b64 v[76:79], v66 offset0:25 offset1:26
	v_fma_f64 v[14:15], -v[50:51], v[82:83], v[14:15]
	ds_read2_b64 v[80:83], v66 offset0:27 offset1:28
	s_waitcnt lgkmcnt(0)
	v_fma_f64 v[12:13], -v[50:51], v[72:73], v[12:13]
	v_fma_f64 v[10:11], -v[50:51], v[74:75], v[10:11]
	v_fma_f64 v[8:9], -v[50:51], v[76:77], v[8:9]
	v_fma_f64 v[6:7], -v[50:51], v[78:79], v[6:7]
	v_fma_f64 v[0:1], -v[50:51], v[80:81], v[0:1]
	v_fma_f64 v[60:61], -v[50:51], v[82:83], v[60:61]
.LBB56_80:
	s_or_b64 exec, exec, s[0:1]
	v_lshl_add_u32 v62, v67, 3, v66
	s_barrier
	ds_write_b64 v62, v[48:49]
	s_waitcnt lgkmcnt(0)
	s_barrier
	ds_read_b64 v[62:63], v66 offset:40
	s_cmp_lt_i32 s18, 7
	v_mov_b32_e32 v64, 5
	s_cbranch_scc1 .LBB56_83
; %bb.81:
	v_add3_u32 v72, v71, 0, 48
	s_mov_b32 s0, 6
	v_mov_b32_e32 v64, 5
.LBB56_82:                              ; =>This Inner Loop Header: Depth=1
	ds_read_b64 v[74:75], v72
	v_mov_b32_e32 v73, s0
	s_add_i32 s0, s0, 1
	v_add_u32_e32 v72, 8, v72
	s_cmp_lg_u32 s18, s0
	s_waitcnt lgkmcnt(0)
	v_cmp_lt_f64_e64 vcc, |v[62:63]|, |v[74:75]|
	v_cndmask_b32_e32 v63, v63, v75, vcc
	v_cndmask_b32_e32 v62, v62, v74, vcc
	;; [unrolled: 1-line block ×3, first 2 shown]
	s_cbranch_scc1 .LBB56_82
.LBB56_83:
	s_waitcnt lgkmcnt(0)
	v_cmp_eq_f64_e32 vcc, 0, v[62:63]
	s_and_saveexec_b64 s[0:1], vcc
	s_xor_b64 s[0:1], exec, s[0:1]
; %bb.84:
	v_cmp_ne_u32_e32 vcc, 0, v70
	v_cndmask_b32_e32 v70, 6, v70, vcc
; %bb.85:
	s_andn2_saveexec_b64 s[0:1], s[0:1]
; %bb.86:
	v_div_scale_f64 v[72:73], s[2:3], v[62:63], v[62:63], 1.0
	v_rcp_f64_e32 v[74:75], v[72:73]
	v_div_scale_f64 v[76:77], vcc, 1.0, v[62:63], 1.0
	v_fma_f64 v[78:79], -v[72:73], v[74:75], 1.0
	v_fmac_f64_e32 v[74:75], v[74:75], v[78:79]
	v_fma_f64 v[78:79], -v[72:73], v[74:75], 1.0
	v_fmac_f64_e32 v[74:75], v[74:75], v[78:79]
	v_mul_f64 v[78:79], v[76:77], v[74:75]
	v_fma_f64 v[72:73], -v[72:73], v[78:79], v[76:77]
	v_div_fmas_f64 v[72:73], v[72:73], v[74:75], v[78:79]
	v_div_fixup_f64 v[62:63], v[72:73], v[62:63], 1.0
; %bb.87:
	s_or_b64 exec, exec, s[0:1]
	v_cmp_ne_u32_e32 vcc, v67, v64
	s_and_saveexec_b64 s[0:1], vcc
	s_xor_b64 s[0:1], exec, s[0:1]
	s_cbranch_execz .LBB56_93
; %bb.88:
	v_cmp_eq_u32_e32 vcc, 5, v67
	s_and_saveexec_b64 s[2:3], vcc
	s_cbranch_execz .LBB56_92
; %bb.89:
	v_cmp_ne_u32_e32 vcc, 5, v64
	s_xor_b64 s[14:15], s[6:7], -1
	s_and_b64 s[16:17], s[14:15], vcc
	s_and_saveexec_b64 s[14:15], s[16:17]
	s_cbranch_execz .LBB56_91
; %bb.90:
	v_ashrrev_i32_e32 v65, 31, v64
	v_lshlrev_b64 v[72:73], 2, v[64:65]
	v_add_co_u32_e32 v72, vcc, v4, v72
	v_addc_co_u32_e32 v73, vcc, v5, v73, vcc
	flat_load_dword v65, v[72:73]
	flat_load_dword v67, v[4:5] offset:20
	s_waitcnt vmcnt(0) lgkmcnt(0)
	flat_store_dword v[4:5], v65 offset:20
	flat_store_dword v[72:73], v67
.LBB56_91:
	s_or_b64 exec, exec, s[14:15]
	v_mov_b32_e32 v65, v64
	v_mov_b32_e32 v67, v64
.LBB56_92:
	s_or_b64 exec, exec, s[2:3]
.LBB56_93:
	s_andn2_saveexec_b64 s[0:1], s[0:1]
	s_cbranch_execz .LBB56_95
; %bb.94:
	v_mov_b32_e32 v72, v46
	v_mov_b32_e32 v73, v47
	v_mov_b32_e32 v74, v44
	v_mov_b32_e32 v75, v45
	ds_write2_b64 v66, v[72:73], v[74:75] offset0:6 offset1:7
	v_mov_b32_e32 v72, v42
	v_mov_b32_e32 v73, v43
	v_mov_b32_e32 v74, v40
	v_mov_b32_e32 v75, v41
	ds_write2_b64 v66, v[72:73], v[74:75] offset0:8 offset1:9
	;; [unrolled: 5-line block ×10, first 2 shown]
	v_mov_b32_e32 v72, v6
	v_mov_b32_e32 v73, v7
	;; [unrolled: 1-line block ×5, first 2 shown]
	ds_write2_b64 v66, v[72:73], v[74:75] offset0:26 offset1:27
	ds_write_b64 v66, v[60:61] offset:224
.LBB56_95:
	s_or_b64 exec, exec, s[0:1]
	v_cmp_lt_i32_e32 vcc, 5, v67
	s_waitcnt lgkmcnt(0)
	s_barrier
	s_and_saveexec_b64 s[0:1], vcc
	s_cbranch_execz .LBB56_97
; %bb.96:
	ds_read2_b64 v[72:75], v66 offset0:6 offset1:7
	ds_read2_b64 v[76:79], v66 offset0:8 offset1:9
	v_mul_f64 v[48:49], v[62:63], v[48:49]
	ds_read2_b64 v[80:83], v66 offset0:10 offset1:11
	ds_read_b64 v[62:63], v66 offset:224
	s_waitcnt lgkmcnt(0)
	v_fma_f64 v[46:47], -v[48:49], v[72:73], v[46:47]
	v_fma_f64 v[44:45], -v[48:49], v[74:75], v[44:45]
	ds_read2_b64 v[72:75], v66 offset0:12 offset1:13
	v_fma_f64 v[42:43], -v[48:49], v[76:77], v[42:43]
	v_fma_f64 v[40:41], -v[48:49], v[78:79], v[40:41]
	ds_read2_b64 v[76:79], v66 offset0:14 offset1:15
	;; [unrolled: 3-line block ×3, first 2 shown]
	s_waitcnt lgkmcnt(0)
	v_fma_f64 v[34:35], -v[48:49], v[72:73], v[34:35]
	v_fma_f64 v[32:33], -v[48:49], v[74:75], v[32:33]
	;; [unrolled: 1-line block ×3, first 2 shown]
	ds_read2_b64 v[72:75], v66 offset0:18 offset1:19
	v_fma_f64 v[30:31], -v[48:49], v[78:79], v[30:31]
	ds_read2_b64 v[76:79], v66 offset0:20 offset1:21
	v_fma_f64 v[26:27], -v[48:49], v[80:81], v[26:27]
	v_fma_f64 v[24:25], -v[48:49], v[82:83], v[24:25]
	s_waitcnt lgkmcnt(0)
	v_fma_f64 v[22:23], -v[48:49], v[72:73], v[22:23]
	ds_read2_b64 v[80:83], v66 offset0:22 offset1:23
	v_fma_f64 v[20:21], -v[48:49], v[74:75], v[20:21]
	ds_read2_b64 v[72:75], v66 offset0:24 offset1:25
	v_fma_f64 v[18:19], -v[48:49], v[76:77], v[18:19]
	v_fma_f64 v[16:17], -v[48:49], v[78:79], v[16:17]
	ds_read2_b64 v[76:79], v66 offset0:26 offset1:27
	s_waitcnt lgkmcnt(0)
	v_fma_f64 v[14:15], -v[48:49], v[80:81], v[14:15]
	v_fma_f64 v[12:13], -v[48:49], v[82:83], v[12:13]
	;; [unrolled: 1-line block ×7, first 2 shown]
.LBB56_97:
	s_or_b64 exec, exec, s[0:1]
	v_lshl_add_u32 v62, v67, 3, v66
	s_barrier
	ds_write_b64 v62, v[46:47]
	s_waitcnt lgkmcnt(0)
	s_barrier
	ds_read_b64 v[62:63], v66 offset:48
	s_cmp_lt_i32 s18, 8
	v_mov_b32_e32 v64, 6
	s_cbranch_scc1 .LBB56_100
; %bb.98:
	v_add3_u32 v72, v71, 0, 56
	s_mov_b32 s0, 7
	v_mov_b32_e32 v64, 6
.LBB56_99:                              ; =>This Inner Loop Header: Depth=1
	ds_read_b64 v[74:75], v72
	v_mov_b32_e32 v73, s0
	s_add_i32 s0, s0, 1
	v_add_u32_e32 v72, 8, v72
	s_cmp_lg_u32 s18, s0
	s_waitcnt lgkmcnt(0)
	v_cmp_lt_f64_e64 vcc, |v[62:63]|, |v[74:75]|
	v_cndmask_b32_e32 v63, v63, v75, vcc
	v_cndmask_b32_e32 v62, v62, v74, vcc
	;; [unrolled: 1-line block ×3, first 2 shown]
	s_cbranch_scc1 .LBB56_99
.LBB56_100:
	s_waitcnt lgkmcnt(0)
	v_cmp_eq_f64_e32 vcc, 0, v[62:63]
	s_and_saveexec_b64 s[0:1], vcc
	s_xor_b64 s[0:1], exec, s[0:1]
; %bb.101:
	v_cmp_ne_u32_e32 vcc, 0, v70
	v_cndmask_b32_e32 v70, 7, v70, vcc
; %bb.102:
	s_andn2_saveexec_b64 s[0:1], s[0:1]
; %bb.103:
	v_div_scale_f64 v[72:73], s[2:3], v[62:63], v[62:63], 1.0
	v_rcp_f64_e32 v[74:75], v[72:73]
	v_div_scale_f64 v[76:77], vcc, 1.0, v[62:63], 1.0
	v_fma_f64 v[78:79], -v[72:73], v[74:75], 1.0
	v_fmac_f64_e32 v[74:75], v[74:75], v[78:79]
	v_fma_f64 v[78:79], -v[72:73], v[74:75], 1.0
	v_fmac_f64_e32 v[74:75], v[74:75], v[78:79]
	v_mul_f64 v[78:79], v[76:77], v[74:75]
	v_fma_f64 v[72:73], -v[72:73], v[78:79], v[76:77]
	v_div_fmas_f64 v[72:73], v[72:73], v[74:75], v[78:79]
	v_div_fixup_f64 v[62:63], v[72:73], v[62:63], 1.0
; %bb.104:
	s_or_b64 exec, exec, s[0:1]
	v_cmp_ne_u32_e32 vcc, v67, v64
	s_and_saveexec_b64 s[0:1], vcc
	s_xor_b64 s[0:1], exec, s[0:1]
	s_cbranch_execz .LBB56_110
; %bb.105:
	v_cmp_eq_u32_e32 vcc, 6, v67
	s_and_saveexec_b64 s[2:3], vcc
	s_cbranch_execz .LBB56_109
; %bb.106:
	v_cmp_ne_u32_e32 vcc, 6, v64
	s_xor_b64 s[14:15], s[6:7], -1
	s_and_b64 s[16:17], s[14:15], vcc
	s_and_saveexec_b64 s[14:15], s[16:17]
	s_cbranch_execz .LBB56_108
; %bb.107:
	v_ashrrev_i32_e32 v65, 31, v64
	v_lshlrev_b64 v[72:73], 2, v[64:65]
	v_add_co_u32_e32 v72, vcc, v4, v72
	v_addc_co_u32_e32 v73, vcc, v5, v73, vcc
	flat_load_dword v65, v[72:73]
	flat_load_dword v67, v[4:5] offset:24
	s_waitcnt vmcnt(0) lgkmcnt(0)
	flat_store_dword v[4:5], v65 offset:24
	flat_store_dword v[72:73], v67
.LBB56_108:
	s_or_b64 exec, exec, s[14:15]
	v_mov_b32_e32 v65, v64
	v_mov_b32_e32 v67, v64
.LBB56_109:
	s_or_b64 exec, exec, s[2:3]
.LBB56_110:
	s_andn2_saveexec_b64 s[0:1], s[0:1]
	s_cbranch_execz .LBB56_112
; %bb.111:
	v_mov_b32_e32 v67, 6
	ds_write2_b64 v66, v[44:45], v[42:43] offset0:7 offset1:8
	ds_write2_b64 v66, v[40:41], v[38:39] offset0:9 offset1:10
	;; [unrolled: 1-line block ×11, first 2 shown]
.LBB56_112:
	s_or_b64 exec, exec, s[0:1]
	v_cmp_lt_i32_e32 vcc, 6, v67
	s_waitcnt lgkmcnt(0)
	s_barrier
	s_and_saveexec_b64 s[0:1], vcc
	s_cbranch_execz .LBB56_114
; %bb.113:
	ds_read2_b64 v[72:75], v66 offset0:7 offset1:8
	ds_read2_b64 v[76:79], v66 offset0:9 offset1:10
	v_mul_f64 v[46:47], v[62:63], v[46:47]
	ds_read2_b64 v[80:83], v66 offset0:11 offset1:12
	s_waitcnt lgkmcnt(0)
	v_fma_f64 v[44:45], -v[46:47], v[72:73], v[44:45]
	v_fma_f64 v[42:43], -v[46:47], v[74:75], v[42:43]
	ds_read2_b64 v[72:75], v66 offset0:13 offset1:14
	v_fma_f64 v[40:41], -v[46:47], v[76:77], v[40:41]
	v_fma_f64 v[38:39], -v[46:47], v[78:79], v[38:39]
	ds_read2_b64 v[76:79], v66 offset0:15 offset1:16
	;; [unrolled: 3-line block ×3, first 2 shown]
	s_waitcnt lgkmcnt(0)
	v_fma_f64 v[32:33], -v[46:47], v[72:73], v[32:33]
	v_fma_f64 v[28:29], -v[46:47], v[74:75], v[28:29]
	;; [unrolled: 1-line block ×3, first 2 shown]
	ds_read2_b64 v[72:75], v66 offset0:19 offset1:20
	v_fma_f64 v[26:27], -v[46:47], v[78:79], v[26:27]
	ds_read2_b64 v[76:79], v66 offset0:21 offset1:22
	v_fma_f64 v[24:25], -v[46:47], v[80:81], v[24:25]
	v_fma_f64 v[22:23], -v[46:47], v[82:83], v[22:23]
	s_waitcnt lgkmcnt(0)
	v_fma_f64 v[20:21], -v[46:47], v[72:73], v[20:21]
	v_fma_f64 v[18:19], -v[46:47], v[74:75], v[18:19]
	ds_read2_b64 v[72:75], v66 offset0:23 offset1:24
	ds_read2_b64 v[80:83], v66 offset0:25 offset1:26
	v_fma_f64 v[16:17], -v[46:47], v[76:77], v[16:17]
	v_fma_f64 v[14:15], -v[46:47], v[78:79], v[14:15]
	ds_read2_b64 v[76:79], v66 offset0:27 offset1:28
	s_waitcnt lgkmcnt(0)
	v_fma_f64 v[12:13], -v[46:47], v[72:73], v[12:13]
	v_fma_f64 v[10:11], -v[46:47], v[74:75], v[10:11]
	;; [unrolled: 1-line block ×6, first 2 shown]
.LBB56_114:
	s_or_b64 exec, exec, s[0:1]
	v_lshl_add_u32 v62, v67, 3, v66
	s_barrier
	ds_write_b64 v62, v[44:45]
	s_waitcnt lgkmcnt(0)
	s_barrier
	ds_read_b64 v[62:63], v66 offset:56
	s_cmp_lt_i32 s18, 9
	v_mov_b32_e32 v64, 7
	s_cbranch_scc1 .LBB56_117
; %bb.115:
	v_add3_u32 v71, v71, 0, 64
	s_mov_b32 s0, 8
	v_mov_b32_e32 v64, 7
.LBB56_116:                             ; =>This Inner Loop Header: Depth=1
	ds_read_b64 v[72:73], v71
	v_mov_b32_e32 v74, s0
	s_add_i32 s0, s0, 1
	v_add_u32_e32 v71, 8, v71
	s_cmp_lg_u32 s18, s0
	s_waitcnt lgkmcnt(0)
	v_cmp_lt_f64_e64 vcc, |v[62:63]|, |v[72:73]|
	v_cndmask_b32_e32 v63, v63, v73, vcc
	v_cndmask_b32_e32 v62, v62, v72, vcc
	;; [unrolled: 1-line block ×3, first 2 shown]
	s_cbranch_scc1 .LBB56_116
.LBB56_117:
	s_waitcnt lgkmcnt(0)
	v_cmp_eq_f64_e32 vcc, 0, v[62:63]
	s_and_saveexec_b64 s[0:1], vcc
	s_xor_b64 s[0:1], exec, s[0:1]
; %bb.118:
	v_cmp_ne_u32_e32 vcc, 0, v70
	v_cndmask_b32_e32 v70, 8, v70, vcc
; %bb.119:
	s_andn2_saveexec_b64 s[0:1], s[0:1]
; %bb.120:
	v_div_scale_f64 v[72:73], s[2:3], v[62:63], v[62:63], 1.0
	v_rcp_f64_e32 v[74:75], v[72:73]
	v_div_scale_f64 v[76:77], vcc, 1.0, v[62:63], 1.0
	v_fma_f64 v[78:79], -v[72:73], v[74:75], 1.0
	v_fmac_f64_e32 v[74:75], v[74:75], v[78:79]
	v_fma_f64 v[78:79], -v[72:73], v[74:75], 1.0
	v_fmac_f64_e32 v[74:75], v[74:75], v[78:79]
	v_mul_f64 v[78:79], v[76:77], v[74:75]
	v_fma_f64 v[72:73], -v[72:73], v[78:79], v[76:77]
	v_div_fmas_f64 v[72:73], v[72:73], v[74:75], v[78:79]
	v_div_fixup_f64 v[62:63], v[72:73], v[62:63], 1.0
; %bb.121:
	s_or_b64 exec, exec, s[0:1]
	v_cmp_ne_u32_e32 vcc, v67, v64
	s_and_saveexec_b64 s[0:1], vcc
	s_xor_b64 s[0:1], exec, s[0:1]
	s_cbranch_execz .LBB56_127
; %bb.122:
	v_cmp_eq_u32_e32 vcc, 7, v67
	s_and_saveexec_b64 s[2:3], vcc
	s_cbranch_execz .LBB56_126
; %bb.123:
	v_cmp_ne_u32_e32 vcc, 7, v64
	s_xor_b64 s[14:15], s[6:7], -1
	s_and_b64 s[16:17], s[14:15], vcc
	s_and_saveexec_b64 s[14:15], s[16:17]
	s_cbranch_execz .LBB56_125
; %bb.124:
	v_ashrrev_i32_e32 v65, 31, v64
	v_lshlrev_b64 v[72:73], 2, v[64:65]
	v_add_co_u32_e32 v72, vcc, v4, v72
	v_addc_co_u32_e32 v73, vcc, v5, v73, vcc
	flat_load_dword v65, v[72:73]
	flat_load_dword v67, v[4:5] offset:28
	s_waitcnt vmcnt(0) lgkmcnt(0)
	flat_store_dword v[4:5], v65 offset:28
	flat_store_dword v[72:73], v67
.LBB56_125:
	s_or_b64 exec, exec, s[14:15]
	v_mov_b32_e32 v65, v64
	v_mov_b32_e32 v67, v64
.LBB56_126:
	s_or_b64 exec, exec, s[2:3]
.LBB56_127:
	s_andn2_saveexec_b64 s[0:1], s[0:1]
	s_cbranch_execz .LBB56_129
; %bb.128:
	v_mov_b32_e32 v72, v42
	v_mov_b32_e32 v73, v43
	v_mov_b32_e32 v74, v40
	v_mov_b32_e32 v75, v41
	ds_write2_b64 v66, v[72:73], v[74:75] offset0:8 offset1:9
	v_mov_b32_e32 v72, v38
	v_mov_b32_e32 v73, v39
	v_mov_b32_e32 v74, v36
	v_mov_b32_e32 v75, v37
	ds_write2_b64 v66, v[72:73], v[74:75] offset0:10 offset1:11
	;; [unrolled: 5-line block ×9, first 2 shown]
	v_mov_b32_e32 v72, v6
	v_mov_b32_e32 v73, v7
	;; [unrolled: 1-line block ×5, first 2 shown]
	ds_write2_b64 v66, v[72:73], v[74:75] offset0:26 offset1:27
	ds_write_b64 v66, v[60:61] offset:224
.LBB56_129:
	s_or_b64 exec, exec, s[0:1]
	v_cmp_lt_i32_e32 vcc, 7, v67
	s_waitcnt lgkmcnt(0)
	s_barrier
	s_and_saveexec_b64 s[0:1], vcc
	s_cbranch_execz .LBB56_131
; %bb.130:
	ds_read2_b64 v[72:75], v66 offset0:8 offset1:9
	ds_read2_b64 v[76:79], v66 offset0:10 offset1:11
	v_mul_f64 v[44:45], v[62:63], v[44:45]
	ds_read2_b64 v[80:83], v66 offset0:12 offset1:13
	ds_read_b64 v[62:63], v66 offset:224
	s_waitcnt lgkmcnt(0)
	v_fma_f64 v[42:43], -v[44:45], v[72:73], v[42:43]
	v_fma_f64 v[40:41], -v[44:45], v[74:75], v[40:41]
	ds_read2_b64 v[72:75], v66 offset0:14 offset1:15
	v_fma_f64 v[38:39], -v[44:45], v[76:77], v[38:39]
	v_fma_f64 v[36:37], -v[44:45], v[78:79], v[36:37]
	;; [unrolled: 1-line block ×3, first 2 shown]
	ds_read2_b64 v[76:79], v66 offset0:16 offset1:17
	v_fma_f64 v[32:33], -v[44:45], v[82:83], v[32:33]
	ds_read2_b64 v[80:83], v66 offset0:18 offset1:19
	s_waitcnt lgkmcnt(0)
	v_fma_f64 v[28:29], -v[44:45], v[72:73], v[28:29]
	v_fma_f64 v[30:31], -v[44:45], v[74:75], v[30:31]
	ds_read2_b64 v[72:75], v66 offset0:20 offset1:21
	v_fma_f64 v[26:27], -v[44:45], v[76:77], v[26:27]
	v_fma_f64 v[24:25], -v[44:45], v[78:79], v[24:25]
	ds_read2_b64 v[76:79], v66 offset0:22 offset1:23
	v_fma_f64 v[22:23], -v[44:45], v[80:81], v[22:23]
	v_fma_f64 v[20:21], -v[44:45], v[82:83], v[20:21]
	s_waitcnt lgkmcnt(0)
	v_fma_f64 v[18:19], -v[44:45], v[72:73], v[18:19]
	v_fma_f64 v[16:17], -v[44:45], v[74:75], v[16:17]
	ds_read2_b64 v[72:75], v66 offset0:24 offset1:25
	ds_read2_b64 v[80:83], v66 offset0:26 offset1:27
	v_fma_f64 v[14:15], -v[44:45], v[76:77], v[14:15]
	v_fma_f64 v[12:13], -v[44:45], v[78:79], v[12:13]
	;; [unrolled: 1-line block ×3, first 2 shown]
	s_waitcnt lgkmcnt(0)
	v_fma_f64 v[10:11], -v[44:45], v[72:73], v[10:11]
	v_fma_f64 v[8:9], -v[44:45], v[74:75], v[8:9]
	;; [unrolled: 1-line block ×4, first 2 shown]
.LBB56_131:
	s_or_b64 exec, exec, s[0:1]
	v_lshl_add_u32 v62, v67, 3, v66
	s_barrier
	ds_write_b64 v62, v[42:43]
	s_waitcnt lgkmcnt(0)
	s_barrier
	ds_read_b64 v[62:63], v66 offset:64
	s_cmp_lt_i32 s18, 10
	v_mov_b32_e32 v64, 8
	s_cbranch_scc1 .LBB56_134
; %bb.132:
	v_add_u32_e32 v71, 0x48, v66
	s_mov_b32 s0, 9
	v_mov_b32_e32 v64, 8
.LBB56_133:                             ; =>This Inner Loop Header: Depth=1
	ds_read_b64 v[72:73], v71
	v_mov_b32_e32 v74, s0
	s_add_i32 s0, s0, 1
	v_add_u32_e32 v71, 8, v71
	s_cmp_lg_u32 s18, s0
	s_waitcnt lgkmcnt(0)
	v_cmp_lt_f64_e64 vcc, |v[62:63]|, |v[72:73]|
	v_cndmask_b32_e32 v63, v63, v73, vcc
	v_cndmask_b32_e32 v62, v62, v72, vcc
	;; [unrolled: 1-line block ×3, first 2 shown]
	s_cbranch_scc1 .LBB56_133
.LBB56_134:
	s_waitcnt lgkmcnt(0)
	v_cmp_eq_f64_e32 vcc, 0, v[62:63]
	s_and_saveexec_b64 s[0:1], vcc
	s_xor_b64 s[0:1], exec, s[0:1]
; %bb.135:
	v_cmp_ne_u32_e32 vcc, 0, v70
	v_cndmask_b32_e32 v70, 9, v70, vcc
; %bb.136:
	s_andn2_saveexec_b64 s[0:1], s[0:1]
; %bb.137:
	v_div_scale_f64 v[72:73], s[2:3], v[62:63], v[62:63], 1.0
	v_rcp_f64_e32 v[74:75], v[72:73]
	v_div_scale_f64 v[76:77], vcc, 1.0, v[62:63], 1.0
	v_fma_f64 v[78:79], -v[72:73], v[74:75], 1.0
	v_fmac_f64_e32 v[74:75], v[74:75], v[78:79]
	v_fma_f64 v[78:79], -v[72:73], v[74:75], 1.0
	v_fmac_f64_e32 v[74:75], v[74:75], v[78:79]
	v_mul_f64 v[78:79], v[76:77], v[74:75]
	v_fma_f64 v[72:73], -v[72:73], v[78:79], v[76:77]
	v_div_fmas_f64 v[72:73], v[72:73], v[74:75], v[78:79]
	v_div_fixup_f64 v[62:63], v[72:73], v[62:63], 1.0
; %bb.138:
	s_or_b64 exec, exec, s[0:1]
	v_cmp_ne_u32_e32 vcc, v67, v64
	s_and_saveexec_b64 s[0:1], vcc
	s_xor_b64 s[0:1], exec, s[0:1]
	s_cbranch_execz .LBB56_144
; %bb.139:
	v_cmp_eq_u32_e32 vcc, 8, v67
	s_and_saveexec_b64 s[2:3], vcc
	s_cbranch_execz .LBB56_143
; %bb.140:
	v_cmp_ne_u32_e32 vcc, 8, v64
	s_xor_b64 s[14:15], s[6:7], -1
	s_and_b64 s[16:17], s[14:15], vcc
	s_and_saveexec_b64 s[14:15], s[16:17]
	s_cbranch_execz .LBB56_142
; %bb.141:
	v_ashrrev_i32_e32 v65, 31, v64
	v_lshlrev_b64 v[72:73], 2, v[64:65]
	v_add_co_u32_e32 v72, vcc, v4, v72
	v_addc_co_u32_e32 v73, vcc, v5, v73, vcc
	flat_load_dword v65, v[72:73]
	flat_load_dword v67, v[4:5] offset:32
	s_waitcnt vmcnt(0) lgkmcnt(0)
	flat_store_dword v[4:5], v65 offset:32
	flat_store_dword v[72:73], v67
.LBB56_142:
	s_or_b64 exec, exec, s[14:15]
	v_mov_b32_e32 v65, v64
	v_mov_b32_e32 v67, v64
.LBB56_143:
	s_or_b64 exec, exec, s[2:3]
.LBB56_144:
	s_andn2_saveexec_b64 s[0:1], s[0:1]
	s_cbranch_execz .LBB56_146
; %bb.145:
	v_mov_b32_e32 v67, 8
	ds_write2_b64 v66, v[40:41], v[38:39] offset0:9 offset1:10
	ds_write2_b64 v66, v[36:37], v[34:35] offset0:11 offset1:12
	;; [unrolled: 1-line block ×10, first 2 shown]
.LBB56_146:
	s_or_b64 exec, exec, s[0:1]
	v_cmp_lt_i32_e32 vcc, 8, v67
	s_waitcnt lgkmcnt(0)
	s_barrier
	s_and_saveexec_b64 s[0:1], vcc
	s_cbranch_execz .LBB56_148
; %bb.147:
	ds_read2_b64 v[72:75], v66 offset0:9 offset1:10
	ds_read2_b64 v[76:79], v66 offset0:11 offset1:12
	v_mul_f64 v[42:43], v[62:63], v[42:43]
	ds_read2_b64 v[80:83], v66 offset0:13 offset1:14
	s_waitcnt lgkmcnt(0)
	v_fma_f64 v[40:41], -v[42:43], v[72:73], v[40:41]
	v_fma_f64 v[38:39], -v[42:43], v[74:75], v[38:39]
	ds_read2_b64 v[72:75], v66 offset0:15 offset1:16
	v_fma_f64 v[36:37], -v[42:43], v[76:77], v[36:37]
	v_fma_f64 v[34:35], -v[42:43], v[78:79], v[34:35]
	;; [unrolled: 1-line block ×3, first 2 shown]
	ds_read2_b64 v[76:79], v66 offset0:17 offset1:18
	v_fma_f64 v[28:29], -v[42:43], v[82:83], v[28:29]
	ds_read2_b64 v[80:83], v66 offset0:19 offset1:20
	s_waitcnt lgkmcnt(0)
	v_fma_f64 v[30:31], -v[42:43], v[72:73], v[30:31]
	v_fma_f64 v[26:27], -v[42:43], v[74:75], v[26:27]
	ds_read2_b64 v[72:75], v66 offset0:21 offset1:22
	v_fma_f64 v[24:25], -v[42:43], v[76:77], v[24:25]
	v_fma_f64 v[22:23], -v[42:43], v[78:79], v[22:23]
	ds_read2_b64 v[76:79], v66 offset0:23 offset1:24
	v_fma_f64 v[20:21], -v[42:43], v[80:81], v[20:21]
	v_fma_f64 v[18:19], -v[42:43], v[82:83], v[18:19]
	s_waitcnt lgkmcnt(0)
	v_fma_f64 v[16:17], -v[42:43], v[72:73], v[16:17]
	ds_read2_b64 v[80:83], v66 offset0:25 offset1:26
	v_fma_f64 v[14:15], -v[42:43], v[74:75], v[14:15]
	ds_read2_b64 v[72:75], v66 offset0:27 offset1:28
	v_fma_f64 v[12:13], -v[42:43], v[76:77], v[12:13]
	v_fma_f64 v[10:11], -v[42:43], v[78:79], v[10:11]
	s_waitcnt lgkmcnt(0)
	v_fma_f64 v[8:9], -v[42:43], v[80:81], v[8:9]
	v_fma_f64 v[6:7], -v[42:43], v[82:83], v[6:7]
	;; [unrolled: 1-line block ×4, first 2 shown]
.LBB56_148:
	s_or_b64 exec, exec, s[0:1]
	v_lshl_add_u32 v62, v67, 3, v66
	s_barrier
	ds_write_b64 v62, v[40:41]
	s_waitcnt lgkmcnt(0)
	s_barrier
	ds_read_b64 v[62:63], v66 offset:72
	s_cmp_lt_i32 s18, 11
	v_mov_b32_e32 v64, 9
	s_cbranch_scc1 .LBB56_151
; %bb.149:
	v_add_u32_e32 v71, 0x50, v66
	s_mov_b32 s0, 10
	v_mov_b32_e32 v64, 9
.LBB56_150:                             ; =>This Inner Loop Header: Depth=1
	ds_read_b64 v[72:73], v71
	v_mov_b32_e32 v74, s0
	s_add_i32 s0, s0, 1
	v_add_u32_e32 v71, 8, v71
	s_cmp_lg_u32 s18, s0
	s_waitcnt lgkmcnt(0)
	v_cmp_lt_f64_e64 vcc, |v[62:63]|, |v[72:73]|
	v_cndmask_b32_e32 v63, v63, v73, vcc
	v_cndmask_b32_e32 v62, v62, v72, vcc
	;; [unrolled: 1-line block ×3, first 2 shown]
	s_cbranch_scc1 .LBB56_150
.LBB56_151:
	s_waitcnt lgkmcnt(0)
	v_cmp_eq_f64_e32 vcc, 0, v[62:63]
	s_and_saveexec_b64 s[0:1], vcc
	s_xor_b64 s[0:1], exec, s[0:1]
; %bb.152:
	v_cmp_ne_u32_e32 vcc, 0, v70
	v_cndmask_b32_e32 v70, 10, v70, vcc
; %bb.153:
	s_andn2_saveexec_b64 s[0:1], s[0:1]
; %bb.154:
	v_div_scale_f64 v[72:73], s[2:3], v[62:63], v[62:63], 1.0
	v_rcp_f64_e32 v[74:75], v[72:73]
	v_div_scale_f64 v[76:77], vcc, 1.0, v[62:63], 1.0
	v_fma_f64 v[78:79], -v[72:73], v[74:75], 1.0
	v_fmac_f64_e32 v[74:75], v[74:75], v[78:79]
	v_fma_f64 v[78:79], -v[72:73], v[74:75], 1.0
	v_fmac_f64_e32 v[74:75], v[74:75], v[78:79]
	v_mul_f64 v[78:79], v[76:77], v[74:75]
	v_fma_f64 v[72:73], -v[72:73], v[78:79], v[76:77]
	v_div_fmas_f64 v[72:73], v[72:73], v[74:75], v[78:79]
	v_div_fixup_f64 v[62:63], v[72:73], v[62:63], 1.0
; %bb.155:
	s_or_b64 exec, exec, s[0:1]
	v_cmp_ne_u32_e32 vcc, v67, v64
	s_and_saveexec_b64 s[0:1], vcc
	s_xor_b64 s[0:1], exec, s[0:1]
	s_cbranch_execz .LBB56_161
; %bb.156:
	v_cmp_eq_u32_e32 vcc, 9, v67
	s_and_saveexec_b64 s[2:3], vcc
	s_cbranch_execz .LBB56_160
; %bb.157:
	v_cmp_ne_u32_e32 vcc, 9, v64
	s_xor_b64 s[14:15], s[6:7], -1
	s_and_b64 s[16:17], s[14:15], vcc
	s_and_saveexec_b64 s[14:15], s[16:17]
	s_cbranch_execz .LBB56_159
; %bb.158:
	v_ashrrev_i32_e32 v65, 31, v64
	v_lshlrev_b64 v[72:73], 2, v[64:65]
	v_add_co_u32_e32 v72, vcc, v4, v72
	v_addc_co_u32_e32 v73, vcc, v5, v73, vcc
	flat_load_dword v65, v[72:73]
	flat_load_dword v67, v[4:5] offset:36
	s_waitcnt vmcnt(0) lgkmcnt(0)
	flat_store_dword v[4:5], v65 offset:36
	flat_store_dword v[72:73], v67
.LBB56_159:
	s_or_b64 exec, exec, s[14:15]
	v_mov_b32_e32 v65, v64
	v_mov_b32_e32 v67, v64
.LBB56_160:
	s_or_b64 exec, exec, s[2:3]
.LBB56_161:
	s_andn2_saveexec_b64 s[0:1], s[0:1]
	s_cbranch_execz .LBB56_163
; %bb.162:
	v_mov_b32_e32 v72, v38
	v_mov_b32_e32 v73, v39
	v_mov_b32_e32 v74, v36
	v_mov_b32_e32 v75, v37
	ds_write2_b64 v66, v[72:73], v[74:75] offset0:10 offset1:11
	v_mov_b32_e32 v72, v34
	v_mov_b32_e32 v73, v35
	v_mov_b32_e32 v74, v32
	v_mov_b32_e32 v75, v33
	ds_write2_b64 v66, v[72:73], v[74:75] offset0:12 offset1:13
	;; [unrolled: 5-line block ×8, first 2 shown]
	v_mov_b32_e32 v72, v6
	v_mov_b32_e32 v73, v7
	;; [unrolled: 1-line block ×5, first 2 shown]
	ds_write2_b64 v66, v[72:73], v[74:75] offset0:26 offset1:27
	ds_write_b64 v66, v[60:61] offset:224
.LBB56_163:
	s_or_b64 exec, exec, s[0:1]
	v_cmp_lt_i32_e32 vcc, 9, v67
	s_waitcnt lgkmcnt(0)
	s_barrier
	s_and_saveexec_b64 s[0:1], vcc
	s_cbranch_execz .LBB56_165
; %bb.164:
	ds_read2_b64 v[72:75], v66 offset0:10 offset1:11
	ds_read2_b64 v[76:79], v66 offset0:12 offset1:13
	;; [unrolled: 1-line block ×3, first 2 shown]
	v_mul_f64 v[40:41], v[62:63], v[40:41]
	ds_read_b64 v[62:63], v66 offset:224
	s_waitcnt lgkmcnt(0)
	v_fma_f64 v[38:39], -v[40:41], v[72:73], v[38:39]
	v_fma_f64 v[36:37], -v[40:41], v[74:75], v[36:37]
	ds_read2_b64 v[72:75], v66 offset0:16 offset1:17
	v_fma_f64 v[34:35], -v[40:41], v[76:77], v[34:35]
	v_fma_f64 v[32:33], -v[40:41], v[78:79], v[32:33]
	;; [unrolled: 1-line block ×3, first 2 shown]
	ds_read2_b64 v[76:79], v66 offset0:18 offset1:19
	v_fma_f64 v[30:31], -v[40:41], v[82:83], v[30:31]
	ds_read2_b64 v[80:83], v66 offset0:20 offset1:21
	s_waitcnt lgkmcnt(0)
	v_fma_f64 v[26:27], -v[40:41], v[72:73], v[26:27]
	v_fma_f64 v[24:25], -v[40:41], v[74:75], v[24:25]
	;; [unrolled: 1-line block ×3, first 2 shown]
	ds_read2_b64 v[72:75], v66 offset0:22 offset1:23
	v_fma_f64 v[20:21], -v[40:41], v[78:79], v[20:21]
	ds_read2_b64 v[76:79], v66 offset0:24 offset1:25
	v_fma_f64 v[18:19], -v[40:41], v[80:81], v[18:19]
	v_fma_f64 v[16:17], -v[40:41], v[82:83], v[16:17]
	ds_read2_b64 v[80:83], v66 offset0:26 offset1:27
	s_waitcnt lgkmcnt(0)
	v_fma_f64 v[14:15], -v[40:41], v[72:73], v[14:15]
	v_fma_f64 v[12:13], -v[40:41], v[74:75], v[12:13]
	;; [unrolled: 1-line block ×7, first 2 shown]
.LBB56_165:
	s_or_b64 exec, exec, s[0:1]
	v_lshl_add_u32 v62, v67, 3, v66
	s_barrier
	ds_write_b64 v62, v[38:39]
	s_waitcnt lgkmcnt(0)
	s_barrier
	ds_read_b64 v[62:63], v66 offset:80
	s_cmp_lt_i32 s18, 12
	v_mov_b32_e32 v64, 10
	s_cbranch_scc1 .LBB56_168
; %bb.166:
	v_add_u32_e32 v71, 0x58, v66
	s_mov_b32 s0, 11
	v_mov_b32_e32 v64, 10
.LBB56_167:                             ; =>This Inner Loop Header: Depth=1
	ds_read_b64 v[72:73], v71
	v_mov_b32_e32 v74, s0
	s_add_i32 s0, s0, 1
	v_add_u32_e32 v71, 8, v71
	s_cmp_lg_u32 s18, s0
	s_waitcnt lgkmcnt(0)
	v_cmp_lt_f64_e64 vcc, |v[62:63]|, |v[72:73]|
	v_cndmask_b32_e32 v63, v63, v73, vcc
	v_cndmask_b32_e32 v62, v62, v72, vcc
	;; [unrolled: 1-line block ×3, first 2 shown]
	s_cbranch_scc1 .LBB56_167
.LBB56_168:
	s_waitcnt lgkmcnt(0)
	v_cmp_eq_f64_e32 vcc, 0, v[62:63]
	s_and_saveexec_b64 s[0:1], vcc
	s_xor_b64 s[0:1], exec, s[0:1]
; %bb.169:
	v_cmp_ne_u32_e32 vcc, 0, v70
	v_cndmask_b32_e32 v70, 11, v70, vcc
; %bb.170:
	s_andn2_saveexec_b64 s[0:1], s[0:1]
; %bb.171:
	v_div_scale_f64 v[72:73], s[2:3], v[62:63], v[62:63], 1.0
	v_rcp_f64_e32 v[74:75], v[72:73]
	v_div_scale_f64 v[76:77], vcc, 1.0, v[62:63], 1.0
	v_fma_f64 v[78:79], -v[72:73], v[74:75], 1.0
	v_fmac_f64_e32 v[74:75], v[74:75], v[78:79]
	v_fma_f64 v[78:79], -v[72:73], v[74:75], 1.0
	v_fmac_f64_e32 v[74:75], v[74:75], v[78:79]
	v_mul_f64 v[78:79], v[76:77], v[74:75]
	v_fma_f64 v[72:73], -v[72:73], v[78:79], v[76:77]
	v_div_fmas_f64 v[72:73], v[72:73], v[74:75], v[78:79]
	v_div_fixup_f64 v[62:63], v[72:73], v[62:63], 1.0
; %bb.172:
	s_or_b64 exec, exec, s[0:1]
	v_cmp_ne_u32_e32 vcc, v67, v64
	s_and_saveexec_b64 s[0:1], vcc
	s_xor_b64 s[0:1], exec, s[0:1]
	s_cbranch_execz .LBB56_178
; %bb.173:
	v_cmp_eq_u32_e32 vcc, 10, v67
	s_and_saveexec_b64 s[2:3], vcc
	s_cbranch_execz .LBB56_177
; %bb.174:
	v_cmp_ne_u32_e32 vcc, 10, v64
	s_xor_b64 s[14:15], s[6:7], -1
	s_and_b64 s[16:17], s[14:15], vcc
	s_and_saveexec_b64 s[14:15], s[16:17]
	s_cbranch_execz .LBB56_176
; %bb.175:
	v_ashrrev_i32_e32 v65, 31, v64
	v_lshlrev_b64 v[72:73], 2, v[64:65]
	v_add_co_u32_e32 v72, vcc, v4, v72
	v_addc_co_u32_e32 v73, vcc, v5, v73, vcc
	flat_load_dword v65, v[72:73]
	flat_load_dword v67, v[4:5] offset:40
	s_waitcnt vmcnt(0) lgkmcnt(0)
	flat_store_dword v[4:5], v65 offset:40
	flat_store_dword v[72:73], v67
.LBB56_176:
	s_or_b64 exec, exec, s[14:15]
	v_mov_b32_e32 v65, v64
	v_mov_b32_e32 v67, v64
.LBB56_177:
	s_or_b64 exec, exec, s[2:3]
.LBB56_178:
	s_andn2_saveexec_b64 s[0:1], s[0:1]
	s_cbranch_execz .LBB56_180
; %bb.179:
	v_mov_b32_e32 v67, 10
	ds_write2_b64 v66, v[36:37], v[34:35] offset0:11 offset1:12
	ds_write2_b64 v66, v[32:33], v[28:29] offset0:13 offset1:14
	;; [unrolled: 1-line block ×9, first 2 shown]
.LBB56_180:
	s_or_b64 exec, exec, s[0:1]
	v_cmp_lt_i32_e32 vcc, 10, v67
	s_waitcnt lgkmcnt(0)
	s_barrier
	s_and_saveexec_b64 s[0:1], vcc
	s_cbranch_execz .LBB56_182
; %bb.181:
	ds_read2_b64 v[72:75], v66 offset0:11 offset1:12
	ds_read2_b64 v[76:79], v66 offset0:13 offset1:14
	;; [unrolled: 1-line block ×3, first 2 shown]
	v_mul_f64 v[38:39], v[62:63], v[38:39]
	s_waitcnt lgkmcnt(0)
	v_fma_f64 v[36:37], -v[38:39], v[72:73], v[36:37]
	v_fma_f64 v[34:35], -v[38:39], v[74:75], v[34:35]
	ds_read2_b64 v[72:75], v66 offset0:17 offset1:18
	v_fma_f64 v[32:33], -v[38:39], v[76:77], v[32:33]
	v_fma_f64 v[28:29], -v[38:39], v[78:79], v[28:29]
	;; [unrolled: 1-line block ×3, first 2 shown]
	ds_read2_b64 v[76:79], v66 offset0:19 offset1:20
	v_fma_f64 v[26:27], -v[38:39], v[82:83], v[26:27]
	ds_read2_b64 v[80:83], v66 offset0:21 offset1:22
	s_waitcnt lgkmcnt(0)
	v_fma_f64 v[24:25], -v[38:39], v[72:73], v[24:25]
	v_fma_f64 v[22:23], -v[38:39], v[74:75], v[22:23]
	;; [unrolled: 1-line block ×4, first 2 shown]
	ds_read2_b64 v[72:75], v66 offset0:23 offset1:24
	ds_read2_b64 v[76:79], v66 offset0:25 offset1:26
	v_fma_f64 v[16:17], -v[38:39], v[80:81], v[16:17]
	v_fma_f64 v[14:15], -v[38:39], v[82:83], v[14:15]
	ds_read2_b64 v[80:83], v66 offset0:27 offset1:28
	s_waitcnt lgkmcnt(0)
	v_fma_f64 v[12:13], -v[38:39], v[72:73], v[12:13]
	v_fma_f64 v[10:11], -v[38:39], v[74:75], v[10:11]
	;; [unrolled: 1-line block ×6, first 2 shown]
.LBB56_182:
	s_or_b64 exec, exec, s[0:1]
	v_lshl_add_u32 v62, v67, 3, v66
	s_barrier
	ds_write_b64 v62, v[36:37]
	s_waitcnt lgkmcnt(0)
	s_barrier
	ds_read_b64 v[62:63], v66 offset:88
	s_cmp_lt_i32 s18, 13
	v_mov_b32_e32 v64, 11
	s_cbranch_scc1 .LBB56_185
; %bb.183:
	v_add_u32_e32 v71, 0x60, v66
	s_mov_b32 s0, 12
	v_mov_b32_e32 v64, 11
.LBB56_184:                             ; =>This Inner Loop Header: Depth=1
	ds_read_b64 v[72:73], v71
	v_mov_b32_e32 v74, s0
	s_add_i32 s0, s0, 1
	v_add_u32_e32 v71, 8, v71
	s_cmp_lg_u32 s18, s0
	s_waitcnt lgkmcnt(0)
	v_cmp_lt_f64_e64 vcc, |v[62:63]|, |v[72:73]|
	v_cndmask_b32_e32 v63, v63, v73, vcc
	v_cndmask_b32_e32 v62, v62, v72, vcc
	v_cndmask_b32_e32 v64, v64, v74, vcc
	s_cbranch_scc1 .LBB56_184
.LBB56_185:
	s_waitcnt lgkmcnt(0)
	v_cmp_eq_f64_e32 vcc, 0, v[62:63]
	s_and_saveexec_b64 s[0:1], vcc
	s_xor_b64 s[0:1], exec, s[0:1]
; %bb.186:
	v_cmp_ne_u32_e32 vcc, 0, v70
	v_cndmask_b32_e32 v70, 12, v70, vcc
; %bb.187:
	s_andn2_saveexec_b64 s[0:1], s[0:1]
; %bb.188:
	v_div_scale_f64 v[72:73], s[2:3], v[62:63], v[62:63], 1.0
	v_rcp_f64_e32 v[74:75], v[72:73]
	v_div_scale_f64 v[76:77], vcc, 1.0, v[62:63], 1.0
	v_fma_f64 v[78:79], -v[72:73], v[74:75], 1.0
	v_fmac_f64_e32 v[74:75], v[74:75], v[78:79]
	v_fma_f64 v[78:79], -v[72:73], v[74:75], 1.0
	v_fmac_f64_e32 v[74:75], v[74:75], v[78:79]
	v_mul_f64 v[78:79], v[76:77], v[74:75]
	v_fma_f64 v[72:73], -v[72:73], v[78:79], v[76:77]
	v_div_fmas_f64 v[72:73], v[72:73], v[74:75], v[78:79]
	v_div_fixup_f64 v[62:63], v[72:73], v[62:63], 1.0
; %bb.189:
	s_or_b64 exec, exec, s[0:1]
	v_cmp_ne_u32_e32 vcc, v67, v64
	s_and_saveexec_b64 s[0:1], vcc
	s_xor_b64 s[0:1], exec, s[0:1]
	s_cbranch_execz .LBB56_195
; %bb.190:
	v_cmp_eq_u32_e32 vcc, 11, v67
	s_and_saveexec_b64 s[2:3], vcc
	s_cbranch_execz .LBB56_194
; %bb.191:
	v_cmp_ne_u32_e32 vcc, 11, v64
	s_xor_b64 s[14:15], s[6:7], -1
	s_and_b64 s[16:17], s[14:15], vcc
	s_and_saveexec_b64 s[14:15], s[16:17]
	s_cbranch_execz .LBB56_193
; %bb.192:
	v_ashrrev_i32_e32 v65, 31, v64
	v_lshlrev_b64 v[72:73], 2, v[64:65]
	v_add_co_u32_e32 v72, vcc, v4, v72
	v_addc_co_u32_e32 v73, vcc, v5, v73, vcc
	flat_load_dword v65, v[72:73]
	flat_load_dword v67, v[4:5] offset:44
	s_waitcnt vmcnt(0) lgkmcnt(0)
	flat_store_dword v[4:5], v65 offset:44
	flat_store_dword v[72:73], v67
.LBB56_193:
	s_or_b64 exec, exec, s[14:15]
	v_mov_b32_e32 v65, v64
	v_mov_b32_e32 v67, v64
.LBB56_194:
	s_or_b64 exec, exec, s[2:3]
.LBB56_195:
	s_andn2_saveexec_b64 s[0:1], s[0:1]
	s_cbranch_execz .LBB56_197
; %bb.196:
	v_mov_b32_e32 v72, v34
	v_mov_b32_e32 v73, v35
	v_mov_b32_e32 v74, v32
	v_mov_b32_e32 v75, v33
	ds_write2_b64 v66, v[72:73], v[74:75] offset0:12 offset1:13
	v_mov_b32_e32 v72, v28
	v_mov_b32_e32 v73, v29
	v_mov_b32_e32 v74, v30
	v_mov_b32_e32 v75, v31
	ds_write2_b64 v66, v[72:73], v[74:75] offset0:14 offset1:15
	;; [unrolled: 5-line block ×7, first 2 shown]
	v_mov_b32_e32 v72, v6
	v_mov_b32_e32 v73, v7
	;; [unrolled: 1-line block ×5, first 2 shown]
	ds_write2_b64 v66, v[72:73], v[74:75] offset0:26 offset1:27
	ds_write_b64 v66, v[60:61] offset:224
.LBB56_197:
	s_or_b64 exec, exec, s[0:1]
	v_cmp_lt_i32_e32 vcc, 11, v67
	s_waitcnt lgkmcnt(0)
	s_barrier
	s_and_saveexec_b64 s[0:1], vcc
	s_cbranch_execz .LBB56_199
; %bb.198:
	ds_read2_b64 v[72:75], v66 offset0:12 offset1:13
	ds_read2_b64 v[76:79], v66 offset0:14 offset1:15
	v_mul_f64 v[36:37], v[62:63], v[36:37]
	ds_read2_b64 v[80:83], v66 offset0:16 offset1:17
	ds_read_b64 v[62:63], v66 offset:224
	s_waitcnt lgkmcnt(0)
	v_fma_f64 v[34:35], -v[36:37], v[72:73], v[34:35]
	v_fma_f64 v[32:33], -v[36:37], v[74:75], v[32:33]
	ds_read2_b64 v[72:75], v66 offset0:18 offset1:19
	v_fma_f64 v[28:29], -v[36:37], v[76:77], v[28:29]
	v_fma_f64 v[30:31], -v[36:37], v[78:79], v[30:31]
	ds_read2_b64 v[76:79], v66 offset0:20 offset1:21
	;; [unrolled: 3-line block ×3, first 2 shown]
	s_waitcnt lgkmcnt(0)
	v_fma_f64 v[22:23], -v[36:37], v[72:73], v[22:23]
	v_fma_f64 v[20:21], -v[36:37], v[74:75], v[20:21]
	;; [unrolled: 1-line block ×4, first 2 shown]
	ds_read2_b64 v[72:75], v66 offset0:24 offset1:25
	ds_read2_b64 v[76:79], v66 offset0:26 offset1:27
	v_fma_f64 v[14:15], -v[36:37], v[80:81], v[14:15]
	v_fma_f64 v[12:13], -v[36:37], v[82:83], v[12:13]
	;; [unrolled: 1-line block ×3, first 2 shown]
	s_waitcnt lgkmcnt(0)
	v_fma_f64 v[10:11], -v[36:37], v[72:73], v[10:11]
	v_fma_f64 v[8:9], -v[36:37], v[74:75], v[8:9]
	;; [unrolled: 1-line block ×4, first 2 shown]
.LBB56_199:
	s_or_b64 exec, exec, s[0:1]
	v_lshl_add_u32 v62, v67, 3, v66
	s_barrier
	ds_write_b64 v62, v[34:35]
	s_waitcnt lgkmcnt(0)
	s_barrier
	ds_read_b64 v[62:63], v66 offset:96
	s_cmp_lt_i32 s18, 14
	v_mov_b32_e32 v64, 12
	s_cbranch_scc1 .LBB56_202
; %bb.200:
	v_add_u32_e32 v71, 0x68, v66
	s_mov_b32 s0, 13
	v_mov_b32_e32 v64, 12
.LBB56_201:                             ; =>This Inner Loop Header: Depth=1
	ds_read_b64 v[72:73], v71
	v_mov_b32_e32 v74, s0
	s_add_i32 s0, s0, 1
	v_add_u32_e32 v71, 8, v71
	s_cmp_lg_u32 s18, s0
	s_waitcnt lgkmcnt(0)
	v_cmp_lt_f64_e64 vcc, |v[62:63]|, |v[72:73]|
	v_cndmask_b32_e32 v63, v63, v73, vcc
	v_cndmask_b32_e32 v62, v62, v72, vcc
	v_cndmask_b32_e32 v64, v64, v74, vcc
	s_cbranch_scc1 .LBB56_201
.LBB56_202:
	s_waitcnt lgkmcnt(0)
	v_cmp_eq_f64_e32 vcc, 0, v[62:63]
	s_and_saveexec_b64 s[0:1], vcc
	s_xor_b64 s[0:1], exec, s[0:1]
; %bb.203:
	v_cmp_ne_u32_e32 vcc, 0, v70
	v_cndmask_b32_e32 v70, 13, v70, vcc
; %bb.204:
	s_andn2_saveexec_b64 s[0:1], s[0:1]
; %bb.205:
	v_div_scale_f64 v[72:73], s[2:3], v[62:63], v[62:63], 1.0
	v_rcp_f64_e32 v[74:75], v[72:73]
	v_div_scale_f64 v[76:77], vcc, 1.0, v[62:63], 1.0
	v_fma_f64 v[78:79], -v[72:73], v[74:75], 1.0
	v_fmac_f64_e32 v[74:75], v[74:75], v[78:79]
	v_fma_f64 v[78:79], -v[72:73], v[74:75], 1.0
	v_fmac_f64_e32 v[74:75], v[74:75], v[78:79]
	v_mul_f64 v[78:79], v[76:77], v[74:75]
	v_fma_f64 v[72:73], -v[72:73], v[78:79], v[76:77]
	v_div_fmas_f64 v[72:73], v[72:73], v[74:75], v[78:79]
	v_div_fixup_f64 v[62:63], v[72:73], v[62:63], 1.0
; %bb.206:
	s_or_b64 exec, exec, s[0:1]
	v_cmp_ne_u32_e32 vcc, v67, v64
	s_and_saveexec_b64 s[0:1], vcc
	s_xor_b64 s[0:1], exec, s[0:1]
	s_cbranch_execz .LBB56_212
; %bb.207:
	v_cmp_eq_u32_e32 vcc, 12, v67
	s_and_saveexec_b64 s[2:3], vcc
	s_cbranch_execz .LBB56_211
; %bb.208:
	v_cmp_ne_u32_e32 vcc, 12, v64
	s_xor_b64 s[14:15], s[6:7], -1
	s_and_b64 s[16:17], s[14:15], vcc
	s_and_saveexec_b64 s[14:15], s[16:17]
	s_cbranch_execz .LBB56_210
; %bb.209:
	v_ashrrev_i32_e32 v65, 31, v64
	v_lshlrev_b64 v[72:73], 2, v[64:65]
	v_add_co_u32_e32 v72, vcc, v4, v72
	v_addc_co_u32_e32 v73, vcc, v5, v73, vcc
	flat_load_dword v65, v[72:73]
	flat_load_dword v67, v[4:5] offset:48
	s_waitcnt vmcnt(0) lgkmcnt(0)
	flat_store_dword v[4:5], v65 offset:48
	flat_store_dword v[72:73], v67
.LBB56_210:
	s_or_b64 exec, exec, s[14:15]
	v_mov_b32_e32 v65, v64
	v_mov_b32_e32 v67, v64
.LBB56_211:
	s_or_b64 exec, exec, s[2:3]
.LBB56_212:
	s_andn2_saveexec_b64 s[0:1], s[0:1]
	s_cbranch_execz .LBB56_214
; %bb.213:
	v_mov_b32_e32 v67, 12
	ds_write2_b64 v66, v[32:33], v[28:29] offset0:13 offset1:14
	ds_write2_b64 v66, v[30:31], v[26:27] offset0:15 offset1:16
	;; [unrolled: 1-line block ×8, first 2 shown]
.LBB56_214:
	s_or_b64 exec, exec, s[0:1]
	v_cmp_lt_i32_e32 vcc, 12, v67
	s_waitcnt lgkmcnt(0)
	s_barrier
	s_and_saveexec_b64 s[0:1], vcc
	s_cbranch_execz .LBB56_216
; %bb.215:
	ds_read2_b64 v[72:75], v66 offset0:13 offset1:14
	ds_read2_b64 v[76:79], v66 offset0:15 offset1:16
	v_mul_f64 v[34:35], v[62:63], v[34:35]
	ds_read2_b64 v[80:83], v66 offset0:17 offset1:18
	s_waitcnt lgkmcnt(0)
	v_fma_f64 v[32:33], -v[34:35], v[72:73], v[32:33]
	v_fma_f64 v[28:29], -v[34:35], v[74:75], v[28:29]
	ds_read2_b64 v[72:75], v66 offset0:19 offset1:20
	v_fma_f64 v[30:31], -v[34:35], v[76:77], v[30:31]
	v_fma_f64 v[26:27], -v[34:35], v[78:79], v[26:27]
	ds_read2_b64 v[76:79], v66 offset0:21 offset1:22
	v_fma_f64 v[24:25], -v[34:35], v[80:81], v[24:25]
	v_fma_f64 v[22:23], -v[34:35], v[82:83], v[22:23]
	s_waitcnt lgkmcnt(0)
	v_fma_f64 v[20:21], -v[34:35], v[72:73], v[20:21]
	v_fma_f64 v[18:19], -v[34:35], v[74:75], v[18:19]
	ds_read2_b64 v[72:75], v66 offset0:23 offset1:24
	v_fma_f64 v[16:17], -v[34:35], v[76:77], v[16:17]
	ds_read2_b64 v[80:83], v66 offset0:25 offset1:26
	;; [unrolled: 2-line block ×3, first 2 shown]
	s_waitcnt lgkmcnt(0)
	v_fma_f64 v[12:13], -v[34:35], v[72:73], v[12:13]
	v_fma_f64 v[10:11], -v[34:35], v[74:75], v[10:11]
	;; [unrolled: 1-line block ×6, first 2 shown]
.LBB56_216:
	s_or_b64 exec, exec, s[0:1]
	v_lshl_add_u32 v62, v67, 3, v66
	s_barrier
	ds_write_b64 v62, v[32:33]
	s_waitcnt lgkmcnt(0)
	s_barrier
	ds_read_b64 v[62:63], v66 offset:104
	s_cmp_lt_i32 s18, 15
	v_mov_b32_e32 v64, 13
	s_cbranch_scc1 .LBB56_219
; %bb.217:
	v_add_u32_e32 v71, 0x70, v66
	s_mov_b32 s0, 14
	v_mov_b32_e32 v64, 13
.LBB56_218:                             ; =>This Inner Loop Header: Depth=1
	ds_read_b64 v[72:73], v71
	v_mov_b32_e32 v74, s0
	s_add_i32 s0, s0, 1
	v_add_u32_e32 v71, 8, v71
	s_cmp_lg_u32 s18, s0
	s_waitcnt lgkmcnt(0)
	v_cmp_lt_f64_e64 vcc, |v[62:63]|, |v[72:73]|
	v_cndmask_b32_e32 v63, v63, v73, vcc
	v_cndmask_b32_e32 v62, v62, v72, vcc
	;; [unrolled: 1-line block ×3, first 2 shown]
	s_cbranch_scc1 .LBB56_218
.LBB56_219:
	s_waitcnt lgkmcnt(0)
	v_cmp_eq_f64_e32 vcc, 0, v[62:63]
	s_and_saveexec_b64 s[0:1], vcc
	s_xor_b64 s[0:1], exec, s[0:1]
; %bb.220:
	v_cmp_ne_u32_e32 vcc, 0, v70
	v_cndmask_b32_e32 v70, 14, v70, vcc
; %bb.221:
	s_andn2_saveexec_b64 s[0:1], s[0:1]
; %bb.222:
	v_div_scale_f64 v[72:73], s[2:3], v[62:63], v[62:63], 1.0
	v_rcp_f64_e32 v[74:75], v[72:73]
	v_div_scale_f64 v[76:77], vcc, 1.0, v[62:63], 1.0
	v_fma_f64 v[78:79], -v[72:73], v[74:75], 1.0
	v_fmac_f64_e32 v[74:75], v[74:75], v[78:79]
	v_fma_f64 v[78:79], -v[72:73], v[74:75], 1.0
	v_fmac_f64_e32 v[74:75], v[74:75], v[78:79]
	v_mul_f64 v[78:79], v[76:77], v[74:75]
	v_fma_f64 v[72:73], -v[72:73], v[78:79], v[76:77]
	v_div_fmas_f64 v[72:73], v[72:73], v[74:75], v[78:79]
	v_div_fixup_f64 v[62:63], v[72:73], v[62:63], 1.0
; %bb.223:
	s_or_b64 exec, exec, s[0:1]
	v_cmp_ne_u32_e32 vcc, v67, v64
	s_and_saveexec_b64 s[0:1], vcc
	s_xor_b64 s[0:1], exec, s[0:1]
	s_cbranch_execz .LBB56_229
; %bb.224:
	v_cmp_eq_u32_e32 vcc, 13, v67
	s_and_saveexec_b64 s[2:3], vcc
	s_cbranch_execz .LBB56_228
; %bb.225:
	v_cmp_ne_u32_e32 vcc, 13, v64
	s_xor_b64 s[14:15], s[6:7], -1
	s_and_b64 s[16:17], s[14:15], vcc
	s_and_saveexec_b64 s[14:15], s[16:17]
	s_cbranch_execz .LBB56_227
; %bb.226:
	v_ashrrev_i32_e32 v65, 31, v64
	v_lshlrev_b64 v[72:73], 2, v[64:65]
	v_add_co_u32_e32 v72, vcc, v4, v72
	v_addc_co_u32_e32 v73, vcc, v5, v73, vcc
	flat_load_dword v65, v[72:73]
	flat_load_dword v67, v[4:5] offset:52
	s_waitcnt vmcnt(0) lgkmcnt(0)
	flat_store_dword v[4:5], v65 offset:52
	flat_store_dword v[72:73], v67
.LBB56_227:
	s_or_b64 exec, exec, s[14:15]
	v_mov_b32_e32 v65, v64
	v_mov_b32_e32 v67, v64
.LBB56_228:
	s_or_b64 exec, exec, s[2:3]
.LBB56_229:
	s_andn2_saveexec_b64 s[0:1], s[0:1]
	s_cbranch_execz .LBB56_231
; %bb.230:
	v_mov_b32_e32 v72, v28
	v_mov_b32_e32 v73, v29
	v_mov_b32_e32 v74, v30
	v_mov_b32_e32 v75, v31
	ds_write2_b64 v66, v[72:73], v[74:75] offset0:14 offset1:15
	v_mov_b32_e32 v72, v26
	v_mov_b32_e32 v73, v27
	v_mov_b32_e32 v74, v24
	v_mov_b32_e32 v75, v25
	ds_write2_b64 v66, v[72:73], v[74:75] offset0:16 offset1:17
	;; [unrolled: 5-line block ×6, first 2 shown]
	v_mov_b32_e32 v72, v6
	v_mov_b32_e32 v73, v7
	;; [unrolled: 1-line block ×5, first 2 shown]
	ds_write2_b64 v66, v[72:73], v[74:75] offset0:26 offset1:27
	ds_write_b64 v66, v[60:61] offset:224
.LBB56_231:
	s_or_b64 exec, exec, s[0:1]
	v_cmp_lt_i32_e32 vcc, 13, v67
	s_waitcnt lgkmcnt(0)
	s_barrier
	s_and_saveexec_b64 s[0:1], vcc
	s_cbranch_execz .LBB56_233
; %bb.232:
	ds_read2_b64 v[72:75], v66 offset0:14 offset1:15
	ds_read2_b64 v[76:79], v66 offset0:16 offset1:17
	v_mul_f64 v[32:33], v[62:63], v[32:33]
	ds_read2_b64 v[80:83], v66 offset0:18 offset1:19
	ds_read_b64 v[62:63], v66 offset:224
	s_waitcnt lgkmcnt(0)
	v_fma_f64 v[28:29], -v[32:33], v[72:73], v[28:29]
	v_fma_f64 v[30:31], -v[32:33], v[74:75], v[30:31]
	ds_read2_b64 v[72:75], v66 offset0:20 offset1:21
	v_fma_f64 v[26:27], -v[32:33], v[76:77], v[26:27]
	v_fma_f64 v[24:25], -v[32:33], v[78:79], v[24:25]
	;; [unrolled: 1-line block ×3, first 2 shown]
	ds_read2_b64 v[76:79], v66 offset0:22 offset1:23
	v_fma_f64 v[20:21], -v[32:33], v[82:83], v[20:21]
	s_waitcnt lgkmcnt(0)
	v_fma_f64 v[18:19], -v[32:33], v[72:73], v[18:19]
	v_fma_f64 v[16:17], -v[32:33], v[74:75], v[16:17]
	ds_read2_b64 v[72:75], v66 offset0:24 offset1:25
	ds_read2_b64 v[80:83], v66 offset0:26 offset1:27
	v_fma_f64 v[14:15], -v[32:33], v[76:77], v[14:15]
	v_fma_f64 v[12:13], -v[32:33], v[78:79], v[12:13]
	;; [unrolled: 1-line block ×3, first 2 shown]
	s_waitcnt lgkmcnt(0)
	v_fma_f64 v[10:11], -v[32:33], v[72:73], v[10:11]
	v_fma_f64 v[8:9], -v[32:33], v[74:75], v[8:9]
	;; [unrolled: 1-line block ×4, first 2 shown]
.LBB56_233:
	s_or_b64 exec, exec, s[0:1]
	v_lshl_add_u32 v62, v67, 3, v66
	s_barrier
	ds_write_b64 v62, v[28:29]
	s_waitcnt lgkmcnt(0)
	s_barrier
	ds_read_b64 v[62:63], v66 offset:112
	s_cmp_lt_i32 s18, 16
	v_mov_b32_e32 v64, 14
	s_cbranch_scc1 .LBB56_236
; %bb.234:
	v_add_u32_e32 v71, 0x78, v66
	s_mov_b32 s0, 15
	v_mov_b32_e32 v64, 14
.LBB56_235:                             ; =>This Inner Loop Header: Depth=1
	ds_read_b64 v[72:73], v71
	v_mov_b32_e32 v74, s0
	s_add_i32 s0, s0, 1
	v_add_u32_e32 v71, 8, v71
	s_cmp_lg_u32 s18, s0
	s_waitcnt lgkmcnt(0)
	v_cmp_lt_f64_e64 vcc, |v[62:63]|, |v[72:73]|
	v_cndmask_b32_e32 v63, v63, v73, vcc
	v_cndmask_b32_e32 v62, v62, v72, vcc
	;; [unrolled: 1-line block ×3, first 2 shown]
	s_cbranch_scc1 .LBB56_235
.LBB56_236:
	s_waitcnt lgkmcnt(0)
	v_cmp_eq_f64_e32 vcc, 0, v[62:63]
	s_and_saveexec_b64 s[0:1], vcc
	s_xor_b64 s[0:1], exec, s[0:1]
; %bb.237:
	v_cmp_ne_u32_e32 vcc, 0, v70
	v_cndmask_b32_e32 v70, 15, v70, vcc
; %bb.238:
	s_andn2_saveexec_b64 s[0:1], s[0:1]
; %bb.239:
	v_div_scale_f64 v[72:73], s[2:3], v[62:63], v[62:63], 1.0
	v_rcp_f64_e32 v[74:75], v[72:73]
	v_div_scale_f64 v[76:77], vcc, 1.0, v[62:63], 1.0
	v_fma_f64 v[78:79], -v[72:73], v[74:75], 1.0
	v_fmac_f64_e32 v[74:75], v[74:75], v[78:79]
	v_fma_f64 v[78:79], -v[72:73], v[74:75], 1.0
	v_fmac_f64_e32 v[74:75], v[74:75], v[78:79]
	v_mul_f64 v[78:79], v[76:77], v[74:75]
	v_fma_f64 v[72:73], -v[72:73], v[78:79], v[76:77]
	v_div_fmas_f64 v[72:73], v[72:73], v[74:75], v[78:79]
	v_div_fixup_f64 v[62:63], v[72:73], v[62:63], 1.0
; %bb.240:
	s_or_b64 exec, exec, s[0:1]
	v_cmp_ne_u32_e32 vcc, v67, v64
	s_and_saveexec_b64 s[0:1], vcc
	s_xor_b64 s[0:1], exec, s[0:1]
	s_cbranch_execz .LBB56_246
; %bb.241:
	v_cmp_eq_u32_e32 vcc, 14, v67
	s_and_saveexec_b64 s[2:3], vcc
	s_cbranch_execz .LBB56_245
; %bb.242:
	v_cmp_ne_u32_e32 vcc, 14, v64
	s_xor_b64 s[14:15], s[6:7], -1
	s_and_b64 s[16:17], s[14:15], vcc
	s_and_saveexec_b64 s[14:15], s[16:17]
	s_cbranch_execz .LBB56_244
; %bb.243:
	v_ashrrev_i32_e32 v65, 31, v64
	v_lshlrev_b64 v[72:73], 2, v[64:65]
	v_add_co_u32_e32 v72, vcc, v4, v72
	v_addc_co_u32_e32 v73, vcc, v5, v73, vcc
	flat_load_dword v65, v[72:73]
	flat_load_dword v67, v[4:5] offset:56
	s_waitcnt vmcnt(0) lgkmcnt(0)
	flat_store_dword v[4:5], v65 offset:56
	flat_store_dword v[72:73], v67
.LBB56_244:
	s_or_b64 exec, exec, s[14:15]
	v_mov_b32_e32 v65, v64
	v_mov_b32_e32 v67, v64
.LBB56_245:
	s_or_b64 exec, exec, s[2:3]
.LBB56_246:
	s_andn2_saveexec_b64 s[0:1], s[0:1]
	s_cbranch_execz .LBB56_248
; %bb.247:
	v_mov_b32_e32 v67, 14
	ds_write2_b64 v66, v[30:31], v[26:27] offset0:15 offset1:16
	ds_write2_b64 v66, v[24:25], v[22:23] offset0:17 offset1:18
	;; [unrolled: 1-line block ×7, first 2 shown]
.LBB56_248:
	s_or_b64 exec, exec, s[0:1]
	v_cmp_lt_i32_e32 vcc, 14, v67
	s_waitcnt lgkmcnt(0)
	s_barrier
	s_and_saveexec_b64 s[0:1], vcc
	s_cbranch_execz .LBB56_250
; %bb.249:
	ds_read2_b64 v[72:75], v66 offset0:15 offset1:16
	ds_read2_b64 v[76:79], v66 offset0:17 offset1:18
	v_mul_f64 v[28:29], v[62:63], v[28:29]
	ds_read2_b64 v[80:83], v66 offset0:19 offset1:20
	s_waitcnt lgkmcnt(0)
	v_fma_f64 v[30:31], -v[28:29], v[72:73], v[30:31]
	v_fma_f64 v[26:27], -v[28:29], v[74:75], v[26:27]
	ds_read2_b64 v[72:75], v66 offset0:21 offset1:22
	v_fma_f64 v[24:25], -v[28:29], v[76:77], v[24:25]
	v_fma_f64 v[22:23], -v[28:29], v[78:79], v[22:23]
	;; [unrolled: 1-line block ×4, first 2 shown]
	ds_read2_b64 v[76:79], v66 offset0:23 offset1:24
	ds_read2_b64 v[80:83], v66 offset0:25 offset1:26
	s_waitcnt lgkmcnt(0)
	v_fma_f64 v[16:17], -v[28:29], v[72:73], v[16:17]
	v_fma_f64 v[14:15], -v[28:29], v[74:75], v[14:15]
	ds_read2_b64 v[72:75], v66 offset0:27 offset1:28
	v_fma_f64 v[12:13], -v[28:29], v[76:77], v[12:13]
	v_fma_f64 v[10:11], -v[28:29], v[78:79], v[10:11]
	v_fma_f64 v[8:9], -v[28:29], v[80:81], v[8:9]
	v_fma_f64 v[6:7], -v[28:29], v[82:83], v[6:7]
	s_waitcnt lgkmcnt(0)
	v_fma_f64 v[0:1], -v[28:29], v[72:73], v[0:1]
	v_fma_f64 v[60:61], -v[28:29], v[74:75], v[60:61]
.LBB56_250:
	s_or_b64 exec, exec, s[0:1]
	v_lshl_add_u32 v62, v67, 3, v66
	s_barrier
	ds_write_b64 v62, v[30:31]
	s_waitcnt lgkmcnt(0)
	s_barrier
	ds_read_b64 v[62:63], v66 offset:120
	s_cmp_lt_i32 s18, 17
	v_mov_b32_e32 v64, 15
	s_cbranch_scc1 .LBB56_253
; %bb.251:
	v_add_u32_e32 v71, 0x80, v66
	s_mov_b32 s0, 16
	v_mov_b32_e32 v64, 15
.LBB56_252:                             ; =>This Inner Loop Header: Depth=1
	ds_read_b64 v[72:73], v71
	v_mov_b32_e32 v74, s0
	s_add_i32 s0, s0, 1
	v_add_u32_e32 v71, 8, v71
	s_cmp_lg_u32 s18, s0
	s_waitcnt lgkmcnt(0)
	v_cmp_lt_f64_e64 vcc, |v[62:63]|, |v[72:73]|
	v_cndmask_b32_e32 v63, v63, v73, vcc
	v_cndmask_b32_e32 v62, v62, v72, vcc
	;; [unrolled: 1-line block ×3, first 2 shown]
	s_cbranch_scc1 .LBB56_252
.LBB56_253:
	s_waitcnt lgkmcnt(0)
	v_cmp_eq_f64_e32 vcc, 0, v[62:63]
	s_and_saveexec_b64 s[0:1], vcc
	s_xor_b64 s[0:1], exec, s[0:1]
; %bb.254:
	v_cmp_ne_u32_e32 vcc, 0, v70
	v_cndmask_b32_e32 v70, 16, v70, vcc
; %bb.255:
	s_andn2_saveexec_b64 s[0:1], s[0:1]
; %bb.256:
	v_div_scale_f64 v[72:73], s[2:3], v[62:63], v[62:63], 1.0
	v_rcp_f64_e32 v[74:75], v[72:73]
	v_div_scale_f64 v[76:77], vcc, 1.0, v[62:63], 1.0
	v_fma_f64 v[78:79], -v[72:73], v[74:75], 1.0
	v_fmac_f64_e32 v[74:75], v[74:75], v[78:79]
	v_fma_f64 v[78:79], -v[72:73], v[74:75], 1.0
	v_fmac_f64_e32 v[74:75], v[74:75], v[78:79]
	v_mul_f64 v[78:79], v[76:77], v[74:75]
	v_fma_f64 v[72:73], -v[72:73], v[78:79], v[76:77]
	v_div_fmas_f64 v[72:73], v[72:73], v[74:75], v[78:79]
	v_div_fixup_f64 v[62:63], v[72:73], v[62:63], 1.0
; %bb.257:
	s_or_b64 exec, exec, s[0:1]
	v_cmp_ne_u32_e32 vcc, v67, v64
	s_and_saveexec_b64 s[0:1], vcc
	s_xor_b64 s[0:1], exec, s[0:1]
	s_cbranch_execz .LBB56_263
; %bb.258:
	v_cmp_eq_u32_e32 vcc, 15, v67
	s_and_saveexec_b64 s[2:3], vcc
	s_cbranch_execz .LBB56_262
; %bb.259:
	v_cmp_ne_u32_e32 vcc, 15, v64
	s_xor_b64 s[14:15], s[6:7], -1
	s_and_b64 s[16:17], s[14:15], vcc
	s_and_saveexec_b64 s[14:15], s[16:17]
	s_cbranch_execz .LBB56_261
; %bb.260:
	v_ashrrev_i32_e32 v65, 31, v64
	v_lshlrev_b64 v[72:73], 2, v[64:65]
	v_add_co_u32_e32 v72, vcc, v4, v72
	v_addc_co_u32_e32 v73, vcc, v5, v73, vcc
	flat_load_dword v65, v[72:73]
	flat_load_dword v67, v[4:5] offset:60
	s_waitcnt vmcnt(0) lgkmcnt(0)
	flat_store_dword v[4:5], v65 offset:60
	flat_store_dword v[72:73], v67
.LBB56_261:
	s_or_b64 exec, exec, s[14:15]
	v_mov_b32_e32 v65, v64
	v_mov_b32_e32 v67, v64
.LBB56_262:
	s_or_b64 exec, exec, s[2:3]
.LBB56_263:
	s_andn2_saveexec_b64 s[0:1], s[0:1]
	s_cbranch_execz .LBB56_265
; %bb.264:
	v_mov_b32_e32 v72, v26
	v_mov_b32_e32 v73, v27
	v_mov_b32_e32 v74, v24
	v_mov_b32_e32 v75, v25
	ds_write2_b64 v66, v[72:73], v[74:75] offset0:16 offset1:17
	v_mov_b32_e32 v72, v22
	v_mov_b32_e32 v73, v23
	v_mov_b32_e32 v74, v20
	v_mov_b32_e32 v75, v21
	ds_write2_b64 v66, v[72:73], v[74:75] offset0:18 offset1:19
	;; [unrolled: 5-line block ×5, first 2 shown]
	v_mov_b32_e32 v72, v6
	v_mov_b32_e32 v73, v7
	;; [unrolled: 1-line block ×5, first 2 shown]
	ds_write2_b64 v66, v[72:73], v[74:75] offset0:26 offset1:27
	ds_write_b64 v66, v[60:61] offset:224
.LBB56_265:
	s_or_b64 exec, exec, s[0:1]
	v_cmp_lt_i32_e32 vcc, 15, v67
	s_waitcnt lgkmcnt(0)
	s_barrier
	s_and_saveexec_b64 s[0:1], vcc
	s_cbranch_execz .LBB56_267
; %bb.266:
	ds_read2_b64 v[72:75], v66 offset0:16 offset1:17
	ds_read2_b64 v[76:79], v66 offset0:18 offset1:19
	ds_read2_b64 v[80:83], v66 offset0:20 offset1:21
	v_mul_f64 v[30:31], v[62:63], v[30:31]
	ds_read_b64 v[62:63], v66 offset:224
	s_waitcnt lgkmcnt(0)
	v_fma_f64 v[26:27], -v[30:31], v[72:73], v[26:27]
	v_fma_f64 v[24:25], -v[30:31], v[74:75], v[24:25]
	ds_read2_b64 v[72:75], v66 offset0:22 offset1:23
	v_fma_f64 v[22:23], -v[30:31], v[76:77], v[22:23]
	v_fma_f64 v[20:21], -v[30:31], v[78:79], v[20:21]
	;; [unrolled: 1-line block ×4, first 2 shown]
	ds_read2_b64 v[76:79], v66 offset0:24 offset1:25
	ds_read2_b64 v[80:83], v66 offset0:26 offset1:27
	s_waitcnt lgkmcnt(0)
	v_fma_f64 v[14:15], -v[30:31], v[72:73], v[14:15]
	v_fma_f64 v[12:13], -v[30:31], v[74:75], v[12:13]
	;; [unrolled: 1-line block ×7, first 2 shown]
.LBB56_267:
	s_or_b64 exec, exec, s[0:1]
	v_lshl_add_u32 v62, v67, 3, v66
	s_barrier
	ds_write_b64 v62, v[26:27]
	s_waitcnt lgkmcnt(0)
	s_barrier
	ds_read_b64 v[62:63], v66 offset:128
	s_cmp_lt_i32 s18, 18
	v_mov_b32_e32 v64, 16
	s_cbranch_scc1 .LBB56_270
; %bb.268:
	v_add_u32_e32 v71, 0x88, v66
	s_mov_b32 s0, 17
	v_mov_b32_e32 v64, 16
.LBB56_269:                             ; =>This Inner Loop Header: Depth=1
	ds_read_b64 v[72:73], v71
	v_mov_b32_e32 v74, s0
	s_add_i32 s0, s0, 1
	v_add_u32_e32 v71, 8, v71
	s_cmp_lg_u32 s18, s0
	s_waitcnt lgkmcnt(0)
	v_cmp_lt_f64_e64 vcc, |v[62:63]|, |v[72:73]|
	v_cndmask_b32_e32 v63, v63, v73, vcc
	v_cndmask_b32_e32 v62, v62, v72, vcc
	;; [unrolled: 1-line block ×3, first 2 shown]
	s_cbranch_scc1 .LBB56_269
.LBB56_270:
	s_waitcnt lgkmcnt(0)
	v_cmp_eq_f64_e32 vcc, 0, v[62:63]
	s_and_saveexec_b64 s[0:1], vcc
	s_xor_b64 s[0:1], exec, s[0:1]
; %bb.271:
	v_cmp_ne_u32_e32 vcc, 0, v70
	v_cndmask_b32_e32 v70, 17, v70, vcc
; %bb.272:
	s_andn2_saveexec_b64 s[0:1], s[0:1]
; %bb.273:
	v_div_scale_f64 v[72:73], s[2:3], v[62:63], v[62:63], 1.0
	v_rcp_f64_e32 v[74:75], v[72:73]
	v_div_scale_f64 v[76:77], vcc, 1.0, v[62:63], 1.0
	v_fma_f64 v[78:79], -v[72:73], v[74:75], 1.0
	v_fmac_f64_e32 v[74:75], v[74:75], v[78:79]
	v_fma_f64 v[78:79], -v[72:73], v[74:75], 1.0
	v_fmac_f64_e32 v[74:75], v[74:75], v[78:79]
	v_mul_f64 v[78:79], v[76:77], v[74:75]
	v_fma_f64 v[72:73], -v[72:73], v[78:79], v[76:77]
	v_div_fmas_f64 v[72:73], v[72:73], v[74:75], v[78:79]
	v_div_fixup_f64 v[62:63], v[72:73], v[62:63], 1.0
; %bb.274:
	s_or_b64 exec, exec, s[0:1]
	v_cmp_ne_u32_e32 vcc, v67, v64
	s_and_saveexec_b64 s[0:1], vcc
	s_xor_b64 s[0:1], exec, s[0:1]
	s_cbranch_execz .LBB56_280
; %bb.275:
	v_cmp_eq_u32_e32 vcc, 16, v67
	s_and_saveexec_b64 s[2:3], vcc
	s_cbranch_execz .LBB56_279
; %bb.276:
	v_cmp_ne_u32_e32 vcc, 16, v64
	s_xor_b64 s[14:15], s[6:7], -1
	s_and_b64 s[16:17], s[14:15], vcc
	s_and_saveexec_b64 s[14:15], s[16:17]
	s_cbranch_execz .LBB56_278
; %bb.277:
	v_ashrrev_i32_e32 v65, 31, v64
	v_lshlrev_b64 v[72:73], 2, v[64:65]
	v_add_co_u32_e32 v72, vcc, v4, v72
	v_addc_co_u32_e32 v73, vcc, v5, v73, vcc
	flat_load_dword v65, v[72:73]
	flat_load_dword v67, v[4:5] offset:64
	s_waitcnt vmcnt(0) lgkmcnt(0)
	flat_store_dword v[4:5], v65 offset:64
	flat_store_dword v[72:73], v67
.LBB56_278:
	s_or_b64 exec, exec, s[14:15]
	v_mov_b32_e32 v65, v64
	v_mov_b32_e32 v67, v64
.LBB56_279:
	s_or_b64 exec, exec, s[2:3]
.LBB56_280:
	s_andn2_saveexec_b64 s[0:1], s[0:1]
	s_cbranch_execz .LBB56_282
; %bb.281:
	v_mov_b32_e32 v67, 16
	ds_write2_b64 v66, v[24:25], v[22:23] offset0:17 offset1:18
	ds_write2_b64 v66, v[20:21], v[18:19] offset0:19 offset1:20
	;; [unrolled: 1-line block ×6, first 2 shown]
.LBB56_282:
	s_or_b64 exec, exec, s[0:1]
	v_cmp_lt_i32_e32 vcc, 16, v67
	s_waitcnt lgkmcnt(0)
	s_barrier
	s_and_saveexec_b64 s[0:1], vcc
	s_cbranch_execz .LBB56_284
; %bb.283:
	ds_read2_b64 v[72:75], v66 offset0:17 offset1:18
	ds_read2_b64 v[76:79], v66 offset0:19 offset1:20
	;; [unrolled: 1-line block ×3, first 2 shown]
	v_mul_f64 v[26:27], v[62:63], v[26:27]
	s_waitcnt lgkmcnt(0)
	v_fma_f64 v[24:25], -v[26:27], v[72:73], v[24:25]
	v_fma_f64 v[22:23], -v[26:27], v[74:75], v[22:23]
	ds_read2_b64 v[72:75], v66 offset0:23 offset1:24
	v_fma_f64 v[20:21], -v[26:27], v[76:77], v[20:21]
	v_fma_f64 v[18:19], -v[26:27], v[78:79], v[18:19]
	;; [unrolled: 1-line block ×3, first 2 shown]
	ds_read2_b64 v[76:79], v66 offset0:25 offset1:26
	v_fma_f64 v[14:15], -v[26:27], v[82:83], v[14:15]
	ds_read2_b64 v[80:83], v66 offset0:27 offset1:28
	s_waitcnt lgkmcnt(0)
	v_fma_f64 v[12:13], -v[26:27], v[72:73], v[12:13]
	v_fma_f64 v[10:11], -v[26:27], v[74:75], v[10:11]
	;; [unrolled: 1-line block ×6, first 2 shown]
.LBB56_284:
	s_or_b64 exec, exec, s[0:1]
	v_lshl_add_u32 v62, v67, 3, v66
	s_barrier
	ds_write_b64 v62, v[24:25]
	s_waitcnt lgkmcnt(0)
	s_barrier
	ds_read_b64 v[62:63], v66 offset:136
	s_cmp_lt_i32 s18, 19
	v_mov_b32_e32 v64, 17
	s_cbranch_scc1 .LBB56_287
; %bb.285:
	v_add_u32_e32 v71, 0x90, v66
	s_mov_b32 s0, 18
	v_mov_b32_e32 v64, 17
.LBB56_286:                             ; =>This Inner Loop Header: Depth=1
	ds_read_b64 v[72:73], v71
	v_mov_b32_e32 v74, s0
	s_add_i32 s0, s0, 1
	v_add_u32_e32 v71, 8, v71
	s_cmp_lg_u32 s18, s0
	s_waitcnt lgkmcnt(0)
	v_cmp_lt_f64_e64 vcc, |v[62:63]|, |v[72:73]|
	v_cndmask_b32_e32 v63, v63, v73, vcc
	v_cndmask_b32_e32 v62, v62, v72, vcc
	v_cndmask_b32_e32 v64, v64, v74, vcc
	s_cbranch_scc1 .LBB56_286
.LBB56_287:
	s_waitcnt lgkmcnt(0)
	v_cmp_eq_f64_e32 vcc, 0, v[62:63]
	s_and_saveexec_b64 s[0:1], vcc
	s_xor_b64 s[0:1], exec, s[0:1]
; %bb.288:
	v_cmp_ne_u32_e32 vcc, 0, v70
	v_cndmask_b32_e32 v70, 18, v70, vcc
; %bb.289:
	s_andn2_saveexec_b64 s[0:1], s[0:1]
; %bb.290:
	v_div_scale_f64 v[72:73], s[2:3], v[62:63], v[62:63], 1.0
	v_rcp_f64_e32 v[74:75], v[72:73]
	v_div_scale_f64 v[76:77], vcc, 1.0, v[62:63], 1.0
	v_fma_f64 v[78:79], -v[72:73], v[74:75], 1.0
	v_fmac_f64_e32 v[74:75], v[74:75], v[78:79]
	v_fma_f64 v[78:79], -v[72:73], v[74:75], 1.0
	v_fmac_f64_e32 v[74:75], v[74:75], v[78:79]
	v_mul_f64 v[78:79], v[76:77], v[74:75]
	v_fma_f64 v[72:73], -v[72:73], v[78:79], v[76:77]
	v_div_fmas_f64 v[72:73], v[72:73], v[74:75], v[78:79]
	v_div_fixup_f64 v[62:63], v[72:73], v[62:63], 1.0
; %bb.291:
	s_or_b64 exec, exec, s[0:1]
	v_cmp_ne_u32_e32 vcc, v67, v64
	s_and_saveexec_b64 s[0:1], vcc
	s_xor_b64 s[0:1], exec, s[0:1]
	s_cbranch_execz .LBB56_297
; %bb.292:
	v_cmp_eq_u32_e32 vcc, 17, v67
	s_and_saveexec_b64 s[2:3], vcc
	s_cbranch_execz .LBB56_296
; %bb.293:
	v_cmp_ne_u32_e32 vcc, 17, v64
	s_xor_b64 s[14:15], s[6:7], -1
	s_and_b64 s[16:17], s[14:15], vcc
	s_and_saveexec_b64 s[14:15], s[16:17]
	s_cbranch_execz .LBB56_295
; %bb.294:
	v_ashrrev_i32_e32 v65, 31, v64
	v_lshlrev_b64 v[72:73], 2, v[64:65]
	v_add_co_u32_e32 v72, vcc, v4, v72
	v_addc_co_u32_e32 v73, vcc, v5, v73, vcc
	flat_load_dword v65, v[72:73]
	flat_load_dword v67, v[4:5] offset:68
	s_waitcnt vmcnt(0) lgkmcnt(0)
	flat_store_dword v[4:5], v65 offset:68
	flat_store_dword v[72:73], v67
.LBB56_295:
	s_or_b64 exec, exec, s[14:15]
	v_mov_b32_e32 v65, v64
	v_mov_b32_e32 v67, v64
.LBB56_296:
	s_or_b64 exec, exec, s[2:3]
.LBB56_297:
	s_andn2_saveexec_b64 s[0:1], s[0:1]
	s_cbranch_execz .LBB56_299
; %bb.298:
	v_mov_b32_e32 v72, v22
	v_mov_b32_e32 v73, v23
	v_mov_b32_e32 v74, v20
	v_mov_b32_e32 v75, v21
	ds_write2_b64 v66, v[72:73], v[74:75] offset0:18 offset1:19
	v_mov_b32_e32 v72, v18
	v_mov_b32_e32 v73, v19
	v_mov_b32_e32 v74, v16
	v_mov_b32_e32 v75, v17
	ds_write2_b64 v66, v[72:73], v[74:75] offset0:20 offset1:21
	;; [unrolled: 5-line block ×4, first 2 shown]
	v_mov_b32_e32 v72, v6
	v_mov_b32_e32 v73, v7
	;; [unrolled: 1-line block ×5, first 2 shown]
	ds_write2_b64 v66, v[72:73], v[74:75] offset0:26 offset1:27
	ds_write_b64 v66, v[60:61] offset:224
.LBB56_299:
	s_or_b64 exec, exec, s[0:1]
	v_cmp_lt_i32_e32 vcc, 17, v67
	s_waitcnt lgkmcnt(0)
	s_barrier
	s_and_saveexec_b64 s[0:1], vcc
	s_cbranch_execz .LBB56_301
; %bb.300:
	ds_read2_b64 v[72:75], v66 offset0:18 offset1:19
	ds_read2_b64 v[76:79], v66 offset0:20 offset1:21
	v_mul_f64 v[24:25], v[62:63], v[24:25]
	ds_read2_b64 v[80:83], v66 offset0:22 offset1:23
	ds_read_b64 v[62:63], v66 offset:224
	s_waitcnt lgkmcnt(0)
	v_fma_f64 v[22:23], -v[24:25], v[72:73], v[22:23]
	v_fma_f64 v[20:21], -v[24:25], v[74:75], v[20:21]
	ds_read2_b64 v[72:75], v66 offset0:24 offset1:25
	v_fma_f64 v[18:19], -v[24:25], v[76:77], v[18:19]
	v_fma_f64 v[16:17], -v[24:25], v[78:79], v[16:17]
	ds_read2_b64 v[76:79], v66 offset0:26 offset1:27
	v_fma_f64 v[14:15], -v[24:25], v[80:81], v[14:15]
	v_fma_f64 v[12:13], -v[24:25], v[82:83], v[12:13]
	s_waitcnt lgkmcnt(0)
	v_fma_f64 v[10:11], -v[24:25], v[72:73], v[10:11]
	v_fma_f64 v[8:9], -v[24:25], v[74:75], v[8:9]
	;; [unrolled: 1-line block ×5, first 2 shown]
.LBB56_301:
	s_or_b64 exec, exec, s[0:1]
	v_lshl_add_u32 v62, v67, 3, v66
	s_barrier
	ds_write_b64 v62, v[22:23]
	s_waitcnt lgkmcnt(0)
	s_barrier
	ds_read_b64 v[62:63], v66 offset:144
	s_cmp_lt_i32 s18, 20
	v_mov_b32_e32 v64, 18
	s_cbranch_scc1 .LBB56_304
; %bb.302:
	v_add_u32_e32 v71, 0x98, v66
	s_mov_b32 s0, 19
	v_mov_b32_e32 v64, 18
.LBB56_303:                             ; =>This Inner Loop Header: Depth=1
	ds_read_b64 v[72:73], v71
	v_mov_b32_e32 v74, s0
	s_add_i32 s0, s0, 1
	v_add_u32_e32 v71, 8, v71
	s_cmp_lg_u32 s18, s0
	s_waitcnt lgkmcnt(0)
	v_cmp_lt_f64_e64 vcc, |v[62:63]|, |v[72:73]|
	v_cndmask_b32_e32 v63, v63, v73, vcc
	v_cndmask_b32_e32 v62, v62, v72, vcc
	;; [unrolled: 1-line block ×3, first 2 shown]
	s_cbranch_scc1 .LBB56_303
.LBB56_304:
	s_waitcnt lgkmcnt(0)
	v_cmp_eq_f64_e32 vcc, 0, v[62:63]
	s_and_saveexec_b64 s[0:1], vcc
	s_xor_b64 s[0:1], exec, s[0:1]
; %bb.305:
	v_cmp_ne_u32_e32 vcc, 0, v70
	v_cndmask_b32_e32 v70, 19, v70, vcc
; %bb.306:
	s_andn2_saveexec_b64 s[0:1], s[0:1]
; %bb.307:
	v_div_scale_f64 v[72:73], s[2:3], v[62:63], v[62:63], 1.0
	v_rcp_f64_e32 v[74:75], v[72:73]
	v_div_scale_f64 v[76:77], vcc, 1.0, v[62:63], 1.0
	v_fma_f64 v[78:79], -v[72:73], v[74:75], 1.0
	v_fmac_f64_e32 v[74:75], v[74:75], v[78:79]
	v_fma_f64 v[78:79], -v[72:73], v[74:75], 1.0
	v_fmac_f64_e32 v[74:75], v[74:75], v[78:79]
	v_mul_f64 v[78:79], v[76:77], v[74:75]
	v_fma_f64 v[72:73], -v[72:73], v[78:79], v[76:77]
	v_div_fmas_f64 v[72:73], v[72:73], v[74:75], v[78:79]
	v_div_fixup_f64 v[62:63], v[72:73], v[62:63], 1.0
; %bb.308:
	s_or_b64 exec, exec, s[0:1]
	v_cmp_ne_u32_e32 vcc, v67, v64
	s_and_saveexec_b64 s[0:1], vcc
	s_xor_b64 s[0:1], exec, s[0:1]
	s_cbranch_execz .LBB56_314
; %bb.309:
	v_cmp_eq_u32_e32 vcc, 18, v67
	s_and_saveexec_b64 s[2:3], vcc
	s_cbranch_execz .LBB56_313
; %bb.310:
	v_cmp_ne_u32_e32 vcc, 18, v64
	s_xor_b64 s[14:15], s[6:7], -1
	s_and_b64 s[16:17], s[14:15], vcc
	s_and_saveexec_b64 s[14:15], s[16:17]
	s_cbranch_execz .LBB56_312
; %bb.311:
	v_ashrrev_i32_e32 v65, 31, v64
	v_lshlrev_b64 v[72:73], 2, v[64:65]
	v_add_co_u32_e32 v72, vcc, v4, v72
	v_addc_co_u32_e32 v73, vcc, v5, v73, vcc
	flat_load_dword v65, v[72:73]
	flat_load_dword v67, v[4:5] offset:72
	s_waitcnt vmcnt(0) lgkmcnt(0)
	flat_store_dword v[4:5], v65 offset:72
	flat_store_dword v[72:73], v67
.LBB56_312:
	s_or_b64 exec, exec, s[14:15]
	v_mov_b32_e32 v65, v64
	v_mov_b32_e32 v67, v64
.LBB56_313:
	s_or_b64 exec, exec, s[2:3]
.LBB56_314:
	s_andn2_saveexec_b64 s[0:1], s[0:1]
	s_cbranch_execz .LBB56_316
; %bb.315:
	v_mov_b32_e32 v67, 18
	ds_write2_b64 v66, v[20:21], v[18:19] offset0:19 offset1:20
	ds_write2_b64 v66, v[16:17], v[14:15] offset0:21 offset1:22
	;; [unrolled: 1-line block ×5, first 2 shown]
.LBB56_316:
	s_or_b64 exec, exec, s[0:1]
	v_cmp_lt_i32_e32 vcc, 18, v67
	s_waitcnt lgkmcnt(0)
	s_barrier
	s_and_saveexec_b64 s[0:1], vcc
	s_cbranch_execz .LBB56_318
; %bb.317:
	ds_read2_b64 v[72:75], v66 offset0:19 offset1:20
	ds_read2_b64 v[76:79], v66 offset0:21 offset1:22
	v_mul_f64 v[22:23], v[62:63], v[22:23]
	ds_read2_b64 v[80:83], v66 offset0:25 offset1:26
	s_waitcnt lgkmcnt(0)
	v_fma_f64 v[20:21], -v[22:23], v[72:73], v[20:21]
	v_fma_f64 v[18:19], -v[22:23], v[74:75], v[18:19]
	ds_read2_b64 v[72:75], v66 offset0:23 offset1:24
	v_fma_f64 v[16:17], -v[22:23], v[76:77], v[16:17]
	v_fma_f64 v[14:15], -v[22:23], v[78:79], v[14:15]
	ds_read2_b64 v[76:79], v66 offset0:27 offset1:28
	v_fma_f64 v[8:9], -v[22:23], v[80:81], v[8:9]
	s_waitcnt lgkmcnt(0)
	v_fma_f64 v[12:13], -v[22:23], v[72:73], v[12:13]
	v_fma_f64 v[10:11], -v[22:23], v[74:75], v[10:11]
	;; [unrolled: 1-line block ×5, first 2 shown]
.LBB56_318:
	s_or_b64 exec, exec, s[0:1]
	v_lshl_add_u32 v62, v67, 3, v66
	s_barrier
	ds_write_b64 v62, v[20:21]
	s_waitcnt lgkmcnt(0)
	s_barrier
	ds_read_b64 v[62:63], v66 offset:152
	s_cmp_lt_i32 s18, 21
	v_mov_b32_e32 v64, 19
	s_cbranch_scc1 .LBB56_321
; %bb.319:
	v_add_u32_e32 v71, 0xa0, v66
	s_mov_b32 s0, 20
	v_mov_b32_e32 v64, 19
.LBB56_320:                             ; =>This Inner Loop Header: Depth=1
	ds_read_b64 v[72:73], v71
	v_mov_b32_e32 v74, s0
	s_add_i32 s0, s0, 1
	v_add_u32_e32 v71, 8, v71
	s_cmp_lg_u32 s18, s0
	s_waitcnt lgkmcnt(0)
	v_cmp_lt_f64_e64 vcc, |v[62:63]|, |v[72:73]|
	v_cndmask_b32_e32 v63, v63, v73, vcc
	v_cndmask_b32_e32 v62, v62, v72, vcc
	v_cndmask_b32_e32 v64, v64, v74, vcc
	s_cbranch_scc1 .LBB56_320
.LBB56_321:
	s_waitcnt lgkmcnt(0)
	v_cmp_eq_f64_e32 vcc, 0, v[62:63]
	s_and_saveexec_b64 s[0:1], vcc
	s_xor_b64 s[0:1], exec, s[0:1]
; %bb.322:
	v_cmp_ne_u32_e32 vcc, 0, v70
	v_cndmask_b32_e32 v70, 20, v70, vcc
; %bb.323:
	s_andn2_saveexec_b64 s[0:1], s[0:1]
; %bb.324:
	v_div_scale_f64 v[72:73], s[2:3], v[62:63], v[62:63], 1.0
	v_rcp_f64_e32 v[74:75], v[72:73]
	v_div_scale_f64 v[76:77], vcc, 1.0, v[62:63], 1.0
	v_fma_f64 v[78:79], -v[72:73], v[74:75], 1.0
	v_fmac_f64_e32 v[74:75], v[74:75], v[78:79]
	v_fma_f64 v[78:79], -v[72:73], v[74:75], 1.0
	v_fmac_f64_e32 v[74:75], v[74:75], v[78:79]
	v_mul_f64 v[78:79], v[76:77], v[74:75]
	v_fma_f64 v[72:73], -v[72:73], v[78:79], v[76:77]
	v_div_fmas_f64 v[72:73], v[72:73], v[74:75], v[78:79]
	v_div_fixup_f64 v[62:63], v[72:73], v[62:63], 1.0
; %bb.325:
	s_or_b64 exec, exec, s[0:1]
	v_cmp_ne_u32_e32 vcc, v67, v64
	s_and_saveexec_b64 s[0:1], vcc
	s_xor_b64 s[0:1], exec, s[0:1]
	s_cbranch_execz .LBB56_331
; %bb.326:
	v_cmp_eq_u32_e32 vcc, 19, v67
	s_and_saveexec_b64 s[2:3], vcc
	s_cbranch_execz .LBB56_330
; %bb.327:
	v_cmp_ne_u32_e32 vcc, 19, v64
	s_xor_b64 s[14:15], s[6:7], -1
	s_and_b64 s[16:17], s[14:15], vcc
	s_and_saveexec_b64 s[14:15], s[16:17]
	s_cbranch_execz .LBB56_329
; %bb.328:
	v_ashrrev_i32_e32 v65, 31, v64
	v_lshlrev_b64 v[72:73], 2, v[64:65]
	v_add_co_u32_e32 v72, vcc, v4, v72
	v_addc_co_u32_e32 v73, vcc, v5, v73, vcc
	flat_load_dword v65, v[72:73]
	flat_load_dword v67, v[4:5] offset:76
	s_waitcnt vmcnt(0) lgkmcnt(0)
	flat_store_dword v[4:5], v65 offset:76
	flat_store_dword v[72:73], v67
.LBB56_329:
	s_or_b64 exec, exec, s[14:15]
	v_mov_b32_e32 v65, v64
	v_mov_b32_e32 v67, v64
.LBB56_330:
	s_or_b64 exec, exec, s[2:3]
.LBB56_331:
	s_andn2_saveexec_b64 s[0:1], s[0:1]
	s_cbranch_execz .LBB56_333
; %bb.332:
	v_mov_b32_e32 v72, v18
	v_mov_b32_e32 v73, v19
	v_mov_b32_e32 v74, v16
	v_mov_b32_e32 v75, v17
	ds_write2_b64 v66, v[72:73], v[74:75] offset0:20 offset1:21
	v_mov_b32_e32 v72, v14
	v_mov_b32_e32 v73, v15
	v_mov_b32_e32 v74, v12
	v_mov_b32_e32 v75, v13
	ds_write2_b64 v66, v[72:73], v[74:75] offset0:22 offset1:23
	;; [unrolled: 5-line block ×3, first 2 shown]
	v_mov_b32_e32 v72, v6
	v_mov_b32_e32 v73, v7
	;; [unrolled: 1-line block ×5, first 2 shown]
	ds_write2_b64 v66, v[72:73], v[74:75] offset0:26 offset1:27
	ds_write_b64 v66, v[60:61] offset:224
.LBB56_333:
	s_or_b64 exec, exec, s[0:1]
	v_cmp_lt_i32_e32 vcc, 19, v67
	s_waitcnt lgkmcnt(0)
	s_barrier
	s_and_saveexec_b64 s[0:1], vcc
	s_cbranch_execz .LBB56_335
; %bb.334:
	ds_read2_b64 v[72:75], v66 offset0:20 offset1:21
	ds_read2_b64 v[76:79], v66 offset0:22 offset1:23
	v_mul_f64 v[20:21], v[62:63], v[20:21]
	ds_read_b64 v[62:63], v66 offset:224
	ds_read2_b64 v[80:83], v66 offset0:26 offset1:27
	s_waitcnt lgkmcnt(0)
	v_fma_f64 v[18:19], -v[20:21], v[72:73], v[18:19]
	v_fma_f64 v[16:17], -v[20:21], v[74:75], v[16:17]
	ds_read2_b64 v[72:75], v66 offset0:24 offset1:25
	v_fma_f64 v[14:15], -v[20:21], v[76:77], v[14:15]
	v_fma_f64 v[12:13], -v[20:21], v[78:79], v[12:13]
	;; [unrolled: 1-line block ×4, first 2 shown]
	s_waitcnt lgkmcnt(0)
	v_fma_f64 v[10:11], -v[20:21], v[72:73], v[10:11]
	v_fma_f64 v[8:9], -v[20:21], v[74:75], v[8:9]
	;; [unrolled: 1-line block ×3, first 2 shown]
.LBB56_335:
	s_or_b64 exec, exec, s[0:1]
	v_lshl_add_u32 v62, v67, 3, v66
	s_barrier
	ds_write_b64 v62, v[18:19]
	s_waitcnt lgkmcnt(0)
	s_barrier
	ds_read_b64 v[62:63], v66 offset:160
	s_cmp_lt_i32 s18, 22
	v_mov_b32_e32 v64, 20
	s_cbranch_scc1 .LBB56_338
; %bb.336:
	v_add_u32_e32 v71, 0xa8, v66
	s_mov_b32 s0, 21
	v_mov_b32_e32 v64, 20
.LBB56_337:                             ; =>This Inner Loop Header: Depth=1
	ds_read_b64 v[72:73], v71
	v_mov_b32_e32 v74, s0
	s_add_i32 s0, s0, 1
	v_add_u32_e32 v71, 8, v71
	s_cmp_lg_u32 s18, s0
	s_waitcnt lgkmcnt(0)
	v_cmp_lt_f64_e64 vcc, |v[62:63]|, |v[72:73]|
	v_cndmask_b32_e32 v63, v63, v73, vcc
	v_cndmask_b32_e32 v62, v62, v72, vcc
	;; [unrolled: 1-line block ×3, first 2 shown]
	s_cbranch_scc1 .LBB56_337
.LBB56_338:
	s_waitcnt lgkmcnt(0)
	v_cmp_eq_f64_e32 vcc, 0, v[62:63]
	s_and_saveexec_b64 s[0:1], vcc
	s_xor_b64 s[0:1], exec, s[0:1]
; %bb.339:
	v_cmp_ne_u32_e32 vcc, 0, v70
	v_cndmask_b32_e32 v70, 21, v70, vcc
; %bb.340:
	s_andn2_saveexec_b64 s[0:1], s[0:1]
; %bb.341:
	v_div_scale_f64 v[72:73], s[2:3], v[62:63], v[62:63], 1.0
	v_rcp_f64_e32 v[74:75], v[72:73]
	v_div_scale_f64 v[76:77], vcc, 1.0, v[62:63], 1.0
	v_fma_f64 v[78:79], -v[72:73], v[74:75], 1.0
	v_fmac_f64_e32 v[74:75], v[74:75], v[78:79]
	v_fma_f64 v[78:79], -v[72:73], v[74:75], 1.0
	v_fmac_f64_e32 v[74:75], v[74:75], v[78:79]
	v_mul_f64 v[78:79], v[76:77], v[74:75]
	v_fma_f64 v[72:73], -v[72:73], v[78:79], v[76:77]
	v_div_fmas_f64 v[72:73], v[72:73], v[74:75], v[78:79]
	v_div_fixup_f64 v[62:63], v[72:73], v[62:63], 1.0
; %bb.342:
	s_or_b64 exec, exec, s[0:1]
	v_cmp_ne_u32_e32 vcc, v67, v64
	s_and_saveexec_b64 s[0:1], vcc
	s_xor_b64 s[0:1], exec, s[0:1]
	s_cbranch_execz .LBB56_348
; %bb.343:
	v_cmp_eq_u32_e32 vcc, 20, v67
	s_and_saveexec_b64 s[2:3], vcc
	s_cbranch_execz .LBB56_347
; %bb.344:
	v_cmp_ne_u32_e32 vcc, 20, v64
	s_xor_b64 s[14:15], s[6:7], -1
	s_and_b64 s[16:17], s[14:15], vcc
	s_and_saveexec_b64 s[14:15], s[16:17]
	s_cbranch_execz .LBB56_346
; %bb.345:
	v_ashrrev_i32_e32 v65, 31, v64
	v_lshlrev_b64 v[72:73], 2, v[64:65]
	v_add_co_u32_e32 v72, vcc, v4, v72
	v_addc_co_u32_e32 v73, vcc, v5, v73, vcc
	flat_load_dword v65, v[72:73]
	flat_load_dword v67, v[4:5] offset:80
	s_waitcnt vmcnt(0) lgkmcnt(0)
	flat_store_dword v[4:5], v65 offset:80
	flat_store_dword v[72:73], v67
.LBB56_346:
	s_or_b64 exec, exec, s[14:15]
	v_mov_b32_e32 v65, v64
	v_mov_b32_e32 v67, v64
.LBB56_347:
	s_or_b64 exec, exec, s[2:3]
.LBB56_348:
	s_andn2_saveexec_b64 s[0:1], s[0:1]
	s_cbranch_execz .LBB56_350
; %bb.349:
	v_mov_b32_e32 v67, 20
	ds_write2_b64 v66, v[16:17], v[14:15] offset0:21 offset1:22
	ds_write2_b64 v66, v[12:13], v[10:11] offset0:23 offset1:24
	ds_write2_b64 v66, v[8:9], v[6:7] offset0:25 offset1:26
	ds_write2_b64 v66, v[0:1], v[60:61] offset0:27 offset1:28
.LBB56_350:
	s_or_b64 exec, exec, s[0:1]
	v_cmp_lt_i32_e32 vcc, 20, v67
	s_waitcnt lgkmcnt(0)
	s_barrier
	s_and_saveexec_b64 s[0:1], vcc
	s_cbranch_execz .LBB56_352
; %bb.351:
	ds_read2_b64 v[72:75], v66 offset0:21 offset1:22
	ds_read2_b64 v[76:79], v66 offset0:23 offset1:24
	v_mul_f64 v[18:19], v[62:63], v[18:19]
	ds_read2_b64 v[80:83], v66 offset0:25 offset1:26
	s_waitcnt lgkmcnt(0)
	v_fma_f64 v[16:17], -v[18:19], v[72:73], v[16:17]
	v_fma_f64 v[14:15], -v[18:19], v[74:75], v[14:15]
	ds_read2_b64 v[72:75], v66 offset0:27 offset1:28
	v_fma_f64 v[12:13], -v[18:19], v[76:77], v[12:13]
	v_fma_f64 v[10:11], -v[18:19], v[78:79], v[10:11]
	;; [unrolled: 1-line block ×4, first 2 shown]
	s_waitcnt lgkmcnt(0)
	v_fma_f64 v[0:1], -v[18:19], v[72:73], v[0:1]
	v_fma_f64 v[60:61], -v[18:19], v[74:75], v[60:61]
.LBB56_352:
	s_or_b64 exec, exec, s[0:1]
	v_lshl_add_u32 v62, v67, 3, v66
	s_barrier
	ds_write_b64 v62, v[16:17]
	s_waitcnt lgkmcnt(0)
	s_barrier
	ds_read_b64 v[62:63], v66 offset:168
	s_cmp_lt_i32 s18, 23
	v_mov_b32_e32 v64, 21
	s_cbranch_scc1 .LBB56_355
; %bb.353:
	v_add_u32_e32 v71, 0xb0, v66
	s_mov_b32 s0, 22
	v_mov_b32_e32 v64, 21
.LBB56_354:                             ; =>This Inner Loop Header: Depth=1
	ds_read_b64 v[72:73], v71
	v_mov_b32_e32 v74, s0
	s_add_i32 s0, s0, 1
	v_add_u32_e32 v71, 8, v71
	s_cmp_lg_u32 s18, s0
	s_waitcnt lgkmcnt(0)
	v_cmp_lt_f64_e64 vcc, |v[62:63]|, |v[72:73]|
	v_cndmask_b32_e32 v63, v63, v73, vcc
	v_cndmask_b32_e32 v62, v62, v72, vcc
	;; [unrolled: 1-line block ×3, first 2 shown]
	s_cbranch_scc1 .LBB56_354
.LBB56_355:
	s_waitcnt lgkmcnt(0)
	v_cmp_eq_f64_e32 vcc, 0, v[62:63]
	s_and_saveexec_b64 s[0:1], vcc
	s_xor_b64 s[0:1], exec, s[0:1]
; %bb.356:
	v_cmp_ne_u32_e32 vcc, 0, v70
	v_cndmask_b32_e32 v70, 22, v70, vcc
; %bb.357:
	s_andn2_saveexec_b64 s[0:1], s[0:1]
; %bb.358:
	v_div_scale_f64 v[72:73], s[2:3], v[62:63], v[62:63], 1.0
	v_rcp_f64_e32 v[74:75], v[72:73]
	v_div_scale_f64 v[76:77], vcc, 1.0, v[62:63], 1.0
	v_fma_f64 v[78:79], -v[72:73], v[74:75], 1.0
	v_fmac_f64_e32 v[74:75], v[74:75], v[78:79]
	v_fma_f64 v[78:79], -v[72:73], v[74:75], 1.0
	v_fmac_f64_e32 v[74:75], v[74:75], v[78:79]
	v_mul_f64 v[78:79], v[76:77], v[74:75]
	v_fma_f64 v[72:73], -v[72:73], v[78:79], v[76:77]
	v_div_fmas_f64 v[72:73], v[72:73], v[74:75], v[78:79]
	v_div_fixup_f64 v[62:63], v[72:73], v[62:63], 1.0
; %bb.359:
	s_or_b64 exec, exec, s[0:1]
	v_cmp_ne_u32_e32 vcc, v67, v64
	s_and_saveexec_b64 s[0:1], vcc
	s_xor_b64 s[0:1], exec, s[0:1]
	s_cbranch_execz .LBB56_365
; %bb.360:
	v_cmp_eq_u32_e32 vcc, 21, v67
	s_and_saveexec_b64 s[2:3], vcc
	s_cbranch_execz .LBB56_364
; %bb.361:
	v_cmp_ne_u32_e32 vcc, 21, v64
	s_xor_b64 s[14:15], s[6:7], -1
	s_and_b64 s[16:17], s[14:15], vcc
	s_and_saveexec_b64 s[14:15], s[16:17]
	s_cbranch_execz .LBB56_363
; %bb.362:
	v_ashrrev_i32_e32 v65, 31, v64
	v_lshlrev_b64 v[72:73], 2, v[64:65]
	v_add_co_u32_e32 v72, vcc, v4, v72
	v_addc_co_u32_e32 v73, vcc, v5, v73, vcc
	flat_load_dword v65, v[72:73]
	flat_load_dword v67, v[4:5] offset:84
	s_waitcnt vmcnt(0) lgkmcnt(0)
	flat_store_dword v[4:5], v65 offset:84
	flat_store_dword v[72:73], v67
.LBB56_363:
	s_or_b64 exec, exec, s[14:15]
	v_mov_b32_e32 v65, v64
	v_mov_b32_e32 v67, v64
.LBB56_364:
	s_or_b64 exec, exec, s[2:3]
.LBB56_365:
	s_andn2_saveexec_b64 s[0:1], s[0:1]
	s_cbranch_execz .LBB56_367
; %bb.366:
	v_mov_b32_e32 v72, v14
	v_mov_b32_e32 v73, v15
	;; [unrolled: 1-line block ×4, first 2 shown]
	ds_write2_b64 v66, v[72:73], v[74:75] offset0:22 offset1:23
	v_mov_b32_e32 v72, v10
	v_mov_b32_e32 v73, v11
	v_mov_b32_e32 v74, v8
	v_mov_b32_e32 v75, v9
	ds_write2_b64 v66, v[72:73], v[74:75] offset0:24 offset1:25
	v_mov_b32_e32 v72, v6
	v_mov_b32_e32 v73, v7
	;; [unrolled: 1-line block ×5, first 2 shown]
	ds_write2_b64 v66, v[72:73], v[74:75] offset0:26 offset1:27
	ds_write_b64 v66, v[60:61] offset:224
.LBB56_367:
	s_or_b64 exec, exec, s[0:1]
	v_cmp_lt_i32_e32 vcc, 21, v67
	s_waitcnt lgkmcnt(0)
	s_barrier
	s_and_saveexec_b64 s[0:1], vcc
	s_cbranch_execz .LBB56_369
; %bb.368:
	ds_read2_b64 v[72:75], v66 offset0:22 offset1:23
	ds_read2_b64 v[76:79], v66 offset0:24 offset1:25
	v_mul_f64 v[16:17], v[62:63], v[16:17]
	ds_read2_b64 v[80:83], v66 offset0:26 offset1:27
	ds_read_b64 v[62:63], v66 offset:224
	s_waitcnt lgkmcnt(0)
	v_fma_f64 v[14:15], -v[16:17], v[72:73], v[14:15]
	v_fma_f64 v[12:13], -v[16:17], v[74:75], v[12:13]
	;; [unrolled: 1-line block ×7, first 2 shown]
.LBB56_369:
	s_or_b64 exec, exec, s[0:1]
	v_lshl_add_u32 v62, v67, 3, v66
	s_barrier
	ds_write_b64 v62, v[14:15]
	s_waitcnt lgkmcnt(0)
	s_barrier
	ds_read_b64 v[62:63], v66 offset:176
	s_cmp_lt_i32 s18, 24
	v_mov_b32_e32 v64, 22
	s_cbranch_scc1 .LBB56_372
; %bb.370:
	v_add_u32_e32 v71, 0xb8, v66
	s_mov_b32 s0, 23
	v_mov_b32_e32 v64, 22
.LBB56_371:                             ; =>This Inner Loop Header: Depth=1
	ds_read_b64 v[72:73], v71
	v_mov_b32_e32 v74, s0
	s_add_i32 s0, s0, 1
	v_add_u32_e32 v71, 8, v71
	s_cmp_lg_u32 s18, s0
	s_waitcnt lgkmcnt(0)
	v_cmp_lt_f64_e64 vcc, |v[62:63]|, |v[72:73]|
	v_cndmask_b32_e32 v63, v63, v73, vcc
	v_cndmask_b32_e32 v62, v62, v72, vcc
	;; [unrolled: 1-line block ×3, first 2 shown]
	s_cbranch_scc1 .LBB56_371
.LBB56_372:
	s_waitcnt lgkmcnt(0)
	v_cmp_eq_f64_e32 vcc, 0, v[62:63]
	s_and_saveexec_b64 s[0:1], vcc
	s_xor_b64 s[0:1], exec, s[0:1]
; %bb.373:
	v_cmp_ne_u32_e32 vcc, 0, v70
	v_cndmask_b32_e32 v70, 23, v70, vcc
; %bb.374:
	s_andn2_saveexec_b64 s[0:1], s[0:1]
; %bb.375:
	v_div_scale_f64 v[72:73], s[2:3], v[62:63], v[62:63], 1.0
	v_rcp_f64_e32 v[74:75], v[72:73]
	v_div_scale_f64 v[76:77], vcc, 1.0, v[62:63], 1.0
	v_fma_f64 v[78:79], -v[72:73], v[74:75], 1.0
	v_fmac_f64_e32 v[74:75], v[74:75], v[78:79]
	v_fma_f64 v[78:79], -v[72:73], v[74:75], 1.0
	v_fmac_f64_e32 v[74:75], v[74:75], v[78:79]
	v_mul_f64 v[78:79], v[76:77], v[74:75]
	v_fma_f64 v[72:73], -v[72:73], v[78:79], v[76:77]
	v_div_fmas_f64 v[72:73], v[72:73], v[74:75], v[78:79]
	v_div_fixup_f64 v[62:63], v[72:73], v[62:63], 1.0
; %bb.376:
	s_or_b64 exec, exec, s[0:1]
	v_cmp_ne_u32_e32 vcc, v67, v64
	s_and_saveexec_b64 s[0:1], vcc
	s_xor_b64 s[0:1], exec, s[0:1]
	s_cbranch_execz .LBB56_382
; %bb.377:
	v_cmp_eq_u32_e32 vcc, 22, v67
	s_and_saveexec_b64 s[2:3], vcc
	s_cbranch_execz .LBB56_381
; %bb.378:
	v_cmp_ne_u32_e32 vcc, 22, v64
	s_xor_b64 s[14:15], s[6:7], -1
	s_and_b64 s[16:17], s[14:15], vcc
	s_and_saveexec_b64 s[14:15], s[16:17]
	s_cbranch_execz .LBB56_380
; %bb.379:
	v_ashrrev_i32_e32 v65, 31, v64
	v_lshlrev_b64 v[72:73], 2, v[64:65]
	v_add_co_u32_e32 v72, vcc, v4, v72
	v_addc_co_u32_e32 v73, vcc, v5, v73, vcc
	flat_load_dword v65, v[72:73]
	flat_load_dword v67, v[4:5] offset:88
	s_waitcnt vmcnt(0) lgkmcnt(0)
	flat_store_dword v[4:5], v65 offset:88
	flat_store_dword v[72:73], v67
.LBB56_380:
	s_or_b64 exec, exec, s[14:15]
	v_mov_b32_e32 v65, v64
	v_mov_b32_e32 v67, v64
.LBB56_381:
	s_or_b64 exec, exec, s[2:3]
.LBB56_382:
	s_andn2_saveexec_b64 s[0:1], s[0:1]
	s_cbranch_execz .LBB56_384
; %bb.383:
	v_mov_b32_e32 v67, 22
	ds_write2_b64 v66, v[12:13], v[10:11] offset0:23 offset1:24
	ds_write2_b64 v66, v[8:9], v[6:7] offset0:25 offset1:26
	;; [unrolled: 1-line block ×3, first 2 shown]
.LBB56_384:
	s_or_b64 exec, exec, s[0:1]
	v_cmp_lt_i32_e32 vcc, 22, v67
	s_waitcnt lgkmcnt(0)
	s_barrier
	s_and_saveexec_b64 s[0:1], vcc
	s_cbranch_execz .LBB56_386
; %bb.385:
	ds_read2_b64 v[72:75], v66 offset0:23 offset1:24
	ds_read2_b64 v[76:79], v66 offset0:25 offset1:26
	;; [unrolled: 1-line block ×3, first 2 shown]
	v_mul_f64 v[14:15], v[62:63], v[14:15]
	s_waitcnt lgkmcnt(0)
	v_fma_f64 v[12:13], -v[14:15], v[72:73], v[12:13]
	v_fma_f64 v[10:11], -v[14:15], v[74:75], v[10:11]
	;; [unrolled: 1-line block ×6, first 2 shown]
.LBB56_386:
	s_or_b64 exec, exec, s[0:1]
	v_lshl_add_u32 v62, v67, 3, v66
	s_barrier
	ds_write_b64 v62, v[12:13]
	s_waitcnt lgkmcnt(0)
	s_barrier
	ds_read_b64 v[62:63], v66 offset:184
	s_cmp_lt_i32 s18, 25
	v_mov_b32_e32 v64, 23
	s_cbranch_scc1 .LBB56_389
; %bb.387:
	v_add_u32_e32 v71, 0xc0, v66
	s_mov_b32 s0, 24
	v_mov_b32_e32 v64, 23
.LBB56_388:                             ; =>This Inner Loop Header: Depth=1
	ds_read_b64 v[72:73], v71
	v_mov_b32_e32 v74, s0
	s_add_i32 s0, s0, 1
	v_add_u32_e32 v71, 8, v71
	s_cmp_lg_u32 s18, s0
	s_waitcnt lgkmcnt(0)
	v_cmp_lt_f64_e64 vcc, |v[62:63]|, |v[72:73]|
	v_cndmask_b32_e32 v63, v63, v73, vcc
	v_cndmask_b32_e32 v62, v62, v72, vcc
	;; [unrolled: 1-line block ×3, first 2 shown]
	s_cbranch_scc1 .LBB56_388
.LBB56_389:
	s_waitcnt lgkmcnt(0)
	v_cmp_eq_f64_e32 vcc, 0, v[62:63]
	s_and_saveexec_b64 s[0:1], vcc
	s_xor_b64 s[0:1], exec, s[0:1]
; %bb.390:
	v_cmp_ne_u32_e32 vcc, 0, v70
	v_cndmask_b32_e32 v70, 24, v70, vcc
; %bb.391:
	s_andn2_saveexec_b64 s[0:1], s[0:1]
; %bb.392:
	v_div_scale_f64 v[72:73], s[2:3], v[62:63], v[62:63], 1.0
	v_rcp_f64_e32 v[74:75], v[72:73]
	v_div_scale_f64 v[76:77], vcc, 1.0, v[62:63], 1.0
	v_fma_f64 v[78:79], -v[72:73], v[74:75], 1.0
	v_fmac_f64_e32 v[74:75], v[74:75], v[78:79]
	v_fma_f64 v[78:79], -v[72:73], v[74:75], 1.0
	v_fmac_f64_e32 v[74:75], v[74:75], v[78:79]
	v_mul_f64 v[78:79], v[76:77], v[74:75]
	v_fma_f64 v[72:73], -v[72:73], v[78:79], v[76:77]
	v_div_fmas_f64 v[72:73], v[72:73], v[74:75], v[78:79]
	v_div_fixup_f64 v[62:63], v[72:73], v[62:63], 1.0
; %bb.393:
	s_or_b64 exec, exec, s[0:1]
	v_cmp_ne_u32_e32 vcc, v67, v64
	s_and_saveexec_b64 s[0:1], vcc
	s_xor_b64 s[0:1], exec, s[0:1]
	s_cbranch_execz .LBB56_399
; %bb.394:
	v_cmp_eq_u32_e32 vcc, 23, v67
	s_and_saveexec_b64 s[2:3], vcc
	s_cbranch_execz .LBB56_398
; %bb.395:
	v_cmp_ne_u32_e32 vcc, 23, v64
	s_xor_b64 s[14:15], s[6:7], -1
	s_and_b64 s[16:17], s[14:15], vcc
	s_and_saveexec_b64 s[14:15], s[16:17]
	s_cbranch_execz .LBB56_397
; %bb.396:
	v_ashrrev_i32_e32 v65, 31, v64
	v_lshlrev_b64 v[72:73], 2, v[64:65]
	v_add_co_u32_e32 v72, vcc, v4, v72
	v_addc_co_u32_e32 v73, vcc, v5, v73, vcc
	flat_load_dword v65, v[72:73]
	flat_load_dword v67, v[4:5] offset:92
	s_waitcnt vmcnt(0) lgkmcnt(0)
	flat_store_dword v[4:5], v65 offset:92
	flat_store_dword v[72:73], v67
.LBB56_397:
	s_or_b64 exec, exec, s[14:15]
	v_mov_b32_e32 v65, v64
	v_mov_b32_e32 v67, v64
.LBB56_398:
	s_or_b64 exec, exec, s[2:3]
.LBB56_399:
	s_andn2_saveexec_b64 s[0:1], s[0:1]
	s_cbranch_execz .LBB56_401
; %bb.400:
	v_mov_b32_e32 v72, v10
	v_mov_b32_e32 v73, v11
	;; [unrolled: 1-line block ×4, first 2 shown]
	ds_write2_b64 v66, v[72:73], v[74:75] offset0:24 offset1:25
	v_mov_b32_e32 v72, v6
	v_mov_b32_e32 v73, v7
	;; [unrolled: 1-line block ×5, first 2 shown]
	ds_write2_b64 v66, v[72:73], v[74:75] offset0:26 offset1:27
	ds_write_b64 v66, v[60:61] offset:224
.LBB56_401:
	s_or_b64 exec, exec, s[0:1]
	v_cmp_lt_i32_e32 vcc, 23, v67
	s_waitcnt lgkmcnt(0)
	s_barrier
	s_and_saveexec_b64 s[0:1], vcc
	s_cbranch_execz .LBB56_403
; %bb.402:
	ds_read2_b64 v[72:75], v66 offset0:24 offset1:25
	ds_read2_b64 v[76:79], v66 offset0:26 offset1:27
	v_mul_f64 v[12:13], v[62:63], v[12:13]
	ds_read_b64 v[62:63], v66 offset:224
	s_waitcnt lgkmcnt(0)
	v_fma_f64 v[10:11], -v[12:13], v[72:73], v[10:11]
	v_fma_f64 v[8:9], -v[12:13], v[74:75], v[8:9]
	;; [unrolled: 1-line block ×5, first 2 shown]
.LBB56_403:
	s_or_b64 exec, exec, s[0:1]
	v_lshl_add_u32 v62, v67, 3, v66
	s_barrier
	ds_write_b64 v62, v[10:11]
	s_waitcnt lgkmcnt(0)
	s_barrier
	ds_read_b64 v[62:63], v66 offset:192
	s_cmp_lt_i32 s18, 26
	v_mov_b32_e32 v64, 24
	s_cbranch_scc1 .LBB56_406
; %bb.404:
	v_add_u32_e32 v71, 0xc8, v66
	s_mov_b32 s0, 25
	v_mov_b32_e32 v64, 24
.LBB56_405:                             ; =>This Inner Loop Header: Depth=1
	ds_read_b64 v[72:73], v71
	v_mov_b32_e32 v74, s0
	s_add_i32 s0, s0, 1
	v_add_u32_e32 v71, 8, v71
	s_cmp_lg_u32 s18, s0
	s_waitcnt lgkmcnt(0)
	v_cmp_lt_f64_e64 vcc, |v[62:63]|, |v[72:73]|
	v_cndmask_b32_e32 v63, v63, v73, vcc
	v_cndmask_b32_e32 v62, v62, v72, vcc
	;; [unrolled: 1-line block ×3, first 2 shown]
	s_cbranch_scc1 .LBB56_405
.LBB56_406:
	s_waitcnt lgkmcnt(0)
	v_cmp_eq_f64_e32 vcc, 0, v[62:63]
	s_and_saveexec_b64 s[0:1], vcc
	s_xor_b64 s[0:1], exec, s[0:1]
; %bb.407:
	v_cmp_ne_u32_e32 vcc, 0, v70
	v_cndmask_b32_e32 v70, 25, v70, vcc
; %bb.408:
	s_andn2_saveexec_b64 s[0:1], s[0:1]
; %bb.409:
	v_div_scale_f64 v[72:73], s[2:3], v[62:63], v[62:63], 1.0
	v_rcp_f64_e32 v[74:75], v[72:73]
	v_div_scale_f64 v[76:77], vcc, 1.0, v[62:63], 1.0
	v_fma_f64 v[78:79], -v[72:73], v[74:75], 1.0
	v_fmac_f64_e32 v[74:75], v[74:75], v[78:79]
	v_fma_f64 v[78:79], -v[72:73], v[74:75], 1.0
	v_fmac_f64_e32 v[74:75], v[74:75], v[78:79]
	v_mul_f64 v[78:79], v[76:77], v[74:75]
	v_fma_f64 v[72:73], -v[72:73], v[78:79], v[76:77]
	v_div_fmas_f64 v[72:73], v[72:73], v[74:75], v[78:79]
	v_div_fixup_f64 v[62:63], v[72:73], v[62:63], 1.0
; %bb.410:
	s_or_b64 exec, exec, s[0:1]
	v_cmp_ne_u32_e32 vcc, v67, v64
	s_and_saveexec_b64 s[0:1], vcc
	s_xor_b64 s[0:1], exec, s[0:1]
	s_cbranch_execz .LBB56_416
; %bb.411:
	v_cmp_eq_u32_e32 vcc, 24, v67
	s_and_saveexec_b64 s[2:3], vcc
	s_cbranch_execz .LBB56_415
; %bb.412:
	v_cmp_ne_u32_e32 vcc, 24, v64
	s_xor_b64 s[14:15], s[6:7], -1
	s_and_b64 s[16:17], s[14:15], vcc
	s_and_saveexec_b64 s[14:15], s[16:17]
	s_cbranch_execz .LBB56_414
; %bb.413:
	v_ashrrev_i32_e32 v65, 31, v64
	v_lshlrev_b64 v[72:73], 2, v[64:65]
	v_add_co_u32_e32 v72, vcc, v4, v72
	v_addc_co_u32_e32 v73, vcc, v5, v73, vcc
	flat_load_dword v65, v[72:73]
	flat_load_dword v67, v[4:5] offset:96
	s_waitcnt vmcnt(0) lgkmcnt(0)
	flat_store_dword v[4:5], v65 offset:96
	flat_store_dword v[72:73], v67
.LBB56_414:
	s_or_b64 exec, exec, s[14:15]
	v_mov_b32_e32 v65, v64
	v_mov_b32_e32 v67, v64
.LBB56_415:
	s_or_b64 exec, exec, s[2:3]
.LBB56_416:
	s_andn2_saveexec_b64 s[0:1], s[0:1]
	s_cbranch_execz .LBB56_418
; %bb.417:
	v_mov_b32_e32 v67, 24
	ds_write2_b64 v66, v[8:9], v[6:7] offset0:25 offset1:26
	ds_write2_b64 v66, v[0:1], v[60:61] offset0:27 offset1:28
.LBB56_418:
	s_or_b64 exec, exec, s[0:1]
	v_cmp_lt_i32_e32 vcc, 24, v67
	s_waitcnt lgkmcnt(0)
	s_barrier
	s_and_saveexec_b64 s[0:1], vcc
	s_cbranch_execz .LBB56_420
; %bb.419:
	ds_read2_b64 v[72:75], v66 offset0:25 offset1:26
	ds_read2_b64 v[76:79], v66 offset0:27 offset1:28
	v_mul_f64 v[10:11], v[62:63], v[10:11]
	s_waitcnt lgkmcnt(0)
	v_fma_f64 v[8:9], -v[10:11], v[72:73], v[8:9]
	v_fma_f64 v[6:7], -v[10:11], v[74:75], v[6:7]
	;; [unrolled: 1-line block ×4, first 2 shown]
.LBB56_420:
	s_or_b64 exec, exec, s[0:1]
	v_lshl_add_u32 v62, v67, 3, v66
	s_barrier
	ds_write_b64 v62, v[8:9]
	s_waitcnt lgkmcnt(0)
	s_barrier
	ds_read_b64 v[62:63], v66 offset:200
	s_cmp_lt_i32 s18, 27
	v_mov_b32_e32 v64, 25
	s_cbranch_scc1 .LBB56_423
; %bb.421:
	v_add_u32_e32 v71, 0xd0, v66
	s_mov_b32 s0, 26
	v_mov_b32_e32 v64, 25
.LBB56_422:                             ; =>This Inner Loop Header: Depth=1
	ds_read_b64 v[72:73], v71
	v_mov_b32_e32 v74, s0
	s_add_i32 s0, s0, 1
	v_add_u32_e32 v71, 8, v71
	s_cmp_lg_u32 s18, s0
	s_waitcnt lgkmcnt(0)
	v_cmp_lt_f64_e64 vcc, |v[62:63]|, |v[72:73]|
	v_cndmask_b32_e32 v63, v63, v73, vcc
	v_cndmask_b32_e32 v62, v62, v72, vcc
	;; [unrolled: 1-line block ×3, first 2 shown]
	s_cbranch_scc1 .LBB56_422
.LBB56_423:
	s_waitcnt lgkmcnt(0)
	v_cmp_eq_f64_e32 vcc, 0, v[62:63]
	s_and_saveexec_b64 s[0:1], vcc
	s_xor_b64 s[0:1], exec, s[0:1]
; %bb.424:
	v_cmp_ne_u32_e32 vcc, 0, v70
	v_cndmask_b32_e32 v70, 26, v70, vcc
; %bb.425:
	s_andn2_saveexec_b64 s[0:1], s[0:1]
; %bb.426:
	v_div_scale_f64 v[72:73], s[2:3], v[62:63], v[62:63], 1.0
	v_rcp_f64_e32 v[74:75], v[72:73]
	v_div_scale_f64 v[76:77], vcc, 1.0, v[62:63], 1.0
	v_fma_f64 v[78:79], -v[72:73], v[74:75], 1.0
	v_fmac_f64_e32 v[74:75], v[74:75], v[78:79]
	v_fma_f64 v[78:79], -v[72:73], v[74:75], 1.0
	v_fmac_f64_e32 v[74:75], v[74:75], v[78:79]
	v_mul_f64 v[78:79], v[76:77], v[74:75]
	v_fma_f64 v[72:73], -v[72:73], v[78:79], v[76:77]
	v_div_fmas_f64 v[72:73], v[72:73], v[74:75], v[78:79]
	v_div_fixup_f64 v[62:63], v[72:73], v[62:63], 1.0
; %bb.427:
	s_or_b64 exec, exec, s[0:1]
	v_cmp_ne_u32_e32 vcc, v67, v64
	s_and_saveexec_b64 s[0:1], vcc
	s_xor_b64 s[0:1], exec, s[0:1]
	s_cbranch_execz .LBB56_433
; %bb.428:
	v_cmp_eq_u32_e32 vcc, 25, v67
	s_and_saveexec_b64 s[2:3], vcc
	s_cbranch_execz .LBB56_432
; %bb.429:
	v_cmp_ne_u32_e32 vcc, 25, v64
	s_xor_b64 s[14:15], s[6:7], -1
	s_and_b64 s[16:17], s[14:15], vcc
	s_and_saveexec_b64 s[14:15], s[16:17]
	s_cbranch_execz .LBB56_431
; %bb.430:
	v_ashrrev_i32_e32 v65, 31, v64
	v_lshlrev_b64 v[72:73], 2, v[64:65]
	v_add_co_u32_e32 v72, vcc, v4, v72
	v_addc_co_u32_e32 v73, vcc, v5, v73, vcc
	flat_load_dword v65, v[72:73]
	flat_load_dword v67, v[4:5] offset:100
	s_waitcnt vmcnt(0) lgkmcnt(0)
	flat_store_dword v[4:5], v65 offset:100
	flat_store_dword v[72:73], v67
.LBB56_431:
	s_or_b64 exec, exec, s[14:15]
	v_mov_b32_e32 v65, v64
	v_mov_b32_e32 v67, v64
.LBB56_432:
	s_or_b64 exec, exec, s[2:3]
.LBB56_433:
	s_andn2_saveexec_b64 s[0:1], s[0:1]
	s_cbranch_execz .LBB56_435
; %bb.434:
	v_mov_b32_e32 v72, v6
	v_mov_b32_e32 v73, v7
	v_mov_b32_e32 v74, v0
	v_mov_b32_e32 v75, v1
	v_mov_b32_e32 v67, 25
	ds_write2_b64 v66, v[72:73], v[74:75] offset0:26 offset1:27
	ds_write_b64 v66, v[60:61] offset:224
.LBB56_435:
	s_or_b64 exec, exec, s[0:1]
	v_cmp_lt_i32_e32 vcc, 25, v67
	s_waitcnt lgkmcnt(0)
	s_barrier
	s_and_saveexec_b64 s[0:1], vcc
	s_cbranch_execz .LBB56_437
; %bb.436:
	ds_read2_b64 v[72:75], v66 offset0:26 offset1:27
	ds_read_b64 v[76:77], v66 offset:224
	v_mul_f64 v[8:9], v[62:63], v[8:9]
	s_waitcnt lgkmcnt(0)
	v_fma_f64 v[6:7], -v[8:9], v[72:73], v[6:7]
	v_fma_f64 v[0:1], -v[8:9], v[74:75], v[0:1]
	;; [unrolled: 1-line block ×3, first 2 shown]
.LBB56_437:
	s_or_b64 exec, exec, s[0:1]
	v_lshl_add_u32 v62, v67, 3, v66
	s_barrier
	ds_write_b64 v62, v[6:7]
	s_waitcnt lgkmcnt(0)
	s_barrier
	ds_read_b64 v[62:63], v66 offset:208
	s_cmp_lt_i32 s18, 28
	v_mov_b32_e32 v64, 26
	s_cbranch_scc1 .LBB56_440
; %bb.438:
	v_add_u32_e32 v71, 0xd8, v66
	s_mov_b32 s0, 27
	v_mov_b32_e32 v64, 26
.LBB56_439:                             ; =>This Inner Loop Header: Depth=1
	ds_read_b64 v[72:73], v71
	v_mov_b32_e32 v74, s0
	s_add_i32 s0, s0, 1
	v_add_u32_e32 v71, 8, v71
	s_cmp_lg_u32 s18, s0
	s_waitcnt lgkmcnt(0)
	v_cmp_lt_f64_e64 vcc, |v[62:63]|, |v[72:73]|
	v_cndmask_b32_e32 v63, v63, v73, vcc
	v_cndmask_b32_e32 v62, v62, v72, vcc
	;; [unrolled: 1-line block ×3, first 2 shown]
	s_cbranch_scc1 .LBB56_439
.LBB56_440:
	s_waitcnt lgkmcnt(0)
	v_cmp_eq_f64_e32 vcc, 0, v[62:63]
	s_and_saveexec_b64 s[0:1], vcc
	s_xor_b64 s[0:1], exec, s[0:1]
; %bb.441:
	v_cmp_ne_u32_e32 vcc, 0, v70
	v_cndmask_b32_e32 v70, 27, v70, vcc
; %bb.442:
	s_andn2_saveexec_b64 s[0:1], s[0:1]
; %bb.443:
	v_div_scale_f64 v[72:73], s[2:3], v[62:63], v[62:63], 1.0
	v_rcp_f64_e32 v[74:75], v[72:73]
	v_div_scale_f64 v[76:77], vcc, 1.0, v[62:63], 1.0
	v_fma_f64 v[78:79], -v[72:73], v[74:75], 1.0
	v_fmac_f64_e32 v[74:75], v[74:75], v[78:79]
	v_fma_f64 v[78:79], -v[72:73], v[74:75], 1.0
	v_fmac_f64_e32 v[74:75], v[74:75], v[78:79]
	v_mul_f64 v[78:79], v[76:77], v[74:75]
	v_fma_f64 v[72:73], -v[72:73], v[78:79], v[76:77]
	v_div_fmas_f64 v[72:73], v[72:73], v[74:75], v[78:79]
	v_div_fixup_f64 v[62:63], v[72:73], v[62:63], 1.0
; %bb.444:
	s_or_b64 exec, exec, s[0:1]
	v_cmp_ne_u32_e32 vcc, v67, v64
	s_and_saveexec_b64 s[0:1], vcc
	s_xor_b64 s[0:1], exec, s[0:1]
	s_cbranch_execz .LBB56_450
; %bb.445:
	v_cmp_eq_u32_e32 vcc, 26, v67
	s_and_saveexec_b64 s[2:3], vcc
	s_cbranch_execz .LBB56_449
; %bb.446:
	v_cmp_ne_u32_e32 vcc, 26, v64
	s_xor_b64 s[14:15], s[6:7], -1
	s_and_b64 s[16:17], s[14:15], vcc
	s_and_saveexec_b64 s[14:15], s[16:17]
	s_cbranch_execz .LBB56_448
; %bb.447:
	v_ashrrev_i32_e32 v65, 31, v64
	v_lshlrev_b64 v[72:73], 2, v[64:65]
	v_add_co_u32_e32 v72, vcc, v4, v72
	v_addc_co_u32_e32 v73, vcc, v5, v73, vcc
	flat_load_dword v65, v[72:73]
	flat_load_dword v67, v[4:5] offset:104
	s_waitcnt vmcnt(0) lgkmcnt(0)
	flat_store_dword v[4:5], v65 offset:104
	flat_store_dword v[72:73], v67
.LBB56_448:
	s_or_b64 exec, exec, s[14:15]
	v_mov_b32_e32 v65, v64
	v_mov_b32_e32 v67, v64
.LBB56_449:
	s_or_b64 exec, exec, s[2:3]
.LBB56_450:
	s_andn2_saveexec_b64 s[0:1], s[0:1]
	s_cbranch_execz .LBB56_452
; %bb.451:
	v_mov_b32_e32 v67, 26
	ds_write2_b64 v66, v[0:1], v[60:61] offset0:27 offset1:28
.LBB56_452:
	s_or_b64 exec, exec, s[0:1]
	v_cmp_lt_i32_e32 vcc, 26, v67
	s_waitcnt lgkmcnt(0)
	s_barrier
	s_and_saveexec_b64 s[0:1], vcc
	s_cbranch_execz .LBB56_454
; %bb.453:
	ds_read2_b64 v[72:75], v66 offset0:27 offset1:28
	v_mul_f64 v[6:7], v[62:63], v[6:7]
	s_waitcnt lgkmcnt(0)
	v_fma_f64 v[0:1], -v[6:7], v[72:73], v[0:1]
	v_fma_f64 v[60:61], -v[6:7], v[74:75], v[60:61]
.LBB56_454:
	s_or_b64 exec, exec, s[0:1]
	v_lshl_add_u32 v62, v67, 3, v66
	s_barrier
	ds_write_b64 v62, v[0:1]
	s_waitcnt lgkmcnt(0)
	s_barrier
	ds_read_b64 v[62:63], v66 offset:216
	s_cmp_lt_i32 s18, 29
	v_mov_b32_e32 v64, 27
	s_cbranch_scc1 .LBB56_457
; %bb.455:
	v_add_u32_e32 v71, 0xe0, v66
	s_mov_b32 s0, 28
	v_mov_b32_e32 v64, 27
.LBB56_456:                             ; =>This Inner Loop Header: Depth=1
	ds_read_b64 v[72:73], v71
	v_mov_b32_e32 v74, s0
	s_add_i32 s0, s0, 1
	v_add_u32_e32 v71, 8, v71
	s_cmp_lg_u32 s18, s0
	s_waitcnt lgkmcnt(0)
	v_cmp_lt_f64_e64 vcc, |v[62:63]|, |v[72:73]|
	v_cndmask_b32_e32 v63, v63, v73, vcc
	v_cndmask_b32_e32 v62, v62, v72, vcc
	;; [unrolled: 1-line block ×3, first 2 shown]
	s_cbranch_scc1 .LBB56_456
.LBB56_457:
	s_waitcnt lgkmcnt(0)
	v_cmp_eq_f64_e32 vcc, 0, v[62:63]
	s_and_saveexec_b64 s[0:1], vcc
	s_xor_b64 s[0:1], exec, s[0:1]
; %bb.458:
	v_cmp_ne_u32_e32 vcc, 0, v70
	v_cndmask_b32_e32 v70, 28, v70, vcc
; %bb.459:
	s_andn2_saveexec_b64 s[0:1], s[0:1]
; %bb.460:
	v_div_scale_f64 v[72:73], s[2:3], v[62:63], v[62:63], 1.0
	v_rcp_f64_e32 v[74:75], v[72:73]
	v_div_scale_f64 v[76:77], vcc, 1.0, v[62:63], 1.0
	v_fma_f64 v[78:79], -v[72:73], v[74:75], 1.0
	v_fmac_f64_e32 v[74:75], v[74:75], v[78:79]
	v_fma_f64 v[78:79], -v[72:73], v[74:75], 1.0
	v_fmac_f64_e32 v[74:75], v[74:75], v[78:79]
	v_mul_f64 v[78:79], v[76:77], v[74:75]
	v_fma_f64 v[72:73], -v[72:73], v[78:79], v[76:77]
	v_div_fmas_f64 v[72:73], v[72:73], v[74:75], v[78:79]
	v_div_fixup_f64 v[62:63], v[72:73], v[62:63], 1.0
; %bb.461:
	s_or_b64 exec, exec, s[0:1]
	v_cmp_ne_u32_e32 vcc, v67, v64
	s_and_saveexec_b64 s[0:1], vcc
	s_xor_b64 s[0:1], exec, s[0:1]
	s_cbranch_execz .LBB56_467
; %bb.462:
	v_cmp_eq_u32_e32 vcc, 27, v67
	s_and_saveexec_b64 s[2:3], vcc
	s_cbranch_execz .LBB56_466
; %bb.463:
	v_cmp_ne_u32_e32 vcc, 27, v64
	s_xor_b64 s[14:15], s[6:7], -1
	s_and_b64 s[16:17], s[14:15], vcc
	s_and_saveexec_b64 s[14:15], s[16:17]
	s_cbranch_execz .LBB56_465
; %bb.464:
	v_ashrrev_i32_e32 v65, 31, v64
	v_lshlrev_b64 v[72:73], 2, v[64:65]
	v_add_co_u32_e32 v72, vcc, v4, v72
	v_addc_co_u32_e32 v73, vcc, v5, v73, vcc
	flat_load_dword v65, v[72:73]
	flat_load_dword v67, v[4:5] offset:108
	s_waitcnt vmcnt(0) lgkmcnt(0)
	flat_store_dword v[4:5], v65 offset:108
	flat_store_dword v[72:73], v67
.LBB56_465:
	s_or_b64 exec, exec, s[14:15]
	v_mov_b32_e32 v65, v64
	v_mov_b32_e32 v67, v64
.LBB56_466:
	s_or_b64 exec, exec, s[2:3]
.LBB56_467:
	s_andn2_saveexec_b64 s[0:1], s[0:1]
	s_cbranch_execz .LBB56_469
; %bb.468:
	v_mov_b32_e32 v67, 27
	ds_write_b64 v66, v[60:61] offset:224
.LBB56_469:
	s_or_b64 exec, exec, s[0:1]
	v_cmp_lt_i32_e32 vcc, 27, v67
	s_waitcnt lgkmcnt(0)
	s_barrier
	s_and_saveexec_b64 s[0:1], vcc
	s_cbranch_execz .LBB56_471
; %bb.470:
	ds_read_b64 v[72:73], v66 offset:224
	v_mul_f64 v[0:1], v[62:63], v[0:1]
	s_waitcnt lgkmcnt(0)
	v_fma_f64 v[60:61], -v[0:1], v[72:73], v[60:61]
.LBB56_471:
	s_or_b64 exec, exec, s[0:1]
	v_lshl_add_u32 v62, v67, 3, v66
	s_barrier
	ds_write_b64 v62, v[60:61]
	s_waitcnt lgkmcnt(0)
	s_barrier
	ds_read_b64 v[62:63], v66 offset:224
	s_cmp_lt_i32 s18, 30
	v_mov_b32_e32 v64, 28
	s_cbranch_scc1 .LBB56_474
; %bb.472:
	v_add_u32_e32 v66, 0xe8, v66
	s_mov_b32 s0, 29
	v_mov_b32_e32 v64, 28
.LBB56_473:                             ; =>This Inner Loop Header: Depth=1
	ds_read_b64 v[72:73], v66
	v_mov_b32_e32 v71, s0
	s_add_i32 s0, s0, 1
	v_add_u32_e32 v66, 8, v66
	s_cmp_lg_u32 s18, s0
	s_waitcnt lgkmcnt(0)
	v_cmp_lt_f64_e64 vcc, |v[62:63]|, |v[72:73]|
	v_cndmask_b32_e32 v63, v63, v73, vcc
	v_cndmask_b32_e32 v62, v62, v72, vcc
	v_cndmask_b32_e32 v64, v64, v71, vcc
	s_cbranch_scc1 .LBB56_473
.LBB56_474:
	s_waitcnt lgkmcnt(0)
	v_cmp_eq_f64_e32 vcc, 0, v[62:63]
	s_and_saveexec_b64 s[0:1], vcc
	s_xor_b64 s[0:1], exec, s[0:1]
; %bb.475:
	v_cmp_ne_u32_e32 vcc, 0, v70
	v_cndmask_b32_e32 v70, 29, v70, vcc
; %bb.476:
	s_andn2_saveexec_b64 s[0:1], s[0:1]
; %bb.477:
	v_div_scale_f64 v[72:73], s[2:3], v[62:63], v[62:63], 1.0
	v_rcp_f64_e32 v[74:75], v[72:73]
	v_div_scale_f64 v[76:77], vcc, 1.0, v[62:63], 1.0
	v_fma_f64 v[78:79], -v[72:73], v[74:75], 1.0
	v_fmac_f64_e32 v[74:75], v[74:75], v[78:79]
	v_fma_f64 v[78:79], -v[72:73], v[74:75], 1.0
	v_fmac_f64_e32 v[74:75], v[74:75], v[78:79]
	v_mul_f64 v[78:79], v[76:77], v[74:75]
	v_fma_f64 v[72:73], -v[72:73], v[78:79], v[76:77]
	v_div_fmas_f64 v[72:73], v[72:73], v[74:75], v[78:79]
	v_div_fixup_f64 v[62:63], v[72:73], v[62:63], 1.0
; %bb.478:
	s_or_b64 exec, exec, s[0:1]
	v_cmp_ne_u32_e32 vcc, v67, v64
	v_mov_b32_e32 v66, 28
	s_and_saveexec_b64 s[0:1], vcc
	s_cbranch_execz .LBB56_484
; %bb.479:
	v_cmp_eq_u32_e32 vcc, 28, v67
	s_and_saveexec_b64 s[2:3], vcc
	s_cbranch_execz .LBB56_483
; %bb.480:
	v_cmp_ne_u32_e32 vcc, 28, v64
	s_xor_b64 s[6:7], s[6:7], -1
	s_and_b64 s[14:15], s[6:7], vcc
	s_and_saveexec_b64 s[6:7], s[14:15]
	s_cbranch_execz .LBB56_482
; %bb.481:
	v_ashrrev_i32_e32 v65, 31, v64
	v_lshlrev_b64 v[66:67], 2, v[64:65]
	v_add_co_u32_e32 v66, vcc, v4, v66
	v_addc_co_u32_e32 v67, vcc, v5, v67, vcc
	flat_load_dword v65, v[66:67]
	flat_load_dword v71, v[4:5] offset:112
	s_waitcnt vmcnt(0) lgkmcnt(0)
	flat_store_dword v[4:5], v65 offset:112
	flat_store_dword v[66:67], v71
.LBB56_482:
	s_or_b64 exec, exec, s[6:7]
	v_mov_b32_e32 v65, v64
	v_mov_b32_e32 v67, v64
.LBB56_483:
	s_or_b64 exec, exec, s[2:3]
	v_mov_b32_e32 v66, v67
.LBB56_484:
	s_or_b64 exec, exec, s[0:1]
	s_load_dwordx8 s[0:7], s[4:5], 0x28
	v_cmp_gt_i32_e32 vcc, 29, v66
	v_ashrrev_i32_e32 v67, 31, v66
	s_waitcnt lgkmcnt(0)
	s_barrier
	s_barrier
	s_and_saveexec_b64 s[14:15], vcc
	s_cbranch_execz .LBB56_486
; %bb.485:
	v_mul_lo_u32 v64, v3, s4
	v_mul_lo_u32 v71, v2, s5
	v_mad_u64_u32 v[4:5], s[4:5], v2, s4, 0
	s_lshl_b64 s[2:3], s[2:3], 2
	v_add3_u32 v5, v5, v71, v64
	s_add_u32 s0, s2, s0
	v_lshlrev_b64 v[4:5], 2, v[4:5]
	s_addc_u32 s1, s3, s1
	v_mov_b32_e32 v64, s1
	v_add_co_u32_e32 v71, vcc, s0, v4
	v_addc_co_u32_e32 v64, vcc, v64, v5, vcc
	v_lshlrev_b64 v[4:5], 2, v[66:67]
	v_add_co_u32_e32 v4, vcc, v71, v4
	v_addc_co_u32_e32 v5, vcc, v64, v5, vcc
	v_add3_u32 v64, v65, s13, 1
	global_store_dword v[4:5], v64, off
.LBB56_486:
	s_or_b64 exec, exec, s[14:15]
	v_cmp_eq_u32_e32 vcc, 0, v66
	s_and_saveexec_b64 s[2:3], vcc
	s_cbranch_execz .LBB56_489
; %bb.487:
	v_lshlrev_b64 v[2:3], 2, v[2:3]
	v_mov_b32_e32 v4, s7
	v_add_co_u32_e32 v2, vcc, s6, v2
	v_addc_co_u32_e32 v3, vcc, v4, v3, vcc
	global_load_dword v4, v[2:3], off
	v_cmp_lt_i32_e64 s[0:1], 0, v70
	s_waitcnt vmcnt(0)
	v_cmp_eq_u32_e32 vcc, 0, v4
	s_and_b64 s[0:1], vcc, s[0:1]
	s_and_b64 exec, exec, s[0:1]
	s_cbranch_execz .LBB56_489
; %bb.488:
	v_add_u32_e32 v4, s13, v70
	global_store_dword v[2:3], v4, off
.LBB56_489:
	s_or_b64 exec, exec, s[2:3]
	v_mul_f64 v[2:3], v[62:63], v[60:61]
	v_cmp_lt_i32_e32 vcc, 28, v66
	v_lshlrev_b64 v[4:5], 3, v[66:67]
	v_cndmask_b32_e32 v3, v61, v3, vcc
	v_cndmask_b32_e32 v2, v60, v2, vcc
	v_add_co_u32_e32 v4, vcc, v68, v4
	v_addc_co_u32_e32 v5, vcc, v69, v5, vcc
	global_store_dwordx2 v[4:5], v[58:59], off
	v_mov_b32_e32 v58, s11
	v_add_co_u32_e32 v4, vcc, s10, v4
	v_addc_co_u32_e32 v5, vcc, v5, v58, vcc
	global_store_dwordx2 v[4:5], v[56:57], off
	v_add_u32_e32 v4, s12, v66
	v_ashrrev_i32_e32 v5, 31, v4
	v_lshlrev_b64 v[56:57], 3, v[4:5]
	v_add_co_u32_e32 v56, vcc, v68, v56
	v_add_u32_e32 v4, s8, v4
	v_addc_co_u32_e32 v57, vcc, v69, v57, vcc
	v_ashrrev_i32_e32 v5, 31, v4
	global_store_dwordx2 v[56:57], v[54:55], off
	v_lshlrev_b64 v[54:55], 3, v[4:5]
	v_add_co_u32_e32 v54, vcc, v68, v54
	v_add_u32_e32 v4, s8, v4
	v_addc_co_u32_e32 v55, vcc, v69, v55, vcc
	v_ashrrev_i32_e32 v5, 31, v4
	global_store_dwordx2 v[54:55], v[52:53], off
	;; [unrolled: 6-line block ×25, first 2 shown]
	v_lshlrev_b64 v[6:7], 3, v[4:5]
	v_add_co_u32_e32 v6, vcc, v68, v6
	v_addc_co_u32_e32 v7, vcc, v69, v7, vcc
	global_store_dwordx2 v[6:7], v[0:1], off
	v_add_u32_e32 v0, s8, v4
	v_ashrrev_i32_e32 v1, 31, v0
	v_lshlrev_b64 v[0:1], 3, v[0:1]
	v_add_co_u32_e32 v0, vcc, v68, v0
	v_addc_co_u32_e32 v1, vcc, v69, v1, vcc
	global_store_dwordx2 v[0:1], v[2:3], off
.LBB56_490:
	s_endpgm
	.section	.rodata,"a",@progbits
	.p2align	6, 0x0
	.amdhsa_kernel _ZN9rocsolver6v33100L18getf2_small_kernelILi29EdiiPKPdEEvT1_T3_lS5_lPS5_llPT2_S5_S5_S7_l
		.amdhsa_group_segment_fixed_size 0
		.amdhsa_private_segment_fixed_size 0
		.amdhsa_kernarg_size 352
		.amdhsa_user_sgpr_count 6
		.amdhsa_user_sgpr_private_segment_buffer 1
		.amdhsa_user_sgpr_dispatch_ptr 0
		.amdhsa_user_sgpr_queue_ptr 0
		.amdhsa_user_sgpr_kernarg_segment_ptr 1
		.amdhsa_user_sgpr_dispatch_id 0
		.amdhsa_user_sgpr_flat_scratch_init 0
		.amdhsa_user_sgpr_kernarg_preload_length 0
		.amdhsa_user_sgpr_kernarg_preload_offset 0
		.amdhsa_user_sgpr_private_segment_size 0
		.amdhsa_uses_dynamic_stack 0
		.amdhsa_system_sgpr_private_segment_wavefront_offset 0
		.amdhsa_system_sgpr_workgroup_id_x 1
		.amdhsa_system_sgpr_workgroup_id_y 1
		.amdhsa_system_sgpr_workgroup_id_z 0
		.amdhsa_system_sgpr_workgroup_info 0
		.amdhsa_system_vgpr_workitem_id 1
		.amdhsa_next_free_vgpr 98
		.amdhsa_next_free_sgpr 22
		.amdhsa_accum_offset 100
		.amdhsa_reserve_vcc 1
		.amdhsa_reserve_flat_scratch 0
		.amdhsa_float_round_mode_32 0
		.amdhsa_float_round_mode_16_64 0
		.amdhsa_float_denorm_mode_32 3
		.amdhsa_float_denorm_mode_16_64 3
		.amdhsa_dx10_clamp 1
		.amdhsa_ieee_mode 1
		.amdhsa_fp16_overflow 0
		.amdhsa_tg_split 0
		.amdhsa_exception_fp_ieee_invalid_op 0
		.amdhsa_exception_fp_denorm_src 0
		.amdhsa_exception_fp_ieee_div_zero 0
		.amdhsa_exception_fp_ieee_overflow 0
		.amdhsa_exception_fp_ieee_underflow 0
		.amdhsa_exception_fp_ieee_inexact 0
		.amdhsa_exception_int_div_zero 0
	.end_amdhsa_kernel
	.section	.text._ZN9rocsolver6v33100L18getf2_small_kernelILi29EdiiPKPdEEvT1_T3_lS5_lPS5_llPT2_S5_S5_S7_l,"axG",@progbits,_ZN9rocsolver6v33100L18getf2_small_kernelILi29EdiiPKPdEEvT1_T3_lS5_lPS5_llPT2_S5_S5_S7_l,comdat
.Lfunc_end56:
	.size	_ZN9rocsolver6v33100L18getf2_small_kernelILi29EdiiPKPdEEvT1_T3_lS5_lPS5_llPT2_S5_S5_S7_l, .Lfunc_end56-_ZN9rocsolver6v33100L18getf2_small_kernelILi29EdiiPKPdEEvT1_T3_lS5_lPS5_llPT2_S5_S5_S7_l
                                        ; -- End function
	.section	.AMDGPU.csdata,"",@progbits
; Kernel info:
; codeLenInByte = 22072
; NumSgprs: 26
; NumVgprs: 98
; NumAgprs: 0
; TotalNumVgprs: 98
; ScratchSize: 0
; MemoryBound: 0
; FloatMode: 240
; IeeeMode: 1
; LDSByteSize: 0 bytes/workgroup (compile time only)
; SGPRBlocks: 3
; VGPRBlocks: 12
; NumSGPRsForWavesPerEU: 26
; NumVGPRsForWavesPerEU: 98
; AccumOffset: 100
; Occupancy: 4
; WaveLimiterHint : 1
; COMPUTE_PGM_RSRC2:SCRATCH_EN: 0
; COMPUTE_PGM_RSRC2:USER_SGPR: 6
; COMPUTE_PGM_RSRC2:TRAP_HANDLER: 0
; COMPUTE_PGM_RSRC2:TGID_X_EN: 1
; COMPUTE_PGM_RSRC2:TGID_Y_EN: 1
; COMPUTE_PGM_RSRC2:TGID_Z_EN: 0
; COMPUTE_PGM_RSRC2:TIDIG_COMP_CNT: 1
; COMPUTE_PGM_RSRC3_GFX90A:ACCUM_OFFSET: 24
; COMPUTE_PGM_RSRC3_GFX90A:TG_SPLIT: 0
	.section	.text._ZN9rocsolver6v33100L23getf2_npvt_small_kernelILi29EdiiPKPdEEvT1_T3_lS5_lPT2_S5_S5_,"axG",@progbits,_ZN9rocsolver6v33100L23getf2_npvt_small_kernelILi29EdiiPKPdEEvT1_T3_lS5_lPT2_S5_S5_,comdat
	.globl	_ZN9rocsolver6v33100L23getf2_npvt_small_kernelILi29EdiiPKPdEEvT1_T3_lS5_lPT2_S5_S5_ ; -- Begin function _ZN9rocsolver6v33100L23getf2_npvt_small_kernelILi29EdiiPKPdEEvT1_T3_lS5_lPT2_S5_S5_
	.p2align	8
	.type	_ZN9rocsolver6v33100L23getf2_npvt_small_kernelILi29EdiiPKPdEEvT1_T3_lS5_lPT2_S5_S5_,@function
_ZN9rocsolver6v33100L23getf2_npvt_small_kernelILi29EdiiPKPdEEvT1_T3_lS5_lPT2_S5_S5_: ; @_ZN9rocsolver6v33100L23getf2_npvt_small_kernelILi29EdiiPKPdEEvT1_T3_lS5_lPT2_S5_S5_
; %bb.0:
	s_load_dword s0, s[4:5], 0x44
	s_load_dwordx2 s[8:9], s[4:5], 0x30
	v_bfe_u32 v118, v0, 10, 10
	s_waitcnt lgkmcnt(0)
	s_lshr_b32 s6, s0, 16
	s_mul_i32 s7, s7, s6
	v_add_u32_e32 v2, s7, v118
	v_cmp_gt_i32_e32 vcc, s8, v2
	s_and_saveexec_b64 s[0:1], vcc
	s_cbranch_execz .LBB57_148
; %bb.1:
	s_load_dwordx4 s[12:15], s[4:5], 0x8
	s_load_dword s0, s[4:5], 0x18
	v_ashrrev_i32_e32 v3, 31, v2
	v_lshlrev_b64 v[4:5], 3, v[2:3]
	v_and_b32_e32 v176, 0x3ff, v0
	s_waitcnt lgkmcnt(0)
	v_mov_b32_e32 v1, s13
	v_add_co_u32_e32 v4, vcc, s12, v4
	v_addc_co_u32_e32 v5, vcc, v1, v5, vcc
	global_load_dwordx2 v[4:5], v[4:5], off
	s_add_i32 s1, s0, s0
	s_lshl_b64 s[2:3], s[14:15], 3
	v_add_u32_e32 v0, s1, v176
	v_mov_b32_e32 v25, s3
	v_ashrrev_i32_e32 v1, 31, v0
	v_add_u32_e32 v6, s0, v0
	v_lshlrev_b64 v[0:1], 3, v[0:1]
	v_ashrrev_i32_e32 v7, 31, v6
	v_add_u32_e32 v8, s0, v6
	v_lshlrev_b64 v[6:7], 3, v[6:7]
	;; [unrolled: 3-line block ×10, first 2 shown]
	v_add_u32_e32 v26, s0, v24
	v_ashrrev_i32_e32 v27, 31, v26
	v_add_u32_e32 v28, s0, v26
	v_ashrrev_i32_e32 v29, 31, v28
	;; [unrolled: 2-line block ×15, first 2 shown]
	v_lshlrev_b32_e32 v58, 3, v176
	s_ashr_i32 s1, s0, 31
	s_mulk_i32 s6, 0xe8
	s_waitcnt vmcnt(0)
	v_add_co_u32_e32 v56, vcc, s2, v4
	v_addc_co_u32_e32 v57, vcc, v5, v25, vcc
	v_add_co_u32_e32 v0, vcc, v56, v0
	v_addc_co_u32_e32 v1, vcc, v57, v1, vcc
	;; [unrolled: 2-line block ×10, first 2 shown]
	v_add_co_u32_e32 v20, vcc, v56, v22
	v_ashrrev_i32_e32 v25, 31, v24
	v_addc_co_u32_e32 v21, vcc, v57, v23, vcc
	v_lshlrev_b64 v[22:23], 3, v[24:25]
	v_add_co_u32_e32 v22, vcc, v56, v22
	v_addc_co_u32_e32 v23, vcc, v57, v23, vcc
	v_lshlrev_b64 v[24:25], 3, v[26:27]
	v_add_co_u32_e32 v24, vcc, v56, v24
	;; [unrolled: 3-line block ×15, first 2 shown]
	v_addc_co_u32_e32 v51, vcc, v57, v51, vcc
	v_lshlrev_b64 v[52:53], 3, v[54:55]
	v_add_u32_e32 v54, s0, v54
	v_add_co_u32_e32 v52, vcc, v56, v52
	v_ashrrev_i32_e32 v55, 31, v54
	v_addc_co_u32_e32 v53, vcc, v57, v53, vcc
	v_lshlrev_b64 v[54:55], 3, v[54:55]
	v_add_co_u32_e32 v54, vcc, v56, v54
	v_addc_co_u32_e32 v55, vcc, v57, v55, vcc
	v_add_co_u32_e32 v56, vcc, v56, v58
	v_addc_co_u32_e32 v57, vcc, 0, v57, vcc
	s_lshl_b64 s[0:1], s[0:1], 3
	v_mov_b32_e32 v59, s1
	v_add_co_u32_e32 v58, vcc, s0, v56
	v_addc_co_u32_e32 v59, vcc, v57, v59, vcc
	global_load_dwordx2 v[60:61], v[56:57], off
	global_load_dwordx2 v[88:89], v[58:59], off
	;; [unrolled: 1-line block ×29, first 2 shown]
	s_movk_i32 s0, 0xe8
	s_add_i32 s1, s6, 0
	v_mad_u32_u24 v175, v118, s0, 0
	v_lshl_add_u32 v174, v118, 3, s1
	v_cmp_ne_u32_e64 s[2:3], 0, v176
	v_cmp_eq_u32_e64 s[0:1], 0, v176
	s_and_saveexec_b64 s[6:7], s[0:1]
	s_cbranch_execz .LBB57_4
; %bb.2:
	s_waitcnt vmcnt(28)
	ds_write_b64 v174, v[60:61]
	s_waitcnt vmcnt(26)
	ds_write2_b64 v175, v[88:89], v[114:115] offset0:1 offset1:2
	s_waitcnt vmcnt(24)
	ds_write2_b64 v175, v[86:87], v[112:113] offset0:3 offset1:4
	;; [unrolled: 2-line block ×14, first 2 shown]
	ds_read_b64 v[118:119], v174
	s_waitcnt lgkmcnt(0)
	v_cmp_neq_f64_e32 vcc, 0, v[118:119]
	s_and_b64 exec, exec, vcc
	s_cbranch_execz .LBB57_4
; %bb.3:
	v_div_scale_f64 v[120:121], s[10:11], v[118:119], v[118:119], 1.0
	v_rcp_f64_e32 v[122:123], v[120:121]
	v_div_scale_f64 v[124:125], vcc, 1.0, v[118:119], 1.0
	v_fma_f64 v[126:127], -v[120:121], v[122:123], 1.0
	v_fmac_f64_e32 v[122:123], v[122:123], v[126:127]
	v_fma_f64 v[126:127], -v[120:121], v[122:123], 1.0
	v_fmac_f64_e32 v[122:123], v[122:123], v[126:127]
	v_mul_f64 v[126:127], v[124:125], v[122:123]
	v_fma_f64 v[120:121], -v[120:121], v[126:127], v[124:125]
	v_div_fmas_f64 v[120:121], v[120:121], v[122:123], v[126:127]
	v_div_fixup_f64 v[118:119], v[120:121], v[118:119], 1.0
	ds_write_b64 v174, v[118:119]
.LBB57_4:
	s_or_b64 exec, exec, s[6:7]
	s_waitcnt lgkmcnt(0)
	s_barrier
	ds_read_b64 v[118:119], v174
	s_and_saveexec_b64 s[6:7], s[2:3]
	s_cbranch_execz .LBB57_6
; %bb.5:
	ds_read2_b64 v[120:123], v175 offset0:1 offset1:2
	ds_read2_b64 v[124:127], v175 offset0:3 offset1:4
	s_waitcnt vmcnt(28) lgkmcnt(2)
	v_mul_f64 v[60:61], v[118:119], v[60:61]
	ds_read2_b64 v[128:131], v175 offset0:5 offset1:6
	s_waitcnt vmcnt(27) lgkmcnt(2)
	v_fma_f64 v[88:89], -v[60:61], v[120:121], v[88:89]
	s_waitcnt vmcnt(26)
	v_fma_f64 v[114:115], -v[60:61], v[122:123], v[114:115]
	ds_read2_b64 v[120:123], v175 offset0:7 offset1:8
	s_waitcnt vmcnt(25) lgkmcnt(2)
	v_fma_f64 v[86:87], -v[60:61], v[124:125], v[86:87]
	s_waitcnt vmcnt(24)
	v_fma_f64 v[112:113], -v[60:61], v[126:127], v[112:113]
	;; [unrolled: 5-line block ×4, first 2 shown]
	s_waitcnt vmcnt(19) lgkmcnt(1)
	v_fma_f64 v[80:81], -v[60:61], v[124:125], v[80:81]
	ds_read2_b64 v[120:123], v175 offset0:13 offset1:14
	s_waitcnt vmcnt(18)
	v_fma_f64 v[106:107], -v[60:61], v[126:127], v[106:107]
	ds_read2_b64 v[124:127], v175 offset0:15 offset1:16
	s_waitcnt vmcnt(17) lgkmcnt(2)
	v_fma_f64 v[78:79], -v[60:61], v[128:129], v[78:79]
	s_waitcnt vmcnt(16)
	v_fma_f64 v[104:105], -v[60:61], v[130:131], v[104:105]
	s_waitcnt vmcnt(15) lgkmcnt(1)
	v_fma_f64 v[76:77], -v[60:61], v[120:121], v[76:77]
	ds_read2_b64 v[128:131], v175 offset0:17 offset1:18
	s_waitcnt vmcnt(14)
	v_fma_f64 v[102:103], -v[60:61], v[122:123], v[102:103]
	ds_read2_b64 v[120:123], v175 offset0:19 offset1:20
	s_waitcnt vmcnt(13) lgkmcnt(2)
	v_fma_f64 v[74:75], -v[60:61], v[124:125], v[74:75]
	s_waitcnt vmcnt(12)
	v_fma_f64 v[100:101], -v[60:61], v[126:127], v[100:101]
	ds_read2_b64 v[124:127], v175 offset0:21 offset1:22
	s_waitcnt vmcnt(11) lgkmcnt(2)
	v_fma_f64 v[72:73], -v[60:61], v[128:129], v[72:73]
	s_waitcnt vmcnt(10)
	v_fma_f64 v[98:99], -v[60:61], v[130:131], v[98:99]
	s_waitcnt vmcnt(9) lgkmcnt(1)
	v_fma_f64 v[70:71], -v[60:61], v[120:121], v[70:71]
	s_waitcnt vmcnt(8)
	v_fma_f64 v[96:97], -v[60:61], v[122:123], v[96:97]
	ds_read2_b64 v[120:123], v175 offset0:23 offset1:24
	s_waitcnt vmcnt(7) lgkmcnt(1)
	v_fma_f64 v[68:69], -v[60:61], v[124:125], v[68:69]
	ds_read2_b64 v[128:131], v175 offset0:25 offset1:26
	s_waitcnt vmcnt(6)
	v_fma_f64 v[94:95], -v[60:61], v[126:127], v[94:95]
	ds_read2_b64 v[124:127], v175 offset0:27 offset1:28
	s_waitcnt vmcnt(5) lgkmcnt(2)
	v_fma_f64 v[66:67], -v[60:61], v[120:121], v[66:67]
	s_waitcnt vmcnt(4)
	v_fma_f64 v[92:93], -v[60:61], v[122:123], v[92:93]
	s_waitcnt vmcnt(3) lgkmcnt(1)
	v_fma_f64 v[64:65], -v[60:61], v[128:129], v[64:65]
	s_waitcnt vmcnt(2)
	v_fma_f64 v[90:91], -v[60:61], v[130:131], v[90:91]
	;; [unrolled: 4-line block ×3, first 2 shown]
.LBB57_6:
	s_or_b64 exec, exec, s[6:7]
	v_cmp_eq_u32_e32 vcc, 1, v176
	s_waitcnt lgkmcnt(0)
	s_barrier
	s_and_saveexec_b64 s[2:3], vcc
	s_cbranch_execz .LBB57_9
; %bb.7:
	s_waitcnt vmcnt(26)
	v_mov_b32_e32 v120, v114
	v_mov_b32_e32 v121, v115
	s_waitcnt vmcnt(25)
	v_mov_b32_e32 v122, v86
	v_mov_b32_e32 v123, v87
	ds_write_b64 v174, v[88:89]
	ds_write2_b64 v175, v[120:121], v[122:123] offset0:2 offset1:3
	s_waitcnt vmcnt(24)
	v_mov_b32_e32 v120, v112
	v_mov_b32_e32 v121, v113
	s_waitcnt vmcnt(23)
	v_mov_b32_e32 v122, v84
	v_mov_b32_e32 v123, v85
	ds_write2_b64 v175, v[120:121], v[122:123] offset0:4 offset1:5
	s_waitcnt vmcnt(22)
	v_mov_b32_e32 v120, v110
	v_mov_b32_e32 v121, v111
	s_waitcnt vmcnt(21)
	v_mov_b32_e32 v122, v82
	v_mov_b32_e32 v123, v83
	;; [unrolled: 7-line block ×12, first 2 shown]
	ds_write2_b64 v175, v[120:121], v[122:123] offset0:26 offset1:27
	s_waitcnt vmcnt(0)
	ds_write_b64 v175, v[116:117] offset:224
	ds_read_b64 v[120:121], v174
	s_waitcnt lgkmcnt(0)
	v_cmp_neq_f64_e32 vcc, 0, v[120:121]
	s_and_b64 exec, exec, vcc
	s_cbranch_execz .LBB57_9
; %bb.8:
	v_div_scale_f64 v[122:123], s[6:7], v[120:121], v[120:121], 1.0
	v_rcp_f64_e32 v[124:125], v[122:123]
	v_div_scale_f64 v[126:127], vcc, 1.0, v[120:121], 1.0
	v_fma_f64 v[128:129], -v[122:123], v[124:125], 1.0
	v_fmac_f64_e32 v[124:125], v[124:125], v[128:129]
	v_fma_f64 v[128:129], -v[122:123], v[124:125], 1.0
	v_fmac_f64_e32 v[124:125], v[124:125], v[128:129]
	v_mul_f64 v[128:129], v[126:127], v[124:125]
	v_fma_f64 v[122:123], -v[122:123], v[128:129], v[126:127]
	v_div_fmas_f64 v[122:123], v[122:123], v[124:125], v[128:129]
	v_div_fixup_f64 v[120:121], v[122:123], v[120:121], 1.0
	ds_write_b64 v174, v[120:121]
.LBB57_9:
	s_or_b64 exec, exec, s[2:3]
	s_waitcnt lgkmcnt(0)
	s_barrier
	ds_read_b64 v[120:121], v174
	v_cmp_lt_u32_e32 vcc, 1, v176
	s_and_saveexec_b64 s[2:3], vcc
	s_cbranch_execz .LBB57_11
; %bb.10:
	ds_read2_b64 v[122:125], v175 offset0:2 offset1:3
	ds_read2_b64 v[126:129], v175 offset0:4 offset1:5
	s_waitcnt vmcnt(27) lgkmcnt(2)
	v_mul_f64 v[88:89], v[120:121], v[88:89]
	ds_read2_b64 v[130:133], v175 offset0:6 offset1:7
	s_waitcnt vmcnt(26) lgkmcnt(2)
	v_fma_f64 v[114:115], -v[88:89], v[122:123], v[114:115]
	s_waitcnt vmcnt(25)
	v_fma_f64 v[86:87], -v[88:89], v[124:125], v[86:87]
	ds_read2_b64 v[122:125], v175 offset0:8 offset1:9
	s_waitcnt vmcnt(24) lgkmcnt(2)
	v_fma_f64 v[112:113], -v[88:89], v[126:127], v[112:113]
	s_waitcnt vmcnt(23)
	v_fma_f64 v[84:85], -v[88:89], v[128:129], v[84:85]
	;; [unrolled: 5-line block ×4, first 2 shown]
	s_waitcnt vmcnt(18) lgkmcnt(1)
	v_fma_f64 v[106:107], -v[88:89], v[126:127], v[106:107]
	ds_read2_b64 v[122:125], v175 offset0:14 offset1:15
	s_waitcnt vmcnt(17)
	v_fma_f64 v[78:79], -v[88:89], v[128:129], v[78:79]
	ds_read2_b64 v[126:129], v175 offset0:16 offset1:17
	s_waitcnt vmcnt(16) lgkmcnt(2)
	v_fma_f64 v[104:105], -v[88:89], v[130:131], v[104:105]
	s_waitcnt vmcnt(15)
	v_fma_f64 v[76:77], -v[88:89], v[132:133], v[76:77]
	s_waitcnt vmcnt(14) lgkmcnt(1)
	v_fma_f64 v[102:103], -v[88:89], v[122:123], v[102:103]
	ds_read2_b64 v[130:133], v175 offset0:18 offset1:19
	s_waitcnt vmcnt(13)
	v_fma_f64 v[74:75], -v[88:89], v[124:125], v[74:75]
	ds_read2_b64 v[122:125], v175 offset0:20 offset1:21
	s_waitcnt vmcnt(12) lgkmcnt(2)
	v_fma_f64 v[100:101], -v[88:89], v[126:127], v[100:101]
	s_waitcnt vmcnt(11)
	v_fma_f64 v[72:73], -v[88:89], v[128:129], v[72:73]
	ds_read2_b64 v[126:129], v175 offset0:22 offset1:23
	s_waitcnt vmcnt(10) lgkmcnt(2)
	v_fma_f64 v[98:99], -v[88:89], v[130:131], v[98:99]
	s_waitcnt vmcnt(9)
	v_fma_f64 v[70:71], -v[88:89], v[132:133], v[70:71]
	s_waitcnt vmcnt(8) lgkmcnt(1)
	v_fma_f64 v[96:97], -v[88:89], v[122:123], v[96:97]
	s_waitcnt vmcnt(7)
	v_fma_f64 v[68:69], -v[88:89], v[124:125], v[68:69]
	ds_read2_b64 v[122:125], v175 offset0:24 offset1:25
	s_waitcnt vmcnt(6) lgkmcnt(1)
	v_fma_f64 v[94:95], -v[88:89], v[126:127], v[94:95]
	ds_read2_b64 v[130:133], v175 offset0:26 offset1:27
	ds_read_b64 v[126:127], v175 offset:224
	s_waitcnt vmcnt(5)
	v_fma_f64 v[66:67], -v[88:89], v[128:129], v[66:67]
	s_waitcnt vmcnt(4) lgkmcnt(2)
	v_fma_f64 v[92:93], -v[88:89], v[122:123], v[92:93]
	s_waitcnt vmcnt(3)
	v_fma_f64 v[64:65], -v[88:89], v[124:125], v[64:65]
	s_waitcnt vmcnt(2) lgkmcnt(1)
	v_fma_f64 v[90:91], -v[88:89], v[130:131], v[90:91]
	;; [unrolled: 4-line block ×3, first 2 shown]
.LBB57_11:
	s_or_b64 exec, exec, s[2:3]
	v_cmp_eq_u32_e32 vcc, 2, v176
	s_waitcnt lgkmcnt(0)
	s_barrier
	s_and_saveexec_b64 s[2:3], vcc
	s_cbranch_execz .LBB57_14
; %bb.12:
	s_waitcnt vmcnt(26)
	ds_write_b64 v174, v[114:115]
	s_waitcnt vmcnt(24)
	ds_write2_b64 v175, v[86:87], v[112:113] offset0:3 offset1:4
	s_waitcnt vmcnt(22)
	ds_write2_b64 v175, v[84:85], v[110:111] offset0:5 offset1:6
	;; [unrolled: 2-line block ×13, first 2 shown]
	ds_read_b64 v[122:123], v174
	s_waitcnt lgkmcnt(0)
	v_cmp_neq_f64_e32 vcc, 0, v[122:123]
	s_and_b64 exec, exec, vcc
	s_cbranch_execz .LBB57_14
; %bb.13:
	v_div_scale_f64 v[124:125], s[6:7], v[122:123], v[122:123], 1.0
	v_rcp_f64_e32 v[126:127], v[124:125]
	v_div_scale_f64 v[128:129], vcc, 1.0, v[122:123], 1.0
	v_fma_f64 v[130:131], -v[124:125], v[126:127], 1.0
	v_fmac_f64_e32 v[126:127], v[126:127], v[130:131]
	v_fma_f64 v[130:131], -v[124:125], v[126:127], 1.0
	v_fmac_f64_e32 v[126:127], v[126:127], v[130:131]
	v_mul_f64 v[130:131], v[128:129], v[126:127]
	v_fma_f64 v[124:125], -v[124:125], v[130:131], v[128:129]
	v_div_fmas_f64 v[124:125], v[124:125], v[126:127], v[130:131]
	v_div_fixup_f64 v[122:123], v[124:125], v[122:123], 1.0
	ds_write_b64 v174, v[122:123]
.LBB57_14:
	s_or_b64 exec, exec, s[2:3]
	s_waitcnt lgkmcnt(0)
	s_barrier
	ds_read_b64 v[122:123], v174
	v_cmp_lt_u32_e32 vcc, 2, v176
	s_and_saveexec_b64 s[2:3], vcc
	s_cbranch_execz .LBB57_16
; %bb.15:
	ds_read2_b64 v[124:127], v175 offset0:3 offset1:4
	ds_read2_b64 v[128:131], v175 offset0:5 offset1:6
	s_waitcnt vmcnt(26) lgkmcnt(2)
	v_mul_f64 v[114:115], v[122:123], v[114:115]
	ds_read2_b64 v[132:135], v175 offset0:7 offset1:8
	s_waitcnt vmcnt(25) lgkmcnt(2)
	v_fma_f64 v[86:87], -v[114:115], v[124:125], v[86:87]
	s_waitcnt vmcnt(24)
	v_fma_f64 v[112:113], -v[114:115], v[126:127], v[112:113]
	ds_read2_b64 v[124:127], v175 offset0:9 offset1:10
	s_waitcnt vmcnt(23) lgkmcnt(2)
	v_fma_f64 v[84:85], -v[114:115], v[128:129], v[84:85]
	s_waitcnt vmcnt(22)
	v_fma_f64 v[110:111], -v[114:115], v[130:131], v[110:111]
	s_waitcnt vmcnt(21) lgkmcnt(1)
	v_fma_f64 v[82:83], -v[114:115], v[132:133], v[82:83]
	ds_read2_b64 v[128:131], v175 offset0:11 offset1:12
	s_waitcnt vmcnt(20)
	v_fma_f64 v[108:109], -v[114:115], v[134:135], v[108:109]
	ds_read2_b64 v[132:135], v175 offset0:13 offset1:14
	s_waitcnt vmcnt(19) lgkmcnt(2)
	v_fma_f64 v[80:81], -v[114:115], v[124:125], v[80:81]
	s_waitcnt vmcnt(18)
	v_fma_f64 v[106:107], -v[114:115], v[126:127], v[106:107]
	ds_read2_b64 v[124:127], v175 offset0:15 offset1:16
	s_waitcnt vmcnt(17) lgkmcnt(2)
	v_fma_f64 v[78:79], -v[114:115], v[128:129], v[78:79]
	;; [unrolled: 5-line block ×3, first 2 shown]
	s_waitcnt vmcnt(14)
	v_fma_f64 v[102:103], -v[114:115], v[134:135], v[102:103]
	s_waitcnt vmcnt(13) lgkmcnt(1)
	v_fma_f64 v[74:75], -v[114:115], v[124:125], v[74:75]
	ds_read2_b64 v[132:135], v175 offset0:19 offset1:20
	s_waitcnt vmcnt(12)
	v_fma_f64 v[100:101], -v[114:115], v[126:127], v[100:101]
	ds_read2_b64 v[124:127], v175 offset0:21 offset1:22
	s_waitcnt vmcnt(11) lgkmcnt(2)
	v_fma_f64 v[72:73], -v[114:115], v[128:129], v[72:73]
	s_waitcnt vmcnt(10)
	v_fma_f64 v[98:99], -v[114:115], v[130:131], v[98:99]
	s_waitcnt vmcnt(9) lgkmcnt(1)
	v_fma_f64 v[70:71], -v[114:115], v[132:133], v[70:71]
	s_waitcnt vmcnt(8)
	v_fma_f64 v[96:97], -v[114:115], v[134:135], v[96:97]
	ds_read2_b64 v[128:131], v175 offset0:23 offset1:24
	ds_read2_b64 v[132:135], v175 offset0:25 offset1:26
	s_waitcnt vmcnt(7) lgkmcnt(2)
	v_fma_f64 v[68:69], -v[114:115], v[124:125], v[68:69]
	s_waitcnt vmcnt(6)
	v_fma_f64 v[94:95], -v[114:115], v[126:127], v[94:95]
	ds_read2_b64 v[124:127], v175 offset0:27 offset1:28
	s_waitcnt vmcnt(5) lgkmcnt(2)
	v_fma_f64 v[66:67], -v[114:115], v[128:129], v[66:67]
	s_waitcnt vmcnt(4)
	v_fma_f64 v[92:93], -v[114:115], v[130:131], v[92:93]
	s_waitcnt vmcnt(3) lgkmcnt(1)
	v_fma_f64 v[64:65], -v[114:115], v[132:133], v[64:65]
	s_waitcnt vmcnt(2)
	v_fma_f64 v[90:91], -v[114:115], v[134:135], v[90:91]
	;; [unrolled: 4-line block ×3, first 2 shown]
.LBB57_16:
	s_or_b64 exec, exec, s[2:3]
	v_cmp_eq_u32_e32 vcc, 3, v176
	s_waitcnt lgkmcnt(0)
	s_barrier
	s_and_saveexec_b64 s[2:3], vcc
	s_cbranch_execz .LBB57_19
; %bb.17:
	s_waitcnt vmcnt(24)
	v_mov_b32_e32 v124, v112
	v_mov_b32_e32 v125, v113
	s_waitcnt vmcnt(23)
	v_mov_b32_e32 v126, v84
	v_mov_b32_e32 v127, v85
	ds_write_b64 v174, v[86:87]
	ds_write2_b64 v175, v[124:125], v[126:127] offset0:4 offset1:5
	s_waitcnt vmcnt(22)
	v_mov_b32_e32 v124, v110
	v_mov_b32_e32 v125, v111
	s_waitcnt vmcnt(21)
	v_mov_b32_e32 v126, v82
	v_mov_b32_e32 v127, v83
	ds_write2_b64 v175, v[124:125], v[126:127] offset0:6 offset1:7
	s_waitcnt vmcnt(20)
	v_mov_b32_e32 v124, v108
	v_mov_b32_e32 v125, v109
	s_waitcnt vmcnt(19)
	v_mov_b32_e32 v126, v80
	v_mov_b32_e32 v127, v81
	;; [unrolled: 7-line block ×11, first 2 shown]
	ds_write2_b64 v175, v[124:125], v[126:127] offset0:26 offset1:27
	s_waitcnt vmcnt(0)
	ds_write_b64 v175, v[116:117] offset:224
	ds_read_b64 v[124:125], v174
	s_waitcnt lgkmcnt(0)
	v_cmp_neq_f64_e32 vcc, 0, v[124:125]
	s_and_b64 exec, exec, vcc
	s_cbranch_execz .LBB57_19
; %bb.18:
	v_div_scale_f64 v[126:127], s[6:7], v[124:125], v[124:125], 1.0
	v_rcp_f64_e32 v[128:129], v[126:127]
	v_div_scale_f64 v[130:131], vcc, 1.0, v[124:125], 1.0
	v_fma_f64 v[132:133], -v[126:127], v[128:129], 1.0
	v_fmac_f64_e32 v[128:129], v[128:129], v[132:133]
	v_fma_f64 v[132:133], -v[126:127], v[128:129], 1.0
	v_fmac_f64_e32 v[128:129], v[128:129], v[132:133]
	v_mul_f64 v[132:133], v[130:131], v[128:129]
	v_fma_f64 v[126:127], -v[126:127], v[132:133], v[130:131]
	v_div_fmas_f64 v[126:127], v[126:127], v[128:129], v[132:133]
	v_div_fixup_f64 v[124:125], v[126:127], v[124:125], 1.0
	ds_write_b64 v174, v[124:125]
.LBB57_19:
	s_or_b64 exec, exec, s[2:3]
	s_waitcnt lgkmcnt(0)
	s_barrier
	ds_read_b64 v[124:125], v174
	v_cmp_lt_u32_e32 vcc, 3, v176
	s_and_saveexec_b64 s[2:3], vcc
	s_cbranch_execz .LBB57_21
; %bb.20:
	ds_read2_b64 v[126:129], v175 offset0:4 offset1:5
	ds_read2_b64 v[130:133], v175 offset0:6 offset1:7
	s_waitcnt vmcnt(25) lgkmcnt(2)
	v_mul_f64 v[86:87], v[124:125], v[86:87]
	ds_read2_b64 v[134:137], v175 offset0:8 offset1:9
	s_waitcnt vmcnt(24) lgkmcnt(2)
	v_fma_f64 v[112:113], -v[86:87], v[126:127], v[112:113]
	s_waitcnt vmcnt(23)
	v_fma_f64 v[84:85], -v[86:87], v[128:129], v[84:85]
	ds_read2_b64 v[126:129], v175 offset0:10 offset1:11
	s_waitcnt vmcnt(22) lgkmcnt(2)
	v_fma_f64 v[110:111], -v[86:87], v[130:131], v[110:111]
	s_waitcnt vmcnt(21)
	v_fma_f64 v[82:83], -v[86:87], v[132:133], v[82:83]
	s_waitcnt vmcnt(20) lgkmcnt(1)
	v_fma_f64 v[108:109], -v[86:87], v[134:135], v[108:109]
	ds_read2_b64 v[130:133], v175 offset0:12 offset1:13
	s_waitcnt vmcnt(19)
	v_fma_f64 v[80:81], -v[86:87], v[136:137], v[80:81]
	ds_read2_b64 v[134:137], v175 offset0:14 offset1:15
	s_waitcnt vmcnt(18) lgkmcnt(2)
	v_fma_f64 v[106:107], -v[86:87], v[126:127], v[106:107]
	s_waitcnt vmcnt(17)
	v_fma_f64 v[78:79], -v[86:87], v[128:129], v[78:79]
	ds_read2_b64 v[126:129], v175 offset0:16 offset1:17
	s_waitcnt vmcnt(16) lgkmcnt(2)
	v_fma_f64 v[104:105], -v[86:87], v[130:131], v[104:105]
	;; [unrolled: 5-line block ×3, first 2 shown]
	s_waitcnt vmcnt(13)
	v_fma_f64 v[74:75], -v[86:87], v[136:137], v[74:75]
	s_waitcnt vmcnt(12) lgkmcnt(1)
	v_fma_f64 v[100:101], -v[86:87], v[126:127], v[100:101]
	ds_read2_b64 v[134:137], v175 offset0:20 offset1:21
	s_waitcnt vmcnt(11)
	v_fma_f64 v[72:73], -v[86:87], v[128:129], v[72:73]
	ds_read2_b64 v[126:129], v175 offset0:22 offset1:23
	s_waitcnt vmcnt(10) lgkmcnt(2)
	v_fma_f64 v[98:99], -v[86:87], v[130:131], v[98:99]
	s_waitcnt vmcnt(9)
	v_fma_f64 v[70:71], -v[86:87], v[132:133], v[70:71]
	s_waitcnt vmcnt(8) lgkmcnt(1)
	v_fma_f64 v[96:97], -v[86:87], v[134:135], v[96:97]
	s_waitcnt vmcnt(7)
	v_fma_f64 v[68:69], -v[86:87], v[136:137], v[68:69]
	ds_read2_b64 v[130:133], v175 offset0:24 offset1:25
	ds_read2_b64 v[134:137], v175 offset0:26 offset1:27
	s_waitcnt vmcnt(6) lgkmcnt(2)
	v_fma_f64 v[94:95], -v[86:87], v[126:127], v[94:95]
	ds_read_b64 v[126:127], v175 offset:224
	s_waitcnt vmcnt(5)
	v_fma_f64 v[66:67], -v[86:87], v[128:129], v[66:67]
	s_waitcnt vmcnt(4) lgkmcnt(2)
	v_fma_f64 v[92:93], -v[86:87], v[130:131], v[92:93]
	s_waitcnt vmcnt(3)
	v_fma_f64 v[64:65], -v[86:87], v[132:133], v[64:65]
	s_waitcnt vmcnt(2) lgkmcnt(1)
	v_fma_f64 v[90:91], -v[86:87], v[134:135], v[90:91]
	;; [unrolled: 4-line block ×3, first 2 shown]
.LBB57_21:
	s_or_b64 exec, exec, s[2:3]
	v_cmp_eq_u32_e32 vcc, 4, v176
	s_waitcnt lgkmcnt(0)
	s_barrier
	s_and_saveexec_b64 s[2:3], vcc
	s_cbranch_execz .LBB57_24
; %bb.22:
	s_waitcnt vmcnt(24)
	ds_write_b64 v174, v[112:113]
	s_waitcnt vmcnt(22)
	ds_write2_b64 v175, v[84:85], v[110:111] offset0:5 offset1:6
	s_waitcnt vmcnt(20)
	ds_write2_b64 v175, v[82:83], v[108:109] offset0:7 offset1:8
	;; [unrolled: 2-line block ×12, first 2 shown]
	ds_read_b64 v[126:127], v174
	s_waitcnt lgkmcnt(0)
	v_cmp_neq_f64_e32 vcc, 0, v[126:127]
	s_and_b64 exec, exec, vcc
	s_cbranch_execz .LBB57_24
; %bb.23:
	v_div_scale_f64 v[128:129], s[6:7], v[126:127], v[126:127], 1.0
	v_rcp_f64_e32 v[130:131], v[128:129]
	v_div_scale_f64 v[132:133], vcc, 1.0, v[126:127], 1.0
	v_fma_f64 v[134:135], -v[128:129], v[130:131], 1.0
	v_fmac_f64_e32 v[130:131], v[130:131], v[134:135]
	v_fma_f64 v[134:135], -v[128:129], v[130:131], 1.0
	v_fmac_f64_e32 v[130:131], v[130:131], v[134:135]
	v_mul_f64 v[134:135], v[132:133], v[130:131]
	v_fma_f64 v[128:129], -v[128:129], v[134:135], v[132:133]
	v_div_fmas_f64 v[128:129], v[128:129], v[130:131], v[134:135]
	v_div_fixup_f64 v[126:127], v[128:129], v[126:127], 1.0
	ds_write_b64 v174, v[126:127]
.LBB57_24:
	s_or_b64 exec, exec, s[2:3]
	s_waitcnt lgkmcnt(0)
	s_barrier
	ds_read_b64 v[126:127], v174
	v_cmp_lt_u32_e32 vcc, 4, v176
	s_and_saveexec_b64 s[2:3], vcc
	s_cbranch_execz .LBB57_26
; %bb.25:
	ds_read2_b64 v[128:131], v175 offset0:5 offset1:6
	ds_read2_b64 v[132:135], v175 offset0:7 offset1:8
	;; [unrolled: 1-line block ×3, first 2 shown]
	s_waitcnt vmcnt(24) lgkmcnt(3)
	v_mul_f64 v[112:113], v[126:127], v[112:113]
	s_waitcnt vmcnt(23) lgkmcnt(2)
	v_fma_f64 v[84:85], -v[112:113], v[128:129], v[84:85]
	s_waitcnt vmcnt(22)
	v_fma_f64 v[110:111], -v[112:113], v[130:131], v[110:111]
	ds_read2_b64 v[128:131], v175 offset0:11 offset1:12
	s_waitcnt vmcnt(21) lgkmcnt(2)
	v_fma_f64 v[82:83], -v[112:113], v[132:133], v[82:83]
	s_waitcnt vmcnt(20)
	v_fma_f64 v[108:109], -v[112:113], v[134:135], v[108:109]
	s_waitcnt vmcnt(19) lgkmcnt(1)
	v_fma_f64 v[80:81], -v[112:113], v[136:137], v[80:81]
	ds_read2_b64 v[132:135], v175 offset0:13 offset1:14
	s_waitcnt vmcnt(18)
	v_fma_f64 v[106:107], -v[112:113], v[138:139], v[106:107]
	ds_read2_b64 v[136:139], v175 offset0:15 offset1:16
	s_waitcnt vmcnt(17) lgkmcnt(2)
	v_fma_f64 v[78:79], -v[112:113], v[128:129], v[78:79]
	s_waitcnt vmcnt(16)
	v_fma_f64 v[104:105], -v[112:113], v[130:131], v[104:105]
	s_waitcnt vmcnt(15) lgkmcnt(1)
	v_fma_f64 v[76:77], -v[112:113], v[132:133], v[76:77]
	ds_read2_b64 v[128:131], v175 offset0:17 offset1:18
	s_waitcnt vmcnt(14)
	v_fma_f64 v[102:103], -v[112:113], v[134:135], v[102:103]
	ds_read2_b64 v[132:135], v175 offset0:19 offset1:20
	s_waitcnt vmcnt(13) lgkmcnt(2)
	v_fma_f64 v[74:75], -v[112:113], v[136:137], v[74:75]
	s_waitcnt vmcnt(12)
	v_fma_f64 v[100:101], -v[112:113], v[138:139], v[100:101]
	ds_read2_b64 v[136:139], v175 offset0:21 offset1:22
	s_waitcnt vmcnt(11) lgkmcnt(2)
	v_fma_f64 v[72:73], -v[112:113], v[128:129], v[72:73]
	;; [unrolled: 5-line block ×3, first 2 shown]
	s_waitcnt vmcnt(8)
	v_fma_f64 v[96:97], -v[112:113], v[134:135], v[96:97]
	s_waitcnt vmcnt(7) lgkmcnt(1)
	v_fma_f64 v[68:69], -v[112:113], v[136:137], v[68:69]
	ds_read2_b64 v[132:135], v175 offset0:25 offset1:26
	s_waitcnt vmcnt(6)
	v_fma_f64 v[94:95], -v[112:113], v[138:139], v[94:95]
	ds_read2_b64 v[136:139], v175 offset0:27 offset1:28
	s_waitcnt vmcnt(5) lgkmcnt(2)
	v_fma_f64 v[66:67], -v[112:113], v[128:129], v[66:67]
	s_waitcnt vmcnt(4)
	v_fma_f64 v[92:93], -v[112:113], v[130:131], v[92:93]
	s_waitcnt vmcnt(3) lgkmcnt(1)
	v_fma_f64 v[64:65], -v[112:113], v[132:133], v[64:65]
	s_waitcnt vmcnt(2)
	v_fma_f64 v[90:91], -v[112:113], v[134:135], v[90:91]
	;; [unrolled: 4-line block ×3, first 2 shown]
.LBB57_26:
	s_or_b64 exec, exec, s[2:3]
	v_cmp_eq_u32_e32 vcc, 5, v176
	s_waitcnt lgkmcnt(0)
	s_barrier
	s_and_saveexec_b64 s[2:3], vcc
	s_cbranch_execz .LBB57_29
; %bb.27:
	s_waitcnt vmcnt(22)
	v_mov_b32_e32 v128, v110
	v_mov_b32_e32 v129, v111
	s_waitcnt vmcnt(21)
	v_mov_b32_e32 v130, v82
	v_mov_b32_e32 v131, v83
	ds_write_b64 v174, v[84:85]
	ds_write2_b64 v175, v[128:129], v[130:131] offset0:6 offset1:7
	s_waitcnt vmcnt(20)
	v_mov_b32_e32 v128, v108
	v_mov_b32_e32 v129, v109
	s_waitcnt vmcnt(19)
	v_mov_b32_e32 v130, v80
	v_mov_b32_e32 v131, v81
	ds_write2_b64 v175, v[128:129], v[130:131] offset0:8 offset1:9
	s_waitcnt vmcnt(18)
	v_mov_b32_e32 v128, v106
	v_mov_b32_e32 v129, v107
	s_waitcnt vmcnt(17)
	v_mov_b32_e32 v130, v78
	v_mov_b32_e32 v131, v79
	;; [unrolled: 7-line block ×10, first 2 shown]
	ds_write2_b64 v175, v[128:129], v[130:131] offset0:26 offset1:27
	s_waitcnt vmcnt(0)
	ds_write_b64 v175, v[116:117] offset:224
	ds_read_b64 v[128:129], v174
	s_waitcnt lgkmcnt(0)
	v_cmp_neq_f64_e32 vcc, 0, v[128:129]
	s_and_b64 exec, exec, vcc
	s_cbranch_execz .LBB57_29
; %bb.28:
	v_div_scale_f64 v[130:131], s[6:7], v[128:129], v[128:129], 1.0
	v_rcp_f64_e32 v[132:133], v[130:131]
	v_div_scale_f64 v[134:135], vcc, 1.0, v[128:129], 1.0
	v_fma_f64 v[136:137], -v[130:131], v[132:133], 1.0
	v_fmac_f64_e32 v[132:133], v[132:133], v[136:137]
	v_fma_f64 v[136:137], -v[130:131], v[132:133], 1.0
	v_fmac_f64_e32 v[132:133], v[132:133], v[136:137]
	v_mul_f64 v[136:137], v[134:135], v[132:133]
	v_fma_f64 v[130:131], -v[130:131], v[136:137], v[134:135]
	v_div_fmas_f64 v[130:131], v[130:131], v[132:133], v[136:137]
	v_div_fixup_f64 v[128:129], v[130:131], v[128:129], 1.0
	ds_write_b64 v174, v[128:129]
.LBB57_29:
	s_or_b64 exec, exec, s[2:3]
	s_waitcnt lgkmcnt(0)
	s_barrier
	ds_read_b64 v[128:129], v174
	v_cmp_lt_u32_e32 vcc, 5, v176
	s_and_saveexec_b64 s[2:3], vcc
	s_cbranch_execz .LBB57_31
; %bb.30:
	ds_read2_b64 v[130:133], v175 offset0:6 offset1:7
	ds_read2_b64 v[134:137], v175 offset0:8 offset1:9
	;; [unrolled: 1-line block ×3, first 2 shown]
	s_waitcnt vmcnt(23) lgkmcnt(3)
	v_mul_f64 v[84:85], v[128:129], v[84:85]
	s_waitcnt vmcnt(22) lgkmcnt(2)
	v_fma_f64 v[110:111], -v[84:85], v[130:131], v[110:111]
	s_waitcnt vmcnt(21)
	v_fma_f64 v[82:83], -v[84:85], v[132:133], v[82:83]
	ds_read2_b64 v[130:133], v175 offset0:12 offset1:13
	s_waitcnt vmcnt(20) lgkmcnt(2)
	v_fma_f64 v[108:109], -v[84:85], v[134:135], v[108:109]
	s_waitcnt vmcnt(19)
	v_fma_f64 v[80:81], -v[84:85], v[136:137], v[80:81]
	s_waitcnt vmcnt(18) lgkmcnt(1)
	v_fma_f64 v[106:107], -v[84:85], v[138:139], v[106:107]
	ds_read2_b64 v[134:137], v175 offset0:14 offset1:15
	s_waitcnt vmcnt(17)
	v_fma_f64 v[78:79], -v[84:85], v[140:141], v[78:79]
	ds_read2_b64 v[138:141], v175 offset0:16 offset1:17
	s_waitcnt vmcnt(16) lgkmcnt(2)
	v_fma_f64 v[104:105], -v[84:85], v[130:131], v[104:105]
	s_waitcnt vmcnt(15)
	v_fma_f64 v[76:77], -v[84:85], v[132:133], v[76:77]
	s_waitcnt vmcnt(14) lgkmcnt(1)
	v_fma_f64 v[102:103], -v[84:85], v[134:135], v[102:103]
	ds_read2_b64 v[130:133], v175 offset0:18 offset1:19
	s_waitcnt vmcnt(13)
	v_fma_f64 v[74:75], -v[84:85], v[136:137], v[74:75]
	ds_read2_b64 v[134:137], v175 offset0:20 offset1:21
	s_waitcnt vmcnt(12) lgkmcnt(2)
	v_fma_f64 v[100:101], -v[84:85], v[138:139], v[100:101]
	s_waitcnt vmcnt(11)
	v_fma_f64 v[72:73], -v[84:85], v[140:141], v[72:73]
	ds_read2_b64 v[138:141], v175 offset0:22 offset1:23
	s_waitcnt vmcnt(10) lgkmcnt(2)
	v_fma_f64 v[98:99], -v[84:85], v[130:131], v[98:99]
	;; [unrolled: 5-line block ×3, first 2 shown]
	s_waitcnt vmcnt(7)
	v_fma_f64 v[68:69], -v[84:85], v[136:137], v[68:69]
	s_waitcnt vmcnt(6) lgkmcnt(1)
	v_fma_f64 v[94:95], -v[84:85], v[138:139], v[94:95]
	ds_read2_b64 v[134:137], v175 offset0:26 offset1:27
	ds_read_b64 v[138:139], v175 offset:224
	s_waitcnt vmcnt(5)
	v_fma_f64 v[66:67], -v[84:85], v[140:141], v[66:67]
	s_waitcnt vmcnt(4) lgkmcnt(2)
	v_fma_f64 v[92:93], -v[84:85], v[130:131], v[92:93]
	s_waitcnt vmcnt(3)
	v_fma_f64 v[64:65], -v[84:85], v[132:133], v[64:65]
	s_waitcnt vmcnt(2) lgkmcnt(1)
	v_fma_f64 v[90:91], -v[84:85], v[134:135], v[90:91]
	;; [unrolled: 4-line block ×3, first 2 shown]
.LBB57_31:
	s_or_b64 exec, exec, s[2:3]
	v_cmp_eq_u32_e32 vcc, 6, v176
	s_waitcnt lgkmcnt(0)
	s_barrier
	s_and_saveexec_b64 s[2:3], vcc
	s_cbranch_execz .LBB57_34
; %bb.32:
	s_waitcnt vmcnt(22)
	ds_write_b64 v174, v[110:111]
	s_waitcnt vmcnt(20)
	ds_write2_b64 v175, v[82:83], v[108:109] offset0:7 offset1:8
	s_waitcnt vmcnt(18)
	ds_write2_b64 v175, v[80:81], v[106:107] offset0:9 offset1:10
	;; [unrolled: 2-line block ×11, first 2 shown]
	ds_read_b64 v[130:131], v174
	s_waitcnt lgkmcnt(0)
	v_cmp_neq_f64_e32 vcc, 0, v[130:131]
	s_and_b64 exec, exec, vcc
	s_cbranch_execz .LBB57_34
; %bb.33:
	v_div_scale_f64 v[132:133], s[6:7], v[130:131], v[130:131], 1.0
	v_rcp_f64_e32 v[134:135], v[132:133]
	v_div_scale_f64 v[136:137], vcc, 1.0, v[130:131], 1.0
	v_fma_f64 v[138:139], -v[132:133], v[134:135], 1.0
	v_fmac_f64_e32 v[134:135], v[134:135], v[138:139]
	v_fma_f64 v[138:139], -v[132:133], v[134:135], 1.0
	v_fmac_f64_e32 v[134:135], v[134:135], v[138:139]
	v_mul_f64 v[138:139], v[136:137], v[134:135]
	v_fma_f64 v[132:133], -v[132:133], v[138:139], v[136:137]
	v_div_fmas_f64 v[132:133], v[132:133], v[134:135], v[138:139]
	v_div_fixup_f64 v[130:131], v[132:133], v[130:131], 1.0
	ds_write_b64 v174, v[130:131]
.LBB57_34:
	s_or_b64 exec, exec, s[2:3]
	s_waitcnt lgkmcnt(0)
	s_barrier
	ds_read_b64 v[130:131], v174
	v_cmp_lt_u32_e32 vcc, 6, v176
	s_and_saveexec_b64 s[2:3], vcc
	s_cbranch_execz .LBB57_36
; %bb.35:
	ds_read2_b64 v[132:135], v175 offset0:7 offset1:8
	ds_read2_b64 v[136:139], v175 offset0:9 offset1:10
	s_waitcnt vmcnt(22) lgkmcnt(2)
	v_mul_f64 v[110:111], v[130:131], v[110:111]
	ds_read2_b64 v[140:143], v175 offset0:11 offset1:12
	s_waitcnt vmcnt(21) lgkmcnt(2)
	v_fma_f64 v[82:83], -v[110:111], v[132:133], v[82:83]
	s_waitcnt vmcnt(20)
	v_fma_f64 v[108:109], -v[110:111], v[134:135], v[108:109]
	ds_read2_b64 v[132:135], v175 offset0:13 offset1:14
	s_waitcnt vmcnt(19) lgkmcnt(2)
	v_fma_f64 v[80:81], -v[110:111], v[136:137], v[80:81]
	s_waitcnt vmcnt(18)
	v_fma_f64 v[106:107], -v[110:111], v[138:139], v[106:107]
	;; [unrolled: 5-line block ×4, first 2 shown]
	s_waitcnt vmcnt(13) lgkmcnt(1)
	v_fma_f64 v[74:75], -v[110:111], v[136:137], v[74:75]
	ds_read2_b64 v[132:135], v175 offset0:19 offset1:20
	s_waitcnt vmcnt(12)
	v_fma_f64 v[100:101], -v[110:111], v[138:139], v[100:101]
	ds_read2_b64 v[136:139], v175 offset0:21 offset1:22
	s_waitcnt vmcnt(11) lgkmcnt(2)
	v_fma_f64 v[72:73], -v[110:111], v[140:141], v[72:73]
	s_waitcnt vmcnt(10)
	v_fma_f64 v[98:99], -v[110:111], v[142:143], v[98:99]
	s_waitcnt vmcnt(9) lgkmcnt(1)
	v_fma_f64 v[70:71], -v[110:111], v[132:133], v[70:71]
	s_waitcnt vmcnt(8)
	v_fma_f64 v[96:97], -v[110:111], v[134:135], v[96:97]
	ds_read2_b64 v[132:135], v175 offset0:23 offset1:24
	ds_read2_b64 v[140:143], v175 offset0:25 offset1:26
	s_waitcnt vmcnt(7) lgkmcnt(2)
	v_fma_f64 v[68:69], -v[110:111], v[136:137], v[68:69]
	s_waitcnt vmcnt(6)
	v_fma_f64 v[94:95], -v[110:111], v[138:139], v[94:95]
	ds_read2_b64 v[136:139], v175 offset0:27 offset1:28
	s_waitcnt vmcnt(5) lgkmcnt(2)
	v_fma_f64 v[66:67], -v[110:111], v[132:133], v[66:67]
	s_waitcnt vmcnt(4)
	v_fma_f64 v[92:93], -v[110:111], v[134:135], v[92:93]
	s_waitcnt vmcnt(3) lgkmcnt(1)
	v_fma_f64 v[64:65], -v[110:111], v[140:141], v[64:65]
	s_waitcnt vmcnt(2)
	v_fma_f64 v[90:91], -v[110:111], v[142:143], v[90:91]
	;; [unrolled: 4-line block ×3, first 2 shown]
.LBB57_36:
	s_or_b64 exec, exec, s[2:3]
	v_cmp_eq_u32_e32 vcc, 7, v176
	s_waitcnt lgkmcnt(0)
	s_barrier
	s_and_saveexec_b64 s[2:3], vcc
	s_cbranch_execz .LBB57_39
; %bb.37:
	s_waitcnt vmcnt(20)
	v_mov_b32_e32 v132, v108
	v_mov_b32_e32 v133, v109
	s_waitcnt vmcnt(19)
	v_mov_b32_e32 v134, v80
	v_mov_b32_e32 v135, v81
	ds_write_b64 v174, v[82:83]
	ds_write2_b64 v175, v[132:133], v[134:135] offset0:8 offset1:9
	s_waitcnt vmcnt(18)
	v_mov_b32_e32 v132, v106
	v_mov_b32_e32 v133, v107
	s_waitcnt vmcnt(17)
	v_mov_b32_e32 v134, v78
	v_mov_b32_e32 v135, v79
	ds_write2_b64 v175, v[132:133], v[134:135] offset0:10 offset1:11
	s_waitcnt vmcnt(16)
	v_mov_b32_e32 v132, v104
	v_mov_b32_e32 v133, v105
	s_waitcnt vmcnt(15)
	v_mov_b32_e32 v134, v76
	v_mov_b32_e32 v135, v77
	;; [unrolled: 7-line block ×9, first 2 shown]
	ds_write2_b64 v175, v[132:133], v[134:135] offset0:26 offset1:27
	s_waitcnt vmcnt(0)
	ds_write_b64 v175, v[116:117] offset:224
	ds_read_b64 v[132:133], v174
	s_waitcnt lgkmcnt(0)
	v_cmp_neq_f64_e32 vcc, 0, v[132:133]
	s_and_b64 exec, exec, vcc
	s_cbranch_execz .LBB57_39
; %bb.38:
	v_div_scale_f64 v[134:135], s[6:7], v[132:133], v[132:133], 1.0
	v_rcp_f64_e32 v[136:137], v[134:135]
	v_div_scale_f64 v[138:139], vcc, 1.0, v[132:133], 1.0
	v_fma_f64 v[140:141], -v[134:135], v[136:137], 1.0
	v_fmac_f64_e32 v[136:137], v[136:137], v[140:141]
	v_fma_f64 v[140:141], -v[134:135], v[136:137], 1.0
	v_fmac_f64_e32 v[136:137], v[136:137], v[140:141]
	v_mul_f64 v[140:141], v[138:139], v[136:137]
	v_fma_f64 v[134:135], -v[134:135], v[140:141], v[138:139]
	v_div_fmas_f64 v[134:135], v[134:135], v[136:137], v[140:141]
	v_div_fixup_f64 v[132:133], v[134:135], v[132:133], 1.0
	ds_write_b64 v174, v[132:133]
.LBB57_39:
	s_or_b64 exec, exec, s[2:3]
	s_waitcnt lgkmcnt(0)
	s_barrier
	ds_read_b64 v[132:133], v174
	v_cmp_lt_u32_e32 vcc, 7, v176
	s_and_saveexec_b64 s[2:3], vcc
	s_cbranch_execz .LBB57_41
; %bb.40:
	ds_read2_b64 v[134:137], v175 offset0:8 offset1:9
	ds_read2_b64 v[138:141], v175 offset0:10 offset1:11
	s_waitcnt vmcnt(21) lgkmcnt(2)
	v_mul_f64 v[82:83], v[132:133], v[82:83]
	ds_read2_b64 v[142:145], v175 offset0:12 offset1:13
	s_waitcnt vmcnt(20) lgkmcnt(2)
	v_fma_f64 v[108:109], -v[82:83], v[134:135], v[108:109]
	s_waitcnt vmcnt(19)
	v_fma_f64 v[80:81], -v[82:83], v[136:137], v[80:81]
	ds_read2_b64 v[134:137], v175 offset0:14 offset1:15
	s_waitcnt vmcnt(18) lgkmcnt(2)
	v_fma_f64 v[106:107], -v[82:83], v[138:139], v[106:107]
	s_waitcnt vmcnt(17)
	v_fma_f64 v[78:79], -v[82:83], v[140:141], v[78:79]
	;; [unrolled: 5-line block ×4, first 2 shown]
	s_waitcnt vmcnt(12) lgkmcnt(1)
	v_fma_f64 v[100:101], -v[82:83], v[138:139], v[100:101]
	ds_read2_b64 v[134:137], v175 offset0:20 offset1:21
	s_waitcnt vmcnt(11)
	v_fma_f64 v[72:73], -v[82:83], v[140:141], v[72:73]
	ds_read2_b64 v[138:141], v175 offset0:22 offset1:23
	s_waitcnt vmcnt(10) lgkmcnt(2)
	v_fma_f64 v[98:99], -v[82:83], v[142:143], v[98:99]
	s_waitcnt vmcnt(9)
	v_fma_f64 v[70:71], -v[82:83], v[144:145], v[70:71]
	s_waitcnt vmcnt(8) lgkmcnt(1)
	v_fma_f64 v[96:97], -v[82:83], v[134:135], v[96:97]
	s_waitcnt vmcnt(7)
	v_fma_f64 v[68:69], -v[82:83], v[136:137], v[68:69]
	ds_read2_b64 v[134:137], v175 offset0:24 offset1:25
	ds_read2_b64 v[142:145], v175 offset0:26 offset1:27
	s_waitcnt vmcnt(6) lgkmcnt(2)
	v_fma_f64 v[94:95], -v[82:83], v[138:139], v[94:95]
	ds_read_b64 v[138:139], v175 offset:224
	s_waitcnt vmcnt(5)
	v_fma_f64 v[66:67], -v[82:83], v[140:141], v[66:67]
	s_waitcnt vmcnt(4) lgkmcnt(2)
	v_fma_f64 v[92:93], -v[82:83], v[134:135], v[92:93]
	s_waitcnt vmcnt(3)
	v_fma_f64 v[64:65], -v[82:83], v[136:137], v[64:65]
	s_waitcnt vmcnt(2) lgkmcnt(1)
	v_fma_f64 v[90:91], -v[82:83], v[142:143], v[90:91]
	;; [unrolled: 4-line block ×3, first 2 shown]
.LBB57_41:
	s_or_b64 exec, exec, s[2:3]
	v_cmp_eq_u32_e32 vcc, 8, v176
	s_waitcnt lgkmcnt(0)
	s_barrier
	s_and_saveexec_b64 s[2:3], vcc
	s_cbranch_execz .LBB57_44
; %bb.42:
	s_waitcnt vmcnt(20)
	ds_write_b64 v174, v[108:109]
	s_waitcnt vmcnt(18)
	ds_write2_b64 v175, v[80:81], v[106:107] offset0:9 offset1:10
	s_waitcnt vmcnt(16)
	ds_write2_b64 v175, v[78:79], v[104:105] offset0:11 offset1:12
	;; [unrolled: 2-line block ×10, first 2 shown]
	ds_read_b64 v[134:135], v174
	s_waitcnt lgkmcnt(0)
	v_cmp_neq_f64_e32 vcc, 0, v[134:135]
	s_and_b64 exec, exec, vcc
	s_cbranch_execz .LBB57_44
; %bb.43:
	v_div_scale_f64 v[136:137], s[6:7], v[134:135], v[134:135], 1.0
	v_rcp_f64_e32 v[138:139], v[136:137]
	v_div_scale_f64 v[140:141], vcc, 1.0, v[134:135], 1.0
	v_fma_f64 v[142:143], -v[136:137], v[138:139], 1.0
	v_fmac_f64_e32 v[138:139], v[138:139], v[142:143]
	v_fma_f64 v[142:143], -v[136:137], v[138:139], 1.0
	v_fmac_f64_e32 v[138:139], v[138:139], v[142:143]
	v_mul_f64 v[142:143], v[140:141], v[138:139]
	v_fma_f64 v[136:137], -v[136:137], v[142:143], v[140:141]
	v_div_fmas_f64 v[136:137], v[136:137], v[138:139], v[142:143]
	v_div_fixup_f64 v[134:135], v[136:137], v[134:135], 1.0
	ds_write_b64 v174, v[134:135]
.LBB57_44:
	s_or_b64 exec, exec, s[2:3]
	s_waitcnt lgkmcnt(0)
	s_barrier
	ds_read_b64 v[134:135], v174
	v_cmp_lt_u32_e32 vcc, 8, v176
	s_and_saveexec_b64 s[2:3], vcc
	s_cbranch_execz .LBB57_46
; %bb.45:
	ds_read2_b64 v[136:139], v175 offset0:9 offset1:10
	ds_read2_b64 v[140:143], v175 offset0:11 offset1:12
	s_waitcnt vmcnt(20) lgkmcnt(2)
	v_mul_f64 v[108:109], v[134:135], v[108:109]
	ds_read2_b64 v[144:147], v175 offset0:13 offset1:14
	s_waitcnt vmcnt(19) lgkmcnt(2)
	v_fma_f64 v[80:81], -v[108:109], v[136:137], v[80:81]
	s_waitcnt vmcnt(18)
	v_fma_f64 v[106:107], -v[108:109], v[138:139], v[106:107]
	ds_read2_b64 v[136:139], v175 offset0:15 offset1:16
	s_waitcnt vmcnt(17) lgkmcnt(2)
	v_fma_f64 v[78:79], -v[108:109], v[140:141], v[78:79]
	s_waitcnt vmcnt(16)
	v_fma_f64 v[104:105], -v[108:109], v[142:143], v[104:105]
	s_waitcnt vmcnt(15) lgkmcnt(1)
	v_fma_f64 v[76:77], -v[108:109], v[144:145], v[76:77]
	ds_read2_b64 v[140:143], v175 offset0:17 offset1:18
	s_waitcnt vmcnt(14)
	v_fma_f64 v[102:103], -v[108:109], v[146:147], v[102:103]
	ds_read2_b64 v[144:147], v175 offset0:19 offset1:20
	s_waitcnt vmcnt(13) lgkmcnt(2)
	v_fma_f64 v[74:75], -v[108:109], v[136:137], v[74:75]
	s_waitcnt vmcnt(12)
	v_fma_f64 v[100:101], -v[108:109], v[138:139], v[100:101]
	ds_read2_b64 v[136:139], v175 offset0:21 offset1:22
	s_waitcnt vmcnt(11) lgkmcnt(2)
	v_fma_f64 v[72:73], -v[108:109], v[140:141], v[72:73]
	;; [unrolled: 5-line block ×3, first 2 shown]
	s_waitcnt vmcnt(8)
	v_fma_f64 v[96:97], -v[108:109], v[146:147], v[96:97]
	s_waitcnt vmcnt(7) lgkmcnt(1)
	v_fma_f64 v[68:69], -v[108:109], v[136:137], v[68:69]
	ds_read2_b64 v[144:147], v175 offset0:25 offset1:26
	s_waitcnt vmcnt(6)
	v_fma_f64 v[94:95], -v[108:109], v[138:139], v[94:95]
	ds_read2_b64 v[136:139], v175 offset0:27 offset1:28
	s_waitcnt vmcnt(5) lgkmcnt(2)
	v_fma_f64 v[66:67], -v[108:109], v[140:141], v[66:67]
	s_waitcnt vmcnt(4)
	v_fma_f64 v[92:93], -v[108:109], v[142:143], v[92:93]
	s_waitcnt vmcnt(3) lgkmcnt(1)
	v_fma_f64 v[64:65], -v[108:109], v[144:145], v[64:65]
	s_waitcnt vmcnt(2)
	v_fma_f64 v[90:91], -v[108:109], v[146:147], v[90:91]
	;; [unrolled: 4-line block ×3, first 2 shown]
.LBB57_46:
	s_or_b64 exec, exec, s[2:3]
	v_cmp_eq_u32_e32 vcc, 9, v176
	s_waitcnt lgkmcnt(0)
	s_barrier
	s_and_saveexec_b64 s[2:3], vcc
	s_cbranch_execz .LBB57_49
; %bb.47:
	s_waitcnt vmcnt(18)
	v_mov_b32_e32 v136, v106
	v_mov_b32_e32 v137, v107
	s_waitcnt vmcnt(17)
	v_mov_b32_e32 v138, v78
	v_mov_b32_e32 v139, v79
	ds_write_b64 v174, v[80:81]
	ds_write2_b64 v175, v[136:137], v[138:139] offset0:10 offset1:11
	s_waitcnt vmcnt(16)
	v_mov_b32_e32 v136, v104
	v_mov_b32_e32 v137, v105
	s_waitcnt vmcnt(15)
	v_mov_b32_e32 v138, v76
	v_mov_b32_e32 v139, v77
	ds_write2_b64 v175, v[136:137], v[138:139] offset0:12 offset1:13
	s_waitcnt vmcnt(14)
	v_mov_b32_e32 v136, v102
	v_mov_b32_e32 v137, v103
	s_waitcnt vmcnt(13)
	v_mov_b32_e32 v138, v74
	v_mov_b32_e32 v139, v75
	;; [unrolled: 7-line block ×8, first 2 shown]
	ds_write2_b64 v175, v[136:137], v[138:139] offset0:26 offset1:27
	s_waitcnt vmcnt(0)
	ds_write_b64 v175, v[116:117] offset:224
	ds_read_b64 v[136:137], v174
	s_waitcnt lgkmcnt(0)
	v_cmp_neq_f64_e32 vcc, 0, v[136:137]
	s_and_b64 exec, exec, vcc
	s_cbranch_execz .LBB57_49
; %bb.48:
	v_div_scale_f64 v[138:139], s[6:7], v[136:137], v[136:137], 1.0
	v_rcp_f64_e32 v[140:141], v[138:139]
	v_div_scale_f64 v[142:143], vcc, 1.0, v[136:137], 1.0
	v_fma_f64 v[144:145], -v[138:139], v[140:141], 1.0
	v_fmac_f64_e32 v[140:141], v[140:141], v[144:145]
	v_fma_f64 v[144:145], -v[138:139], v[140:141], 1.0
	v_fmac_f64_e32 v[140:141], v[140:141], v[144:145]
	v_mul_f64 v[144:145], v[142:143], v[140:141]
	v_fma_f64 v[138:139], -v[138:139], v[144:145], v[142:143]
	v_div_fmas_f64 v[138:139], v[138:139], v[140:141], v[144:145]
	v_div_fixup_f64 v[136:137], v[138:139], v[136:137], 1.0
	ds_write_b64 v174, v[136:137]
.LBB57_49:
	s_or_b64 exec, exec, s[2:3]
	s_waitcnt lgkmcnt(0)
	s_barrier
	ds_read_b64 v[136:137], v174
	v_cmp_lt_u32_e32 vcc, 9, v176
	s_and_saveexec_b64 s[2:3], vcc
	s_cbranch_execz .LBB57_51
; %bb.50:
	ds_read2_b64 v[138:141], v175 offset0:10 offset1:11
	ds_read2_b64 v[142:145], v175 offset0:12 offset1:13
	s_waitcnt vmcnt(19) lgkmcnt(2)
	v_mul_f64 v[80:81], v[136:137], v[80:81]
	ds_read2_b64 v[146:149], v175 offset0:14 offset1:15
	s_waitcnt vmcnt(18) lgkmcnt(2)
	v_fma_f64 v[106:107], -v[80:81], v[138:139], v[106:107]
	s_waitcnt vmcnt(17)
	v_fma_f64 v[78:79], -v[80:81], v[140:141], v[78:79]
	ds_read2_b64 v[138:141], v175 offset0:16 offset1:17
	s_waitcnt vmcnt(16) lgkmcnt(2)
	v_fma_f64 v[104:105], -v[80:81], v[142:143], v[104:105]
	s_waitcnt vmcnt(15)
	v_fma_f64 v[76:77], -v[80:81], v[144:145], v[76:77]
	s_waitcnt vmcnt(14) lgkmcnt(1)
	v_fma_f64 v[102:103], -v[80:81], v[146:147], v[102:103]
	ds_read2_b64 v[142:145], v175 offset0:18 offset1:19
	s_waitcnt vmcnt(13)
	v_fma_f64 v[74:75], -v[80:81], v[148:149], v[74:75]
	ds_read2_b64 v[146:149], v175 offset0:20 offset1:21
	s_waitcnt vmcnt(12) lgkmcnt(2)
	v_fma_f64 v[100:101], -v[80:81], v[138:139], v[100:101]
	s_waitcnt vmcnt(11)
	v_fma_f64 v[72:73], -v[80:81], v[140:141], v[72:73]
	ds_read2_b64 v[138:141], v175 offset0:22 offset1:23
	s_waitcnt vmcnt(10) lgkmcnt(2)
	v_fma_f64 v[98:99], -v[80:81], v[142:143], v[98:99]
	;; [unrolled: 5-line block ×3, first 2 shown]
	s_waitcnt vmcnt(7)
	v_fma_f64 v[68:69], -v[80:81], v[148:149], v[68:69]
	s_waitcnt vmcnt(6) lgkmcnt(1)
	v_fma_f64 v[94:95], -v[80:81], v[138:139], v[94:95]
	ds_read2_b64 v[146:149], v175 offset0:26 offset1:27
	ds_read_b64 v[138:139], v175 offset:224
	s_waitcnt vmcnt(5)
	v_fma_f64 v[66:67], -v[80:81], v[140:141], v[66:67]
	s_waitcnt vmcnt(4) lgkmcnt(2)
	v_fma_f64 v[92:93], -v[80:81], v[142:143], v[92:93]
	s_waitcnt vmcnt(3)
	v_fma_f64 v[64:65], -v[80:81], v[144:145], v[64:65]
	s_waitcnt vmcnt(2) lgkmcnt(1)
	v_fma_f64 v[90:91], -v[80:81], v[146:147], v[90:91]
	;; [unrolled: 4-line block ×3, first 2 shown]
.LBB57_51:
	s_or_b64 exec, exec, s[2:3]
	v_cmp_eq_u32_e32 vcc, 10, v176
	s_waitcnt lgkmcnt(0)
	s_barrier
	s_and_saveexec_b64 s[2:3], vcc
	s_cbranch_execz .LBB57_54
; %bb.52:
	s_waitcnt vmcnt(18)
	ds_write_b64 v174, v[106:107]
	s_waitcnt vmcnt(16)
	ds_write2_b64 v175, v[78:79], v[104:105] offset0:11 offset1:12
	s_waitcnt vmcnt(14)
	ds_write2_b64 v175, v[76:77], v[102:103] offset0:13 offset1:14
	;; [unrolled: 2-line block ×9, first 2 shown]
	ds_read_b64 v[138:139], v174
	s_waitcnt lgkmcnt(0)
	v_cmp_neq_f64_e32 vcc, 0, v[138:139]
	s_and_b64 exec, exec, vcc
	s_cbranch_execz .LBB57_54
; %bb.53:
	v_div_scale_f64 v[140:141], s[6:7], v[138:139], v[138:139], 1.0
	v_rcp_f64_e32 v[142:143], v[140:141]
	v_div_scale_f64 v[144:145], vcc, 1.0, v[138:139], 1.0
	v_fma_f64 v[146:147], -v[140:141], v[142:143], 1.0
	v_fmac_f64_e32 v[142:143], v[142:143], v[146:147]
	v_fma_f64 v[146:147], -v[140:141], v[142:143], 1.0
	v_fmac_f64_e32 v[142:143], v[142:143], v[146:147]
	v_mul_f64 v[146:147], v[144:145], v[142:143]
	v_fma_f64 v[140:141], -v[140:141], v[146:147], v[144:145]
	v_div_fmas_f64 v[140:141], v[140:141], v[142:143], v[146:147]
	v_div_fixup_f64 v[138:139], v[140:141], v[138:139], 1.0
	ds_write_b64 v174, v[138:139]
.LBB57_54:
	s_or_b64 exec, exec, s[2:3]
	s_waitcnt lgkmcnt(0)
	s_barrier
	ds_read_b64 v[138:139], v174
	v_cmp_lt_u32_e32 vcc, 10, v176
	s_and_saveexec_b64 s[2:3], vcc
	s_cbranch_execz .LBB57_56
; %bb.55:
	ds_read2_b64 v[140:143], v175 offset0:11 offset1:12
	ds_read2_b64 v[144:147], v175 offset0:13 offset1:14
	;; [unrolled: 1-line block ×3, first 2 shown]
	s_waitcnt vmcnt(18) lgkmcnt(3)
	v_mul_f64 v[106:107], v[138:139], v[106:107]
	s_waitcnt vmcnt(17) lgkmcnt(2)
	v_fma_f64 v[78:79], -v[106:107], v[140:141], v[78:79]
	s_waitcnt vmcnt(16)
	v_fma_f64 v[104:105], -v[106:107], v[142:143], v[104:105]
	ds_read2_b64 v[140:143], v175 offset0:17 offset1:18
	s_waitcnt vmcnt(15) lgkmcnt(2)
	v_fma_f64 v[76:77], -v[106:107], v[144:145], v[76:77]
	s_waitcnt vmcnt(14)
	v_fma_f64 v[102:103], -v[106:107], v[146:147], v[102:103]
	s_waitcnt vmcnt(13) lgkmcnt(1)
	v_fma_f64 v[74:75], -v[106:107], v[148:149], v[74:75]
	ds_read2_b64 v[144:147], v175 offset0:19 offset1:20
	s_waitcnt vmcnt(12)
	v_fma_f64 v[100:101], -v[106:107], v[150:151], v[100:101]
	ds_read2_b64 v[148:151], v175 offset0:21 offset1:22
	s_waitcnt vmcnt(11) lgkmcnt(2)
	v_fma_f64 v[72:73], -v[106:107], v[140:141], v[72:73]
	s_waitcnt vmcnt(10)
	v_fma_f64 v[98:99], -v[106:107], v[142:143], v[98:99]
	s_waitcnt vmcnt(9) lgkmcnt(1)
	v_fma_f64 v[70:71], -v[106:107], v[144:145], v[70:71]
	s_waitcnt vmcnt(8)
	v_fma_f64 v[96:97], -v[106:107], v[146:147], v[96:97]
	ds_read2_b64 v[140:143], v175 offset0:23 offset1:24
	ds_read2_b64 v[144:147], v175 offset0:25 offset1:26
	s_waitcnt vmcnt(7) lgkmcnt(2)
	v_fma_f64 v[68:69], -v[106:107], v[148:149], v[68:69]
	s_waitcnt vmcnt(6)
	v_fma_f64 v[94:95], -v[106:107], v[150:151], v[94:95]
	ds_read2_b64 v[148:151], v175 offset0:27 offset1:28
	s_waitcnt vmcnt(5) lgkmcnt(2)
	v_fma_f64 v[66:67], -v[106:107], v[140:141], v[66:67]
	s_waitcnt vmcnt(4)
	v_fma_f64 v[92:93], -v[106:107], v[142:143], v[92:93]
	s_waitcnt vmcnt(3) lgkmcnt(1)
	v_fma_f64 v[64:65], -v[106:107], v[144:145], v[64:65]
	s_waitcnt vmcnt(2)
	v_fma_f64 v[90:91], -v[106:107], v[146:147], v[90:91]
	;; [unrolled: 4-line block ×3, first 2 shown]
.LBB57_56:
	s_or_b64 exec, exec, s[2:3]
	v_cmp_eq_u32_e32 vcc, 11, v176
	s_waitcnt lgkmcnt(0)
	s_barrier
	s_and_saveexec_b64 s[2:3], vcc
	s_cbranch_execz .LBB57_59
; %bb.57:
	s_waitcnt vmcnt(16)
	v_mov_b32_e32 v140, v104
	v_mov_b32_e32 v141, v105
	s_waitcnt vmcnt(15)
	v_mov_b32_e32 v142, v76
	v_mov_b32_e32 v143, v77
	ds_write_b64 v174, v[78:79]
	ds_write2_b64 v175, v[140:141], v[142:143] offset0:12 offset1:13
	s_waitcnt vmcnt(14)
	v_mov_b32_e32 v140, v102
	v_mov_b32_e32 v141, v103
	s_waitcnt vmcnt(13)
	v_mov_b32_e32 v142, v74
	v_mov_b32_e32 v143, v75
	ds_write2_b64 v175, v[140:141], v[142:143] offset0:14 offset1:15
	s_waitcnt vmcnt(12)
	v_mov_b32_e32 v140, v100
	v_mov_b32_e32 v141, v101
	s_waitcnt vmcnt(11)
	v_mov_b32_e32 v142, v72
	v_mov_b32_e32 v143, v73
	;; [unrolled: 7-line block ×7, first 2 shown]
	ds_write2_b64 v175, v[140:141], v[142:143] offset0:26 offset1:27
	s_waitcnt vmcnt(0)
	ds_write_b64 v175, v[116:117] offset:224
	ds_read_b64 v[140:141], v174
	s_waitcnt lgkmcnt(0)
	v_cmp_neq_f64_e32 vcc, 0, v[140:141]
	s_and_b64 exec, exec, vcc
	s_cbranch_execz .LBB57_59
; %bb.58:
	v_div_scale_f64 v[142:143], s[6:7], v[140:141], v[140:141], 1.0
	v_rcp_f64_e32 v[144:145], v[142:143]
	v_div_scale_f64 v[146:147], vcc, 1.0, v[140:141], 1.0
	v_fma_f64 v[148:149], -v[142:143], v[144:145], 1.0
	v_fmac_f64_e32 v[144:145], v[144:145], v[148:149]
	v_fma_f64 v[148:149], -v[142:143], v[144:145], 1.0
	v_fmac_f64_e32 v[144:145], v[144:145], v[148:149]
	v_mul_f64 v[148:149], v[146:147], v[144:145]
	v_fma_f64 v[142:143], -v[142:143], v[148:149], v[146:147]
	v_div_fmas_f64 v[142:143], v[142:143], v[144:145], v[148:149]
	v_div_fixup_f64 v[140:141], v[142:143], v[140:141], 1.0
	ds_write_b64 v174, v[140:141]
.LBB57_59:
	s_or_b64 exec, exec, s[2:3]
	s_waitcnt lgkmcnt(0)
	s_barrier
	ds_read_b64 v[140:141], v174
	v_cmp_lt_u32_e32 vcc, 11, v176
	s_and_saveexec_b64 s[2:3], vcc
	s_cbranch_execz .LBB57_61
; %bb.60:
	ds_read2_b64 v[142:145], v175 offset0:12 offset1:13
	ds_read2_b64 v[146:149], v175 offset0:14 offset1:15
	;; [unrolled: 1-line block ×3, first 2 shown]
	s_waitcnt vmcnt(17) lgkmcnt(3)
	v_mul_f64 v[78:79], v[140:141], v[78:79]
	s_waitcnt vmcnt(16) lgkmcnt(2)
	v_fma_f64 v[104:105], -v[78:79], v[142:143], v[104:105]
	s_waitcnt vmcnt(15)
	v_fma_f64 v[76:77], -v[78:79], v[144:145], v[76:77]
	ds_read2_b64 v[142:145], v175 offset0:18 offset1:19
	s_waitcnt vmcnt(14) lgkmcnt(2)
	v_fma_f64 v[102:103], -v[78:79], v[146:147], v[102:103]
	s_waitcnt vmcnt(13)
	v_fma_f64 v[74:75], -v[78:79], v[148:149], v[74:75]
	s_waitcnt vmcnt(12) lgkmcnt(1)
	v_fma_f64 v[100:101], -v[78:79], v[150:151], v[100:101]
	ds_read2_b64 v[146:149], v175 offset0:20 offset1:21
	s_waitcnt vmcnt(11)
	v_fma_f64 v[72:73], -v[78:79], v[152:153], v[72:73]
	ds_read2_b64 v[150:153], v175 offset0:22 offset1:23
	s_waitcnt vmcnt(10) lgkmcnt(2)
	v_fma_f64 v[98:99], -v[78:79], v[142:143], v[98:99]
	s_waitcnt vmcnt(9)
	v_fma_f64 v[70:71], -v[78:79], v[144:145], v[70:71]
	s_waitcnt vmcnt(8) lgkmcnt(1)
	v_fma_f64 v[96:97], -v[78:79], v[146:147], v[96:97]
	s_waitcnt vmcnt(7)
	v_fma_f64 v[68:69], -v[78:79], v[148:149], v[68:69]
	ds_read2_b64 v[142:145], v175 offset0:24 offset1:25
	ds_read2_b64 v[146:149], v175 offset0:26 offset1:27
	s_waitcnt vmcnt(6) lgkmcnt(2)
	v_fma_f64 v[94:95], -v[78:79], v[150:151], v[94:95]
	ds_read_b64 v[150:151], v175 offset:224
	s_waitcnt vmcnt(5)
	v_fma_f64 v[66:67], -v[78:79], v[152:153], v[66:67]
	s_waitcnt vmcnt(4) lgkmcnt(2)
	v_fma_f64 v[92:93], -v[78:79], v[142:143], v[92:93]
	s_waitcnt vmcnt(3)
	v_fma_f64 v[64:65], -v[78:79], v[144:145], v[64:65]
	s_waitcnt vmcnt(2) lgkmcnt(1)
	v_fma_f64 v[90:91], -v[78:79], v[146:147], v[90:91]
	s_waitcnt vmcnt(1)
	v_fma_f64 v[62:63], -v[78:79], v[148:149], v[62:63]
	s_waitcnt vmcnt(0) lgkmcnt(0)
	v_fma_f64 v[116:117], -v[78:79], v[150:151], v[116:117]
.LBB57_61:
	s_or_b64 exec, exec, s[2:3]
	v_cmp_eq_u32_e32 vcc, 12, v176
	s_waitcnt lgkmcnt(0)
	s_barrier
	s_and_saveexec_b64 s[2:3], vcc
	s_cbranch_execz .LBB57_64
; %bb.62:
	s_waitcnt vmcnt(16)
	ds_write_b64 v174, v[104:105]
	s_waitcnt vmcnt(14)
	ds_write2_b64 v175, v[76:77], v[102:103] offset0:13 offset1:14
	s_waitcnt vmcnt(12)
	ds_write2_b64 v175, v[74:75], v[100:101] offset0:15 offset1:16
	;; [unrolled: 2-line block ×8, first 2 shown]
	ds_read_b64 v[142:143], v174
	s_waitcnt lgkmcnt(0)
	v_cmp_neq_f64_e32 vcc, 0, v[142:143]
	s_and_b64 exec, exec, vcc
	s_cbranch_execz .LBB57_64
; %bb.63:
	v_div_scale_f64 v[144:145], s[6:7], v[142:143], v[142:143], 1.0
	v_rcp_f64_e32 v[146:147], v[144:145]
	v_div_scale_f64 v[148:149], vcc, 1.0, v[142:143], 1.0
	v_fma_f64 v[150:151], -v[144:145], v[146:147], 1.0
	v_fmac_f64_e32 v[146:147], v[146:147], v[150:151]
	v_fma_f64 v[150:151], -v[144:145], v[146:147], 1.0
	v_fmac_f64_e32 v[146:147], v[146:147], v[150:151]
	v_mul_f64 v[150:151], v[148:149], v[146:147]
	v_fma_f64 v[144:145], -v[144:145], v[150:151], v[148:149]
	v_div_fmas_f64 v[144:145], v[144:145], v[146:147], v[150:151]
	v_div_fixup_f64 v[142:143], v[144:145], v[142:143], 1.0
	ds_write_b64 v174, v[142:143]
.LBB57_64:
	s_or_b64 exec, exec, s[2:3]
	s_waitcnt lgkmcnt(0)
	s_barrier
	ds_read_b64 v[142:143], v174
	v_cmp_lt_u32_e32 vcc, 12, v176
	s_and_saveexec_b64 s[2:3], vcc
	s_cbranch_execz .LBB57_66
; %bb.65:
	ds_read2_b64 v[144:147], v175 offset0:13 offset1:14
	ds_read2_b64 v[148:151], v175 offset0:15 offset1:16
	s_waitcnt vmcnt(16) lgkmcnt(2)
	v_mul_f64 v[104:105], v[142:143], v[104:105]
	ds_read2_b64 v[152:155], v175 offset0:17 offset1:18
	s_waitcnt vmcnt(15) lgkmcnt(2)
	v_fma_f64 v[76:77], -v[104:105], v[144:145], v[76:77]
	s_waitcnt vmcnt(14)
	v_fma_f64 v[102:103], -v[104:105], v[146:147], v[102:103]
	ds_read2_b64 v[144:147], v175 offset0:19 offset1:20
	s_waitcnt vmcnt(13) lgkmcnt(2)
	v_fma_f64 v[74:75], -v[104:105], v[148:149], v[74:75]
	s_waitcnt vmcnt(12)
	v_fma_f64 v[100:101], -v[104:105], v[150:151], v[100:101]
	ds_read2_b64 v[148:151], v175 offset0:21 offset1:22
	s_waitcnt vmcnt(11) lgkmcnt(2)
	v_fma_f64 v[72:73], -v[104:105], v[152:153], v[72:73]
	s_waitcnt vmcnt(10)
	v_fma_f64 v[98:99], -v[104:105], v[154:155], v[98:99]
	s_waitcnt vmcnt(9) lgkmcnt(1)
	v_fma_f64 v[70:71], -v[104:105], v[144:145], v[70:71]
	s_waitcnt vmcnt(8)
	v_fma_f64 v[96:97], -v[104:105], v[146:147], v[96:97]
	ds_read2_b64 v[144:147], v175 offset0:23 offset1:24
	s_waitcnt vmcnt(7) lgkmcnt(1)
	v_fma_f64 v[68:69], -v[104:105], v[148:149], v[68:69]
	ds_read2_b64 v[152:155], v175 offset0:25 offset1:26
	s_waitcnt vmcnt(6)
	v_fma_f64 v[94:95], -v[104:105], v[150:151], v[94:95]
	ds_read2_b64 v[148:151], v175 offset0:27 offset1:28
	s_waitcnt vmcnt(5) lgkmcnt(2)
	v_fma_f64 v[66:67], -v[104:105], v[144:145], v[66:67]
	s_waitcnt vmcnt(4)
	v_fma_f64 v[92:93], -v[104:105], v[146:147], v[92:93]
	s_waitcnt vmcnt(3) lgkmcnt(1)
	v_fma_f64 v[64:65], -v[104:105], v[152:153], v[64:65]
	s_waitcnt vmcnt(2)
	v_fma_f64 v[90:91], -v[104:105], v[154:155], v[90:91]
	;; [unrolled: 4-line block ×3, first 2 shown]
.LBB57_66:
	s_or_b64 exec, exec, s[2:3]
	v_cmp_eq_u32_e32 vcc, 13, v176
	s_waitcnt lgkmcnt(0)
	s_barrier
	s_and_saveexec_b64 s[2:3], vcc
	s_cbranch_execz .LBB57_69
; %bb.67:
	s_waitcnt vmcnt(14)
	v_mov_b32_e32 v144, v102
	v_mov_b32_e32 v145, v103
	s_waitcnt vmcnt(13)
	v_mov_b32_e32 v146, v74
	v_mov_b32_e32 v147, v75
	ds_write_b64 v174, v[76:77]
	ds_write2_b64 v175, v[144:145], v[146:147] offset0:14 offset1:15
	s_waitcnt vmcnt(12)
	v_mov_b32_e32 v144, v100
	v_mov_b32_e32 v145, v101
	s_waitcnt vmcnt(11)
	v_mov_b32_e32 v146, v72
	v_mov_b32_e32 v147, v73
	ds_write2_b64 v175, v[144:145], v[146:147] offset0:16 offset1:17
	s_waitcnt vmcnt(10)
	v_mov_b32_e32 v144, v98
	v_mov_b32_e32 v145, v99
	s_waitcnt vmcnt(9)
	v_mov_b32_e32 v146, v70
	v_mov_b32_e32 v147, v71
	;; [unrolled: 7-line block ×6, first 2 shown]
	ds_write2_b64 v175, v[144:145], v[146:147] offset0:26 offset1:27
	s_waitcnt vmcnt(0)
	ds_write_b64 v175, v[116:117] offset:224
	ds_read_b64 v[144:145], v174
	s_waitcnt lgkmcnt(0)
	v_cmp_neq_f64_e32 vcc, 0, v[144:145]
	s_and_b64 exec, exec, vcc
	s_cbranch_execz .LBB57_69
; %bb.68:
	v_div_scale_f64 v[146:147], s[6:7], v[144:145], v[144:145], 1.0
	v_rcp_f64_e32 v[148:149], v[146:147]
	v_div_scale_f64 v[150:151], vcc, 1.0, v[144:145], 1.0
	v_fma_f64 v[152:153], -v[146:147], v[148:149], 1.0
	v_fmac_f64_e32 v[148:149], v[148:149], v[152:153]
	v_fma_f64 v[152:153], -v[146:147], v[148:149], 1.0
	v_fmac_f64_e32 v[148:149], v[148:149], v[152:153]
	v_mul_f64 v[152:153], v[150:151], v[148:149]
	v_fma_f64 v[146:147], -v[146:147], v[152:153], v[150:151]
	v_div_fmas_f64 v[146:147], v[146:147], v[148:149], v[152:153]
	v_div_fixup_f64 v[144:145], v[146:147], v[144:145], 1.0
	ds_write_b64 v174, v[144:145]
.LBB57_69:
	s_or_b64 exec, exec, s[2:3]
	s_waitcnt lgkmcnt(0)
	s_barrier
	ds_read_b64 v[144:145], v174
	v_cmp_lt_u32_e32 vcc, 13, v176
	s_and_saveexec_b64 s[2:3], vcc
	s_cbranch_execz .LBB57_71
; %bb.70:
	ds_read2_b64 v[146:149], v175 offset0:14 offset1:15
	ds_read2_b64 v[150:153], v175 offset0:16 offset1:17
	s_waitcnt vmcnt(15) lgkmcnt(2)
	v_mul_f64 v[76:77], v[144:145], v[76:77]
	ds_read2_b64 v[154:157], v175 offset0:18 offset1:19
	s_waitcnt vmcnt(14) lgkmcnt(2)
	v_fma_f64 v[102:103], -v[76:77], v[146:147], v[102:103]
	s_waitcnt vmcnt(13)
	v_fma_f64 v[74:75], -v[76:77], v[148:149], v[74:75]
	ds_read2_b64 v[146:149], v175 offset0:20 offset1:21
	s_waitcnt vmcnt(12) lgkmcnt(2)
	v_fma_f64 v[100:101], -v[76:77], v[150:151], v[100:101]
	s_waitcnt vmcnt(11)
	v_fma_f64 v[72:73], -v[76:77], v[152:153], v[72:73]
	;; [unrolled: 5-line block ×3, first 2 shown]
	s_waitcnt vmcnt(8) lgkmcnt(1)
	v_fma_f64 v[96:97], -v[76:77], v[146:147], v[96:97]
	s_waitcnt vmcnt(7)
	v_fma_f64 v[68:69], -v[76:77], v[148:149], v[68:69]
	ds_read2_b64 v[146:149], v175 offset0:24 offset1:25
	s_waitcnt vmcnt(6) lgkmcnt(1)
	v_fma_f64 v[94:95], -v[76:77], v[150:151], v[94:95]
	ds_read2_b64 v[154:157], v175 offset0:26 offset1:27
	ds_read_b64 v[150:151], v175 offset:224
	s_waitcnt vmcnt(5)
	v_fma_f64 v[66:67], -v[76:77], v[152:153], v[66:67]
	s_waitcnt vmcnt(4) lgkmcnt(2)
	v_fma_f64 v[92:93], -v[76:77], v[146:147], v[92:93]
	s_waitcnt vmcnt(3)
	v_fma_f64 v[64:65], -v[76:77], v[148:149], v[64:65]
	s_waitcnt vmcnt(2) lgkmcnt(1)
	v_fma_f64 v[90:91], -v[76:77], v[154:155], v[90:91]
	;; [unrolled: 4-line block ×3, first 2 shown]
.LBB57_71:
	s_or_b64 exec, exec, s[2:3]
	v_cmp_eq_u32_e32 vcc, 14, v176
	s_waitcnt lgkmcnt(0)
	s_barrier
	s_and_saveexec_b64 s[2:3], vcc
	s_cbranch_execz .LBB57_74
; %bb.72:
	s_waitcnt vmcnt(14)
	ds_write_b64 v174, v[102:103]
	s_waitcnt vmcnt(12)
	ds_write2_b64 v175, v[74:75], v[100:101] offset0:15 offset1:16
	s_waitcnt vmcnt(10)
	ds_write2_b64 v175, v[72:73], v[98:99] offset0:17 offset1:18
	;; [unrolled: 2-line block ×7, first 2 shown]
	ds_read_b64 v[146:147], v174
	s_waitcnt lgkmcnt(0)
	v_cmp_neq_f64_e32 vcc, 0, v[146:147]
	s_and_b64 exec, exec, vcc
	s_cbranch_execz .LBB57_74
; %bb.73:
	v_div_scale_f64 v[148:149], s[6:7], v[146:147], v[146:147], 1.0
	v_rcp_f64_e32 v[150:151], v[148:149]
	v_div_scale_f64 v[152:153], vcc, 1.0, v[146:147], 1.0
	v_fma_f64 v[154:155], -v[148:149], v[150:151], 1.0
	v_fmac_f64_e32 v[150:151], v[150:151], v[154:155]
	v_fma_f64 v[154:155], -v[148:149], v[150:151], 1.0
	v_fmac_f64_e32 v[150:151], v[150:151], v[154:155]
	v_mul_f64 v[154:155], v[152:153], v[150:151]
	v_fma_f64 v[148:149], -v[148:149], v[154:155], v[152:153]
	v_div_fmas_f64 v[148:149], v[148:149], v[150:151], v[154:155]
	v_div_fixup_f64 v[146:147], v[148:149], v[146:147], 1.0
	ds_write_b64 v174, v[146:147]
.LBB57_74:
	s_or_b64 exec, exec, s[2:3]
	s_waitcnt lgkmcnt(0)
	s_barrier
	ds_read_b64 v[146:147], v174
	v_cmp_lt_u32_e32 vcc, 14, v176
	s_and_saveexec_b64 s[2:3], vcc
	s_cbranch_execz .LBB57_76
; %bb.75:
	ds_read2_b64 v[148:151], v175 offset0:15 offset1:16
	ds_read2_b64 v[152:155], v175 offset0:17 offset1:18
	s_waitcnt vmcnt(14) lgkmcnt(2)
	v_mul_f64 v[102:103], v[146:147], v[102:103]
	ds_read2_b64 v[156:159], v175 offset0:19 offset1:20
	s_waitcnt vmcnt(13) lgkmcnt(2)
	v_fma_f64 v[74:75], -v[102:103], v[148:149], v[74:75]
	s_waitcnt vmcnt(12)
	v_fma_f64 v[100:101], -v[102:103], v[150:151], v[100:101]
	ds_read2_b64 v[148:151], v175 offset0:21 offset1:22
	s_waitcnt vmcnt(11) lgkmcnt(2)
	v_fma_f64 v[72:73], -v[102:103], v[152:153], v[72:73]
	s_waitcnt vmcnt(10)
	v_fma_f64 v[98:99], -v[102:103], v[154:155], v[98:99]
	s_waitcnt vmcnt(9) lgkmcnt(1)
	v_fma_f64 v[70:71], -v[102:103], v[156:157], v[70:71]
	s_waitcnt vmcnt(8)
	v_fma_f64 v[96:97], -v[102:103], v[158:159], v[96:97]
	ds_read2_b64 v[152:155], v175 offset0:23 offset1:24
	ds_read2_b64 v[156:159], v175 offset0:25 offset1:26
	s_waitcnt vmcnt(7) lgkmcnt(2)
	v_fma_f64 v[68:69], -v[102:103], v[148:149], v[68:69]
	s_waitcnt vmcnt(6)
	v_fma_f64 v[94:95], -v[102:103], v[150:151], v[94:95]
	ds_read2_b64 v[148:151], v175 offset0:27 offset1:28
	s_waitcnt vmcnt(5) lgkmcnt(2)
	v_fma_f64 v[66:67], -v[102:103], v[152:153], v[66:67]
	s_waitcnt vmcnt(4)
	v_fma_f64 v[92:93], -v[102:103], v[154:155], v[92:93]
	s_waitcnt vmcnt(3) lgkmcnt(1)
	v_fma_f64 v[64:65], -v[102:103], v[156:157], v[64:65]
	s_waitcnt vmcnt(2)
	v_fma_f64 v[90:91], -v[102:103], v[158:159], v[90:91]
	;; [unrolled: 4-line block ×3, first 2 shown]
.LBB57_76:
	s_or_b64 exec, exec, s[2:3]
	v_cmp_eq_u32_e32 vcc, 15, v176
	s_waitcnt lgkmcnt(0)
	s_barrier
	s_and_saveexec_b64 s[2:3], vcc
	s_cbranch_execz .LBB57_79
; %bb.77:
	s_waitcnt vmcnt(12)
	v_mov_b32_e32 v148, v100
	v_mov_b32_e32 v149, v101
	s_waitcnt vmcnt(11)
	v_mov_b32_e32 v150, v72
	v_mov_b32_e32 v151, v73
	ds_write_b64 v174, v[74:75]
	ds_write2_b64 v175, v[148:149], v[150:151] offset0:16 offset1:17
	s_waitcnt vmcnt(10)
	v_mov_b32_e32 v148, v98
	v_mov_b32_e32 v149, v99
	s_waitcnt vmcnt(9)
	v_mov_b32_e32 v150, v70
	v_mov_b32_e32 v151, v71
	ds_write2_b64 v175, v[148:149], v[150:151] offset0:18 offset1:19
	s_waitcnt vmcnt(8)
	v_mov_b32_e32 v148, v96
	v_mov_b32_e32 v149, v97
	s_waitcnt vmcnt(7)
	v_mov_b32_e32 v150, v68
	v_mov_b32_e32 v151, v69
	;; [unrolled: 7-line block ×5, first 2 shown]
	ds_write2_b64 v175, v[148:149], v[150:151] offset0:26 offset1:27
	s_waitcnt vmcnt(0)
	ds_write_b64 v175, v[116:117] offset:224
	ds_read_b64 v[148:149], v174
	s_waitcnt lgkmcnt(0)
	v_cmp_neq_f64_e32 vcc, 0, v[148:149]
	s_and_b64 exec, exec, vcc
	s_cbranch_execz .LBB57_79
; %bb.78:
	v_div_scale_f64 v[150:151], s[6:7], v[148:149], v[148:149], 1.0
	v_rcp_f64_e32 v[152:153], v[150:151]
	v_div_scale_f64 v[154:155], vcc, 1.0, v[148:149], 1.0
	v_fma_f64 v[156:157], -v[150:151], v[152:153], 1.0
	v_fmac_f64_e32 v[152:153], v[152:153], v[156:157]
	v_fma_f64 v[156:157], -v[150:151], v[152:153], 1.0
	v_fmac_f64_e32 v[152:153], v[152:153], v[156:157]
	v_mul_f64 v[156:157], v[154:155], v[152:153]
	v_fma_f64 v[150:151], -v[150:151], v[156:157], v[154:155]
	v_div_fmas_f64 v[150:151], v[150:151], v[152:153], v[156:157]
	v_div_fixup_f64 v[148:149], v[150:151], v[148:149], 1.0
	ds_write_b64 v174, v[148:149]
.LBB57_79:
	s_or_b64 exec, exec, s[2:3]
	s_waitcnt lgkmcnt(0)
	s_barrier
	ds_read_b64 v[148:149], v174
	v_cmp_lt_u32_e32 vcc, 15, v176
	s_and_saveexec_b64 s[2:3], vcc
	s_cbranch_execz .LBB57_81
; %bb.80:
	ds_read2_b64 v[150:153], v175 offset0:16 offset1:17
	ds_read2_b64 v[154:157], v175 offset0:18 offset1:19
	s_waitcnt vmcnt(13) lgkmcnt(2)
	v_mul_f64 v[74:75], v[148:149], v[74:75]
	ds_read2_b64 v[158:161], v175 offset0:20 offset1:21
	s_waitcnt vmcnt(12) lgkmcnt(2)
	v_fma_f64 v[100:101], -v[74:75], v[150:151], v[100:101]
	s_waitcnt vmcnt(11)
	v_fma_f64 v[72:73], -v[74:75], v[152:153], v[72:73]
	ds_read2_b64 v[150:153], v175 offset0:22 offset1:23
	s_waitcnt vmcnt(10) lgkmcnt(2)
	v_fma_f64 v[98:99], -v[74:75], v[154:155], v[98:99]
	s_waitcnt vmcnt(9)
	v_fma_f64 v[70:71], -v[74:75], v[156:157], v[70:71]
	s_waitcnt vmcnt(8) lgkmcnt(1)
	v_fma_f64 v[96:97], -v[74:75], v[158:159], v[96:97]
	s_waitcnt vmcnt(7)
	v_fma_f64 v[68:69], -v[74:75], v[160:161], v[68:69]
	ds_read2_b64 v[154:157], v175 offset0:24 offset1:25
	ds_read2_b64 v[158:161], v175 offset0:26 offset1:27
	s_waitcnt vmcnt(6) lgkmcnt(2)
	v_fma_f64 v[94:95], -v[74:75], v[150:151], v[94:95]
	ds_read_b64 v[150:151], v175 offset:224
	s_waitcnt vmcnt(5)
	v_fma_f64 v[66:67], -v[74:75], v[152:153], v[66:67]
	s_waitcnt vmcnt(4) lgkmcnt(2)
	v_fma_f64 v[92:93], -v[74:75], v[154:155], v[92:93]
	s_waitcnt vmcnt(3)
	v_fma_f64 v[64:65], -v[74:75], v[156:157], v[64:65]
	s_waitcnt vmcnt(2) lgkmcnt(1)
	v_fma_f64 v[90:91], -v[74:75], v[158:159], v[90:91]
	;; [unrolled: 4-line block ×3, first 2 shown]
.LBB57_81:
	s_or_b64 exec, exec, s[2:3]
	v_cmp_eq_u32_e32 vcc, 16, v176
	s_waitcnt lgkmcnt(0)
	s_barrier
	s_and_saveexec_b64 s[2:3], vcc
	s_cbranch_execz .LBB57_84
; %bb.82:
	s_waitcnt vmcnt(12)
	ds_write_b64 v174, v[100:101]
	s_waitcnt vmcnt(10)
	ds_write2_b64 v175, v[72:73], v[98:99] offset0:17 offset1:18
	s_waitcnt vmcnt(8)
	ds_write2_b64 v175, v[70:71], v[96:97] offset0:19 offset1:20
	;; [unrolled: 2-line block ×6, first 2 shown]
	ds_read_b64 v[150:151], v174
	s_waitcnt lgkmcnt(0)
	v_cmp_neq_f64_e32 vcc, 0, v[150:151]
	s_and_b64 exec, exec, vcc
	s_cbranch_execz .LBB57_84
; %bb.83:
	v_div_scale_f64 v[152:153], s[6:7], v[150:151], v[150:151], 1.0
	v_rcp_f64_e32 v[154:155], v[152:153]
	v_div_scale_f64 v[156:157], vcc, 1.0, v[150:151], 1.0
	v_fma_f64 v[158:159], -v[152:153], v[154:155], 1.0
	v_fmac_f64_e32 v[154:155], v[154:155], v[158:159]
	v_fma_f64 v[158:159], -v[152:153], v[154:155], 1.0
	v_fmac_f64_e32 v[154:155], v[154:155], v[158:159]
	v_mul_f64 v[158:159], v[156:157], v[154:155]
	v_fma_f64 v[152:153], -v[152:153], v[158:159], v[156:157]
	v_div_fmas_f64 v[152:153], v[152:153], v[154:155], v[158:159]
	v_div_fixup_f64 v[150:151], v[152:153], v[150:151], 1.0
	ds_write_b64 v174, v[150:151]
.LBB57_84:
	s_or_b64 exec, exec, s[2:3]
	s_waitcnt lgkmcnt(0)
	s_barrier
	ds_read_b64 v[150:151], v174
	v_cmp_lt_u32_e32 vcc, 16, v176
	s_and_saveexec_b64 s[2:3], vcc
	s_cbranch_execz .LBB57_86
; %bb.85:
	ds_read2_b64 v[152:155], v175 offset0:17 offset1:18
	ds_read2_b64 v[156:159], v175 offset0:19 offset1:20
	;; [unrolled: 1-line block ×3, first 2 shown]
	s_waitcnt vmcnt(12) lgkmcnt(3)
	v_mul_f64 v[100:101], v[150:151], v[100:101]
	s_waitcnt vmcnt(11) lgkmcnt(2)
	v_fma_f64 v[72:73], -v[100:101], v[152:153], v[72:73]
	s_waitcnt vmcnt(10)
	v_fma_f64 v[98:99], -v[100:101], v[154:155], v[98:99]
	ds_read2_b64 v[152:155], v175 offset0:23 offset1:24
	s_waitcnt vmcnt(9) lgkmcnt(2)
	v_fma_f64 v[70:71], -v[100:101], v[156:157], v[70:71]
	s_waitcnt vmcnt(8)
	v_fma_f64 v[96:97], -v[100:101], v[158:159], v[96:97]
	s_waitcnt vmcnt(7) lgkmcnt(1)
	v_fma_f64 v[68:69], -v[100:101], v[160:161], v[68:69]
	ds_read2_b64 v[156:159], v175 offset0:25 offset1:26
	s_waitcnt vmcnt(6)
	v_fma_f64 v[94:95], -v[100:101], v[162:163], v[94:95]
	ds_read2_b64 v[160:163], v175 offset0:27 offset1:28
	s_waitcnt vmcnt(5) lgkmcnt(2)
	v_fma_f64 v[66:67], -v[100:101], v[152:153], v[66:67]
	s_waitcnt vmcnt(4)
	v_fma_f64 v[92:93], -v[100:101], v[154:155], v[92:93]
	s_waitcnt vmcnt(3) lgkmcnt(1)
	v_fma_f64 v[64:65], -v[100:101], v[156:157], v[64:65]
	s_waitcnt vmcnt(2)
	v_fma_f64 v[90:91], -v[100:101], v[158:159], v[90:91]
	s_waitcnt vmcnt(1) lgkmcnt(0)
	v_fma_f64 v[62:63], -v[100:101], v[160:161], v[62:63]
	s_waitcnt vmcnt(0)
	v_fma_f64 v[116:117], -v[100:101], v[162:163], v[116:117]
.LBB57_86:
	s_or_b64 exec, exec, s[2:3]
	v_cmp_eq_u32_e32 vcc, 17, v176
	s_waitcnt lgkmcnt(0)
	s_barrier
	s_and_saveexec_b64 s[2:3], vcc
	s_cbranch_execz .LBB57_89
; %bb.87:
	s_waitcnt vmcnt(10)
	v_mov_b32_e32 v152, v98
	v_mov_b32_e32 v153, v99
	s_waitcnt vmcnt(9)
	v_mov_b32_e32 v154, v70
	v_mov_b32_e32 v155, v71
	ds_write_b64 v174, v[72:73]
	ds_write2_b64 v175, v[152:153], v[154:155] offset0:18 offset1:19
	s_waitcnt vmcnt(8)
	v_mov_b32_e32 v152, v96
	v_mov_b32_e32 v153, v97
	s_waitcnt vmcnt(7)
	v_mov_b32_e32 v154, v68
	v_mov_b32_e32 v155, v69
	ds_write2_b64 v175, v[152:153], v[154:155] offset0:20 offset1:21
	s_waitcnt vmcnt(6)
	v_mov_b32_e32 v152, v94
	v_mov_b32_e32 v153, v95
	s_waitcnt vmcnt(5)
	v_mov_b32_e32 v154, v66
	v_mov_b32_e32 v155, v67
	;; [unrolled: 7-line block ×4, first 2 shown]
	ds_write2_b64 v175, v[152:153], v[154:155] offset0:26 offset1:27
	s_waitcnt vmcnt(0)
	ds_write_b64 v175, v[116:117] offset:224
	ds_read_b64 v[152:153], v174
	s_waitcnt lgkmcnt(0)
	v_cmp_neq_f64_e32 vcc, 0, v[152:153]
	s_and_b64 exec, exec, vcc
	s_cbranch_execz .LBB57_89
; %bb.88:
	v_div_scale_f64 v[154:155], s[6:7], v[152:153], v[152:153], 1.0
	v_rcp_f64_e32 v[156:157], v[154:155]
	v_div_scale_f64 v[158:159], vcc, 1.0, v[152:153], 1.0
	v_fma_f64 v[160:161], -v[154:155], v[156:157], 1.0
	v_fmac_f64_e32 v[156:157], v[156:157], v[160:161]
	v_fma_f64 v[160:161], -v[154:155], v[156:157], 1.0
	v_fmac_f64_e32 v[156:157], v[156:157], v[160:161]
	v_mul_f64 v[160:161], v[158:159], v[156:157]
	v_fma_f64 v[154:155], -v[154:155], v[160:161], v[158:159]
	v_div_fmas_f64 v[154:155], v[154:155], v[156:157], v[160:161]
	v_div_fixup_f64 v[152:153], v[154:155], v[152:153], 1.0
	ds_write_b64 v174, v[152:153]
.LBB57_89:
	s_or_b64 exec, exec, s[2:3]
	s_waitcnt lgkmcnt(0)
	s_barrier
	ds_read_b64 v[152:153], v174
	v_cmp_lt_u32_e32 vcc, 17, v176
	s_and_saveexec_b64 s[2:3], vcc
	s_cbranch_execz .LBB57_91
; %bb.90:
	ds_read2_b64 v[154:157], v175 offset0:18 offset1:19
	ds_read2_b64 v[158:161], v175 offset0:20 offset1:21
	;; [unrolled: 1-line block ×3, first 2 shown]
	s_waitcnt vmcnt(11) lgkmcnt(3)
	v_mul_f64 v[72:73], v[152:153], v[72:73]
	s_waitcnt vmcnt(10) lgkmcnt(2)
	v_fma_f64 v[98:99], -v[72:73], v[154:155], v[98:99]
	s_waitcnt vmcnt(9)
	v_fma_f64 v[70:71], -v[72:73], v[156:157], v[70:71]
	ds_read2_b64 v[154:157], v175 offset0:24 offset1:25
	s_waitcnt vmcnt(8) lgkmcnt(2)
	v_fma_f64 v[96:97], -v[72:73], v[158:159], v[96:97]
	s_waitcnt vmcnt(7)
	v_fma_f64 v[68:69], -v[72:73], v[160:161], v[68:69]
	s_waitcnt vmcnt(6) lgkmcnt(1)
	v_fma_f64 v[94:95], -v[72:73], v[162:163], v[94:95]
	ds_read2_b64 v[158:161], v175 offset0:26 offset1:27
	ds_read_b64 v[162:163], v175 offset:224
	s_waitcnt vmcnt(5)
	v_fma_f64 v[66:67], -v[72:73], v[164:165], v[66:67]
	s_waitcnt vmcnt(4) lgkmcnt(2)
	v_fma_f64 v[92:93], -v[72:73], v[154:155], v[92:93]
	s_waitcnt vmcnt(3)
	v_fma_f64 v[64:65], -v[72:73], v[156:157], v[64:65]
	s_waitcnt vmcnt(2) lgkmcnt(1)
	v_fma_f64 v[90:91], -v[72:73], v[158:159], v[90:91]
	;; [unrolled: 4-line block ×3, first 2 shown]
.LBB57_91:
	s_or_b64 exec, exec, s[2:3]
	v_cmp_eq_u32_e32 vcc, 18, v176
	s_waitcnt lgkmcnt(0)
	s_barrier
	s_and_saveexec_b64 s[2:3], vcc
	s_cbranch_execz .LBB57_94
; %bb.92:
	s_waitcnt vmcnt(10)
	ds_write_b64 v174, v[98:99]
	s_waitcnt vmcnt(8)
	ds_write2_b64 v175, v[70:71], v[96:97] offset0:19 offset1:20
	s_waitcnt vmcnt(6)
	ds_write2_b64 v175, v[68:69], v[94:95] offset0:21 offset1:22
	s_waitcnt vmcnt(4)
	ds_write2_b64 v175, v[66:67], v[92:93] offset0:23 offset1:24
	s_waitcnt vmcnt(2)
	ds_write2_b64 v175, v[64:65], v[90:91] offset0:25 offset1:26
	s_waitcnt vmcnt(0)
	ds_write2_b64 v175, v[62:63], v[116:117] offset0:27 offset1:28
	ds_read_b64 v[154:155], v174
	s_waitcnt lgkmcnt(0)
	v_cmp_neq_f64_e32 vcc, 0, v[154:155]
	s_and_b64 exec, exec, vcc
	s_cbranch_execz .LBB57_94
; %bb.93:
	v_div_scale_f64 v[156:157], s[6:7], v[154:155], v[154:155], 1.0
	v_rcp_f64_e32 v[158:159], v[156:157]
	v_div_scale_f64 v[160:161], vcc, 1.0, v[154:155], 1.0
	v_fma_f64 v[162:163], -v[156:157], v[158:159], 1.0
	v_fmac_f64_e32 v[158:159], v[158:159], v[162:163]
	v_fma_f64 v[162:163], -v[156:157], v[158:159], 1.0
	v_fmac_f64_e32 v[158:159], v[158:159], v[162:163]
	v_mul_f64 v[162:163], v[160:161], v[158:159]
	v_fma_f64 v[156:157], -v[156:157], v[162:163], v[160:161]
	v_div_fmas_f64 v[156:157], v[156:157], v[158:159], v[162:163]
	v_div_fixup_f64 v[154:155], v[156:157], v[154:155], 1.0
	ds_write_b64 v174, v[154:155]
.LBB57_94:
	s_or_b64 exec, exec, s[2:3]
	s_waitcnt lgkmcnt(0)
	s_barrier
	ds_read_b64 v[154:155], v174
	v_cmp_lt_u32_e32 vcc, 18, v176
	s_and_saveexec_b64 s[2:3], vcc
	s_cbranch_execz .LBB57_96
; %bb.95:
	ds_read2_b64 v[156:159], v175 offset0:19 offset1:20
	ds_read2_b64 v[160:163], v175 offset0:21 offset1:22
	s_waitcnt vmcnt(10) lgkmcnt(2)
	v_mul_f64 v[98:99], v[154:155], v[98:99]
	ds_read2_b64 v[164:167], v175 offset0:25 offset1:26
	s_waitcnt vmcnt(9) lgkmcnt(2)
	v_fma_f64 v[70:71], -v[98:99], v[156:157], v[70:71]
	s_waitcnt vmcnt(8)
	v_fma_f64 v[96:97], -v[98:99], v[158:159], v[96:97]
	ds_read2_b64 v[156:159], v175 offset0:23 offset1:24
	s_waitcnt vmcnt(7) lgkmcnt(2)
	v_fma_f64 v[68:69], -v[98:99], v[160:161], v[68:69]
	s_waitcnt vmcnt(6)
	v_fma_f64 v[94:95], -v[98:99], v[162:163], v[94:95]
	ds_read2_b64 v[160:163], v175 offset0:27 offset1:28
	s_waitcnt vmcnt(3) lgkmcnt(2)
	v_fma_f64 v[64:65], -v[98:99], v[164:165], v[64:65]
	s_waitcnt lgkmcnt(1)
	v_fma_f64 v[66:67], -v[98:99], v[156:157], v[66:67]
	v_fma_f64 v[92:93], -v[98:99], v[158:159], v[92:93]
	s_waitcnt vmcnt(2)
	v_fma_f64 v[90:91], -v[98:99], v[166:167], v[90:91]
	s_waitcnt vmcnt(1) lgkmcnt(0)
	v_fma_f64 v[62:63], -v[98:99], v[160:161], v[62:63]
	s_waitcnt vmcnt(0)
	v_fma_f64 v[116:117], -v[98:99], v[162:163], v[116:117]
.LBB57_96:
	s_or_b64 exec, exec, s[2:3]
	v_cmp_eq_u32_e32 vcc, 19, v176
	s_waitcnt lgkmcnt(0)
	s_barrier
	s_and_saveexec_b64 s[2:3], vcc
	s_cbranch_execz .LBB57_99
; %bb.97:
	s_waitcnt vmcnt(8)
	v_mov_b32_e32 v156, v96
	v_mov_b32_e32 v157, v97
	s_waitcnt vmcnt(7)
	v_mov_b32_e32 v158, v68
	v_mov_b32_e32 v159, v69
	ds_write_b64 v174, v[70:71]
	ds_write2_b64 v175, v[156:157], v[158:159] offset0:20 offset1:21
	s_waitcnt vmcnt(6)
	v_mov_b32_e32 v156, v94
	v_mov_b32_e32 v157, v95
	s_waitcnt vmcnt(5)
	v_mov_b32_e32 v158, v66
	v_mov_b32_e32 v159, v67
	ds_write2_b64 v175, v[156:157], v[158:159] offset0:22 offset1:23
	s_waitcnt vmcnt(4)
	v_mov_b32_e32 v156, v92
	v_mov_b32_e32 v157, v93
	s_waitcnt vmcnt(3)
	v_mov_b32_e32 v158, v64
	v_mov_b32_e32 v159, v65
	;; [unrolled: 7-line block ×3, first 2 shown]
	ds_write2_b64 v175, v[156:157], v[158:159] offset0:26 offset1:27
	s_waitcnt vmcnt(0)
	ds_write_b64 v175, v[116:117] offset:224
	ds_read_b64 v[156:157], v174
	s_waitcnt lgkmcnt(0)
	v_cmp_neq_f64_e32 vcc, 0, v[156:157]
	s_and_b64 exec, exec, vcc
	s_cbranch_execz .LBB57_99
; %bb.98:
	v_div_scale_f64 v[158:159], s[6:7], v[156:157], v[156:157], 1.0
	v_rcp_f64_e32 v[160:161], v[158:159]
	v_div_scale_f64 v[162:163], vcc, 1.0, v[156:157], 1.0
	v_fma_f64 v[164:165], -v[158:159], v[160:161], 1.0
	v_fmac_f64_e32 v[160:161], v[160:161], v[164:165]
	v_fma_f64 v[164:165], -v[158:159], v[160:161], 1.0
	v_fmac_f64_e32 v[160:161], v[160:161], v[164:165]
	v_mul_f64 v[164:165], v[162:163], v[160:161]
	v_fma_f64 v[158:159], -v[158:159], v[164:165], v[162:163]
	v_div_fmas_f64 v[158:159], v[158:159], v[160:161], v[164:165]
	v_div_fixup_f64 v[156:157], v[158:159], v[156:157], 1.0
	ds_write_b64 v174, v[156:157]
.LBB57_99:
	s_or_b64 exec, exec, s[2:3]
	s_waitcnt lgkmcnt(0)
	s_barrier
	ds_read_b64 v[156:157], v174
	v_cmp_lt_u32_e32 vcc, 19, v176
	s_and_saveexec_b64 s[2:3], vcc
	s_cbranch_execz .LBB57_101
; %bb.100:
	ds_read2_b64 v[158:161], v175 offset0:20 offset1:21
	ds_read2_b64 v[162:165], v175 offset0:22 offset1:23
	s_waitcnt vmcnt(9) lgkmcnt(2)
	v_mul_f64 v[70:71], v[156:157], v[70:71]
	ds_read2_b64 v[166:169], v175 offset0:26 offset1:27
	s_waitcnt vmcnt(8) lgkmcnt(2)
	v_fma_f64 v[96:97], -v[70:71], v[158:159], v[96:97]
	s_waitcnt vmcnt(7)
	v_fma_f64 v[68:69], -v[70:71], v[160:161], v[68:69]
	ds_read2_b64 v[158:161], v175 offset0:24 offset1:25
	s_waitcnt vmcnt(6) lgkmcnt(2)
	v_fma_f64 v[94:95], -v[70:71], v[162:163], v[94:95]
	ds_read_b64 v[162:163], v175 offset:224
	s_waitcnt vmcnt(5)
	v_fma_f64 v[66:67], -v[70:71], v[164:165], v[66:67]
	s_waitcnt vmcnt(2) lgkmcnt(2)
	v_fma_f64 v[90:91], -v[70:71], v[166:167], v[90:91]
	s_waitcnt lgkmcnt(1)
	v_fma_f64 v[92:93], -v[70:71], v[158:159], v[92:93]
	v_fma_f64 v[64:65], -v[70:71], v[160:161], v[64:65]
	s_waitcnt vmcnt(1)
	v_fma_f64 v[62:63], -v[70:71], v[168:169], v[62:63]
	s_waitcnt vmcnt(0) lgkmcnt(0)
	v_fma_f64 v[116:117], -v[70:71], v[162:163], v[116:117]
.LBB57_101:
	s_or_b64 exec, exec, s[2:3]
	v_cmp_eq_u32_e32 vcc, 20, v176
	s_waitcnt lgkmcnt(0)
	s_barrier
	s_and_saveexec_b64 s[2:3], vcc
	s_cbranch_execz .LBB57_104
; %bb.102:
	s_waitcnt vmcnt(8)
	ds_write_b64 v174, v[96:97]
	s_waitcnt vmcnt(6)
	ds_write2_b64 v175, v[68:69], v[94:95] offset0:21 offset1:22
	s_waitcnt vmcnt(4)
	ds_write2_b64 v175, v[66:67], v[92:93] offset0:23 offset1:24
	;; [unrolled: 2-line block ×4, first 2 shown]
	ds_read_b64 v[158:159], v174
	s_waitcnt lgkmcnt(0)
	v_cmp_neq_f64_e32 vcc, 0, v[158:159]
	s_and_b64 exec, exec, vcc
	s_cbranch_execz .LBB57_104
; %bb.103:
	v_div_scale_f64 v[160:161], s[6:7], v[158:159], v[158:159], 1.0
	v_rcp_f64_e32 v[162:163], v[160:161]
	v_div_scale_f64 v[164:165], vcc, 1.0, v[158:159], 1.0
	v_fma_f64 v[166:167], -v[160:161], v[162:163], 1.0
	v_fmac_f64_e32 v[162:163], v[162:163], v[166:167]
	v_fma_f64 v[166:167], -v[160:161], v[162:163], 1.0
	v_fmac_f64_e32 v[162:163], v[162:163], v[166:167]
	v_mul_f64 v[166:167], v[164:165], v[162:163]
	v_fma_f64 v[160:161], -v[160:161], v[166:167], v[164:165]
	v_div_fmas_f64 v[160:161], v[160:161], v[162:163], v[166:167]
	v_div_fixup_f64 v[158:159], v[160:161], v[158:159], 1.0
	ds_write_b64 v174, v[158:159]
.LBB57_104:
	s_or_b64 exec, exec, s[2:3]
	s_waitcnt lgkmcnt(0)
	s_barrier
	ds_read_b64 v[158:159], v174
	v_cmp_lt_u32_e32 vcc, 20, v176
	s_and_saveexec_b64 s[2:3], vcc
	s_cbranch_execz .LBB57_106
; %bb.105:
	ds_read2_b64 v[160:163], v175 offset0:21 offset1:22
	ds_read2_b64 v[164:167], v175 offset0:23 offset1:24
	s_waitcnt vmcnt(8) lgkmcnt(2)
	v_mul_f64 v[96:97], v[158:159], v[96:97]
	ds_read2_b64 v[168:171], v175 offset0:25 offset1:26
	s_waitcnt vmcnt(7) lgkmcnt(2)
	v_fma_f64 v[68:69], -v[96:97], v[160:161], v[68:69]
	s_waitcnt vmcnt(6)
	v_fma_f64 v[94:95], -v[96:97], v[162:163], v[94:95]
	ds_read2_b64 v[160:163], v175 offset0:27 offset1:28
	s_waitcnt vmcnt(5) lgkmcnt(2)
	v_fma_f64 v[66:67], -v[96:97], v[164:165], v[66:67]
	s_waitcnt vmcnt(4)
	v_fma_f64 v[92:93], -v[96:97], v[166:167], v[92:93]
	s_waitcnt vmcnt(3) lgkmcnt(1)
	v_fma_f64 v[64:65], -v[96:97], v[168:169], v[64:65]
	s_waitcnt vmcnt(2)
	v_fma_f64 v[90:91], -v[96:97], v[170:171], v[90:91]
	;; [unrolled: 4-line block ×3, first 2 shown]
.LBB57_106:
	s_or_b64 exec, exec, s[2:3]
	v_cmp_eq_u32_e32 vcc, 21, v176
	s_waitcnt lgkmcnt(0)
	s_barrier
	s_and_saveexec_b64 s[2:3], vcc
	s_cbranch_execz .LBB57_109
; %bb.107:
	s_waitcnt vmcnt(6)
	v_mov_b32_e32 v160, v94
	v_mov_b32_e32 v161, v95
	s_waitcnt vmcnt(5)
	v_mov_b32_e32 v162, v66
	v_mov_b32_e32 v163, v67
	ds_write_b64 v174, v[68:69]
	ds_write2_b64 v175, v[160:161], v[162:163] offset0:22 offset1:23
	s_waitcnt vmcnt(4)
	v_mov_b32_e32 v160, v92
	v_mov_b32_e32 v161, v93
	s_waitcnt vmcnt(3)
	v_mov_b32_e32 v162, v64
	v_mov_b32_e32 v163, v65
	ds_write2_b64 v175, v[160:161], v[162:163] offset0:24 offset1:25
	s_waitcnt vmcnt(2)
	v_mov_b32_e32 v160, v90
	v_mov_b32_e32 v161, v91
	s_waitcnt vmcnt(1)
	v_mov_b32_e32 v162, v62
	v_mov_b32_e32 v163, v63
	ds_write2_b64 v175, v[160:161], v[162:163] offset0:26 offset1:27
	s_waitcnt vmcnt(0)
	ds_write_b64 v175, v[116:117] offset:224
	ds_read_b64 v[160:161], v174
	s_waitcnt lgkmcnt(0)
	v_cmp_neq_f64_e32 vcc, 0, v[160:161]
	s_and_b64 exec, exec, vcc
	s_cbranch_execz .LBB57_109
; %bb.108:
	v_div_scale_f64 v[162:163], s[6:7], v[160:161], v[160:161], 1.0
	v_rcp_f64_e32 v[164:165], v[162:163]
	v_div_scale_f64 v[166:167], vcc, 1.0, v[160:161], 1.0
	v_fma_f64 v[168:169], -v[162:163], v[164:165], 1.0
	v_fmac_f64_e32 v[164:165], v[164:165], v[168:169]
	v_fma_f64 v[168:169], -v[162:163], v[164:165], 1.0
	v_fmac_f64_e32 v[164:165], v[164:165], v[168:169]
	v_mul_f64 v[168:169], v[166:167], v[164:165]
	v_fma_f64 v[162:163], -v[162:163], v[168:169], v[166:167]
	v_div_fmas_f64 v[162:163], v[162:163], v[164:165], v[168:169]
	v_div_fixup_f64 v[160:161], v[162:163], v[160:161], 1.0
	ds_write_b64 v174, v[160:161]
.LBB57_109:
	s_or_b64 exec, exec, s[2:3]
	s_waitcnt lgkmcnt(0)
	s_barrier
	ds_read_b64 v[160:161], v174
	v_cmp_lt_u32_e32 vcc, 21, v176
	s_and_saveexec_b64 s[2:3], vcc
	s_cbranch_execz .LBB57_111
; %bb.110:
	ds_read2_b64 v[162:165], v175 offset0:22 offset1:23
	ds_read2_b64 v[166:169], v175 offset0:24 offset1:25
	s_waitcnt vmcnt(7) lgkmcnt(2)
	v_mul_f64 v[68:69], v[160:161], v[68:69]
	ds_read2_b64 v[170:173], v175 offset0:26 offset1:27
	s_waitcnt vmcnt(6) lgkmcnt(2)
	v_fma_f64 v[94:95], -v[68:69], v[162:163], v[94:95]
	ds_read_b64 v[162:163], v175 offset:224
	s_waitcnt vmcnt(5)
	v_fma_f64 v[66:67], -v[68:69], v[164:165], v[66:67]
	s_waitcnt vmcnt(4) lgkmcnt(2)
	v_fma_f64 v[92:93], -v[68:69], v[166:167], v[92:93]
	s_waitcnt vmcnt(3)
	v_fma_f64 v[64:65], -v[68:69], v[168:169], v[64:65]
	s_waitcnt vmcnt(2) lgkmcnt(1)
	v_fma_f64 v[90:91], -v[68:69], v[170:171], v[90:91]
	;; [unrolled: 4-line block ×3, first 2 shown]
.LBB57_111:
	s_or_b64 exec, exec, s[2:3]
	v_cmp_eq_u32_e32 vcc, 22, v176
	s_waitcnt lgkmcnt(0)
	s_barrier
	s_and_saveexec_b64 s[2:3], vcc
	s_cbranch_execz .LBB57_114
; %bb.112:
	s_waitcnt vmcnt(6)
	ds_write_b64 v174, v[94:95]
	s_waitcnt vmcnt(4)
	ds_write2_b64 v175, v[66:67], v[92:93] offset0:23 offset1:24
	s_waitcnt vmcnt(2)
	ds_write2_b64 v175, v[64:65], v[90:91] offset0:25 offset1:26
	s_waitcnt vmcnt(0)
	ds_write2_b64 v175, v[62:63], v[116:117] offset0:27 offset1:28
	ds_read_b64 v[162:163], v174
	s_waitcnt lgkmcnt(0)
	v_cmp_neq_f64_e32 vcc, 0, v[162:163]
	s_and_b64 exec, exec, vcc
	s_cbranch_execz .LBB57_114
; %bb.113:
	v_div_scale_f64 v[164:165], s[6:7], v[162:163], v[162:163], 1.0
	v_rcp_f64_e32 v[166:167], v[164:165]
	v_div_scale_f64 v[168:169], vcc, 1.0, v[162:163], 1.0
	v_fma_f64 v[170:171], -v[164:165], v[166:167], 1.0
	v_fmac_f64_e32 v[166:167], v[166:167], v[170:171]
	v_fma_f64 v[170:171], -v[164:165], v[166:167], 1.0
	v_fmac_f64_e32 v[166:167], v[166:167], v[170:171]
	v_mul_f64 v[170:171], v[168:169], v[166:167]
	v_fma_f64 v[164:165], -v[164:165], v[170:171], v[168:169]
	v_div_fmas_f64 v[164:165], v[164:165], v[166:167], v[170:171]
	v_div_fixup_f64 v[162:163], v[164:165], v[162:163], 1.0
	ds_write_b64 v174, v[162:163]
.LBB57_114:
	s_or_b64 exec, exec, s[2:3]
	s_waitcnt lgkmcnt(0)
	s_barrier
	ds_read_b64 v[162:163], v174
	v_cmp_lt_u32_e32 vcc, 22, v176
	s_and_saveexec_b64 s[2:3], vcc
	s_cbranch_execz .LBB57_116
; %bb.115:
	ds_read2_b64 v[164:167], v175 offset0:23 offset1:24
	ds_read2_b64 v[168:171], v175 offset0:25 offset1:26
	;; [unrolled: 1-line block ×3, first 2 shown]
	s_waitcnt vmcnt(6) lgkmcnt(3)
	v_mul_f64 v[94:95], v[162:163], v[94:95]
	s_waitcnt vmcnt(5) lgkmcnt(2)
	v_fma_f64 v[66:67], -v[94:95], v[164:165], v[66:67]
	s_waitcnt vmcnt(4)
	v_fma_f64 v[92:93], -v[94:95], v[166:167], v[92:93]
	s_waitcnt vmcnt(3) lgkmcnt(1)
	v_fma_f64 v[64:65], -v[94:95], v[168:169], v[64:65]
	s_waitcnt vmcnt(2)
	v_fma_f64 v[90:91], -v[94:95], v[170:171], v[90:91]
	;; [unrolled: 4-line block ×3, first 2 shown]
.LBB57_116:
	s_or_b64 exec, exec, s[2:3]
	v_cmp_eq_u32_e32 vcc, 23, v176
	s_waitcnt lgkmcnt(0)
	s_barrier
	s_and_saveexec_b64 s[2:3], vcc
	s_cbranch_execz .LBB57_119
; %bb.117:
	s_waitcnt vmcnt(4)
	v_mov_b32_e32 v164, v92
	v_mov_b32_e32 v165, v93
	s_waitcnt vmcnt(3)
	v_mov_b32_e32 v166, v64
	v_mov_b32_e32 v167, v65
	ds_write_b64 v174, v[66:67]
	ds_write2_b64 v175, v[164:165], v[166:167] offset0:24 offset1:25
	s_waitcnt vmcnt(2)
	v_mov_b32_e32 v164, v90
	v_mov_b32_e32 v165, v91
	s_waitcnt vmcnt(1)
	v_mov_b32_e32 v166, v62
	v_mov_b32_e32 v167, v63
	ds_write2_b64 v175, v[164:165], v[166:167] offset0:26 offset1:27
	s_waitcnt vmcnt(0)
	ds_write_b64 v175, v[116:117] offset:224
	ds_read_b64 v[164:165], v174
	s_waitcnt lgkmcnt(0)
	v_cmp_neq_f64_e32 vcc, 0, v[164:165]
	s_and_b64 exec, exec, vcc
	s_cbranch_execz .LBB57_119
; %bb.118:
	v_div_scale_f64 v[166:167], s[6:7], v[164:165], v[164:165], 1.0
	v_rcp_f64_e32 v[168:169], v[166:167]
	v_div_scale_f64 v[170:171], vcc, 1.0, v[164:165], 1.0
	v_fma_f64 v[172:173], -v[166:167], v[168:169], 1.0
	v_fmac_f64_e32 v[168:169], v[168:169], v[172:173]
	v_fma_f64 v[172:173], -v[166:167], v[168:169], 1.0
	v_fmac_f64_e32 v[168:169], v[168:169], v[172:173]
	v_mul_f64 v[172:173], v[170:171], v[168:169]
	v_fma_f64 v[166:167], -v[166:167], v[172:173], v[170:171]
	v_div_fmas_f64 v[166:167], v[166:167], v[168:169], v[172:173]
	v_div_fixup_f64 v[164:165], v[166:167], v[164:165], 1.0
	ds_write_b64 v174, v[164:165]
.LBB57_119:
	s_or_b64 exec, exec, s[2:3]
	s_waitcnt lgkmcnt(0)
	s_barrier
	ds_read_b64 v[164:165], v174
	v_cmp_lt_u32_e32 vcc, 23, v176
	s_and_saveexec_b64 s[2:3], vcc
	s_cbranch_execz .LBB57_121
; %bb.120:
	ds_read2_b64 v[166:169], v175 offset0:24 offset1:25
	ds_read2_b64 v[170:173], v175 offset0:26 offset1:27
	ds_read_b64 v[178:179], v175 offset:224
	s_waitcnt vmcnt(5) lgkmcnt(3)
	v_mul_f64 v[66:67], v[164:165], v[66:67]
	s_waitcnt vmcnt(4) lgkmcnt(2)
	v_fma_f64 v[92:93], -v[66:67], v[166:167], v[92:93]
	s_waitcnt vmcnt(3)
	v_fma_f64 v[64:65], -v[66:67], v[168:169], v[64:65]
	s_waitcnt vmcnt(2) lgkmcnt(1)
	v_fma_f64 v[90:91], -v[66:67], v[170:171], v[90:91]
	s_waitcnt vmcnt(1)
	v_fma_f64 v[62:63], -v[66:67], v[172:173], v[62:63]
	s_waitcnt vmcnt(0) lgkmcnt(0)
	v_fma_f64 v[116:117], -v[66:67], v[178:179], v[116:117]
.LBB57_121:
	s_or_b64 exec, exec, s[2:3]
	v_cmp_eq_u32_e32 vcc, 24, v176
	s_waitcnt lgkmcnt(0)
	s_barrier
	s_and_saveexec_b64 s[2:3], vcc
	s_cbranch_execz .LBB57_124
; %bb.122:
	s_waitcnt vmcnt(4)
	ds_write_b64 v174, v[92:93]
	s_waitcnt vmcnt(2)
	ds_write2_b64 v175, v[64:65], v[90:91] offset0:25 offset1:26
	s_waitcnt vmcnt(0)
	ds_write2_b64 v175, v[62:63], v[116:117] offset0:27 offset1:28
	ds_read_b64 v[166:167], v174
	s_waitcnt lgkmcnt(0)
	v_cmp_neq_f64_e32 vcc, 0, v[166:167]
	s_and_b64 exec, exec, vcc
	s_cbranch_execz .LBB57_124
; %bb.123:
	v_div_scale_f64 v[168:169], s[6:7], v[166:167], v[166:167], 1.0
	v_rcp_f64_e32 v[170:171], v[168:169]
	v_div_scale_f64 v[172:173], vcc, 1.0, v[166:167], 1.0
	v_fma_f64 v[178:179], -v[168:169], v[170:171], 1.0
	v_fmac_f64_e32 v[170:171], v[170:171], v[178:179]
	v_fma_f64 v[178:179], -v[168:169], v[170:171], 1.0
	v_fmac_f64_e32 v[170:171], v[170:171], v[178:179]
	v_mul_f64 v[178:179], v[172:173], v[170:171]
	v_fma_f64 v[168:169], -v[168:169], v[178:179], v[172:173]
	v_div_fmas_f64 v[168:169], v[168:169], v[170:171], v[178:179]
	v_div_fixup_f64 v[166:167], v[168:169], v[166:167], 1.0
	ds_write_b64 v174, v[166:167]
.LBB57_124:
	s_or_b64 exec, exec, s[2:3]
	s_waitcnt lgkmcnt(0)
	s_barrier
	ds_read_b64 v[166:167], v174
	v_cmp_lt_u32_e32 vcc, 24, v176
	s_and_saveexec_b64 s[2:3], vcc
	s_cbranch_execz .LBB57_126
; %bb.125:
	ds_read2_b64 v[168:171], v175 offset0:25 offset1:26
	ds_read2_b64 v[178:181], v175 offset0:27 offset1:28
	s_waitcnt vmcnt(4) lgkmcnt(2)
	v_mul_f64 v[92:93], v[166:167], v[92:93]
	s_waitcnt vmcnt(3) lgkmcnt(1)
	v_fma_f64 v[64:65], -v[92:93], v[168:169], v[64:65]
	s_waitcnt vmcnt(2)
	v_fma_f64 v[90:91], -v[92:93], v[170:171], v[90:91]
	s_waitcnt vmcnt(1) lgkmcnt(0)
	v_fma_f64 v[62:63], -v[92:93], v[178:179], v[62:63]
	s_waitcnt vmcnt(0)
	v_fma_f64 v[116:117], -v[92:93], v[180:181], v[116:117]
.LBB57_126:
	s_or_b64 exec, exec, s[2:3]
	v_cmp_eq_u32_e32 vcc, 25, v176
	s_waitcnt lgkmcnt(0)
	s_barrier
	s_and_saveexec_b64 s[2:3], vcc
	s_cbranch_execz .LBB57_129
; %bb.127:
	s_waitcnt vmcnt(2)
	v_mov_b32_e32 v168, v90
	v_mov_b32_e32 v169, v91
	s_waitcnt vmcnt(1)
	v_mov_b32_e32 v170, v62
	v_mov_b32_e32 v171, v63
	ds_write_b64 v174, v[64:65]
	ds_write2_b64 v175, v[168:169], v[170:171] offset0:26 offset1:27
	s_waitcnt vmcnt(0)
	ds_write_b64 v175, v[116:117] offset:224
	ds_read_b64 v[168:169], v174
	s_waitcnt lgkmcnt(0)
	v_cmp_neq_f64_e32 vcc, 0, v[168:169]
	s_and_b64 exec, exec, vcc
	s_cbranch_execz .LBB57_129
; %bb.128:
	v_div_scale_f64 v[170:171], s[6:7], v[168:169], v[168:169], 1.0
	v_rcp_f64_e32 v[172:173], v[170:171]
	v_div_scale_f64 v[178:179], vcc, 1.0, v[168:169], 1.0
	v_fma_f64 v[180:181], -v[170:171], v[172:173], 1.0
	v_fmac_f64_e32 v[172:173], v[172:173], v[180:181]
	v_fma_f64 v[180:181], -v[170:171], v[172:173], 1.0
	v_fmac_f64_e32 v[172:173], v[172:173], v[180:181]
	v_mul_f64 v[180:181], v[178:179], v[172:173]
	v_fma_f64 v[170:171], -v[170:171], v[180:181], v[178:179]
	v_div_fmas_f64 v[170:171], v[170:171], v[172:173], v[180:181]
	v_div_fixup_f64 v[168:169], v[170:171], v[168:169], 1.0
	ds_write_b64 v174, v[168:169]
.LBB57_129:
	s_or_b64 exec, exec, s[2:3]
	s_waitcnt lgkmcnt(0)
	s_barrier
	ds_read_b64 v[168:169], v174
	v_cmp_lt_u32_e32 vcc, 25, v176
	s_and_saveexec_b64 s[2:3], vcc
	s_cbranch_execz .LBB57_131
; %bb.130:
	ds_read2_b64 v[170:173], v175 offset0:26 offset1:27
	ds_read_b64 v[178:179], v175 offset:224
	s_waitcnt vmcnt(3) lgkmcnt(2)
	v_mul_f64 v[64:65], v[168:169], v[64:65]
	s_waitcnt vmcnt(2) lgkmcnt(1)
	v_fma_f64 v[90:91], -v[64:65], v[170:171], v[90:91]
	s_waitcnt vmcnt(1)
	v_fma_f64 v[62:63], -v[64:65], v[172:173], v[62:63]
	s_waitcnt vmcnt(0) lgkmcnt(0)
	v_fma_f64 v[116:117], -v[64:65], v[178:179], v[116:117]
.LBB57_131:
	s_or_b64 exec, exec, s[2:3]
	v_cmp_eq_u32_e32 vcc, 26, v176
	s_waitcnt lgkmcnt(0)
	s_barrier
	s_and_saveexec_b64 s[2:3], vcc
	s_cbranch_execz .LBB57_134
; %bb.132:
	s_waitcnt vmcnt(2)
	ds_write_b64 v174, v[90:91]
	s_waitcnt vmcnt(0)
	ds_write2_b64 v175, v[62:63], v[116:117] offset0:27 offset1:28
	ds_read_b64 v[170:171], v174
	s_waitcnt lgkmcnt(0)
	v_cmp_neq_f64_e32 vcc, 0, v[170:171]
	s_and_b64 exec, exec, vcc
	s_cbranch_execz .LBB57_134
; %bb.133:
	v_div_scale_f64 v[172:173], s[6:7], v[170:171], v[170:171], 1.0
	v_rcp_f64_e32 v[178:179], v[172:173]
	v_div_scale_f64 v[180:181], vcc, 1.0, v[170:171], 1.0
	v_fma_f64 v[182:183], -v[172:173], v[178:179], 1.0
	v_fmac_f64_e32 v[178:179], v[178:179], v[182:183]
	v_fma_f64 v[182:183], -v[172:173], v[178:179], 1.0
	v_fmac_f64_e32 v[178:179], v[178:179], v[182:183]
	v_mul_f64 v[182:183], v[180:181], v[178:179]
	v_fma_f64 v[172:173], -v[172:173], v[182:183], v[180:181]
	v_div_fmas_f64 v[172:173], v[172:173], v[178:179], v[182:183]
	v_div_fixup_f64 v[170:171], v[172:173], v[170:171], 1.0
	ds_write_b64 v174, v[170:171]
.LBB57_134:
	s_or_b64 exec, exec, s[2:3]
	s_waitcnt lgkmcnt(0)
	s_barrier
	ds_read_b64 v[170:171], v174
	v_cmp_lt_u32_e32 vcc, 26, v176
	s_and_saveexec_b64 s[2:3], vcc
	s_cbranch_execz .LBB57_136
; %bb.135:
	ds_read2_b64 v[178:181], v175 offset0:27 offset1:28
	s_waitcnt vmcnt(2) lgkmcnt(1)
	v_mul_f64 v[90:91], v[170:171], v[90:91]
	s_waitcnt vmcnt(1) lgkmcnt(0)
	v_fma_f64 v[62:63], -v[90:91], v[178:179], v[62:63]
	s_waitcnt vmcnt(0)
	v_fma_f64 v[116:117], -v[90:91], v[180:181], v[116:117]
.LBB57_136:
	s_or_b64 exec, exec, s[2:3]
	v_cmp_eq_u32_e32 vcc, 27, v176
	s_waitcnt lgkmcnt(0)
	s_barrier
	s_and_saveexec_b64 s[2:3], vcc
	s_cbranch_execz .LBB57_139
; %bb.137:
	s_waitcnt vmcnt(1)
	ds_write_b64 v174, v[62:63]
	s_waitcnt vmcnt(0)
	ds_write_b64 v175, v[116:117] offset:224
	ds_read_b64 v[172:173], v174
	s_waitcnt lgkmcnt(0)
	v_cmp_neq_f64_e32 vcc, 0, v[172:173]
	s_and_b64 exec, exec, vcc
	s_cbranch_execz .LBB57_139
; %bb.138:
	v_div_scale_f64 v[178:179], s[6:7], v[172:173], v[172:173], 1.0
	v_rcp_f64_e32 v[180:181], v[178:179]
	v_div_scale_f64 v[182:183], vcc, 1.0, v[172:173], 1.0
	v_fma_f64 v[184:185], -v[178:179], v[180:181], 1.0
	v_fmac_f64_e32 v[180:181], v[180:181], v[184:185]
	v_fma_f64 v[184:185], -v[178:179], v[180:181], 1.0
	v_fmac_f64_e32 v[180:181], v[180:181], v[184:185]
	v_mul_f64 v[184:185], v[182:183], v[180:181]
	v_fma_f64 v[178:179], -v[178:179], v[184:185], v[182:183]
	v_div_fmas_f64 v[178:179], v[178:179], v[180:181], v[184:185]
	v_div_fixup_f64 v[172:173], v[178:179], v[172:173], 1.0
	ds_write_b64 v174, v[172:173]
.LBB57_139:
	s_or_b64 exec, exec, s[2:3]
	s_waitcnt lgkmcnt(0)
	s_barrier
	ds_read_b64 v[172:173], v174
	v_cmp_lt_u32_e32 vcc, 27, v176
	s_and_saveexec_b64 s[2:3], vcc
	s_cbranch_execz .LBB57_141
; %bb.140:
	ds_read_b64 v[178:179], v175 offset:224
	s_waitcnt vmcnt(1) lgkmcnt(1)
	v_mul_f64 v[62:63], v[172:173], v[62:63]
	s_waitcnt vmcnt(0) lgkmcnt(0)
	v_fma_f64 v[116:117], -v[62:63], v[178:179], v[116:117]
.LBB57_141:
	s_or_b64 exec, exec, s[2:3]
	v_cmp_eq_u32_e32 vcc, 28, v176
	s_waitcnt lgkmcnt(0)
	s_barrier
	s_and_saveexec_b64 s[2:3], vcc
	s_cbranch_execz .LBB57_144
; %bb.142:
	s_waitcnt vmcnt(0)
	v_cmp_neq_f64_e32 vcc, 0, v[116:117]
	ds_write_b64 v174, v[116:117]
	s_and_b64 exec, exec, vcc
	s_cbranch_execz .LBB57_144
; %bb.143:
	v_div_scale_f64 v[178:179], s[6:7], v[116:117], v[116:117], 1.0
	v_rcp_f64_e32 v[180:181], v[178:179]
	v_div_scale_f64 v[182:183], vcc, 1.0, v[116:117], 1.0
	v_fma_f64 v[184:185], -v[178:179], v[180:181], 1.0
	v_fmac_f64_e32 v[180:181], v[180:181], v[184:185]
	v_fma_f64 v[184:185], -v[178:179], v[180:181], 1.0
	v_fmac_f64_e32 v[180:181], v[180:181], v[184:185]
	v_mul_f64 v[184:185], v[182:183], v[180:181]
	v_fma_f64 v[178:179], -v[178:179], v[184:185], v[182:183]
	v_div_fmas_f64 v[178:179], v[178:179], v[180:181], v[184:185]
	v_div_fixup_f64 v[178:179], v[178:179], v[116:117], 1.0
	ds_write_b64 v174, v[178:179]
.LBB57_144:
	s_or_b64 exec, exec, s[2:3]
	s_waitcnt lgkmcnt(0)
	s_barrier
	ds_read_b64 v[174:175], v174
	s_waitcnt lgkmcnt(0)
	s_barrier
	s_and_saveexec_b64 s[2:3], s[0:1]
	s_cbranch_execz .LBB57_147
; %bb.145:
	v_cmp_eq_f64_e32 vcc, 0, v[118:119]
	v_cmp_neq_f64_e64 s[0:1], 0, v[120:121]
	v_cndmask_b32_e64 v118, 0, 1, vcc
	s_or_b64 vcc, s[0:1], vcc
	v_cndmask_b32_e32 v118, 2, v118, vcc
	v_cmp_eq_f64_e32 vcc, 0, v[122:123]
	v_cmp_eq_u32_e64 s[0:1], 0, v118
	s_and_b64 s[0:1], vcc, s[0:1]
	v_cndmask_b32_e64 v118, v118, 3, s[0:1]
	v_cmp_eq_f64_e32 vcc, 0, v[124:125]
	v_cmp_eq_u32_e64 s[0:1], 0, v118
	s_and_b64 s[0:1], vcc, s[0:1]
	v_cndmask_b32_e64 v118, v118, 4, s[0:1]
	v_cmp_eq_f64_e32 vcc, 0, v[126:127]
	v_cmp_eq_u32_e64 s[0:1], 0, v118
	s_and_b64 s[0:1], vcc, s[0:1]
	v_cndmask_b32_e64 v118, v118, 5, s[0:1]
	v_cmp_eq_f64_e32 vcc, 0, v[128:129]
	v_cmp_eq_u32_e64 s[0:1], 0, v118
	s_and_b64 s[0:1], vcc, s[0:1]
	v_cndmask_b32_e64 v118, v118, 6, s[0:1]
	v_cmp_eq_f64_e32 vcc, 0, v[130:131]
	v_cmp_eq_u32_e64 s[0:1], 0, v118
	s_and_b64 s[0:1], vcc, s[0:1]
	v_cndmask_b32_e64 v118, v118, 7, s[0:1]
	v_cmp_eq_f64_e32 vcc, 0, v[132:133]
	v_cmp_eq_u32_e64 s[0:1], 0, v118
	s_load_dwordx2 s[4:5], s[4:5], 0x28
	s_and_b64 s[0:1], vcc, s[0:1]
	v_cndmask_b32_e64 v118, v118, 8, s[0:1]
	v_cmp_eq_f64_e32 vcc, 0, v[134:135]
	v_cmp_eq_u32_e64 s[0:1], 0, v118
	s_and_b64 s[0:1], vcc, s[0:1]
	v_lshlrev_b64 v[2:3], 2, v[2:3]
	v_cndmask_b32_e64 v118, v118, 9, s[0:1]
	s_waitcnt lgkmcnt(0)
	v_mov_b32_e32 v119, s5
	v_add_co_u32_e64 v2, s[0:1], s4, v2
	v_addc_co_u32_e64 v3, s[0:1], v119, v3, s[0:1]
	global_load_dword v119, v[2:3], off
	v_cmp_eq_f64_e32 vcc, 0, v[136:137]
	v_cmp_eq_u32_e64 s[0:1], 0, v118
	s_and_b64 s[0:1], vcc, s[0:1]
	v_cndmask_b32_e64 v118, v118, 10, s[0:1]
	v_cmp_eq_f64_e32 vcc, 0, v[138:139]
	v_cmp_eq_u32_e64 s[0:1], 0, v118
	s_and_b64 s[0:1], vcc, s[0:1]
	v_cndmask_b32_e64 v118, v118, 11, s[0:1]
	;; [unrolled: 4-line block ×20, first 2 shown]
	s_waitcnt vmcnt(0)
	v_cmp_eq_u32_e32 vcc, 0, v119
	v_cmp_ne_u32_e64 s[0:1], 0, v118
	s_and_b64 s[0:1], vcc, s[0:1]
	s_and_b64 exec, exec, s[0:1]
	s_cbranch_execz .LBB57_147
; %bb.146:
	v_add_u32_e32 v118, s9, v118
	global_store_dword v[2:3], v118, off
.LBB57_147:
	s_or_b64 exec, exec, s[2:3]
	s_waitcnt vmcnt(0)
	v_mul_f64 v[2:3], v[174:175], v[116:117]
	v_cmp_lt_u32_e32 vcc, 28, v176
	v_cndmask_b32_e32 v3, v117, v3, vcc
	v_cndmask_b32_e32 v2, v116, v2, vcc
	global_store_dwordx2 v[56:57], v[60:61], off
	global_store_dwordx2 v[58:59], v[88:89], off
	global_store_dwordx2 v[0:1], v[114:115], off
	global_store_dwordx2 v[4:5], v[86:87], off
	global_store_dwordx2 v[6:7], v[112:113], off
	global_store_dwordx2 v[8:9], v[84:85], off
	global_store_dwordx2 v[10:11], v[110:111], off
	global_store_dwordx2 v[12:13], v[82:83], off
	global_store_dwordx2 v[14:15], v[108:109], off
	global_store_dwordx2 v[16:17], v[80:81], off
	global_store_dwordx2 v[18:19], v[106:107], off
	global_store_dwordx2 v[20:21], v[78:79], off
	global_store_dwordx2 v[22:23], v[104:105], off
	global_store_dwordx2 v[24:25], v[76:77], off
	global_store_dwordx2 v[26:27], v[102:103], off
	global_store_dwordx2 v[28:29], v[74:75], off
	global_store_dwordx2 v[30:31], v[100:101], off
	global_store_dwordx2 v[32:33], v[72:73], off
	global_store_dwordx2 v[34:35], v[98:99], off
	global_store_dwordx2 v[36:37], v[70:71], off
	global_store_dwordx2 v[38:39], v[96:97], off
	global_store_dwordx2 v[40:41], v[68:69], off
	global_store_dwordx2 v[42:43], v[94:95], off
	global_store_dwordx2 v[44:45], v[66:67], off
	global_store_dwordx2 v[46:47], v[92:93], off
	global_store_dwordx2 v[48:49], v[64:65], off
	global_store_dwordx2 v[50:51], v[90:91], off
	global_store_dwordx2 v[52:53], v[62:63], off
	global_store_dwordx2 v[54:55], v[2:3], off
.LBB57_148:
	s_endpgm
	.section	.rodata,"a",@progbits
	.p2align	6, 0x0
	.amdhsa_kernel _ZN9rocsolver6v33100L23getf2_npvt_small_kernelILi29EdiiPKPdEEvT1_T3_lS5_lPT2_S5_S5_
		.amdhsa_group_segment_fixed_size 0
		.amdhsa_private_segment_fixed_size 0
		.amdhsa_kernarg_size 312
		.amdhsa_user_sgpr_count 6
		.amdhsa_user_sgpr_private_segment_buffer 1
		.amdhsa_user_sgpr_dispatch_ptr 0
		.amdhsa_user_sgpr_queue_ptr 0
		.amdhsa_user_sgpr_kernarg_segment_ptr 1
		.amdhsa_user_sgpr_dispatch_id 0
		.amdhsa_user_sgpr_flat_scratch_init 0
		.amdhsa_user_sgpr_kernarg_preload_length 0
		.amdhsa_user_sgpr_kernarg_preload_offset 0
		.amdhsa_user_sgpr_private_segment_size 0
		.amdhsa_uses_dynamic_stack 0
		.amdhsa_system_sgpr_private_segment_wavefront_offset 0
		.amdhsa_system_sgpr_workgroup_id_x 1
		.amdhsa_system_sgpr_workgroup_id_y 1
		.amdhsa_system_sgpr_workgroup_id_z 0
		.amdhsa_system_sgpr_workgroup_info 0
		.amdhsa_system_vgpr_workitem_id 1
		.amdhsa_next_free_vgpr 186
		.amdhsa_next_free_sgpr 16
		.amdhsa_accum_offset 188
		.amdhsa_reserve_vcc 1
		.amdhsa_reserve_flat_scratch 0
		.amdhsa_float_round_mode_32 0
		.amdhsa_float_round_mode_16_64 0
		.amdhsa_float_denorm_mode_32 3
		.amdhsa_float_denorm_mode_16_64 3
		.amdhsa_dx10_clamp 1
		.amdhsa_ieee_mode 1
		.amdhsa_fp16_overflow 0
		.amdhsa_tg_split 0
		.amdhsa_exception_fp_ieee_invalid_op 0
		.amdhsa_exception_fp_denorm_src 0
		.amdhsa_exception_fp_ieee_div_zero 0
		.amdhsa_exception_fp_ieee_overflow 0
		.amdhsa_exception_fp_ieee_underflow 0
		.amdhsa_exception_fp_ieee_inexact 0
		.amdhsa_exception_int_div_zero 0
	.end_amdhsa_kernel
	.section	.text._ZN9rocsolver6v33100L23getf2_npvt_small_kernelILi29EdiiPKPdEEvT1_T3_lS5_lPT2_S5_S5_,"axG",@progbits,_ZN9rocsolver6v33100L23getf2_npvt_small_kernelILi29EdiiPKPdEEvT1_T3_lS5_lPT2_S5_S5_,comdat
.Lfunc_end57:
	.size	_ZN9rocsolver6v33100L23getf2_npvt_small_kernelILi29EdiiPKPdEEvT1_T3_lS5_lPT2_S5_S5_, .Lfunc_end57-_ZN9rocsolver6v33100L23getf2_npvt_small_kernelILi29EdiiPKPdEEvT1_T3_lS5_lPT2_S5_S5_
                                        ; -- End function
	.section	.AMDGPU.csdata,"",@progbits
; Kernel info:
; codeLenInByte = 18364
; NumSgprs: 20
; NumVgprs: 186
; NumAgprs: 0
; TotalNumVgprs: 186
; ScratchSize: 0
; MemoryBound: 0
; FloatMode: 240
; IeeeMode: 1
; LDSByteSize: 0 bytes/workgroup (compile time only)
; SGPRBlocks: 2
; VGPRBlocks: 23
; NumSGPRsForWavesPerEU: 20
; NumVGPRsForWavesPerEU: 186
; AccumOffset: 188
; Occupancy: 2
; WaveLimiterHint : 1
; COMPUTE_PGM_RSRC2:SCRATCH_EN: 0
; COMPUTE_PGM_RSRC2:USER_SGPR: 6
; COMPUTE_PGM_RSRC2:TRAP_HANDLER: 0
; COMPUTE_PGM_RSRC2:TGID_X_EN: 1
; COMPUTE_PGM_RSRC2:TGID_Y_EN: 1
; COMPUTE_PGM_RSRC2:TGID_Z_EN: 0
; COMPUTE_PGM_RSRC2:TIDIG_COMP_CNT: 1
; COMPUTE_PGM_RSRC3_GFX90A:ACCUM_OFFSET: 46
; COMPUTE_PGM_RSRC3_GFX90A:TG_SPLIT: 0
	.section	.text._ZN9rocsolver6v33100L18getf2_small_kernelILi30EdiiPKPdEEvT1_T3_lS5_lPS5_llPT2_S5_S5_S7_l,"axG",@progbits,_ZN9rocsolver6v33100L18getf2_small_kernelILi30EdiiPKPdEEvT1_T3_lS5_lPS5_llPT2_S5_S5_S7_l,comdat
	.globl	_ZN9rocsolver6v33100L18getf2_small_kernelILi30EdiiPKPdEEvT1_T3_lS5_lPS5_llPT2_S5_S5_S7_l ; -- Begin function _ZN9rocsolver6v33100L18getf2_small_kernelILi30EdiiPKPdEEvT1_T3_lS5_lPS5_llPT2_S5_S5_S7_l
	.p2align	8
	.type	_ZN9rocsolver6v33100L18getf2_small_kernelILi30EdiiPKPdEEvT1_T3_lS5_lPS5_llPT2_S5_S5_S7_l,@function
_ZN9rocsolver6v33100L18getf2_small_kernelILi30EdiiPKPdEEvT1_T3_lS5_lPS5_llPT2_S5_S5_S7_l: ; @_ZN9rocsolver6v33100L18getf2_small_kernelILi30EdiiPKPdEEvT1_T3_lS5_lPS5_llPT2_S5_S5_S7_l
; %bb.0:
	s_load_dword s0, s[4:5], 0x6c
	s_load_dwordx2 s[12:13], s[4:5], 0x48
	v_bfe_u32 v64, v0, 10, 10
	s_waitcnt lgkmcnt(0)
	s_lshr_b32 s0, s0, 16
	s_mul_i32 s7, s7, s0
	v_add_u32_e32 v2, s7, v64
	v_cmp_gt_i32_e32 vcc, s12, v2
	s_and_saveexec_b64 s[0:1], vcc
	s_cbranch_execz .LBB58_507
; %bb.1:
	s_load_dwordx4 s[0:3], s[4:5], 0x8
	s_load_dwordx4 s[8:11], s[4:5], 0x50
	v_ashrrev_i32_e32 v3, 31, v2
	v_lshlrev_b64 v[4:5], 3, v[2:3]
	s_waitcnt lgkmcnt(0)
	v_mov_b32_e32 v1, s1
	v_add_co_u32_e32 v4, vcc, s0, v4
	v_addc_co_u32_e32 v5, vcc, v1, v5, vcc
	global_load_dwordx2 v[6:7], v[4:5], off
	s_cmp_eq_u64 s[8:9], 0
	s_cselect_b64 s[6:7], -1, 0
	s_and_b64 vcc, exec, s[6:7]
	v_pk_mov_b32 v[4:5], 0, 0
	s_cbranch_vccnz .LBB58_3
; %bb.2:
	v_mul_lo_u32 v1, v3, s10
	v_mul_lo_u32 v8, v2, s11
	v_mad_u64_u32 v[4:5], s[0:1], v2, s10, 0
	v_add3_u32 v5, v5, v8, v1
	v_lshlrev_b64 v[4:5], 2, v[4:5]
	v_mov_b32_e32 v1, s9
	v_add_co_u32_e32 v4, vcc, s8, v4
	v_addc_co_u32_e32 v5, vcc, v1, v5, vcc
.LBB58_3:
	s_load_dword s8, s[4:5], 0x18
	s_load_dword s18, s[4:5], 0x0
	s_lshl_b64 s[0:1], s[2:3], 3
	v_and_b32_e32 v72, 0x3ff, v0
	v_mov_b32_e32 v1, s1
	s_waitcnt lgkmcnt(0)
	s_add_i32 s12, s8, s8
	s_waitcnt vmcnt(0)
	v_add_co_u32_e32 v70, vcc, s0, v6
	v_add_u32_e32 v0, s12, v72
	v_addc_co_u32_e32 v71, vcc, v7, v1, vcc
	v_ashrrev_i32_e32 v1, 31, v0
	v_lshlrev_b64 v[6:7], 3, v[0:1]
	v_add_u32_e32 v0, s8, v0
	v_add_co_u32_e32 v6, vcc, v70, v6
	v_ashrrev_i32_e32 v1, 31, v0
	v_addc_co_u32_e32 v7, vcc, v71, v7, vcc
	v_lshlrev_b64 v[8:9], 3, v[0:1]
	v_add_u32_e32 v0, s8, v0
	v_add_co_u32_e32 v8, vcc, v70, v8
	v_ashrrev_i32_e32 v1, 31, v0
	v_addc_co_u32_e32 v9, vcc, v71, v9, vcc
	;; [unrolled: 5-line block ×27, first 2 shown]
	v_lshlrev_b64 v[0:1], 3, v[0:1]
	v_add_co_u32_e32 v98, vcc, v70, v0
	v_addc_co_u32_e32 v99, vcc, v71, v1, vcc
	v_lshlrev_b32_e32 v65, 3, v72
	v_add_co_u32_e32 v0, vcc, v70, v65
	s_ashr_i32 s9, s8, 31
	v_addc_co_u32_e32 v1, vcc, 0, v71, vcc
	s_lshl_b64 s[10:11], s[8:9], 3
	v_mov_b32_e32 v30, s11
	v_add_co_u32_e32 v62, vcc, s10, v0
	v_addc_co_u32_e32 v63, vcc, v1, v30, vcc
	global_load_dwordx2 v[60:61], v[0:1], off
	global_load_dwordx2 v[58:59], v[62:63], off
	;; [unrolled: 1-line block ×15, first 2 shown]
                                        ; kill: killed $vgpr26 killed $vgpr27
                                        ; kill: killed $vgpr32 killed $vgpr33
                                        ; kill: killed $vgpr8 killed $vgpr9
                                        ; kill: killed $vgpr12 killed $vgpr13
                                        ; kill: killed $vgpr16 killed $vgpr17
                                        ; kill: killed $vgpr20 killed $vgpr21
                                        ; kill: killed $vgpr24 killed $vgpr25
                                        ; kill: killed $vgpr28 killed $vgpr29
                                        ; kill: killed $vgpr0 killed $vgpr1
                                        ; kill: killed $vgpr6 killed $vgpr7
                                        ; kill: killed $vgpr62 killed $vgpr63
                                        ; kill: killed $vgpr10 killed $vgpr11
                                        ; kill: killed $vgpr14 killed $vgpr15
                                        ; kill: killed $vgpr18 killed $vgpr19
                                        ; kill: killed $vgpr22 killed $vgpr23
	s_nop 0
	global_load_dwordx2 v[32:33], v[66:67], off
	global_load_dwordx2 v[28:29], v[68:69], off
	;; [unrolled: 1-line block ×15, first 2 shown]
	s_max_i32 s0, s18, 30
	v_mul_lo_u32 v66, s0, v64
	v_lshl_add_u32 v68, v66, 3, 0
	v_add_u32_e32 v64, v68, v65
	s_cmp_lt_i32 s18, 2
	v_lshlrev_b32_e32 v73, 3, v66
	v_mov_b32_e32 v66, 0
	s_waitcnt vmcnt(29)
	ds_write_b64 v64, v[60:61]
	s_waitcnt lgkmcnt(0)
	s_barrier
	ds_read_b64 v[64:65], v68
	s_cbranch_scc1 .LBB58_6
; %bb.4:
	v_add3_u32 v67, v73, 0, 8
	s_mov_b32 s0, 1
	v_mov_b32_e32 v66, 0
.LBB58_5:                               ; =>This Inner Loop Header: Depth=1
	ds_read_b64 v[74:75], v67
	v_mov_b32_e32 v69, s0
	s_add_i32 s0, s0, 1
	v_add_u32_e32 v67, 8, v67
	s_cmp_eq_u32 s18, s0
	s_waitcnt lgkmcnt(0)
	v_cmp_lt_f64_e64 vcc, |v[64:65]|, |v[74:75]|
	v_cndmask_b32_e32 v65, v65, v75, vcc
	v_cndmask_b32_e32 v64, v64, v74, vcc
	;; [unrolled: 1-line block ×3, first 2 shown]
	s_cbranch_scc0 .LBB58_5
.LBB58_6:
	v_cmp_ne_u32_e32 vcc, v72, v66
                                        ; implicit-def: $vgpr69
	s_and_saveexec_b64 s[0:1], vcc
	s_xor_b64 s[0:1], exec, s[0:1]
	s_cbranch_execz .LBB58_12
; %bb.7:
	v_cmp_eq_u32_e32 vcc, 0, v72
	s_and_saveexec_b64 s[2:3], vcc
	s_cbranch_execz .LBB58_11
; %bb.8:
	v_cmp_ne_u32_e32 vcc, 0, v66
	s_xor_b64 s[14:15], s[6:7], -1
	s_and_b64 s[16:17], s[14:15], vcc
	s_and_saveexec_b64 s[14:15], s[16:17]
	s_cbranch_execz .LBB58_10
; %bb.9:
	v_ashrrev_i32_e32 v67, 31, v66
	v_lshlrev_b64 v[74:75], 2, v[66:67]
	v_add_co_u32_e32 v74, vcc, v4, v74
	v_addc_co_u32_e32 v75, vcc, v5, v75, vcc
	flat_load_dword v67, v[74:75]
	flat_load_dword v69, v[4:5]
	s_waitcnt vmcnt(0) lgkmcnt(0)
	flat_store_dword v[4:5], v67
	flat_store_dword v[74:75], v69
.LBB58_10:
	s_or_b64 exec, exec, s[14:15]
	v_mov_b32_e32 v72, v66
.LBB58_11:
	s_or_b64 exec, exec, s[2:3]
	v_mov_b32_e32 v69, v72
                                        ; implicit-def: $vgpr72
.LBB58_12:
	s_or_saveexec_b64 s[0:1], s[0:1]
	v_mov_b32_e32 v67, v69
	s_xor_b64 exec, exec, s[0:1]
	s_cbranch_execz .LBB58_14
; %bb.13:
	v_mov_b32_e32 v69, 0
	v_mov_b32_e32 v67, v72
	s_waitcnt vmcnt(0)
	ds_write2_b64 v68, v[58:59], v[56:57] offset0:1 offset1:2
	ds_write2_b64 v68, v[54:55], v[52:53] offset0:3 offset1:4
	ds_write2_b64 v68, v[50:51], v[48:49] offset0:5 offset1:6
	ds_write2_b64 v68, v[46:47], v[44:45] offset0:7 offset1:8
	ds_write2_b64 v68, v[42:43], v[40:41] offset0:9 offset1:10
	ds_write2_b64 v68, v[38:39], v[36:37] offset0:11 offset1:12
	ds_write2_b64 v68, v[34:35], v[30:31] offset0:13 offset1:14
	ds_write2_b64 v68, v[32:33], v[28:29] offset0:15 offset1:16
	ds_write2_b64 v68, v[26:27], v[24:25] offset0:17 offset1:18
	ds_write2_b64 v68, v[22:23], v[20:21] offset0:19 offset1:20
	ds_write2_b64 v68, v[18:19], v[16:17] offset0:21 offset1:22
	ds_write2_b64 v68, v[14:15], v[12:13] offset0:23 offset1:24
	ds_write2_b64 v68, v[10:11], v[8:9] offset0:25 offset1:26
	ds_write2_b64 v68, v[6:7], v[0:1] offset0:27 offset1:28
	ds_write_b64 v68, v[62:63] offset:232
.LBB58_14:
	s_or_b64 exec, exec, s[0:1]
	s_waitcnt lgkmcnt(0)
	v_cmp_eq_f64_e64 s[0:1], 0, v[64:65]
	v_cmp_lt_i32_e32 vcc, 0, v69
	s_barrier
	s_and_saveexec_b64 s[2:3], vcc
	s_cbranch_execz .LBB58_16
; %bb.15:
	v_div_scale_f64 v[74:75], s[14:15], v[64:65], v[64:65], 1.0
	v_rcp_f64_e32 v[76:77], v[74:75]
	v_div_scale_f64 v[78:79], vcc, 1.0, v[64:65], 1.0
	ds_read2_b64 v[82:85], v68 offset0:5 offset1:6
	v_fma_f64 v[80:81], -v[74:75], v[76:77], 1.0
	v_fmac_f64_e32 v[76:77], v[76:77], v[80:81]
	v_fma_f64 v[80:81], -v[74:75], v[76:77], 1.0
	v_fmac_f64_e32 v[76:77], v[76:77], v[80:81]
	v_mul_f64 v[80:81], v[78:79], v[76:77]
	v_fma_f64 v[74:75], -v[74:75], v[80:81], v[78:79]
	v_div_fmas_f64 v[74:75], v[74:75], v[76:77], v[80:81]
	v_div_fixup_f64 v[78:79], v[74:75], v[64:65], 1.0
	ds_read2_b64 v[74:77], v68 offset0:1 offset1:2
	v_cndmask_b32_e64 v65, v79, v65, s[0:1]
	v_cndmask_b32_e64 v64, v78, v64, s[0:1]
	ds_read2_b64 v[78:81], v68 offset0:3 offset1:4
	v_mul_f64 v[60:61], v[64:65], v[60:61]
	s_waitcnt vmcnt(0) lgkmcnt(0)
	v_fma_f64 v[58:59], -v[60:61], v[74:75], v[58:59]
	v_fma_f64 v[56:57], -v[60:61], v[76:77], v[56:57]
	ds_read2_b64 v[74:77], v68 offset0:7 offset1:8
	v_fma_f64 v[54:55], -v[60:61], v[78:79], v[54:55]
	v_fma_f64 v[52:53], -v[60:61], v[80:81], v[52:53]
	ds_read2_b64 v[78:81], v68 offset0:9 offset1:10
	;; [unrolled: 3-line block ×3, first 2 shown]
	s_waitcnt lgkmcnt(2)
	v_fma_f64 v[46:47], -v[60:61], v[74:75], v[46:47]
	v_fma_f64 v[44:45], -v[60:61], v[76:77], v[44:45]
	s_waitcnt lgkmcnt(1)
	v_fma_f64 v[42:43], -v[60:61], v[78:79], v[42:43]
	ds_read2_b64 v[74:77], v68 offset0:13 offset1:14
	v_fma_f64 v[40:41], -v[60:61], v[80:81], v[40:41]
	ds_read2_b64 v[78:81], v68 offset0:15 offset1:16
	s_waitcnt lgkmcnt(2)
	v_fma_f64 v[38:39], -v[60:61], v[82:83], v[38:39]
	v_fma_f64 v[36:37], -v[60:61], v[84:85], v[36:37]
	s_waitcnt lgkmcnt(1)
	v_fma_f64 v[34:35], -v[60:61], v[74:75], v[34:35]
	ds_read2_b64 v[82:85], v68 offset0:17 offset1:18
	v_fma_f64 v[30:31], -v[60:61], v[76:77], v[30:31]
	ds_read2_b64 v[74:77], v68 offset0:19 offset1:20
	s_waitcnt lgkmcnt(2)
	v_fma_f64 v[32:33], -v[60:61], v[78:79], v[32:33]
	v_fma_f64 v[28:29], -v[60:61], v[80:81], v[28:29]
	ds_read2_b64 v[78:81], v68 offset0:21 offset1:22
	s_waitcnt lgkmcnt(2)
	v_fma_f64 v[26:27], -v[60:61], v[82:83], v[26:27]
	;; [unrolled: 4-line block ×3, first 2 shown]
	v_fma_f64 v[20:21], -v[60:61], v[76:77], v[20:21]
	s_waitcnt lgkmcnt(1)
	v_fma_f64 v[18:19], -v[60:61], v[78:79], v[18:19]
	v_fma_f64 v[16:17], -v[60:61], v[80:81], v[16:17]
	ds_read2_b64 v[74:77], v68 offset0:25 offset1:26
	ds_read2_b64 v[78:81], v68 offset0:27 offset1:28
	ds_read_b64 v[64:65], v68 offset:232
	s_waitcnt lgkmcnt(3)
	v_fma_f64 v[14:15], -v[60:61], v[82:83], v[14:15]
	v_fma_f64 v[12:13], -v[60:61], v[84:85], v[12:13]
	s_waitcnt lgkmcnt(2)
	v_fma_f64 v[10:11], -v[60:61], v[74:75], v[10:11]
	v_fma_f64 v[8:9], -v[60:61], v[76:77], v[8:9]
	;; [unrolled: 3-line block ×3, first 2 shown]
	s_waitcnt lgkmcnt(0)
	v_fma_f64 v[62:63], -v[60:61], v[64:65], v[62:63]
.LBB58_16:
	s_or_b64 exec, exec, s[2:3]
	v_lshl_add_u32 v64, v69, 3, v68
	s_barrier
	s_waitcnt vmcnt(0)
	ds_write_b64 v64, v[58:59]
	s_waitcnt lgkmcnt(0)
	s_barrier
	ds_read_b64 v[64:65], v68 offset:8
	s_cmp_lt_i32 s18, 3
	v_mov_b32_e32 v66, 1
	s_cbranch_scc1 .LBB58_19
; %bb.17:
	v_add3_u32 v72, v73, 0, 16
	s_mov_b32 s2, 2
	v_mov_b32_e32 v66, 1
.LBB58_18:                              ; =>This Inner Loop Header: Depth=1
	ds_read_b64 v[74:75], v72
	v_mov_b32_e32 v76, s2
	s_add_i32 s2, s2, 1
	v_add_u32_e32 v72, 8, v72
	s_cmp_lg_u32 s18, s2
	s_waitcnt lgkmcnt(0)
	v_cmp_lt_f64_e64 vcc, |v[64:65]|, |v[74:75]|
	v_cndmask_b32_e32 v65, v65, v75, vcc
	v_cndmask_b32_e32 v64, v64, v74, vcc
	;; [unrolled: 1-line block ×3, first 2 shown]
	s_cbranch_scc1 .LBB58_18
.LBB58_19:
	v_cmp_ne_u32_e32 vcc, v69, v66
	s_and_saveexec_b64 s[2:3], vcc
	s_xor_b64 s[2:3], exec, s[2:3]
	s_cbranch_execz .LBB58_25
; %bb.20:
	v_cmp_eq_u32_e32 vcc, 1, v69
	s_and_saveexec_b64 s[14:15], vcc
	s_cbranch_execz .LBB58_24
; %bb.21:
	v_cmp_ne_u32_e32 vcc, 1, v66
	s_xor_b64 s[16:17], s[6:7], -1
	s_and_b64 s[20:21], s[16:17], vcc
	s_and_saveexec_b64 s[16:17], s[20:21]
	s_cbranch_execz .LBB58_23
; %bb.22:
	v_ashrrev_i32_e32 v67, 31, v66
	v_lshlrev_b64 v[74:75], 2, v[66:67]
	v_add_co_u32_e32 v74, vcc, v4, v74
	v_addc_co_u32_e32 v75, vcc, v5, v75, vcc
	flat_load_dword v67, v[74:75]
	flat_load_dword v69, v[4:5] offset:4
	s_waitcnt vmcnt(0) lgkmcnt(0)
	flat_store_dword v[4:5], v67 offset:4
	flat_store_dword v[74:75], v69
.LBB58_23:
	s_or_b64 exec, exec, s[16:17]
	v_mov_b32_e32 v67, v66
	v_mov_b32_e32 v69, v66
.LBB58_24:
	s_or_b64 exec, exec, s[14:15]
.LBB58_25:
	s_andn2_saveexec_b64 s[2:3], s[2:3]
	s_cbranch_execz .LBB58_27
; %bb.26:
	v_mov_b32_e32 v74, v56
	v_mov_b32_e32 v75, v57
	v_mov_b32_e32 v76, v54
	v_mov_b32_e32 v77, v55
	ds_write2_b64 v68, v[74:75], v[76:77] offset0:2 offset1:3
	v_mov_b32_e32 v74, v52
	v_mov_b32_e32 v75, v53
	v_mov_b32_e32 v76, v50
	v_mov_b32_e32 v77, v51
	ds_write2_b64 v68, v[74:75], v[76:77] offset0:4 offset1:5
	;; [unrolled: 5-line block ×13, first 2 shown]
	v_mov_b32_e32 v74, v0
	v_mov_b32_e32 v75, v1
	v_mov_b32_e32 v69, 1
	ds_write2_b64 v68, v[74:75], v[62:63] offset0:28 offset1:29
.LBB58_27:
	s_or_b64 exec, exec, s[2:3]
	s_waitcnt lgkmcnt(0)
	v_cmp_neq_f64_e64 s[2:3], 0, v[64:65]
	v_cmp_lt_i32_e32 vcc, 1, v69
	s_barrier
	s_and_saveexec_b64 s[14:15], vcc
	s_cbranch_execz .LBB58_29
; %bb.28:
	v_div_scale_f64 v[74:75], s[16:17], v[64:65], v[64:65], 1.0
	v_rcp_f64_e32 v[76:77], v[74:75]
	v_div_scale_f64 v[78:79], vcc, 1.0, v[64:65], 1.0
	ds_read2_b64 v[82:85], v68 offset0:6 offset1:7
	v_fma_f64 v[80:81], -v[74:75], v[76:77], 1.0
	v_fmac_f64_e32 v[76:77], v[76:77], v[80:81]
	v_fma_f64 v[80:81], -v[74:75], v[76:77], 1.0
	v_fmac_f64_e32 v[76:77], v[76:77], v[80:81]
	v_mul_f64 v[80:81], v[78:79], v[76:77]
	v_fma_f64 v[74:75], -v[74:75], v[80:81], v[78:79]
	v_div_fmas_f64 v[74:75], v[74:75], v[76:77], v[80:81]
	v_div_fixup_f64 v[78:79], v[74:75], v[64:65], 1.0
	ds_read2_b64 v[74:77], v68 offset0:2 offset1:3
	v_cndmask_b32_e64 v65, v65, v79, s[2:3]
	v_cndmask_b32_e64 v64, v64, v78, s[2:3]
	ds_read2_b64 v[78:81], v68 offset0:4 offset1:5
	v_mul_f64 v[58:59], v[64:65], v[58:59]
	s_waitcnt lgkmcnt(0)
	v_fma_f64 v[56:57], -v[58:59], v[74:75], v[56:57]
	v_fma_f64 v[54:55], -v[58:59], v[76:77], v[54:55]
	ds_read2_b64 v[74:77], v68 offset0:8 offset1:9
	v_fma_f64 v[52:53], -v[58:59], v[78:79], v[52:53]
	v_fma_f64 v[50:51], -v[58:59], v[80:81], v[50:51]
	ds_read2_b64 v[78:81], v68 offset0:10 offset1:11
	;; [unrolled: 3-line block ×3, first 2 shown]
	s_waitcnt lgkmcnt(0)
	v_fma_f64 v[44:45], -v[58:59], v[74:75], v[44:45]
	v_fma_f64 v[42:43], -v[58:59], v[76:77], v[42:43]
	;; [unrolled: 1-line block ×3, first 2 shown]
	ds_read2_b64 v[74:77], v68 offset0:14 offset1:15
	v_fma_f64 v[38:39], -v[58:59], v[80:81], v[38:39]
	ds_read2_b64 v[78:81], v68 offset0:16 offset1:17
	v_fma_f64 v[36:37], -v[58:59], v[82:83], v[36:37]
	v_fma_f64 v[34:35], -v[58:59], v[84:85], v[34:35]
	s_waitcnt lgkmcnt(0)
	v_fma_f64 v[30:31], -v[58:59], v[74:75], v[30:31]
	ds_read2_b64 v[82:85], v68 offset0:18 offset1:19
	v_fma_f64 v[32:33], -v[58:59], v[76:77], v[32:33]
	ds_read2_b64 v[74:77], v68 offset0:20 offset1:21
	v_fma_f64 v[28:29], -v[58:59], v[78:79], v[28:29]
	v_fma_f64 v[26:27], -v[58:59], v[80:81], v[26:27]
	ds_read2_b64 v[78:81], v68 offset0:22 offset1:23
	s_waitcnt lgkmcnt(0)
	v_fma_f64 v[24:25], -v[58:59], v[82:83], v[24:25]
	v_fma_f64 v[22:23], -v[58:59], v[84:85], v[22:23]
	;; [unrolled: 1-line block ×4, first 2 shown]
	ds_read2_b64 v[74:77], v68 offset0:24 offset1:25
	v_fma_f64 v[16:17], -v[58:59], v[78:79], v[16:17]
	ds_read2_b64 v[82:85], v68 offset0:26 offset1:27
	v_fma_f64 v[14:15], -v[58:59], v[80:81], v[14:15]
	ds_read2_b64 v[78:81], v68 offset0:28 offset1:29
	s_waitcnt lgkmcnt(0)
	v_fma_f64 v[12:13], -v[58:59], v[74:75], v[12:13]
	v_fma_f64 v[10:11], -v[58:59], v[76:77], v[10:11]
	v_fma_f64 v[8:9], -v[58:59], v[82:83], v[8:9]
	v_fma_f64 v[6:7], -v[58:59], v[84:85], v[6:7]
	v_fma_f64 v[0:1], -v[58:59], v[78:79], v[0:1]
	v_fma_f64 v[62:63], -v[58:59], v[80:81], v[62:63]
.LBB58_29:
	s_or_b64 exec, exec, s[14:15]
	v_lshl_add_u32 v64, v69, 3, v68
	s_barrier
	ds_write_b64 v64, v[56:57]
	s_waitcnt lgkmcnt(0)
	s_barrier
	ds_read_b64 v[64:65], v68 offset:16
	s_mov_b32 s9, 3
	s_cmp_lt_i32 s18, 4
	v_mov_b32_e32 v66, 2
	s_cbranch_scc1 .LBB58_32
; %bb.30:
	v_add3_u32 v72, v73, 0, 24
	v_mov_b32_e32 v66, 2
.LBB58_31:                              ; =>This Inner Loop Header: Depth=1
	ds_read_b64 v[74:75], v72
	v_mov_b32_e32 v76, s9
	s_add_i32 s9, s9, 1
	v_add_u32_e32 v72, 8, v72
	s_cmp_lg_u32 s18, s9
	s_waitcnt lgkmcnt(0)
	v_cmp_lt_f64_e64 vcc, |v[64:65]|, |v[74:75]|
	v_cndmask_b32_e32 v65, v65, v75, vcc
	v_cndmask_b32_e32 v64, v64, v74, vcc
	;; [unrolled: 1-line block ×3, first 2 shown]
	s_cbranch_scc1 .LBB58_31
.LBB58_32:
	v_cndmask_b32_e64 v72, 2, 1, s[0:1]
	v_cndmask_b32_e64 v74, 0, 1, s[0:1]
	;; [unrolled: 1-line block ×3, first 2 shown]
	s_waitcnt lgkmcnt(0)
	v_cmp_eq_f64_e32 vcc, 0, v[64:65]
	s_and_saveexec_b64 s[0:1], vcc
	s_xor_b64 s[0:1], exec, s[0:1]
; %bb.33:
	v_cmp_ne_u32_e32 vcc, 0, v72
	v_cndmask_b32_e32 v72, 3, v72, vcc
; %bb.34:
	s_andn2_saveexec_b64 s[0:1], s[0:1]
; %bb.35:
	v_div_scale_f64 v[74:75], s[2:3], v[64:65], v[64:65], 1.0
	v_rcp_f64_e32 v[76:77], v[74:75]
	v_div_scale_f64 v[78:79], vcc, 1.0, v[64:65], 1.0
	v_fma_f64 v[80:81], -v[74:75], v[76:77], 1.0
	v_fmac_f64_e32 v[76:77], v[76:77], v[80:81]
	v_fma_f64 v[80:81], -v[74:75], v[76:77], 1.0
	v_fmac_f64_e32 v[76:77], v[76:77], v[80:81]
	v_mul_f64 v[80:81], v[78:79], v[76:77]
	v_fma_f64 v[74:75], -v[74:75], v[80:81], v[78:79]
	v_div_fmas_f64 v[74:75], v[74:75], v[76:77], v[80:81]
	v_div_fixup_f64 v[64:65], v[74:75], v[64:65], 1.0
; %bb.36:
	s_or_b64 exec, exec, s[0:1]
	v_cmp_ne_u32_e32 vcc, v69, v66
	s_and_saveexec_b64 s[0:1], vcc
	s_xor_b64 s[0:1], exec, s[0:1]
	s_cbranch_execz .LBB58_42
; %bb.37:
	v_cmp_eq_u32_e32 vcc, 2, v69
	s_and_saveexec_b64 s[2:3], vcc
	s_cbranch_execz .LBB58_41
; %bb.38:
	v_cmp_ne_u32_e32 vcc, 2, v66
	s_xor_b64 s[14:15], s[6:7], -1
	s_and_b64 s[16:17], s[14:15], vcc
	s_and_saveexec_b64 s[14:15], s[16:17]
	s_cbranch_execz .LBB58_40
; %bb.39:
	v_ashrrev_i32_e32 v67, 31, v66
	v_lshlrev_b64 v[74:75], 2, v[66:67]
	v_add_co_u32_e32 v74, vcc, v4, v74
	v_addc_co_u32_e32 v75, vcc, v5, v75, vcc
	flat_load_dword v67, v[74:75]
	flat_load_dword v69, v[4:5] offset:8
	s_waitcnt vmcnt(0) lgkmcnt(0)
	flat_store_dword v[4:5], v67 offset:8
	flat_store_dword v[74:75], v69
.LBB58_40:
	s_or_b64 exec, exec, s[14:15]
	v_mov_b32_e32 v67, v66
	v_mov_b32_e32 v69, v66
.LBB58_41:
	s_or_b64 exec, exec, s[2:3]
.LBB58_42:
	s_andn2_saveexec_b64 s[0:1], s[0:1]
	s_cbranch_execz .LBB58_44
; %bb.43:
	v_mov_b32_e32 v69, 2
	ds_write2_b64 v68, v[54:55], v[52:53] offset0:3 offset1:4
	ds_write2_b64 v68, v[50:51], v[48:49] offset0:5 offset1:6
	;; [unrolled: 1-line block ×13, first 2 shown]
	ds_write_b64 v68, v[62:63] offset:232
.LBB58_44:
	s_or_b64 exec, exec, s[0:1]
	v_cmp_lt_i32_e32 vcc, 2, v69
	s_waitcnt lgkmcnt(0)
	s_barrier
	s_and_saveexec_b64 s[0:1], vcc
	s_cbranch_execz .LBB58_46
; %bb.45:
	ds_read2_b64 v[74:77], v68 offset0:3 offset1:4
	ds_read2_b64 v[78:81], v68 offset0:5 offset1:6
	v_mul_f64 v[56:57], v[64:65], v[56:57]
	ds_read2_b64 v[82:85], v68 offset0:7 offset1:8
	ds_read_b64 v[64:65], v68 offset:232
	s_waitcnt lgkmcnt(0)
	v_fma_f64 v[54:55], -v[56:57], v[74:75], v[54:55]
	v_fma_f64 v[52:53], -v[56:57], v[76:77], v[52:53]
	ds_read2_b64 v[74:77], v68 offset0:9 offset1:10
	v_fma_f64 v[50:51], -v[56:57], v[78:79], v[50:51]
	v_fma_f64 v[48:49], -v[56:57], v[80:81], v[48:49]
	;; [unrolled: 1-line block ×3, first 2 shown]
	ds_read2_b64 v[78:81], v68 offset0:11 offset1:12
	v_fma_f64 v[44:45], -v[56:57], v[84:85], v[44:45]
	ds_read2_b64 v[82:85], v68 offset0:13 offset1:14
	s_waitcnt lgkmcnt(0)
	v_fma_f64 v[42:43], -v[56:57], v[74:75], v[42:43]
	v_fma_f64 v[40:41], -v[56:57], v[76:77], v[40:41]
	ds_read2_b64 v[74:77], v68 offset0:15 offset1:16
	v_fma_f64 v[38:39], -v[56:57], v[78:79], v[38:39]
	v_fma_f64 v[36:37], -v[56:57], v[80:81], v[36:37]
	ds_read2_b64 v[78:81], v68 offset0:17 offset1:18
	v_fma_f64 v[34:35], -v[56:57], v[82:83], v[34:35]
	v_fma_f64 v[30:31], -v[56:57], v[84:85], v[30:31]
	s_waitcnt lgkmcnt(0)
	v_fma_f64 v[32:33], -v[56:57], v[74:75], v[32:33]
	ds_read2_b64 v[82:85], v68 offset0:19 offset1:20
	v_fma_f64 v[28:29], -v[56:57], v[76:77], v[28:29]
	ds_read2_b64 v[74:77], v68 offset0:21 offset1:22
	v_fma_f64 v[26:27], -v[56:57], v[78:79], v[26:27]
	v_fma_f64 v[24:25], -v[56:57], v[80:81], v[24:25]
	s_waitcnt lgkmcnt(0)
	v_fma_f64 v[22:23], -v[56:57], v[82:83], v[22:23]
	ds_read2_b64 v[78:81], v68 offset0:23 offset1:24
	v_fma_f64 v[20:21], -v[56:57], v[84:85], v[20:21]
	v_fma_f64 v[18:19], -v[56:57], v[74:75], v[18:19]
	;; [unrolled: 1-line block ×3, first 2 shown]
	ds_read2_b64 v[74:77], v68 offset0:25 offset1:26
	ds_read2_b64 v[82:85], v68 offset0:27 offset1:28
	s_waitcnt lgkmcnt(0)
	v_fma_f64 v[14:15], -v[56:57], v[78:79], v[14:15]
	v_fma_f64 v[12:13], -v[56:57], v[80:81], v[12:13]
	;; [unrolled: 1-line block ×7, first 2 shown]
.LBB58_46:
	s_or_b64 exec, exec, s[0:1]
	v_lshl_add_u32 v64, v69, 3, v68
	s_barrier
	ds_write_b64 v64, v[54:55]
	s_waitcnt lgkmcnt(0)
	s_barrier
	ds_read_b64 v[64:65], v68 offset:24
	s_cmp_lt_i32 s18, 5
	v_mov_b32_e32 v66, 3
	s_cbranch_scc1 .LBB58_49
; %bb.47:
	v_add3_u32 v74, v73, 0, 32
	s_mov_b32 s0, 4
	v_mov_b32_e32 v66, 3
.LBB58_48:                              ; =>This Inner Loop Header: Depth=1
	ds_read_b64 v[76:77], v74
	v_mov_b32_e32 v75, s0
	s_add_i32 s0, s0, 1
	v_add_u32_e32 v74, 8, v74
	s_cmp_lg_u32 s18, s0
	s_waitcnt lgkmcnt(0)
	v_cmp_lt_f64_e64 vcc, |v[64:65]|, |v[76:77]|
	v_cndmask_b32_e32 v65, v65, v77, vcc
	v_cndmask_b32_e32 v64, v64, v76, vcc
	v_cndmask_b32_e32 v66, v66, v75, vcc
	s_cbranch_scc1 .LBB58_48
.LBB58_49:
	s_waitcnt lgkmcnt(0)
	v_cmp_eq_f64_e32 vcc, 0, v[64:65]
	s_and_saveexec_b64 s[0:1], vcc
	s_xor_b64 s[0:1], exec, s[0:1]
; %bb.50:
	v_cmp_ne_u32_e32 vcc, 0, v72
	v_cndmask_b32_e32 v72, 4, v72, vcc
; %bb.51:
	s_andn2_saveexec_b64 s[0:1], s[0:1]
; %bb.52:
	v_div_scale_f64 v[74:75], s[2:3], v[64:65], v[64:65], 1.0
	v_rcp_f64_e32 v[76:77], v[74:75]
	v_div_scale_f64 v[78:79], vcc, 1.0, v[64:65], 1.0
	v_fma_f64 v[80:81], -v[74:75], v[76:77], 1.0
	v_fmac_f64_e32 v[76:77], v[76:77], v[80:81]
	v_fma_f64 v[80:81], -v[74:75], v[76:77], 1.0
	v_fmac_f64_e32 v[76:77], v[76:77], v[80:81]
	v_mul_f64 v[80:81], v[78:79], v[76:77]
	v_fma_f64 v[74:75], -v[74:75], v[80:81], v[78:79]
	v_div_fmas_f64 v[74:75], v[74:75], v[76:77], v[80:81]
	v_div_fixup_f64 v[64:65], v[74:75], v[64:65], 1.0
; %bb.53:
	s_or_b64 exec, exec, s[0:1]
	v_cmp_ne_u32_e32 vcc, v69, v66
	s_and_saveexec_b64 s[0:1], vcc
	s_xor_b64 s[0:1], exec, s[0:1]
	s_cbranch_execz .LBB58_59
; %bb.54:
	v_cmp_eq_u32_e32 vcc, 3, v69
	s_and_saveexec_b64 s[2:3], vcc
	s_cbranch_execz .LBB58_58
; %bb.55:
	v_cmp_ne_u32_e32 vcc, 3, v66
	s_xor_b64 s[14:15], s[6:7], -1
	s_and_b64 s[16:17], s[14:15], vcc
	s_and_saveexec_b64 s[14:15], s[16:17]
	s_cbranch_execz .LBB58_57
; %bb.56:
	v_ashrrev_i32_e32 v67, 31, v66
	v_lshlrev_b64 v[74:75], 2, v[66:67]
	v_add_co_u32_e32 v74, vcc, v4, v74
	v_addc_co_u32_e32 v75, vcc, v5, v75, vcc
	flat_load_dword v67, v[74:75]
	flat_load_dword v69, v[4:5] offset:12
	s_waitcnt vmcnt(0) lgkmcnt(0)
	flat_store_dword v[4:5], v67 offset:12
	flat_store_dword v[74:75], v69
.LBB58_57:
	s_or_b64 exec, exec, s[14:15]
	v_mov_b32_e32 v67, v66
	v_mov_b32_e32 v69, v66
.LBB58_58:
	s_or_b64 exec, exec, s[2:3]
.LBB58_59:
	s_andn2_saveexec_b64 s[0:1], s[0:1]
	s_cbranch_execz .LBB58_61
; %bb.60:
	v_mov_b32_e32 v74, v52
	v_mov_b32_e32 v75, v53
	v_mov_b32_e32 v76, v50
	v_mov_b32_e32 v77, v51
	ds_write2_b64 v68, v[74:75], v[76:77] offset0:4 offset1:5
	v_mov_b32_e32 v74, v48
	v_mov_b32_e32 v75, v49
	v_mov_b32_e32 v76, v46
	v_mov_b32_e32 v77, v47
	ds_write2_b64 v68, v[74:75], v[76:77] offset0:6 offset1:7
	;; [unrolled: 5-line block ×12, first 2 shown]
	v_mov_b32_e32 v74, v0
	v_mov_b32_e32 v75, v1
	;; [unrolled: 1-line block ×3, first 2 shown]
	ds_write2_b64 v68, v[74:75], v[62:63] offset0:28 offset1:29
.LBB58_61:
	s_or_b64 exec, exec, s[0:1]
	v_cmp_lt_i32_e32 vcc, 3, v69
	s_waitcnt lgkmcnt(0)
	s_barrier
	s_and_saveexec_b64 s[0:1], vcc
	s_cbranch_execz .LBB58_63
; %bb.62:
	ds_read2_b64 v[74:77], v68 offset0:4 offset1:5
	ds_read2_b64 v[78:81], v68 offset0:6 offset1:7
	v_mul_f64 v[54:55], v[64:65], v[54:55]
	ds_read2_b64 v[82:85], v68 offset0:8 offset1:9
	s_waitcnt lgkmcnt(0)
	v_fma_f64 v[52:53], -v[54:55], v[74:75], v[52:53]
	v_fma_f64 v[50:51], -v[54:55], v[76:77], v[50:51]
	ds_read2_b64 v[74:77], v68 offset0:10 offset1:11
	v_fma_f64 v[48:49], -v[54:55], v[78:79], v[48:49]
	v_fma_f64 v[46:47], -v[54:55], v[80:81], v[46:47]
	;; [unrolled: 1-line block ×3, first 2 shown]
	ds_read2_b64 v[78:81], v68 offset0:12 offset1:13
	v_fma_f64 v[42:43], -v[54:55], v[84:85], v[42:43]
	ds_read2_b64 v[82:85], v68 offset0:14 offset1:15
	s_waitcnt lgkmcnt(0)
	v_fma_f64 v[40:41], -v[54:55], v[74:75], v[40:41]
	v_fma_f64 v[38:39], -v[54:55], v[76:77], v[38:39]
	ds_read2_b64 v[74:77], v68 offset0:16 offset1:17
	v_fma_f64 v[36:37], -v[54:55], v[78:79], v[36:37]
	v_fma_f64 v[34:35], -v[54:55], v[80:81], v[34:35]
	ds_read2_b64 v[78:81], v68 offset0:18 offset1:19
	v_fma_f64 v[30:31], -v[54:55], v[82:83], v[30:31]
	v_fma_f64 v[32:33], -v[54:55], v[84:85], v[32:33]
	s_waitcnt lgkmcnt(0)
	v_fma_f64 v[28:29], -v[54:55], v[74:75], v[28:29]
	ds_read2_b64 v[82:85], v68 offset0:20 offset1:21
	v_fma_f64 v[26:27], -v[54:55], v[76:77], v[26:27]
	ds_read2_b64 v[74:77], v68 offset0:22 offset1:23
	v_fma_f64 v[24:25], -v[54:55], v[78:79], v[24:25]
	v_fma_f64 v[22:23], -v[54:55], v[80:81], v[22:23]
	s_waitcnt lgkmcnt(0)
	v_fma_f64 v[20:21], -v[54:55], v[82:83], v[20:21]
	v_fma_f64 v[18:19], -v[54:55], v[84:85], v[18:19]
	ds_read2_b64 v[78:81], v68 offset0:24 offset1:25
	ds_read2_b64 v[82:85], v68 offset0:26 offset1:27
	v_fma_f64 v[16:17], -v[54:55], v[74:75], v[16:17]
	v_fma_f64 v[14:15], -v[54:55], v[76:77], v[14:15]
	ds_read2_b64 v[74:77], v68 offset0:28 offset1:29
	s_waitcnt lgkmcnt(0)
	v_fma_f64 v[12:13], -v[54:55], v[78:79], v[12:13]
	v_fma_f64 v[10:11], -v[54:55], v[80:81], v[10:11]
	;; [unrolled: 1-line block ×6, first 2 shown]
.LBB58_63:
	s_or_b64 exec, exec, s[0:1]
	v_lshl_add_u32 v64, v69, 3, v68
	s_barrier
	ds_write_b64 v64, v[52:53]
	s_waitcnt lgkmcnt(0)
	s_barrier
	ds_read_b64 v[64:65], v68 offset:32
	s_cmp_lt_i32 s18, 6
	v_mov_b32_e32 v66, 4
	s_cbranch_scc1 .LBB58_66
; %bb.64:
	v_add3_u32 v74, v73, 0, 40
	s_mov_b32 s0, 5
	v_mov_b32_e32 v66, 4
.LBB58_65:                              ; =>This Inner Loop Header: Depth=1
	ds_read_b64 v[76:77], v74
	v_mov_b32_e32 v75, s0
	s_add_i32 s0, s0, 1
	v_add_u32_e32 v74, 8, v74
	s_cmp_lg_u32 s18, s0
	s_waitcnt lgkmcnt(0)
	v_cmp_lt_f64_e64 vcc, |v[64:65]|, |v[76:77]|
	v_cndmask_b32_e32 v65, v65, v77, vcc
	v_cndmask_b32_e32 v64, v64, v76, vcc
	;; [unrolled: 1-line block ×3, first 2 shown]
	s_cbranch_scc1 .LBB58_65
.LBB58_66:
	s_waitcnt lgkmcnt(0)
	v_cmp_eq_f64_e32 vcc, 0, v[64:65]
	s_and_saveexec_b64 s[0:1], vcc
	s_xor_b64 s[0:1], exec, s[0:1]
; %bb.67:
	v_cmp_ne_u32_e32 vcc, 0, v72
	v_cndmask_b32_e32 v72, 5, v72, vcc
; %bb.68:
	s_andn2_saveexec_b64 s[0:1], s[0:1]
; %bb.69:
	v_div_scale_f64 v[74:75], s[2:3], v[64:65], v[64:65], 1.0
	v_rcp_f64_e32 v[76:77], v[74:75]
	v_div_scale_f64 v[78:79], vcc, 1.0, v[64:65], 1.0
	v_fma_f64 v[80:81], -v[74:75], v[76:77], 1.0
	v_fmac_f64_e32 v[76:77], v[76:77], v[80:81]
	v_fma_f64 v[80:81], -v[74:75], v[76:77], 1.0
	v_fmac_f64_e32 v[76:77], v[76:77], v[80:81]
	v_mul_f64 v[80:81], v[78:79], v[76:77]
	v_fma_f64 v[74:75], -v[74:75], v[80:81], v[78:79]
	v_div_fmas_f64 v[74:75], v[74:75], v[76:77], v[80:81]
	v_div_fixup_f64 v[64:65], v[74:75], v[64:65], 1.0
; %bb.70:
	s_or_b64 exec, exec, s[0:1]
	v_cmp_ne_u32_e32 vcc, v69, v66
	s_and_saveexec_b64 s[0:1], vcc
	s_xor_b64 s[0:1], exec, s[0:1]
	s_cbranch_execz .LBB58_76
; %bb.71:
	v_cmp_eq_u32_e32 vcc, 4, v69
	s_and_saveexec_b64 s[2:3], vcc
	s_cbranch_execz .LBB58_75
; %bb.72:
	v_cmp_ne_u32_e32 vcc, 4, v66
	s_xor_b64 s[14:15], s[6:7], -1
	s_and_b64 s[16:17], s[14:15], vcc
	s_and_saveexec_b64 s[14:15], s[16:17]
	s_cbranch_execz .LBB58_74
; %bb.73:
	v_ashrrev_i32_e32 v67, 31, v66
	v_lshlrev_b64 v[74:75], 2, v[66:67]
	v_add_co_u32_e32 v74, vcc, v4, v74
	v_addc_co_u32_e32 v75, vcc, v5, v75, vcc
	flat_load_dword v67, v[74:75]
	flat_load_dword v69, v[4:5] offset:16
	s_waitcnt vmcnt(0) lgkmcnt(0)
	flat_store_dword v[4:5], v67 offset:16
	flat_store_dword v[74:75], v69
.LBB58_74:
	s_or_b64 exec, exec, s[14:15]
	v_mov_b32_e32 v67, v66
	v_mov_b32_e32 v69, v66
.LBB58_75:
	s_or_b64 exec, exec, s[2:3]
.LBB58_76:
	s_andn2_saveexec_b64 s[0:1], s[0:1]
	s_cbranch_execz .LBB58_78
; %bb.77:
	v_mov_b32_e32 v69, 4
	ds_write2_b64 v68, v[50:51], v[48:49] offset0:5 offset1:6
	ds_write2_b64 v68, v[46:47], v[44:45] offset0:7 offset1:8
	;; [unrolled: 1-line block ×12, first 2 shown]
	ds_write_b64 v68, v[62:63] offset:232
.LBB58_78:
	s_or_b64 exec, exec, s[0:1]
	v_cmp_lt_i32_e32 vcc, 4, v69
	s_waitcnt lgkmcnt(0)
	s_barrier
	s_and_saveexec_b64 s[0:1], vcc
	s_cbranch_execz .LBB58_80
; %bb.79:
	ds_read2_b64 v[74:77], v68 offset0:5 offset1:6
	ds_read2_b64 v[78:81], v68 offset0:7 offset1:8
	;; [unrolled: 1-line block ×3, first 2 shown]
	v_mul_f64 v[52:53], v[64:65], v[52:53]
	ds_read_b64 v[64:65], v68 offset:232
	s_waitcnt lgkmcnt(0)
	v_fma_f64 v[50:51], -v[52:53], v[74:75], v[50:51]
	v_fma_f64 v[48:49], -v[52:53], v[76:77], v[48:49]
	ds_read2_b64 v[74:77], v68 offset0:11 offset1:12
	v_fma_f64 v[46:47], -v[52:53], v[78:79], v[46:47]
	v_fma_f64 v[44:45], -v[52:53], v[80:81], v[44:45]
	;; [unrolled: 1-line block ×3, first 2 shown]
	ds_read2_b64 v[78:81], v68 offset0:13 offset1:14
	v_fma_f64 v[40:41], -v[52:53], v[84:85], v[40:41]
	ds_read2_b64 v[82:85], v68 offset0:15 offset1:16
	s_waitcnt lgkmcnt(0)
	v_fma_f64 v[38:39], -v[52:53], v[74:75], v[38:39]
	v_fma_f64 v[36:37], -v[52:53], v[76:77], v[36:37]
	v_fma_f64 v[34:35], -v[52:53], v[78:79], v[34:35]
	ds_read2_b64 v[74:77], v68 offset0:17 offset1:18
	v_fma_f64 v[30:31], -v[52:53], v[80:81], v[30:31]
	ds_read2_b64 v[78:81], v68 offset0:19 offset1:20
	v_fma_f64 v[32:33], -v[52:53], v[82:83], v[32:33]
	v_fma_f64 v[28:29], -v[52:53], v[84:85], v[28:29]
	ds_read2_b64 v[82:85], v68 offset0:21 offset1:22
	s_waitcnt lgkmcnt(0)
	v_fma_f64 v[26:27], -v[52:53], v[74:75], v[26:27]
	v_fma_f64 v[24:25], -v[52:53], v[76:77], v[24:25]
	ds_read2_b64 v[74:77], v68 offset0:23 offset1:24
	v_fma_f64 v[22:23], -v[52:53], v[78:79], v[22:23]
	v_fma_f64 v[20:21], -v[52:53], v[80:81], v[20:21]
	;; [unrolled: 1-line block ×4, first 2 shown]
	ds_read2_b64 v[78:81], v68 offset0:25 offset1:26
	ds_read2_b64 v[82:85], v68 offset0:27 offset1:28
	s_waitcnt lgkmcnt(0)
	v_fma_f64 v[14:15], -v[52:53], v[74:75], v[14:15]
	v_fma_f64 v[12:13], -v[52:53], v[76:77], v[12:13]
	;; [unrolled: 1-line block ×7, first 2 shown]
.LBB58_80:
	s_or_b64 exec, exec, s[0:1]
	v_lshl_add_u32 v64, v69, 3, v68
	s_barrier
	ds_write_b64 v64, v[50:51]
	s_waitcnt lgkmcnt(0)
	s_barrier
	ds_read_b64 v[64:65], v68 offset:40
	s_cmp_lt_i32 s18, 7
	v_mov_b32_e32 v66, 5
	s_cbranch_scc1 .LBB58_83
; %bb.81:
	v_add3_u32 v74, v73, 0, 48
	s_mov_b32 s0, 6
	v_mov_b32_e32 v66, 5
.LBB58_82:                              ; =>This Inner Loop Header: Depth=1
	ds_read_b64 v[76:77], v74
	v_mov_b32_e32 v75, s0
	s_add_i32 s0, s0, 1
	v_add_u32_e32 v74, 8, v74
	s_cmp_lg_u32 s18, s0
	s_waitcnt lgkmcnt(0)
	v_cmp_lt_f64_e64 vcc, |v[64:65]|, |v[76:77]|
	v_cndmask_b32_e32 v65, v65, v77, vcc
	v_cndmask_b32_e32 v64, v64, v76, vcc
	;; [unrolled: 1-line block ×3, first 2 shown]
	s_cbranch_scc1 .LBB58_82
.LBB58_83:
	s_waitcnt lgkmcnt(0)
	v_cmp_eq_f64_e32 vcc, 0, v[64:65]
	s_and_saveexec_b64 s[0:1], vcc
	s_xor_b64 s[0:1], exec, s[0:1]
; %bb.84:
	v_cmp_ne_u32_e32 vcc, 0, v72
	v_cndmask_b32_e32 v72, 6, v72, vcc
; %bb.85:
	s_andn2_saveexec_b64 s[0:1], s[0:1]
; %bb.86:
	v_div_scale_f64 v[74:75], s[2:3], v[64:65], v[64:65], 1.0
	v_rcp_f64_e32 v[76:77], v[74:75]
	v_div_scale_f64 v[78:79], vcc, 1.0, v[64:65], 1.0
	v_fma_f64 v[80:81], -v[74:75], v[76:77], 1.0
	v_fmac_f64_e32 v[76:77], v[76:77], v[80:81]
	v_fma_f64 v[80:81], -v[74:75], v[76:77], 1.0
	v_fmac_f64_e32 v[76:77], v[76:77], v[80:81]
	v_mul_f64 v[80:81], v[78:79], v[76:77]
	v_fma_f64 v[74:75], -v[74:75], v[80:81], v[78:79]
	v_div_fmas_f64 v[74:75], v[74:75], v[76:77], v[80:81]
	v_div_fixup_f64 v[64:65], v[74:75], v[64:65], 1.0
; %bb.87:
	s_or_b64 exec, exec, s[0:1]
	v_cmp_ne_u32_e32 vcc, v69, v66
	s_and_saveexec_b64 s[0:1], vcc
	s_xor_b64 s[0:1], exec, s[0:1]
	s_cbranch_execz .LBB58_93
; %bb.88:
	v_cmp_eq_u32_e32 vcc, 5, v69
	s_and_saveexec_b64 s[2:3], vcc
	s_cbranch_execz .LBB58_92
; %bb.89:
	v_cmp_ne_u32_e32 vcc, 5, v66
	s_xor_b64 s[14:15], s[6:7], -1
	s_and_b64 s[16:17], s[14:15], vcc
	s_and_saveexec_b64 s[14:15], s[16:17]
	s_cbranch_execz .LBB58_91
; %bb.90:
	v_ashrrev_i32_e32 v67, 31, v66
	v_lshlrev_b64 v[74:75], 2, v[66:67]
	v_add_co_u32_e32 v74, vcc, v4, v74
	v_addc_co_u32_e32 v75, vcc, v5, v75, vcc
	flat_load_dword v67, v[74:75]
	flat_load_dword v69, v[4:5] offset:20
	s_waitcnt vmcnt(0) lgkmcnt(0)
	flat_store_dword v[4:5], v67 offset:20
	flat_store_dword v[74:75], v69
.LBB58_91:
	s_or_b64 exec, exec, s[14:15]
	v_mov_b32_e32 v67, v66
	v_mov_b32_e32 v69, v66
.LBB58_92:
	s_or_b64 exec, exec, s[2:3]
.LBB58_93:
	s_andn2_saveexec_b64 s[0:1], s[0:1]
	s_cbranch_execz .LBB58_95
; %bb.94:
	v_mov_b32_e32 v74, v48
	v_mov_b32_e32 v75, v49
	v_mov_b32_e32 v76, v46
	v_mov_b32_e32 v77, v47
	ds_write2_b64 v68, v[74:75], v[76:77] offset0:6 offset1:7
	v_mov_b32_e32 v74, v44
	v_mov_b32_e32 v75, v45
	v_mov_b32_e32 v76, v42
	v_mov_b32_e32 v77, v43
	ds_write2_b64 v68, v[74:75], v[76:77] offset0:8 offset1:9
	;; [unrolled: 5-line block ×11, first 2 shown]
	v_mov_b32_e32 v74, v0
	v_mov_b32_e32 v75, v1
	;; [unrolled: 1-line block ×3, first 2 shown]
	ds_write2_b64 v68, v[74:75], v[62:63] offset0:28 offset1:29
.LBB58_95:
	s_or_b64 exec, exec, s[0:1]
	v_cmp_lt_i32_e32 vcc, 5, v69
	s_waitcnt lgkmcnt(0)
	s_barrier
	s_and_saveexec_b64 s[0:1], vcc
	s_cbranch_execz .LBB58_97
; %bb.96:
	ds_read2_b64 v[74:77], v68 offset0:6 offset1:7
	ds_read2_b64 v[78:81], v68 offset0:8 offset1:9
	;; [unrolled: 1-line block ×3, first 2 shown]
	v_mul_f64 v[50:51], v[64:65], v[50:51]
	s_waitcnt lgkmcnt(0)
	v_fma_f64 v[48:49], -v[50:51], v[74:75], v[48:49]
	v_fma_f64 v[46:47], -v[50:51], v[76:77], v[46:47]
	ds_read2_b64 v[74:77], v68 offset0:12 offset1:13
	v_fma_f64 v[44:45], -v[50:51], v[78:79], v[44:45]
	v_fma_f64 v[42:43], -v[50:51], v[80:81], v[42:43]
	;; [unrolled: 1-line block ×3, first 2 shown]
	ds_read2_b64 v[78:81], v68 offset0:14 offset1:15
	v_fma_f64 v[38:39], -v[50:51], v[84:85], v[38:39]
	ds_read2_b64 v[82:85], v68 offset0:16 offset1:17
	s_waitcnt lgkmcnt(0)
	v_fma_f64 v[36:37], -v[50:51], v[74:75], v[36:37]
	v_fma_f64 v[34:35], -v[50:51], v[76:77], v[34:35]
	;; [unrolled: 1-line block ×3, first 2 shown]
	ds_read2_b64 v[74:77], v68 offset0:18 offset1:19
	v_fma_f64 v[32:33], -v[50:51], v[80:81], v[32:33]
	ds_read2_b64 v[78:81], v68 offset0:20 offset1:21
	v_fma_f64 v[28:29], -v[50:51], v[82:83], v[28:29]
	v_fma_f64 v[26:27], -v[50:51], v[84:85], v[26:27]
	ds_read2_b64 v[82:85], v68 offset0:22 offset1:23
	s_waitcnt lgkmcnt(0)
	v_fma_f64 v[24:25], -v[50:51], v[74:75], v[24:25]
	v_fma_f64 v[22:23], -v[50:51], v[76:77], v[22:23]
	ds_read2_b64 v[74:77], v68 offset0:24 offset1:25
	v_fma_f64 v[20:21], -v[50:51], v[78:79], v[20:21]
	v_fma_f64 v[18:19], -v[50:51], v[80:81], v[18:19]
	;; [unrolled: 1-line block ×3, first 2 shown]
	ds_read2_b64 v[78:81], v68 offset0:26 offset1:27
	v_fma_f64 v[14:15], -v[50:51], v[84:85], v[14:15]
	ds_read2_b64 v[82:85], v68 offset0:28 offset1:29
	s_waitcnt lgkmcnt(0)
	v_fma_f64 v[12:13], -v[50:51], v[74:75], v[12:13]
	v_fma_f64 v[10:11], -v[50:51], v[76:77], v[10:11]
	;; [unrolled: 1-line block ×6, first 2 shown]
.LBB58_97:
	s_or_b64 exec, exec, s[0:1]
	v_lshl_add_u32 v64, v69, 3, v68
	s_barrier
	ds_write_b64 v64, v[48:49]
	s_waitcnt lgkmcnt(0)
	s_barrier
	ds_read_b64 v[64:65], v68 offset:48
	s_cmp_lt_i32 s18, 8
	v_mov_b32_e32 v66, 6
	s_cbranch_scc1 .LBB58_100
; %bb.98:
	v_add3_u32 v74, v73, 0, 56
	s_mov_b32 s0, 7
	v_mov_b32_e32 v66, 6
.LBB58_99:                              ; =>This Inner Loop Header: Depth=1
	ds_read_b64 v[76:77], v74
	v_mov_b32_e32 v75, s0
	s_add_i32 s0, s0, 1
	v_add_u32_e32 v74, 8, v74
	s_cmp_lg_u32 s18, s0
	s_waitcnt lgkmcnt(0)
	v_cmp_lt_f64_e64 vcc, |v[64:65]|, |v[76:77]|
	v_cndmask_b32_e32 v65, v65, v77, vcc
	v_cndmask_b32_e32 v64, v64, v76, vcc
	;; [unrolled: 1-line block ×3, first 2 shown]
	s_cbranch_scc1 .LBB58_99
.LBB58_100:
	s_waitcnt lgkmcnt(0)
	v_cmp_eq_f64_e32 vcc, 0, v[64:65]
	s_and_saveexec_b64 s[0:1], vcc
	s_xor_b64 s[0:1], exec, s[0:1]
; %bb.101:
	v_cmp_ne_u32_e32 vcc, 0, v72
	v_cndmask_b32_e32 v72, 7, v72, vcc
; %bb.102:
	s_andn2_saveexec_b64 s[0:1], s[0:1]
; %bb.103:
	v_div_scale_f64 v[74:75], s[2:3], v[64:65], v[64:65], 1.0
	v_rcp_f64_e32 v[76:77], v[74:75]
	v_div_scale_f64 v[78:79], vcc, 1.0, v[64:65], 1.0
	v_fma_f64 v[80:81], -v[74:75], v[76:77], 1.0
	v_fmac_f64_e32 v[76:77], v[76:77], v[80:81]
	v_fma_f64 v[80:81], -v[74:75], v[76:77], 1.0
	v_fmac_f64_e32 v[76:77], v[76:77], v[80:81]
	v_mul_f64 v[80:81], v[78:79], v[76:77]
	v_fma_f64 v[74:75], -v[74:75], v[80:81], v[78:79]
	v_div_fmas_f64 v[74:75], v[74:75], v[76:77], v[80:81]
	v_div_fixup_f64 v[64:65], v[74:75], v[64:65], 1.0
; %bb.104:
	s_or_b64 exec, exec, s[0:1]
	v_cmp_ne_u32_e32 vcc, v69, v66
	s_and_saveexec_b64 s[0:1], vcc
	s_xor_b64 s[0:1], exec, s[0:1]
	s_cbranch_execz .LBB58_110
; %bb.105:
	v_cmp_eq_u32_e32 vcc, 6, v69
	s_and_saveexec_b64 s[2:3], vcc
	s_cbranch_execz .LBB58_109
; %bb.106:
	v_cmp_ne_u32_e32 vcc, 6, v66
	s_xor_b64 s[14:15], s[6:7], -1
	s_and_b64 s[16:17], s[14:15], vcc
	s_and_saveexec_b64 s[14:15], s[16:17]
	s_cbranch_execz .LBB58_108
; %bb.107:
	v_ashrrev_i32_e32 v67, 31, v66
	v_lshlrev_b64 v[74:75], 2, v[66:67]
	v_add_co_u32_e32 v74, vcc, v4, v74
	v_addc_co_u32_e32 v75, vcc, v5, v75, vcc
	flat_load_dword v67, v[74:75]
	flat_load_dword v69, v[4:5] offset:24
	s_waitcnt vmcnt(0) lgkmcnt(0)
	flat_store_dword v[4:5], v67 offset:24
	flat_store_dword v[74:75], v69
.LBB58_108:
	s_or_b64 exec, exec, s[14:15]
	v_mov_b32_e32 v67, v66
	v_mov_b32_e32 v69, v66
.LBB58_109:
	s_or_b64 exec, exec, s[2:3]
.LBB58_110:
	s_andn2_saveexec_b64 s[0:1], s[0:1]
	s_cbranch_execz .LBB58_112
; %bb.111:
	v_mov_b32_e32 v69, 6
	ds_write2_b64 v68, v[46:47], v[44:45] offset0:7 offset1:8
	ds_write2_b64 v68, v[42:43], v[40:41] offset0:9 offset1:10
	;; [unrolled: 1-line block ×11, first 2 shown]
	ds_write_b64 v68, v[62:63] offset:232
.LBB58_112:
	s_or_b64 exec, exec, s[0:1]
	v_cmp_lt_i32_e32 vcc, 6, v69
	s_waitcnt lgkmcnt(0)
	s_barrier
	s_and_saveexec_b64 s[0:1], vcc
	s_cbranch_execz .LBB58_114
; %bb.113:
	ds_read2_b64 v[74:77], v68 offset0:7 offset1:8
	ds_read2_b64 v[78:81], v68 offset0:9 offset1:10
	v_mul_f64 v[48:49], v[64:65], v[48:49]
	ds_read2_b64 v[82:85], v68 offset0:11 offset1:12
	ds_read_b64 v[64:65], v68 offset:232
	s_waitcnt lgkmcnt(0)
	v_fma_f64 v[46:47], -v[48:49], v[74:75], v[46:47]
	v_fma_f64 v[44:45], -v[48:49], v[76:77], v[44:45]
	ds_read2_b64 v[74:77], v68 offset0:13 offset1:14
	v_fma_f64 v[42:43], -v[48:49], v[78:79], v[42:43]
	v_fma_f64 v[40:41], -v[48:49], v[80:81], v[40:41]
	ds_read2_b64 v[78:81], v68 offset0:15 offset1:16
	;; [unrolled: 3-line block ×3, first 2 shown]
	s_waitcnt lgkmcnt(0)
	v_fma_f64 v[34:35], -v[48:49], v[74:75], v[34:35]
	v_fma_f64 v[30:31], -v[48:49], v[76:77], v[30:31]
	;; [unrolled: 1-line block ×3, first 2 shown]
	ds_read2_b64 v[74:77], v68 offset0:19 offset1:20
	v_fma_f64 v[28:29], -v[48:49], v[80:81], v[28:29]
	ds_read2_b64 v[78:81], v68 offset0:21 offset1:22
	v_fma_f64 v[26:27], -v[48:49], v[82:83], v[26:27]
	v_fma_f64 v[24:25], -v[48:49], v[84:85], v[24:25]
	s_waitcnt lgkmcnt(0)
	v_fma_f64 v[22:23], -v[48:49], v[74:75], v[22:23]
	ds_read2_b64 v[82:85], v68 offset0:23 offset1:24
	v_fma_f64 v[20:21], -v[48:49], v[76:77], v[20:21]
	ds_read2_b64 v[74:77], v68 offset0:25 offset1:26
	v_fma_f64 v[18:19], -v[48:49], v[78:79], v[18:19]
	v_fma_f64 v[16:17], -v[48:49], v[80:81], v[16:17]
	ds_read2_b64 v[78:81], v68 offset0:27 offset1:28
	s_waitcnt lgkmcnt(0)
	v_fma_f64 v[14:15], -v[48:49], v[82:83], v[14:15]
	v_fma_f64 v[12:13], -v[48:49], v[84:85], v[12:13]
	;; [unrolled: 1-line block ×7, first 2 shown]
.LBB58_114:
	s_or_b64 exec, exec, s[0:1]
	v_lshl_add_u32 v64, v69, 3, v68
	s_barrier
	ds_write_b64 v64, v[46:47]
	s_waitcnt lgkmcnt(0)
	s_barrier
	ds_read_b64 v[64:65], v68 offset:56
	s_cmp_lt_i32 s18, 9
	v_mov_b32_e32 v66, 7
	s_cbranch_scc1 .LBB58_117
; %bb.115:
	v_add3_u32 v73, v73, 0, 64
	s_mov_b32 s0, 8
	v_mov_b32_e32 v66, 7
.LBB58_116:                             ; =>This Inner Loop Header: Depth=1
	ds_read_b64 v[74:75], v73
	v_mov_b32_e32 v76, s0
	s_add_i32 s0, s0, 1
	v_add_u32_e32 v73, 8, v73
	s_cmp_lg_u32 s18, s0
	s_waitcnt lgkmcnt(0)
	v_cmp_lt_f64_e64 vcc, |v[64:65]|, |v[74:75]|
	v_cndmask_b32_e32 v65, v65, v75, vcc
	v_cndmask_b32_e32 v64, v64, v74, vcc
	;; [unrolled: 1-line block ×3, first 2 shown]
	s_cbranch_scc1 .LBB58_116
.LBB58_117:
	s_waitcnt lgkmcnt(0)
	v_cmp_eq_f64_e32 vcc, 0, v[64:65]
	s_and_saveexec_b64 s[0:1], vcc
	s_xor_b64 s[0:1], exec, s[0:1]
; %bb.118:
	v_cmp_ne_u32_e32 vcc, 0, v72
	v_cndmask_b32_e32 v72, 8, v72, vcc
; %bb.119:
	s_andn2_saveexec_b64 s[0:1], s[0:1]
; %bb.120:
	v_div_scale_f64 v[74:75], s[2:3], v[64:65], v[64:65], 1.0
	v_rcp_f64_e32 v[76:77], v[74:75]
	v_div_scale_f64 v[78:79], vcc, 1.0, v[64:65], 1.0
	v_fma_f64 v[80:81], -v[74:75], v[76:77], 1.0
	v_fmac_f64_e32 v[76:77], v[76:77], v[80:81]
	v_fma_f64 v[80:81], -v[74:75], v[76:77], 1.0
	v_fmac_f64_e32 v[76:77], v[76:77], v[80:81]
	v_mul_f64 v[80:81], v[78:79], v[76:77]
	v_fma_f64 v[74:75], -v[74:75], v[80:81], v[78:79]
	v_div_fmas_f64 v[74:75], v[74:75], v[76:77], v[80:81]
	v_div_fixup_f64 v[64:65], v[74:75], v[64:65], 1.0
; %bb.121:
	s_or_b64 exec, exec, s[0:1]
	v_cmp_ne_u32_e32 vcc, v69, v66
	s_and_saveexec_b64 s[0:1], vcc
	s_xor_b64 s[0:1], exec, s[0:1]
	s_cbranch_execz .LBB58_127
; %bb.122:
	v_cmp_eq_u32_e32 vcc, 7, v69
	s_and_saveexec_b64 s[2:3], vcc
	s_cbranch_execz .LBB58_126
; %bb.123:
	v_cmp_ne_u32_e32 vcc, 7, v66
	s_xor_b64 s[14:15], s[6:7], -1
	s_and_b64 s[16:17], s[14:15], vcc
	s_and_saveexec_b64 s[14:15], s[16:17]
	s_cbranch_execz .LBB58_125
; %bb.124:
	v_ashrrev_i32_e32 v67, 31, v66
	v_lshlrev_b64 v[74:75], 2, v[66:67]
	v_add_co_u32_e32 v74, vcc, v4, v74
	v_addc_co_u32_e32 v75, vcc, v5, v75, vcc
	flat_load_dword v67, v[74:75]
	flat_load_dword v69, v[4:5] offset:28
	s_waitcnt vmcnt(0) lgkmcnt(0)
	flat_store_dword v[4:5], v67 offset:28
	flat_store_dword v[74:75], v69
.LBB58_125:
	s_or_b64 exec, exec, s[14:15]
	v_mov_b32_e32 v67, v66
	v_mov_b32_e32 v69, v66
.LBB58_126:
	s_or_b64 exec, exec, s[2:3]
.LBB58_127:
	s_andn2_saveexec_b64 s[0:1], s[0:1]
	s_cbranch_execz .LBB58_129
; %bb.128:
	v_mov_b32_e32 v74, v44
	v_mov_b32_e32 v75, v45
	v_mov_b32_e32 v76, v42
	v_mov_b32_e32 v77, v43
	ds_write2_b64 v68, v[74:75], v[76:77] offset0:8 offset1:9
	v_mov_b32_e32 v74, v40
	v_mov_b32_e32 v75, v41
	v_mov_b32_e32 v76, v38
	v_mov_b32_e32 v77, v39
	ds_write2_b64 v68, v[74:75], v[76:77] offset0:10 offset1:11
	;; [unrolled: 5-line block ×10, first 2 shown]
	v_mov_b32_e32 v74, v0
	v_mov_b32_e32 v75, v1
	;; [unrolled: 1-line block ×3, first 2 shown]
	ds_write2_b64 v68, v[74:75], v[62:63] offset0:28 offset1:29
.LBB58_129:
	s_or_b64 exec, exec, s[0:1]
	v_cmp_lt_i32_e32 vcc, 7, v69
	s_waitcnt lgkmcnt(0)
	s_barrier
	s_and_saveexec_b64 s[0:1], vcc
	s_cbranch_execz .LBB58_131
; %bb.130:
	ds_read2_b64 v[74:77], v68 offset0:8 offset1:9
	ds_read2_b64 v[78:81], v68 offset0:10 offset1:11
	v_mul_f64 v[46:47], v[64:65], v[46:47]
	ds_read2_b64 v[82:85], v68 offset0:12 offset1:13
	s_waitcnt lgkmcnt(0)
	v_fma_f64 v[44:45], -v[46:47], v[74:75], v[44:45]
	v_fma_f64 v[42:43], -v[46:47], v[76:77], v[42:43]
	ds_read2_b64 v[74:77], v68 offset0:14 offset1:15
	v_fma_f64 v[40:41], -v[46:47], v[78:79], v[40:41]
	v_fma_f64 v[38:39], -v[46:47], v[80:81], v[38:39]
	ds_read2_b64 v[78:81], v68 offset0:16 offset1:17
	;; [unrolled: 3-line block ×3, first 2 shown]
	s_waitcnt lgkmcnt(0)
	v_fma_f64 v[30:31], -v[46:47], v[74:75], v[30:31]
	v_fma_f64 v[32:33], -v[46:47], v[76:77], v[32:33]
	;; [unrolled: 1-line block ×3, first 2 shown]
	ds_read2_b64 v[74:77], v68 offset0:20 offset1:21
	v_fma_f64 v[26:27], -v[46:47], v[80:81], v[26:27]
	ds_read2_b64 v[78:81], v68 offset0:22 offset1:23
	v_fma_f64 v[24:25], -v[46:47], v[82:83], v[24:25]
	v_fma_f64 v[22:23], -v[46:47], v[84:85], v[22:23]
	s_waitcnt lgkmcnt(0)
	v_fma_f64 v[20:21], -v[46:47], v[74:75], v[20:21]
	v_fma_f64 v[18:19], -v[46:47], v[76:77], v[18:19]
	ds_read2_b64 v[74:77], v68 offset0:24 offset1:25
	ds_read2_b64 v[82:85], v68 offset0:26 offset1:27
	v_fma_f64 v[16:17], -v[46:47], v[78:79], v[16:17]
	v_fma_f64 v[14:15], -v[46:47], v[80:81], v[14:15]
	ds_read2_b64 v[78:81], v68 offset0:28 offset1:29
	s_waitcnt lgkmcnt(0)
	v_fma_f64 v[12:13], -v[46:47], v[74:75], v[12:13]
	v_fma_f64 v[10:11], -v[46:47], v[76:77], v[10:11]
	;; [unrolled: 1-line block ×6, first 2 shown]
.LBB58_131:
	s_or_b64 exec, exec, s[0:1]
	v_lshl_add_u32 v64, v69, 3, v68
	s_barrier
	ds_write_b64 v64, v[44:45]
	s_waitcnt lgkmcnt(0)
	s_barrier
	ds_read_b64 v[64:65], v68 offset:64
	s_cmp_lt_i32 s18, 10
	v_mov_b32_e32 v66, 8
	s_cbranch_scc1 .LBB58_134
; %bb.132:
	v_add_u32_e32 v73, 0x48, v68
	s_mov_b32 s0, 9
	v_mov_b32_e32 v66, 8
.LBB58_133:                             ; =>This Inner Loop Header: Depth=1
	ds_read_b64 v[74:75], v73
	v_mov_b32_e32 v76, s0
	s_add_i32 s0, s0, 1
	v_add_u32_e32 v73, 8, v73
	s_cmp_lg_u32 s18, s0
	s_waitcnt lgkmcnt(0)
	v_cmp_lt_f64_e64 vcc, |v[64:65]|, |v[74:75]|
	v_cndmask_b32_e32 v65, v65, v75, vcc
	v_cndmask_b32_e32 v64, v64, v74, vcc
	;; [unrolled: 1-line block ×3, first 2 shown]
	s_cbranch_scc1 .LBB58_133
.LBB58_134:
	s_waitcnt lgkmcnt(0)
	v_cmp_eq_f64_e32 vcc, 0, v[64:65]
	s_and_saveexec_b64 s[0:1], vcc
	s_xor_b64 s[0:1], exec, s[0:1]
; %bb.135:
	v_cmp_ne_u32_e32 vcc, 0, v72
	v_cndmask_b32_e32 v72, 9, v72, vcc
; %bb.136:
	s_andn2_saveexec_b64 s[0:1], s[0:1]
; %bb.137:
	v_div_scale_f64 v[74:75], s[2:3], v[64:65], v[64:65], 1.0
	v_rcp_f64_e32 v[76:77], v[74:75]
	v_div_scale_f64 v[78:79], vcc, 1.0, v[64:65], 1.0
	v_fma_f64 v[80:81], -v[74:75], v[76:77], 1.0
	v_fmac_f64_e32 v[76:77], v[76:77], v[80:81]
	v_fma_f64 v[80:81], -v[74:75], v[76:77], 1.0
	v_fmac_f64_e32 v[76:77], v[76:77], v[80:81]
	v_mul_f64 v[80:81], v[78:79], v[76:77]
	v_fma_f64 v[74:75], -v[74:75], v[80:81], v[78:79]
	v_div_fmas_f64 v[74:75], v[74:75], v[76:77], v[80:81]
	v_div_fixup_f64 v[64:65], v[74:75], v[64:65], 1.0
; %bb.138:
	s_or_b64 exec, exec, s[0:1]
	v_cmp_ne_u32_e32 vcc, v69, v66
	s_and_saveexec_b64 s[0:1], vcc
	s_xor_b64 s[0:1], exec, s[0:1]
	s_cbranch_execz .LBB58_144
; %bb.139:
	v_cmp_eq_u32_e32 vcc, 8, v69
	s_and_saveexec_b64 s[2:3], vcc
	s_cbranch_execz .LBB58_143
; %bb.140:
	v_cmp_ne_u32_e32 vcc, 8, v66
	s_xor_b64 s[14:15], s[6:7], -1
	s_and_b64 s[16:17], s[14:15], vcc
	s_and_saveexec_b64 s[14:15], s[16:17]
	s_cbranch_execz .LBB58_142
; %bb.141:
	v_ashrrev_i32_e32 v67, 31, v66
	v_lshlrev_b64 v[74:75], 2, v[66:67]
	v_add_co_u32_e32 v74, vcc, v4, v74
	v_addc_co_u32_e32 v75, vcc, v5, v75, vcc
	flat_load_dword v67, v[74:75]
	flat_load_dword v69, v[4:5] offset:32
	s_waitcnt vmcnt(0) lgkmcnt(0)
	flat_store_dword v[4:5], v67 offset:32
	flat_store_dword v[74:75], v69
.LBB58_142:
	s_or_b64 exec, exec, s[14:15]
	v_mov_b32_e32 v67, v66
	v_mov_b32_e32 v69, v66
.LBB58_143:
	s_or_b64 exec, exec, s[2:3]
.LBB58_144:
	s_andn2_saveexec_b64 s[0:1], s[0:1]
	s_cbranch_execz .LBB58_146
; %bb.145:
	v_mov_b32_e32 v69, 8
	ds_write2_b64 v68, v[42:43], v[40:41] offset0:9 offset1:10
	ds_write2_b64 v68, v[38:39], v[36:37] offset0:11 offset1:12
	ds_write2_b64 v68, v[34:35], v[30:31] offset0:13 offset1:14
	ds_write2_b64 v68, v[32:33], v[28:29] offset0:15 offset1:16
	ds_write2_b64 v68, v[26:27], v[24:25] offset0:17 offset1:18
	ds_write2_b64 v68, v[22:23], v[20:21] offset0:19 offset1:20
	ds_write2_b64 v68, v[18:19], v[16:17] offset0:21 offset1:22
	ds_write2_b64 v68, v[14:15], v[12:13] offset0:23 offset1:24
	ds_write2_b64 v68, v[10:11], v[8:9] offset0:25 offset1:26
	ds_write2_b64 v68, v[6:7], v[0:1] offset0:27 offset1:28
	ds_write_b64 v68, v[62:63] offset:232
.LBB58_146:
	s_or_b64 exec, exec, s[0:1]
	v_cmp_lt_i32_e32 vcc, 8, v69
	s_waitcnt lgkmcnt(0)
	s_barrier
	s_and_saveexec_b64 s[0:1], vcc
	s_cbranch_execz .LBB58_148
; %bb.147:
	ds_read2_b64 v[74:77], v68 offset0:9 offset1:10
	ds_read2_b64 v[78:81], v68 offset0:11 offset1:12
	v_mul_f64 v[44:45], v[64:65], v[44:45]
	ds_read2_b64 v[82:85], v68 offset0:13 offset1:14
	ds_read_b64 v[64:65], v68 offset:232
	s_waitcnt lgkmcnt(0)
	v_fma_f64 v[42:43], -v[44:45], v[74:75], v[42:43]
	v_fma_f64 v[40:41], -v[44:45], v[76:77], v[40:41]
	ds_read2_b64 v[74:77], v68 offset0:15 offset1:16
	v_fma_f64 v[38:39], -v[44:45], v[78:79], v[38:39]
	v_fma_f64 v[36:37], -v[44:45], v[80:81], v[36:37]
	v_fma_f64 v[34:35], -v[44:45], v[82:83], v[34:35]
	ds_read2_b64 v[78:81], v68 offset0:17 offset1:18
	v_fma_f64 v[30:31], -v[44:45], v[84:85], v[30:31]
	ds_read2_b64 v[82:85], v68 offset0:19 offset1:20
	s_waitcnt lgkmcnt(0)
	v_fma_f64 v[32:33], -v[44:45], v[74:75], v[32:33]
	v_fma_f64 v[28:29], -v[44:45], v[76:77], v[28:29]
	ds_read2_b64 v[74:77], v68 offset0:21 offset1:22
	v_fma_f64 v[26:27], -v[44:45], v[78:79], v[26:27]
	v_fma_f64 v[24:25], -v[44:45], v[80:81], v[24:25]
	ds_read2_b64 v[78:81], v68 offset0:23 offset1:24
	v_fma_f64 v[22:23], -v[44:45], v[82:83], v[22:23]
	v_fma_f64 v[20:21], -v[44:45], v[84:85], v[20:21]
	s_waitcnt lgkmcnt(0)
	v_fma_f64 v[18:19], -v[44:45], v[74:75], v[18:19]
	v_fma_f64 v[16:17], -v[44:45], v[76:77], v[16:17]
	ds_read2_b64 v[74:77], v68 offset0:25 offset1:26
	ds_read2_b64 v[82:85], v68 offset0:27 offset1:28
	v_fma_f64 v[14:15], -v[44:45], v[78:79], v[14:15]
	v_fma_f64 v[12:13], -v[44:45], v[80:81], v[12:13]
	;; [unrolled: 1-line block ×3, first 2 shown]
	s_waitcnt lgkmcnt(0)
	v_fma_f64 v[10:11], -v[44:45], v[74:75], v[10:11]
	v_fma_f64 v[8:9], -v[44:45], v[76:77], v[8:9]
	;; [unrolled: 1-line block ×4, first 2 shown]
.LBB58_148:
	s_or_b64 exec, exec, s[0:1]
	v_lshl_add_u32 v64, v69, 3, v68
	s_barrier
	ds_write_b64 v64, v[42:43]
	s_waitcnt lgkmcnt(0)
	s_barrier
	ds_read_b64 v[64:65], v68 offset:72
	s_cmp_lt_i32 s18, 11
	v_mov_b32_e32 v66, 9
	s_cbranch_scc1 .LBB58_151
; %bb.149:
	v_add_u32_e32 v73, 0x50, v68
	s_mov_b32 s0, 10
	v_mov_b32_e32 v66, 9
.LBB58_150:                             ; =>This Inner Loop Header: Depth=1
	ds_read_b64 v[74:75], v73
	v_mov_b32_e32 v76, s0
	s_add_i32 s0, s0, 1
	v_add_u32_e32 v73, 8, v73
	s_cmp_lg_u32 s18, s0
	s_waitcnt lgkmcnt(0)
	v_cmp_lt_f64_e64 vcc, |v[64:65]|, |v[74:75]|
	v_cndmask_b32_e32 v65, v65, v75, vcc
	v_cndmask_b32_e32 v64, v64, v74, vcc
	;; [unrolled: 1-line block ×3, first 2 shown]
	s_cbranch_scc1 .LBB58_150
.LBB58_151:
	s_waitcnt lgkmcnt(0)
	v_cmp_eq_f64_e32 vcc, 0, v[64:65]
	s_and_saveexec_b64 s[0:1], vcc
	s_xor_b64 s[0:1], exec, s[0:1]
; %bb.152:
	v_cmp_ne_u32_e32 vcc, 0, v72
	v_cndmask_b32_e32 v72, 10, v72, vcc
; %bb.153:
	s_andn2_saveexec_b64 s[0:1], s[0:1]
; %bb.154:
	v_div_scale_f64 v[74:75], s[2:3], v[64:65], v[64:65], 1.0
	v_rcp_f64_e32 v[76:77], v[74:75]
	v_div_scale_f64 v[78:79], vcc, 1.0, v[64:65], 1.0
	v_fma_f64 v[80:81], -v[74:75], v[76:77], 1.0
	v_fmac_f64_e32 v[76:77], v[76:77], v[80:81]
	v_fma_f64 v[80:81], -v[74:75], v[76:77], 1.0
	v_fmac_f64_e32 v[76:77], v[76:77], v[80:81]
	v_mul_f64 v[80:81], v[78:79], v[76:77]
	v_fma_f64 v[74:75], -v[74:75], v[80:81], v[78:79]
	v_div_fmas_f64 v[74:75], v[74:75], v[76:77], v[80:81]
	v_div_fixup_f64 v[64:65], v[74:75], v[64:65], 1.0
; %bb.155:
	s_or_b64 exec, exec, s[0:1]
	v_cmp_ne_u32_e32 vcc, v69, v66
	s_and_saveexec_b64 s[0:1], vcc
	s_xor_b64 s[0:1], exec, s[0:1]
	s_cbranch_execz .LBB58_161
; %bb.156:
	v_cmp_eq_u32_e32 vcc, 9, v69
	s_and_saveexec_b64 s[2:3], vcc
	s_cbranch_execz .LBB58_160
; %bb.157:
	v_cmp_ne_u32_e32 vcc, 9, v66
	s_xor_b64 s[14:15], s[6:7], -1
	s_and_b64 s[16:17], s[14:15], vcc
	s_and_saveexec_b64 s[14:15], s[16:17]
	s_cbranch_execz .LBB58_159
; %bb.158:
	v_ashrrev_i32_e32 v67, 31, v66
	v_lshlrev_b64 v[74:75], 2, v[66:67]
	v_add_co_u32_e32 v74, vcc, v4, v74
	v_addc_co_u32_e32 v75, vcc, v5, v75, vcc
	flat_load_dword v67, v[74:75]
	flat_load_dword v69, v[4:5] offset:36
	s_waitcnt vmcnt(0) lgkmcnt(0)
	flat_store_dword v[4:5], v67 offset:36
	flat_store_dword v[74:75], v69
.LBB58_159:
	s_or_b64 exec, exec, s[14:15]
	v_mov_b32_e32 v67, v66
	v_mov_b32_e32 v69, v66
.LBB58_160:
	s_or_b64 exec, exec, s[2:3]
.LBB58_161:
	s_andn2_saveexec_b64 s[0:1], s[0:1]
	s_cbranch_execz .LBB58_163
; %bb.162:
	v_mov_b32_e32 v74, v40
	v_mov_b32_e32 v75, v41
	v_mov_b32_e32 v76, v38
	v_mov_b32_e32 v77, v39
	ds_write2_b64 v68, v[74:75], v[76:77] offset0:10 offset1:11
	v_mov_b32_e32 v74, v36
	v_mov_b32_e32 v75, v37
	v_mov_b32_e32 v76, v34
	v_mov_b32_e32 v77, v35
	ds_write2_b64 v68, v[74:75], v[76:77] offset0:12 offset1:13
	;; [unrolled: 5-line block ×9, first 2 shown]
	v_mov_b32_e32 v74, v0
	v_mov_b32_e32 v75, v1
	;; [unrolled: 1-line block ×3, first 2 shown]
	ds_write2_b64 v68, v[74:75], v[62:63] offset0:28 offset1:29
.LBB58_163:
	s_or_b64 exec, exec, s[0:1]
	v_cmp_lt_i32_e32 vcc, 9, v69
	s_waitcnt lgkmcnt(0)
	s_barrier
	s_and_saveexec_b64 s[0:1], vcc
	s_cbranch_execz .LBB58_165
; %bb.164:
	ds_read2_b64 v[74:77], v68 offset0:10 offset1:11
	ds_read2_b64 v[78:81], v68 offset0:12 offset1:13
	v_mul_f64 v[42:43], v[64:65], v[42:43]
	ds_read2_b64 v[82:85], v68 offset0:14 offset1:15
	s_waitcnt lgkmcnt(0)
	v_fma_f64 v[40:41], -v[42:43], v[74:75], v[40:41]
	v_fma_f64 v[38:39], -v[42:43], v[76:77], v[38:39]
	ds_read2_b64 v[74:77], v68 offset0:16 offset1:17
	v_fma_f64 v[36:37], -v[42:43], v[78:79], v[36:37]
	v_fma_f64 v[34:35], -v[42:43], v[80:81], v[34:35]
	;; [unrolled: 1-line block ×3, first 2 shown]
	ds_read2_b64 v[78:81], v68 offset0:18 offset1:19
	v_fma_f64 v[32:33], -v[42:43], v[84:85], v[32:33]
	ds_read2_b64 v[82:85], v68 offset0:20 offset1:21
	s_waitcnt lgkmcnt(0)
	v_fma_f64 v[28:29], -v[42:43], v[74:75], v[28:29]
	v_fma_f64 v[26:27], -v[42:43], v[76:77], v[26:27]
	ds_read2_b64 v[74:77], v68 offset0:22 offset1:23
	v_fma_f64 v[24:25], -v[42:43], v[78:79], v[24:25]
	v_fma_f64 v[22:23], -v[42:43], v[80:81], v[22:23]
	ds_read2_b64 v[78:81], v68 offset0:24 offset1:25
	v_fma_f64 v[20:21], -v[42:43], v[82:83], v[20:21]
	v_fma_f64 v[18:19], -v[42:43], v[84:85], v[18:19]
	s_waitcnt lgkmcnt(0)
	v_fma_f64 v[16:17], -v[42:43], v[74:75], v[16:17]
	ds_read2_b64 v[82:85], v68 offset0:26 offset1:27
	v_fma_f64 v[14:15], -v[42:43], v[76:77], v[14:15]
	ds_read2_b64 v[74:77], v68 offset0:28 offset1:29
	v_fma_f64 v[12:13], -v[42:43], v[78:79], v[12:13]
	v_fma_f64 v[10:11], -v[42:43], v[80:81], v[10:11]
	s_waitcnt lgkmcnt(0)
	v_fma_f64 v[8:9], -v[42:43], v[82:83], v[8:9]
	v_fma_f64 v[6:7], -v[42:43], v[84:85], v[6:7]
	;; [unrolled: 1-line block ×4, first 2 shown]
.LBB58_165:
	s_or_b64 exec, exec, s[0:1]
	v_lshl_add_u32 v64, v69, 3, v68
	s_barrier
	ds_write_b64 v64, v[40:41]
	s_waitcnt lgkmcnt(0)
	s_barrier
	ds_read_b64 v[64:65], v68 offset:80
	s_cmp_lt_i32 s18, 12
	v_mov_b32_e32 v66, 10
	s_cbranch_scc1 .LBB58_168
; %bb.166:
	v_add_u32_e32 v73, 0x58, v68
	s_mov_b32 s0, 11
	v_mov_b32_e32 v66, 10
.LBB58_167:                             ; =>This Inner Loop Header: Depth=1
	ds_read_b64 v[74:75], v73
	v_mov_b32_e32 v76, s0
	s_add_i32 s0, s0, 1
	v_add_u32_e32 v73, 8, v73
	s_cmp_lg_u32 s18, s0
	s_waitcnt lgkmcnt(0)
	v_cmp_lt_f64_e64 vcc, |v[64:65]|, |v[74:75]|
	v_cndmask_b32_e32 v65, v65, v75, vcc
	v_cndmask_b32_e32 v64, v64, v74, vcc
	;; [unrolled: 1-line block ×3, first 2 shown]
	s_cbranch_scc1 .LBB58_167
.LBB58_168:
	s_waitcnt lgkmcnt(0)
	v_cmp_eq_f64_e32 vcc, 0, v[64:65]
	s_and_saveexec_b64 s[0:1], vcc
	s_xor_b64 s[0:1], exec, s[0:1]
; %bb.169:
	v_cmp_ne_u32_e32 vcc, 0, v72
	v_cndmask_b32_e32 v72, 11, v72, vcc
; %bb.170:
	s_andn2_saveexec_b64 s[0:1], s[0:1]
; %bb.171:
	v_div_scale_f64 v[74:75], s[2:3], v[64:65], v[64:65], 1.0
	v_rcp_f64_e32 v[76:77], v[74:75]
	v_div_scale_f64 v[78:79], vcc, 1.0, v[64:65], 1.0
	v_fma_f64 v[80:81], -v[74:75], v[76:77], 1.0
	v_fmac_f64_e32 v[76:77], v[76:77], v[80:81]
	v_fma_f64 v[80:81], -v[74:75], v[76:77], 1.0
	v_fmac_f64_e32 v[76:77], v[76:77], v[80:81]
	v_mul_f64 v[80:81], v[78:79], v[76:77]
	v_fma_f64 v[74:75], -v[74:75], v[80:81], v[78:79]
	v_div_fmas_f64 v[74:75], v[74:75], v[76:77], v[80:81]
	v_div_fixup_f64 v[64:65], v[74:75], v[64:65], 1.0
; %bb.172:
	s_or_b64 exec, exec, s[0:1]
	v_cmp_ne_u32_e32 vcc, v69, v66
	s_and_saveexec_b64 s[0:1], vcc
	s_xor_b64 s[0:1], exec, s[0:1]
	s_cbranch_execz .LBB58_178
; %bb.173:
	v_cmp_eq_u32_e32 vcc, 10, v69
	s_and_saveexec_b64 s[2:3], vcc
	s_cbranch_execz .LBB58_177
; %bb.174:
	v_cmp_ne_u32_e32 vcc, 10, v66
	s_xor_b64 s[14:15], s[6:7], -1
	s_and_b64 s[16:17], s[14:15], vcc
	s_and_saveexec_b64 s[14:15], s[16:17]
	s_cbranch_execz .LBB58_176
; %bb.175:
	v_ashrrev_i32_e32 v67, 31, v66
	v_lshlrev_b64 v[74:75], 2, v[66:67]
	v_add_co_u32_e32 v74, vcc, v4, v74
	v_addc_co_u32_e32 v75, vcc, v5, v75, vcc
	flat_load_dword v67, v[74:75]
	flat_load_dword v69, v[4:5] offset:40
	s_waitcnt vmcnt(0) lgkmcnt(0)
	flat_store_dword v[4:5], v67 offset:40
	flat_store_dword v[74:75], v69
.LBB58_176:
	s_or_b64 exec, exec, s[14:15]
	v_mov_b32_e32 v67, v66
	v_mov_b32_e32 v69, v66
.LBB58_177:
	s_or_b64 exec, exec, s[2:3]
.LBB58_178:
	s_andn2_saveexec_b64 s[0:1], s[0:1]
	s_cbranch_execz .LBB58_180
; %bb.179:
	v_mov_b32_e32 v69, 10
	ds_write2_b64 v68, v[38:39], v[36:37] offset0:11 offset1:12
	ds_write2_b64 v68, v[34:35], v[30:31] offset0:13 offset1:14
	;; [unrolled: 1-line block ×9, first 2 shown]
	ds_write_b64 v68, v[62:63] offset:232
.LBB58_180:
	s_or_b64 exec, exec, s[0:1]
	v_cmp_lt_i32_e32 vcc, 10, v69
	s_waitcnt lgkmcnt(0)
	s_barrier
	s_and_saveexec_b64 s[0:1], vcc
	s_cbranch_execz .LBB58_182
; %bb.181:
	ds_read2_b64 v[74:77], v68 offset0:11 offset1:12
	ds_read2_b64 v[78:81], v68 offset0:13 offset1:14
	;; [unrolled: 1-line block ×3, first 2 shown]
	v_mul_f64 v[40:41], v[64:65], v[40:41]
	ds_read_b64 v[64:65], v68 offset:232
	s_waitcnt lgkmcnt(0)
	v_fma_f64 v[38:39], -v[40:41], v[74:75], v[38:39]
	v_fma_f64 v[36:37], -v[40:41], v[76:77], v[36:37]
	ds_read2_b64 v[74:77], v68 offset0:17 offset1:18
	v_fma_f64 v[34:35], -v[40:41], v[78:79], v[34:35]
	v_fma_f64 v[30:31], -v[40:41], v[80:81], v[30:31]
	v_fma_f64 v[32:33], -v[40:41], v[82:83], v[32:33]
	ds_read2_b64 v[78:81], v68 offset0:19 offset1:20
	v_fma_f64 v[28:29], -v[40:41], v[84:85], v[28:29]
	ds_read2_b64 v[82:85], v68 offset0:21 offset1:22
	s_waitcnt lgkmcnt(0)
	v_fma_f64 v[26:27], -v[40:41], v[74:75], v[26:27]
	v_fma_f64 v[24:25], -v[40:41], v[76:77], v[24:25]
	;; [unrolled: 1-line block ×3, first 2 shown]
	ds_read2_b64 v[74:77], v68 offset0:23 offset1:24
	v_fma_f64 v[20:21], -v[40:41], v[80:81], v[20:21]
	ds_read2_b64 v[78:81], v68 offset0:25 offset1:26
	v_fma_f64 v[18:19], -v[40:41], v[82:83], v[18:19]
	v_fma_f64 v[16:17], -v[40:41], v[84:85], v[16:17]
	ds_read2_b64 v[82:85], v68 offset0:27 offset1:28
	s_waitcnt lgkmcnt(0)
	v_fma_f64 v[14:15], -v[40:41], v[74:75], v[14:15]
	v_fma_f64 v[12:13], -v[40:41], v[76:77], v[12:13]
	;; [unrolled: 1-line block ×7, first 2 shown]
.LBB58_182:
	s_or_b64 exec, exec, s[0:1]
	v_lshl_add_u32 v64, v69, 3, v68
	s_barrier
	ds_write_b64 v64, v[38:39]
	s_waitcnt lgkmcnt(0)
	s_barrier
	ds_read_b64 v[64:65], v68 offset:88
	s_cmp_lt_i32 s18, 13
	v_mov_b32_e32 v66, 11
	s_cbranch_scc1 .LBB58_185
; %bb.183:
	v_add_u32_e32 v73, 0x60, v68
	s_mov_b32 s0, 12
	v_mov_b32_e32 v66, 11
.LBB58_184:                             ; =>This Inner Loop Header: Depth=1
	ds_read_b64 v[74:75], v73
	v_mov_b32_e32 v76, s0
	s_add_i32 s0, s0, 1
	v_add_u32_e32 v73, 8, v73
	s_cmp_lg_u32 s18, s0
	s_waitcnt lgkmcnt(0)
	v_cmp_lt_f64_e64 vcc, |v[64:65]|, |v[74:75]|
	v_cndmask_b32_e32 v65, v65, v75, vcc
	v_cndmask_b32_e32 v64, v64, v74, vcc
	;; [unrolled: 1-line block ×3, first 2 shown]
	s_cbranch_scc1 .LBB58_184
.LBB58_185:
	s_waitcnt lgkmcnt(0)
	v_cmp_eq_f64_e32 vcc, 0, v[64:65]
	s_and_saveexec_b64 s[0:1], vcc
	s_xor_b64 s[0:1], exec, s[0:1]
; %bb.186:
	v_cmp_ne_u32_e32 vcc, 0, v72
	v_cndmask_b32_e32 v72, 12, v72, vcc
; %bb.187:
	s_andn2_saveexec_b64 s[0:1], s[0:1]
; %bb.188:
	v_div_scale_f64 v[74:75], s[2:3], v[64:65], v[64:65], 1.0
	v_rcp_f64_e32 v[76:77], v[74:75]
	v_div_scale_f64 v[78:79], vcc, 1.0, v[64:65], 1.0
	v_fma_f64 v[80:81], -v[74:75], v[76:77], 1.0
	v_fmac_f64_e32 v[76:77], v[76:77], v[80:81]
	v_fma_f64 v[80:81], -v[74:75], v[76:77], 1.0
	v_fmac_f64_e32 v[76:77], v[76:77], v[80:81]
	v_mul_f64 v[80:81], v[78:79], v[76:77]
	v_fma_f64 v[74:75], -v[74:75], v[80:81], v[78:79]
	v_div_fmas_f64 v[74:75], v[74:75], v[76:77], v[80:81]
	v_div_fixup_f64 v[64:65], v[74:75], v[64:65], 1.0
; %bb.189:
	s_or_b64 exec, exec, s[0:1]
	v_cmp_ne_u32_e32 vcc, v69, v66
	s_and_saveexec_b64 s[0:1], vcc
	s_xor_b64 s[0:1], exec, s[0:1]
	s_cbranch_execz .LBB58_195
; %bb.190:
	v_cmp_eq_u32_e32 vcc, 11, v69
	s_and_saveexec_b64 s[2:3], vcc
	s_cbranch_execz .LBB58_194
; %bb.191:
	v_cmp_ne_u32_e32 vcc, 11, v66
	s_xor_b64 s[14:15], s[6:7], -1
	s_and_b64 s[16:17], s[14:15], vcc
	s_and_saveexec_b64 s[14:15], s[16:17]
	s_cbranch_execz .LBB58_193
; %bb.192:
	v_ashrrev_i32_e32 v67, 31, v66
	v_lshlrev_b64 v[74:75], 2, v[66:67]
	v_add_co_u32_e32 v74, vcc, v4, v74
	v_addc_co_u32_e32 v75, vcc, v5, v75, vcc
	flat_load_dword v67, v[74:75]
	flat_load_dword v69, v[4:5] offset:44
	s_waitcnt vmcnt(0) lgkmcnt(0)
	flat_store_dword v[4:5], v67 offset:44
	flat_store_dword v[74:75], v69
.LBB58_193:
	s_or_b64 exec, exec, s[14:15]
	v_mov_b32_e32 v67, v66
	v_mov_b32_e32 v69, v66
.LBB58_194:
	s_or_b64 exec, exec, s[2:3]
.LBB58_195:
	s_andn2_saveexec_b64 s[0:1], s[0:1]
	s_cbranch_execz .LBB58_197
; %bb.196:
	v_mov_b32_e32 v74, v36
	v_mov_b32_e32 v75, v37
	v_mov_b32_e32 v76, v34
	v_mov_b32_e32 v77, v35
	ds_write2_b64 v68, v[74:75], v[76:77] offset0:12 offset1:13
	v_mov_b32_e32 v74, v30
	v_mov_b32_e32 v75, v31
	v_mov_b32_e32 v76, v32
	v_mov_b32_e32 v77, v33
	ds_write2_b64 v68, v[74:75], v[76:77] offset0:14 offset1:15
	v_mov_b32_e32 v74, v28
	v_mov_b32_e32 v75, v29
	v_mov_b32_e32 v76, v26
	v_mov_b32_e32 v77, v27
	ds_write2_b64 v68, v[74:75], v[76:77] offset0:16 offset1:17
	v_mov_b32_e32 v74, v24
	v_mov_b32_e32 v75, v25
	v_mov_b32_e32 v76, v22
	v_mov_b32_e32 v77, v23
	ds_write2_b64 v68, v[74:75], v[76:77] offset0:18 offset1:19
	v_mov_b32_e32 v74, v20
	v_mov_b32_e32 v75, v21
	v_mov_b32_e32 v76, v18
	v_mov_b32_e32 v77, v19
	ds_write2_b64 v68, v[74:75], v[76:77] offset0:20 offset1:21
	v_mov_b32_e32 v74, v16
	v_mov_b32_e32 v75, v17
	v_mov_b32_e32 v76, v14
	v_mov_b32_e32 v77, v15
	ds_write2_b64 v68, v[74:75], v[76:77] offset0:22 offset1:23
	v_mov_b32_e32 v74, v12
	v_mov_b32_e32 v75, v13
	v_mov_b32_e32 v76, v10
	v_mov_b32_e32 v77, v11
	ds_write2_b64 v68, v[74:75], v[76:77] offset0:24 offset1:25
	v_mov_b32_e32 v74, v8
	v_mov_b32_e32 v75, v9
	v_mov_b32_e32 v76, v6
	v_mov_b32_e32 v77, v7
	ds_write2_b64 v68, v[74:75], v[76:77] offset0:26 offset1:27
	v_mov_b32_e32 v74, v0
	v_mov_b32_e32 v75, v1
	;; [unrolled: 1-line block ×3, first 2 shown]
	ds_write2_b64 v68, v[74:75], v[62:63] offset0:28 offset1:29
.LBB58_197:
	s_or_b64 exec, exec, s[0:1]
	v_cmp_lt_i32_e32 vcc, 11, v69
	s_waitcnt lgkmcnt(0)
	s_barrier
	s_and_saveexec_b64 s[0:1], vcc
	s_cbranch_execz .LBB58_199
; %bb.198:
	ds_read2_b64 v[74:77], v68 offset0:12 offset1:13
	ds_read2_b64 v[78:81], v68 offset0:14 offset1:15
	;; [unrolled: 1-line block ×3, first 2 shown]
	v_mul_f64 v[38:39], v[64:65], v[38:39]
	s_waitcnt lgkmcnt(0)
	v_fma_f64 v[36:37], -v[38:39], v[74:75], v[36:37]
	v_fma_f64 v[34:35], -v[38:39], v[76:77], v[34:35]
	ds_read2_b64 v[74:77], v68 offset0:18 offset1:19
	v_fma_f64 v[30:31], -v[38:39], v[78:79], v[30:31]
	v_fma_f64 v[32:33], -v[38:39], v[80:81], v[32:33]
	;; [unrolled: 1-line block ×3, first 2 shown]
	ds_read2_b64 v[78:81], v68 offset0:20 offset1:21
	v_fma_f64 v[26:27], -v[38:39], v[84:85], v[26:27]
	ds_read2_b64 v[82:85], v68 offset0:22 offset1:23
	s_waitcnt lgkmcnt(0)
	v_fma_f64 v[24:25], -v[38:39], v[74:75], v[24:25]
	v_fma_f64 v[22:23], -v[38:39], v[76:77], v[22:23]
	v_fma_f64 v[20:21], -v[38:39], v[78:79], v[20:21]
	v_fma_f64 v[18:19], -v[38:39], v[80:81], v[18:19]
	ds_read2_b64 v[74:77], v68 offset0:24 offset1:25
	ds_read2_b64 v[78:81], v68 offset0:26 offset1:27
	v_fma_f64 v[16:17], -v[38:39], v[82:83], v[16:17]
	v_fma_f64 v[14:15], -v[38:39], v[84:85], v[14:15]
	ds_read2_b64 v[82:85], v68 offset0:28 offset1:29
	s_waitcnt lgkmcnt(0)
	v_fma_f64 v[12:13], -v[38:39], v[74:75], v[12:13]
	v_fma_f64 v[10:11], -v[38:39], v[76:77], v[10:11]
	;; [unrolled: 1-line block ×6, first 2 shown]
.LBB58_199:
	s_or_b64 exec, exec, s[0:1]
	v_lshl_add_u32 v64, v69, 3, v68
	s_barrier
	ds_write_b64 v64, v[36:37]
	s_waitcnt lgkmcnt(0)
	s_barrier
	ds_read_b64 v[64:65], v68 offset:96
	s_cmp_lt_i32 s18, 14
	v_mov_b32_e32 v66, 12
	s_cbranch_scc1 .LBB58_202
; %bb.200:
	v_add_u32_e32 v73, 0x68, v68
	s_mov_b32 s0, 13
	v_mov_b32_e32 v66, 12
.LBB58_201:                             ; =>This Inner Loop Header: Depth=1
	ds_read_b64 v[74:75], v73
	v_mov_b32_e32 v76, s0
	s_add_i32 s0, s0, 1
	v_add_u32_e32 v73, 8, v73
	s_cmp_lg_u32 s18, s0
	s_waitcnt lgkmcnt(0)
	v_cmp_lt_f64_e64 vcc, |v[64:65]|, |v[74:75]|
	v_cndmask_b32_e32 v65, v65, v75, vcc
	v_cndmask_b32_e32 v64, v64, v74, vcc
	;; [unrolled: 1-line block ×3, first 2 shown]
	s_cbranch_scc1 .LBB58_201
.LBB58_202:
	s_waitcnt lgkmcnt(0)
	v_cmp_eq_f64_e32 vcc, 0, v[64:65]
	s_and_saveexec_b64 s[0:1], vcc
	s_xor_b64 s[0:1], exec, s[0:1]
; %bb.203:
	v_cmp_ne_u32_e32 vcc, 0, v72
	v_cndmask_b32_e32 v72, 13, v72, vcc
; %bb.204:
	s_andn2_saveexec_b64 s[0:1], s[0:1]
; %bb.205:
	v_div_scale_f64 v[74:75], s[2:3], v[64:65], v[64:65], 1.0
	v_rcp_f64_e32 v[76:77], v[74:75]
	v_div_scale_f64 v[78:79], vcc, 1.0, v[64:65], 1.0
	v_fma_f64 v[80:81], -v[74:75], v[76:77], 1.0
	v_fmac_f64_e32 v[76:77], v[76:77], v[80:81]
	v_fma_f64 v[80:81], -v[74:75], v[76:77], 1.0
	v_fmac_f64_e32 v[76:77], v[76:77], v[80:81]
	v_mul_f64 v[80:81], v[78:79], v[76:77]
	v_fma_f64 v[74:75], -v[74:75], v[80:81], v[78:79]
	v_div_fmas_f64 v[74:75], v[74:75], v[76:77], v[80:81]
	v_div_fixup_f64 v[64:65], v[74:75], v[64:65], 1.0
; %bb.206:
	s_or_b64 exec, exec, s[0:1]
	v_cmp_ne_u32_e32 vcc, v69, v66
	s_and_saveexec_b64 s[0:1], vcc
	s_xor_b64 s[0:1], exec, s[0:1]
	s_cbranch_execz .LBB58_212
; %bb.207:
	v_cmp_eq_u32_e32 vcc, 12, v69
	s_and_saveexec_b64 s[2:3], vcc
	s_cbranch_execz .LBB58_211
; %bb.208:
	v_cmp_ne_u32_e32 vcc, 12, v66
	s_xor_b64 s[14:15], s[6:7], -1
	s_and_b64 s[16:17], s[14:15], vcc
	s_and_saveexec_b64 s[14:15], s[16:17]
	s_cbranch_execz .LBB58_210
; %bb.209:
	v_ashrrev_i32_e32 v67, 31, v66
	v_lshlrev_b64 v[74:75], 2, v[66:67]
	v_add_co_u32_e32 v74, vcc, v4, v74
	v_addc_co_u32_e32 v75, vcc, v5, v75, vcc
	flat_load_dword v67, v[74:75]
	flat_load_dword v69, v[4:5] offset:48
	s_waitcnt vmcnt(0) lgkmcnt(0)
	flat_store_dword v[4:5], v67 offset:48
	flat_store_dword v[74:75], v69
.LBB58_210:
	s_or_b64 exec, exec, s[14:15]
	v_mov_b32_e32 v67, v66
	v_mov_b32_e32 v69, v66
.LBB58_211:
	s_or_b64 exec, exec, s[2:3]
.LBB58_212:
	s_andn2_saveexec_b64 s[0:1], s[0:1]
	s_cbranch_execz .LBB58_214
; %bb.213:
	v_mov_b32_e32 v69, 12
	ds_write2_b64 v68, v[34:35], v[30:31] offset0:13 offset1:14
	ds_write2_b64 v68, v[32:33], v[28:29] offset0:15 offset1:16
	ds_write2_b64 v68, v[26:27], v[24:25] offset0:17 offset1:18
	ds_write2_b64 v68, v[22:23], v[20:21] offset0:19 offset1:20
	ds_write2_b64 v68, v[18:19], v[16:17] offset0:21 offset1:22
	ds_write2_b64 v68, v[14:15], v[12:13] offset0:23 offset1:24
	ds_write2_b64 v68, v[10:11], v[8:9] offset0:25 offset1:26
	ds_write2_b64 v68, v[6:7], v[0:1] offset0:27 offset1:28
	ds_write_b64 v68, v[62:63] offset:232
.LBB58_214:
	s_or_b64 exec, exec, s[0:1]
	v_cmp_lt_i32_e32 vcc, 12, v69
	s_waitcnt lgkmcnt(0)
	s_barrier
	s_and_saveexec_b64 s[0:1], vcc
	s_cbranch_execz .LBB58_216
; %bb.215:
	ds_read2_b64 v[74:77], v68 offset0:13 offset1:14
	ds_read2_b64 v[78:81], v68 offset0:15 offset1:16
	v_mul_f64 v[36:37], v[64:65], v[36:37]
	ds_read2_b64 v[82:85], v68 offset0:17 offset1:18
	ds_read_b64 v[64:65], v68 offset:232
	s_waitcnt lgkmcnt(0)
	v_fma_f64 v[34:35], -v[36:37], v[74:75], v[34:35]
	v_fma_f64 v[30:31], -v[36:37], v[76:77], v[30:31]
	ds_read2_b64 v[74:77], v68 offset0:19 offset1:20
	v_fma_f64 v[32:33], -v[36:37], v[78:79], v[32:33]
	v_fma_f64 v[28:29], -v[36:37], v[80:81], v[28:29]
	ds_read2_b64 v[78:81], v68 offset0:21 offset1:22
	;; [unrolled: 3-line block ×3, first 2 shown]
	s_waitcnt lgkmcnt(0)
	v_fma_f64 v[22:23], -v[36:37], v[74:75], v[22:23]
	v_fma_f64 v[20:21], -v[36:37], v[76:77], v[20:21]
	;; [unrolled: 1-line block ×4, first 2 shown]
	ds_read2_b64 v[74:77], v68 offset0:25 offset1:26
	ds_read2_b64 v[78:81], v68 offset0:27 offset1:28
	v_fma_f64 v[14:15], -v[36:37], v[82:83], v[14:15]
	v_fma_f64 v[12:13], -v[36:37], v[84:85], v[12:13]
	;; [unrolled: 1-line block ×3, first 2 shown]
	s_waitcnt lgkmcnt(0)
	v_fma_f64 v[10:11], -v[36:37], v[74:75], v[10:11]
	v_fma_f64 v[8:9], -v[36:37], v[76:77], v[8:9]
	v_fma_f64 v[6:7], -v[36:37], v[78:79], v[6:7]
	v_fma_f64 v[0:1], -v[36:37], v[80:81], v[0:1]
.LBB58_216:
	s_or_b64 exec, exec, s[0:1]
	v_lshl_add_u32 v64, v69, 3, v68
	s_barrier
	ds_write_b64 v64, v[34:35]
	s_waitcnt lgkmcnt(0)
	s_barrier
	ds_read_b64 v[64:65], v68 offset:104
	s_cmp_lt_i32 s18, 15
	v_mov_b32_e32 v66, 13
	s_cbranch_scc1 .LBB58_219
; %bb.217:
	v_add_u32_e32 v73, 0x70, v68
	s_mov_b32 s0, 14
	v_mov_b32_e32 v66, 13
.LBB58_218:                             ; =>This Inner Loop Header: Depth=1
	ds_read_b64 v[74:75], v73
	v_mov_b32_e32 v76, s0
	s_add_i32 s0, s0, 1
	v_add_u32_e32 v73, 8, v73
	s_cmp_lg_u32 s18, s0
	s_waitcnt lgkmcnt(0)
	v_cmp_lt_f64_e64 vcc, |v[64:65]|, |v[74:75]|
	v_cndmask_b32_e32 v65, v65, v75, vcc
	v_cndmask_b32_e32 v64, v64, v74, vcc
	;; [unrolled: 1-line block ×3, first 2 shown]
	s_cbranch_scc1 .LBB58_218
.LBB58_219:
	s_waitcnt lgkmcnt(0)
	v_cmp_eq_f64_e32 vcc, 0, v[64:65]
	s_and_saveexec_b64 s[0:1], vcc
	s_xor_b64 s[0:1], exec, s[0:1]
; %bb.220:
	v_cmp_ne_u32_e32 vcc, 0, v72
	v_cndmask_b32_e32 v72, 14, v72, vcc
; %bb.221:
	s_andn2_saveexec_b64 s[0:1], s[0:1]
; %bb.222:
	v_div_scale_f64 v[74:75], s[2:3], v[64:65], v[64:65], 1.0
	v_rcp_f64_e32 v[76:77], v[74:75]
	v_div_scale_f64 v[78:79], vcc, 1.0, v[64:65], 1.0
	v_fma_f64 v[80:81], -v[74:75], v[76:77], 1.0
	v_fmac_f64_e32 v[76:77], v[76:77], v[80:81]
	v_fma_f64 v[80:81], -v[74:75], v[76:77], 1.0
	v_fmac_f64_e32 v[76:77], v[76:77], v[80:81]
	v_mul_f64 v[80:81], v[78:79], v[76:77]
	v_fma_f64 v[74:75], -v[74:75], v[80:81], v[78:79]
	v_div_fmas_f64 v[74:75], v[74:75], v[76:77], v[80:81]
	v_div_fixup_f64 v[64:65], v[74:75], v[64:65], 1.0
; %bb.223:
	s_or_b64 exec, exec, s[0:1]
	v_cmp_ne_u32_e32 vcc, v69, v66
	s_and_saveexec_b64 s[0:1], vcc
	s_xor_b64 s[0:1], exec, s[0:1]
	s_cbranch_execz .LBB58_229
; %bb.224:
	v_cmp_eq_u32_e32 vcc, 13, v69
	s_and_saveexec_b64 s[2:3], vcc
	s_cbranch_execz .LBB58_228
; %bb.225:
	v_cmp_ne_u32_e32 vcc, 13, v66
	s_xor_b64 s[14:15], s[6:7], -1
	s_and_b64 s[16:17], s[14:15], vcc
	s_and_saveexec_b64 s[14:15], s[16:17]
	s_cbranch_execz .LBB58_227
; %bb.226:
	v_ashrrev_i32_e32 v67, 31, v66
	v_lshlrev_b64 v[74:75], 2, v[66:67]
	v_add_co_u32_e32 v74, vcc, v4, v74
	v_addc_co_u32_e32 v75, vcc, v5, v75, vcc
	flat_load_dword v67, v[74:75]
	flat_load_dword v69, v[4:5] offset:52
	s_waitcnt vmcnt(0) lgkmcnt(0)
	flat_store_dword v[4:5], v67 offset:52
	flat_store_dword v[74:75], v69
.LBB58_227:
	s_or_b64 exec, exec, s[14:15]
	v_mov_b32_e32 v67, v66
	v_mov_b32_e32 v69, v66
.LBB58_228:
	s_or_b64 exec, exec, s[2:3]
.LBB58_229:
	s_andn2_saveexec_b64 s[0:1], s[0:1]
	s_cbranch_execz .LBB58_231
; %bb.230:
	v_mov_b32_e32 v74, v30
	v_mov_b32_e32 v75, v31
	v_mov_b32_e32 v76, v32
	v_mov_b32_e32 v77, v33
	ds_write2_b64 v68, v[74:75], v[76:77] offset0:14 offset1:15
	v_mov_b32_e32 v74, v28
	v_mov_b32_e32 v75, v29
	v_mov_b32_e32 v76, v26
	v_mov_b32_e32 v77, v27
	ds_write2_b64 v68, v[74:75], v[76:77] offset0:16 offset1:17
	;; [unrolled: 5-line block ×7, first 2 shown]
	v_mov_b32_e32 v74, v0
	v_mov_b32_e32 v75, v1
	;; [unrolled: 1-line block ×3, first 2 shown]
	ds_write2_b64 v68, v[74:75], v[62:63] offset0:28 offset1:29
.LBB58_231:
	s_or_b64 exec, exec, s[0:1]
	v_cmp_lt_i32_e32 vcc, 13, v69
	s_waitcnt lgkmcnt(0)
	s_barrier
	s_and_saveexec_b64 s[0:1], vcc
	s_cbranch_execz .LBB58_233
; %bb.232:
	ds_read2_b64 v[74:77], v68 offset0:14 offset1:15
	ds_read2_b64 v[78:81], v68 offset0:16 offset1:17
	v_mul_f64 v[34:35], v[64:65], v[34:35]
	ds_read2_b64 v[82:85], v68 offset0:18 offset1:19
	s_waitcnt lgkmcnt(0)
	v_fma_f64 v[30:31], -v[34:35], v[74:75], v[30:31]
	v_fma_f64 v[32:33], -v[34:35], v[76:77], v[32:33]
	ds_read2_b64 v[74:77], v68 offset0:20 offset1:21
	v_fma_f64 v[28:29], -v[34:35], v[78:79], v[28:29]
	v_fma_f64 v[26:27], -v[34:35], v[80:81], v[26:27]
	ds_read2_b64 v[78:81], v68 offset0:22 offset1:23
	v_fma_f64 v[24:25], -v[34:35], v[82:83], v[24:25]
	v_fma_f64 v[22:23], -v[34:35], v[84:85], v[22:23]
	s_waitcnt lgkmcnt(0)
	v_fma_f64 v[20:21], -v[34:35], v[74:75], v[20:21]
	v_fma_f64 v[18:19], -v[34:35], v[76:77], v[18:19]
	ds_read2_b64 v[74:77], v68 offset0:24 offset1:25
	v_fma_f64 v[16:17], -v[34:35], v[78:79], v[16:17]
	ds_read2_b64 v[82:85], v68 offset0:26 offset1:27
	;; [unrolled: 2-line block ×3, first 2 shown]
	s_waitcnt lgkmcnt(0)
	v_fma_f64 v[12:13], -v[34:35], v[74:75], v[12:13]
	v_fma_f64 v[10:11], -v[34:35], v[76:77], v[10:11]
	;; [unrolled: 1-line block ×6, first 2 shown]
.LBB58_233:
	s_or_b64 exec, exec, s[0:1]
	v_lshl_add_u32 v64, v69, 3, v68
	s_barrier
	ds_write_b64 v64, v[30:31]
	s_waitcnt lgkmcnt(0)
	s_barrier
	ds_read_b64 v[64:65], v68 offset:112
	s_cmp_lt_i32 s18, 16
	v_mov_b32_e32 v66, 14
	s_cbranch_scc1 .LBB58_236
; %bb.234:
	v_add_u32_e32 v73, 0x78, v68
	s_mov_b32 s0, 15
	v_mov_b32_e32 v66, 14
.LBB58_235:                             ; =>This Inner Loop Header: Depth=1
	ds_read_b64 v[74:75], v73
	v_mov_b32_e32 v76, s0
	s_add_i32 s0, s0, 1
	v_add_u32_e32 v73, 8, v73
	s_cmp_lg_u32 s18, s0
	s_waitcnt lgkmcnt(0)
	v_cmp_lt_f64_e64 vcc, |v[64:65]|, |v[74:75]|
	v_cndmask_b32_e32 v65, v65, v75, vcc
	v_cndmask_b32_e32 v64, v64, v74, vcc
	;; [unrolled: 1-line block ×3, first 2 shown]
	s_cbranch_scc1 .LBB58_235
.LBB58_236:
	s_waitcnt lgkmcnt(0)
	v_cmp_eq_f64_e32 vcc, 0, v[64:65]
	s_and_saveexec_b64 s[0:1], vcc
	s_xor_b64 s[0:1], exec, s[0:1]
; %bb.237:
	v_cmp_ne_u32_e32 vcc, 0, v72
	v_cndmask_b32_e32 v72, 15, v72, vcc
; %bb.238:
	s_andn2_saveexec_b64 s[0:1], s[0:1]
; %bb.239:
	v_div_scale_f64 v[74:75], s[2:3], v[64:65], v[64:65], 1.0
	v_rcp_f64_e32 v[76:77], v[74:75]
	v_div_scale_f64 v[78:79], vcc, 1.0, v[64:65], 1.0
	v_fma_f64 v[80:81], -v[74:75], v[76:77], 1.0
	v_fmac_f64_e32 v[76:77], v[76:77], v[80:81]
	v_fma_f64 v[80:81], -v[74:75], v[76:77], 1.0
	v_fmac_f64_e32 v[76:77], v[76:77], v[80:81]
	v_mul_f64 v[80:81], v[78:79], v[76:77]
	v_fma_f64 v[74:75], -v[74:75], v[80:81], v[78:79]
	v_div_fmas_f64 v[74:75], v[74:75], v[76:77], v[80:81]
	v_div_fixup_f64 v[64:65], v[74:75], v[64:65], 1.0
; %bb.240:
	s_or_b64 exec, exec, s[0:1]
	v_cmp_ne_u32_e32 vcc, v69, v66
	s_and_saveexec_b64 s[0:1], vcc
	s_xor_b64 s[0:1], exec, s[0:1]
	s_cbranch_execz .LBB58_246
; %bb.241:
	v_cmp_eq_u32_e32 vcc, 14, v69
	s_and_saveexec_b64 s[2:3], vcc
	s_cbranch_execz .LBB58_245
; %bb.242:
	v_cmp_ne_u32_e32 vcc, 14, v66
	s_xor_b64 s[14:15], s[6:7], -1
	s_and_b64 s[16:17], s[14:15], vcc
	s_and_saveexec_b64 s[14:15], s[16:17]
	s_cbranch_execz .LBB58_244
; %bb.243:
	v_ashrrev_i32_e32 v67, 31, v66
	v_lshlrev_b64 v[74:75], 2, v[66:67]
	v_add_co_u32_e32 v74, vcc, v4, v74
	v_addc_co_u32_e32 v75, vcc, v5, v75, vcc
	flat_load_dword v67, v[74:75]
	flat_load_dword v69, v[4:5] offset:56
	s_waitcnt vmcnt(0) lgkmcnt(0)
	flat_store_dword v[4:5], v67 offset:56
	flat_store_dword v[74:75], v69
.LBB58_244:
	s_or_b64 exec, exec, s[14:15]
	v_mov_b32_e32 v67, v66
	v_mov_b32_e32 v69, v66
.LBB58_245:
	s_or_b64 exec, exec, s[2:3]
.LBB58_246:
	s_andn2_saveexec_b64 s[0:1], s[0:1]
	s_cbranch_execz .LBB58_248
; %bb.247:
	v_mov_b32_e32 v69, 14
	ds_write2_b64 v68, v[32:33], v[28:29] offset0:15 offset1:16
	ds_write2_b64 v68, v[26:27], v[24:25] offset0:17 offset1:18
	;; [unrolled: 1-line block ×7, first 2 shown]
	ds_write_b64 v68, v[62:63] offset:232
.LBB58_248:
	s_or_b64 exec, exec, s[0:1]
	v_cmp_lt_i32_e32 vcc, 14, v69
	s_waitcnt lgkmcnt(0)
	s_barrier
	s_and_saveexec_b64 s[0:1], vcc
	s_cbranch_execz .LBB58_250
; %bb.249:
	ds_read2_b64 v[74:77], v68 offset0:15 offset1:16
	ds_read2_b64 v[78:81], v68 offset0:17 offset1:18
	v_mul_f64 v[30:31], v[64:65], v[30:31]
	ds_read2_b64 v[82:85], v68 offset0:19 offset1:20
	ds_read_b64 v[64:65], v68 offset:232
	s_waitcnt lgkmcnt(0)
	v_fma_f64 v[32:33], -v[30:31], v[74:75], v[32:33]
	v_fma_f64 v[28:29], -v[30:31], v[76:77], v[28:29]
	ds_read2_b64 v[74:77], v68 offset0:21 offset1:22
	v_fma_f64 v[26:27], -v[30:31], v[78:79], v[26:27]
	v_fma_f64 v[24:25], -v[30:31], v[80:81], v[24:25]
	;; [unrolled: 1-line block ×3, first 2 shown]
	ds_read2_b64 v[78:81], v68 offset0:23 offset1:24
	v_fma_f64 v[20:21], -v[30:31], v[84:85], v[20:21]
	s_waitcnt lgkmcnt(0)
	v_fma_f64 v[18:19], -v[30:31], v[74:75], v[18:19]
	v_fma_f64 v[16:17], -v[30:31], v[76:77], v[16:17]
	ds_read2_b64 v[74:77], v68 offset0:25 offset1:26
	ds_read2_b64 v[82:85], v68 offset0:27 offset1:28
	v_fma_f64 v[14:15], -v[30:31], v[78:79], v[14:15]
	v_fma_f64 v[12:13], -v[30:31], v[80:81], v[12:13]
	;; [unrolled: 1-line block ×3, first 2 shown]
	s_waitcnt lgkmcnt(0)
	v_fma_f64 v[10:11], -v[30:31], v[74:75], v[10:11]
	v_fma_f64 v[8:9], -v[30:31], v[76:77], v[8:9]
	;; [unrolled: 1-line block ×4, first 2 shown]
.LBB58_250:
	s_or_b64 exec, exec, s[0:1]
	v_lshl_add_u32 v64, v69, 3, v68
	s_barrier
	ds_write_b64 v64, v[32:33]
	s_waitcnt lgkmcnt(0)
	s_barrier
	ds_read_b64 v[64:65], v68 offset:120
	s_cmp_lt_i32 s18, 17
	v_mov_b32_e32 v66, 15
	s_cbranch_scc1 .LBB58_253
; %bb.251:
	v_add_u32_e32 v73, 0x80, v68
	s_mov_b32 s0, 16
	v_mov_b32_e32 v66, 15
.LBB58_252:                             ; =>This Inner Loop Header: Depth=1
	ds_read_b64 v[74:75], v73
	v_mov_b32_e32 v76, s0
	s_add_i32 s0, s0, 1
	v_add_u32_e32 v73, 8, v73
	s_cmp_lg_u32 s18, s0
	s_waitcnt lgkmcnt(0)
	v_cmp_lt_f64_e64 vcc, |v[64:65]|, |v[74:75]|
	v_cndmask_b32_e32 v65, v65, v75, vcc
	v_cndmask_b32_e32 v64, v64, v74, vcc
	;; [unrolled: 1-line block ×3, first 2 shown]
	s_cbranch_scc1 .LBB58_252
.LBB58_253:
	s_waitcnt lgkmcnt(0)
	v_cmp_eq_f64_e32 vcc, 0, v[64:65]
	s_and_saveexec_b64 s[0:1], vcc
	s_xor_b64 s[0:1], exec, s[0:1]
; %bb.254:
	v_cmp_ne_u32_e32 vcc, 0, v72
	v_cndmask_b32_e32 v72, 16, v72, vcc
; %bb.255:
	s_andn2_saveexec_b64 s[0:1], s[0:1]
; %bb.256:
	v_div_scale_f64 v[74:75], s[2:3], v[64:65], v[64:65], 1.0
	v_rcp_f64_e32 v[76:77], v[74:75]
	v_div_scale_f64 v[78:79], vcc, 1.0, v[64:65], 1.0
	v_fma_f64 v[80:81], -v[74:75], v[76:77], 1.0
	v_fmac_f64_e32 v[76:77], v[76:77], v[80:81]
	v_fma_f64 v[80:81], -v[74:75], v[76:77], 1.0
	v_fmac_f64_e32 v[76:77], v[76:77], v[80:81]
	v_mul_f64 v[80:81], v[78:79], v[76:77]
	v_fma_f64 v[74:75], -v[74:75], v[80:81], v[78:79]
	v_div_fmas_f64 v[74:75], v[74:75], v[76:77], v[80:81]
	v_div_fixup_f64 v[64:65], v[74:75], v[64:65], 1.0
; %bb.257:
	s_or_b64 exec, exec, s[0:1]
	v_cmp_ne_u32_e32 vcc, v69, v66
	s_and_saveexec_b64 s[0:1], vcc
	s_xor_b64 s[0:1], exec, s[0:1]
	s_cbranch_execz .LBB58_263
; %bb.258:
	v_cmp_eq_u32_e32 vcc, 15, v69
	s_and_saveexec_b64 s[2:3], vcc
	s_cbranch_execz .LBB58_262
; %bb.259:
	v_cmp_ne_u32_e32 vcc, 15, v66
	s_xor_b64 s[14:15], s[6:7], -1
	s_and_b64 s[16:17], s[14:15], vcc
	s_and_saveexec_b64 s[14:15], s[16:17]
	s_cbranch_execz .LBB58_261
; %bb.260:
	v_ashrrev_i32_e32 v67, 31, v66
	v_lshlrev_b64 v[74:75], 2, v[66:67]
	v_add_co_u32_e32 v74, vcc, v4, v74
	v_addc_co_u32_e32 v75, vcc, v5, v75, vcc
	flat_load_dword v67, v[74:75]
	flat_load_dword v69, v[4:5] offset:60
	s_waitcnt vmcnt(0) lgkmcnt(0)
	flat_store_dword v[4:5], v67 offset:60
	flat_store_dword v[74:75], v69
.LBB58_261:
	s_or_b64 exec, exec, s[14:15]
	v_mov_b32_e32 v67, v66
	v_mov_b32_e32 v69, v66
.LBB58_262:
	s_or_b64 exec, exec, s[2:3]
.LBB58_263:
	s_andn2_saveexec_b64 s[0:1], s[0:1]
	s_cbranch_execz .LBB58_265
; %bb.264:
	v_mov_b32_e32 v74, v28
	v_mov_b32_e32 v75, v29
	v_mov_b32_e32 v76, v26
	v_mov_b32_e32 v77, v27
	ds_write2_b64 v68, v[74:75], v[76:77] offset0:16 offset1:17
	v_mov_b32_e32 v74, v24
	v_mov_b32_e32 v75, v25
	v_mov_b32_e32 v76, v22
	v_mov_b32_e32 v77, v23
	ds_write2_b64 v68, v[74:75], v[76:77] offset0:18 offset1:19
	;; [unrolled: 5-line block ×6, first 2 shown]
	v_mov_b32_e32 v74, v0
	v_mov_b32_e32 v75, v1
	;; [unrolled: 1-line block ×3, first 2 shown]
	ds_write2_b64 v68, v[74:75], v[62:63] offset0:28 offset1:29
.LBB58_265:
	s_or_b64 exec, exec, s[0:1]
	v_cmp_lt_i32_e32 vcc, 15, v69
	s_waitcnt lgkmcnt(0)
	s_barrier
	s_and_saveexec_b64 s[0:1], vcc
	s_cbranch_execz .LBB58_267
; %bb.266:
	ds_read2_b64 v[74:77], v68 offset0:16 offset1:17
	ds_read2_b64 v[78:81], v68 offset0:18 offset1:19
	v_mul_f64 v[32:33], v[64:65], v[32:33]
	ds_read2_b64 v[82:85], v68 offset0:20 offset1:21
	s_waitcnt lgkmcnt(0)
	v_fma_f64 v[28:29], -v[32:33], v[74:75], v[28:29]
	v_fma_f64 v[26:27], -v[32:33], v[76:77], v[26:27]
	ds_read2_b64 v[74:77], v68 offset0:22 offset1:23
	v_fma_f64 v[24:25], -v[32:33], v[78:79], v[24:25]
	v_fma_f64 v[22:23], -v[32:33], v[80:81], v[22:23]
	;; [unrolled: 1-line block ×4, first 2 shown]
	ds_read2_b64 v[78:81], v68 offset0:24 offset1:25
	ds_read2_b64 v[82:85], v68 offset0:26 offset1:27
	s_waitcnt lgkmcnt(0)
	v_fma_f64 v[16:17], -v[32:33], v[74:75], v[16:17]
	v_fma_f64 v[14:15], -v[32:33], v[76:77], v[14:15]
	ds_read2_b64 v[74:77], v68 offset0:28 offset1:29
	v_fma_f64 v[12:13], -v[32:33], v[78:79], v[12:13]
	v_fma_f64 v[10:11], -v[32:33], v[80:81], v[10:11]
	;; [unrolled: 1-line block ×4, first 2 shown]
	s_waitcnt lgkmcnt(0)
	v_fma_f64 v[0:1], -v[32:33], v[74:75], v[0:1]
	v_fma_f64 v[62:63], -v[32:33], v[76:77], v[62:63]
.LBB58_267:
	s_or_b64 exec, exec, s[0:1]
	v_lshl_add_u32 v64, v69, 3, v68
	s_barrier
	ds_write_b64 v64, v[28:29]
	s_waitcnt lgkmcnt(0)
	s_barrier
	ds_read_b64 v[64:65], v68 offset:128
	s_cmp_lt_i32 s18, 18
	v_mov_b32_e32 v66, 16
	s_cbranch_scc1 .LBB58_270
; %bb.268:
	v_add_u32_e32 v73, 0x88, v68
	s_mov_b32 s0, 17
	v_mov_b32_e32 v66, 16
.LBB58_269:                             ; =>This Inner Loop Header: Depth=1
	ds_read_b64 v[74:75], v73
	v_mov_b32_e32 v76, s0
	s_add_i32 s0, s0, 1
	v_add_u32_e32 v73, 8, v73
	s_cmp_lg_u32 s18, s0
	s_waitcnt lgkmcnt(0)
	v_cmp_lt_f64_e64 vcc, |v[64:65]|, |v[74:75]|
	v_cndmask_b32_e32 v65, v65, v75, vcc
	v_cndmask_b32_e32 v64, v64, v74, vcc
	;; [unrolled: 1-line block ×3, first 2 shown]
	s_cbranch_scc1 .LBB58_269
.LBB58_270:
	s_waitcnt lgkmcnt(0)
	v_cmp_eq_f64_e32 vcc, 0, v[64:65]
	s_and_saveexec_b64 s[0:1], vcc
	s_xor_b64 s[0:1], exec, s[0:1]
; %bb.271:
	v_cmp_ne_u32_e32 vcc, 0, v72
	v_cndmask_b32_e32 v72, 17, v72, vcc
; %bb.272:
	s_andn2_saveexec_b64 s[0:1], s[0:1]
; %bb.273:
	v_div_scale_f64 v[74:75], s[2:3], v[64:65], v[64:65], 1.0
	v_rcp_f64_e32 v[76:77], v[74:75]
	v_div_scale_f64 v[78:79], vcc, 1.0, v[64:65], 1.0
	v_fma_f64 v[80:81], -v[74:75], v[76:77], 1.0
	v_fmac_f64_e32 v[76:77], v[76:77], v[80:81]
	v_fma_f64 v[80:81], -v[74:75], v[76:77], 1.0
	v_fmac_f64_e32 v[76:77], v[76:77], v[80:81]
	v_mul_f64 v[80:81], v[78:79], v[76:77]
	v_fma_f64 v[74:75], -v[74:75], v[80:81], v[78:79]
	v_div_fmas_f64 v[74:75], v[74:75], v[76:77], v[80:81]
	v_div_fixup_f64 v[64:65], v[74:75], v[64:65], 1.0
; %bb.274:
	s_or_b64 exec, exec, s[0:1]
	v_cmp_ne_u32_e32 vcc, v69, v66
	s_and_saveexec_b64 s[0:1], vcc
	s_xor_b64 s[0:1], exec, s[0:1]
	s_cbranch_execz .LBB58_280
; %bb.275:
	v_cmp_eq_u32_e32 vcc, 16, v69
	s_and_saveexec_b64 s[2:3], vcc
	s_cbranch_execz .LBB58_279
; %bb.276:
	v_cmp_ne_u32_e32 vcc, 16, v66
	s_xor_b64 s[14:15], s[6:7], -1
	s_and_b64 s[16:17], s[14:15], vcc
	s_and_saveexec_b64 s[14:15], s[16:17]
	s_cbranch_execz .LBB58_278
; %bb.277:
	v_ashrrev_i32_e32 v67, 31, v66
	v_lshlrev_b64 v[74:75], 2, v[66:67]
	v_add_co_u32_e32 v74, vcc, v4, v74
	v_addc_co_u32_e32 v75, vcc, v5, v75, vcc
	flat_load_dword v67, v[74:75]
	flat_load_dword v69, v[4:5] offset:64
	s_waitcnt vmcnt(0) lgkmcnt(0)
	flat_store_dword v[4:5], v67 offset:64
	flat_store_dword v[74:75], v69
.LBB58_278:
	s_or_b64 exec, exec, s[14:15]
	v_mov_b32_e32 v67, v66
	v_mov_b32_e32 v69, v66
.LBB58_279:
	s_or_b64 exec, exec, s[2:3]
.LBB58_280:
	s_andn2_saveexec_b64 s[0:1], s[0:1]
	s_cbranch_execz .LBB58_282
; %bb.281:
	v_mov_b32_e32 v69, 16
	ds_write2_b64 v68, v[26:27], v[24:25] offset0:17 offset1:18
	ds_write2_b64 v68, v[22:23], v[20:21] offset0:19 offset1:20
	;; [unrolled: 1-line block ×6, first 2 shown]
	ds_write_b64 v68, v[62:63] offset:232
.LBB58_282:
	s_or_b64 exec, exec, s[0:1]
	v_cmp_lt_i32_e32 vcc, 16, v69
	s_waitcnt lgkmcnt(0)
	s_barrier
	s_and_saveexec_b64 s[0:1], vcc
	s_cbranch_execz .LBB58_284
; %bb.283:
	ds_read2_b64 v[74:77], v68 offset0:17 offset1:18
	ds_read2_b64 v[78:81], v68 offset0:19 offset1:20
	;; [unrolled: 1-line block ×3, first 2 shown]
	v_mul_f64 v[28:29], v[64:65], v[28:29]
	ds_read_b64 v[64:65], v68 offset:232
	s_waitcnt lgkmcnt(0)
	v_fma_f64 v[26:27], -v[28:29], v[74:75], v[26:27]
	v_fma_f64 v[24:25], -v[28:29], v[76:77], v[24:25]
	ds_read2_b64 v[74:77], v68 offset0:23 offset1:24
	v_fma_f64 v[22:23], -v[28:29], v[78:79], v[22:23]
	v_fma_f64 v[20:21], -v[28:29], v[80:81], v[20:21]
	v_fma_f64 v[18:19], -v[28:29], v[82:83], v[18:19]
	v_fma_f64 v[16:17], -v[28:29], v[84:85], v[16:17]
	ds_read2_b64 v[78:81], v68 offset0:25 offset1:26
	ds_read2_b64 v[82:85], v68 offset0:27 offset1:28
	s_waitcnt lgkmcnt(0)
	v_fma_f64 v[14:15], -v[28:29], v[74:75], v[14:15]
	v_fma_f64 v[12:13], -v[28:29], v[76:77], v[12:13]
	;; [unrolled: 1-line block ×7, first 2 shown]
.LBB58_284:
	s_or_b64 exec, exec, s[0:1]
	v_lshl_add_u32 v64, v69, 3, v68
	s_barrier
	ds_write_b64 v64, v[26:27]
	s_waitcnt lgkmcnt(0)
	s_barrier
	ds_read_b64 v[64:65], v68 offset:136
	s_cmp_lt_i32 s18, 19
	v_mov_b32_e32 v66, 17
	s_cbranch_scc1 .LBB58_287
; %bb.285:
	v_add_u32_e32 v73, 0x90, v68
	s_mov_b32 s0, 18
	v_mov_b32_e32 v66, 17
.LBB58_286:                             ; =>This Inner Loop Header: Depth=1
	ds_read_b64 v[74:75], v73
	v_mov_b32_e32 v76, s0
	s_add_i32 s0, s0, 1
	v_add_u32_e32 v73, 8, v73
	s_cmp_lg_u32 s18, s0
	s_waitcnt lgkmcnt(0)
	v_cmp_lt_f64_e64 vcc, |v[64:65]|, |v[74:75]|
	v_cndmask_b32_e32 v65, v65, v75, vcc
	v_cndmask_b32_e32 v64, v64, v74, vcc
	;; [unrolled: 1-line block ×3, first 2 shown]
	s_cbranch_scc1 .LBB58_286
.LBB58_287:
	s_waitcnt lgkmcnt(0)
	v_cmp_eq_f64_e32 vcc, 0, v[64:65]
	s_and_saveexec_b64 s[0:1], vcc
	s_xor_b64 s[0:1], exec, s[0:1]
; %bb.288:
	v_cmp_ne_u32_e32 vcc, 0, v72
	v_cndmask_b32_e32 v72, 18, v72, vcc
; %bb.289:
	s_andn2_saveexec_b64 s[0:1], s[0:1]
; %bb.290:
	v_div_scale_f64 v[74:75], s[2:3], v[64:65], v[64:65], 1.0
	v_rcp_f64_e32 v[76:77], v[74:75]
	v_div_scale_f64 v[78:79], vcc, 1.0, v[64:65], 1.0
	v_fma_f64 v[80:81], -v[74:75], v[76:77], 1.0
	v_fmac_f64_e32 v[76:77], v[76:77], v[80:81]
	v_fma_f64 v[80:81], -v[74:75], v[76:77], 1.0
	v_fmac_f64_e32 v[76:77], v[76:77], v[80:81]
	v_mul_f64 v[80:81], v[78:79], v[76:77]
	v_fma_f64 v[74:75], -v[74:75], v[80:81], v[78:79]
	v_div_fmas_f64 v[74:75], v[74:75], v[76:77], v[80:81]
	v_div_fixup_f64 v[64:65], v[74:75], v[64:65], 1.0
; %bb.291:
	s_or_b64 exec, exec, s[0:1]
	v_cmp_ne_u32_e32 vcc, v69, v66
	s_and_saveexec_b64 s[0:1], vcc
	s_xor_b64 s[0:1], exec, s[0:1]
	s_cbranch_execz .LBB58_297
; %bb.292:
	v_cmp_eq_u32_e32 vcc, 17, v69
	s_and_saveexec_b64 s[2:3], vcc
	s_cbranch_execz .LBB58_296
; %bb.293:
	v_cmp_ne_u32_e32 vcc, 17, v66
	s_xor_b64 s[14:15], s[6:7], -1
	s_and_b64 s[16:17], s[14:15], vcc
	s_and_saveexec_b64 s[14:15], s[16:17]
	s_cbranch_execz .LBB58_295
; %bb.294:
	v_ashrrev_i32_e32 v67, 31, v66
	v_lshlrev_b64 v[74:75], 2, v[66:67]
	v_add_co_u32_e32 v74, vcc, v4, v74
	v_addc_co_u32_e32 v75, vcc, v5, v75, vcc
	flat_load_dword v67, v[74:75]
	flat_load_dword v69, v[4:5] offset:68
	s_waitcnt vmcnt(0) lgkmcnt(0)
	flat_store_dword v[4:5], v67 offset:68
	flat_store_dword v[74:75], v69
.LBB58_295:
	s_or_b64 exec, exec, s[14:15]
	v_mov_b32_e32 v67, v66
	v_mov_b32_e32 v69, v66
.LBB58_296:
	s_or_b64 exec, exec, s[2:3]
.LBB58_297:
	s_andn2_saveexec_b64 s[0:1], s[0:1]
	s_cbranch_execz .LBB58_299
; %bb.298:
	v_mov_b32_e32 v74, v24
	v_mov_b32_e32 v75, v25
	v_mov_b32_e32 v76, v22
	v_mov_b32_e32 v77, v23
	ds_write2_b64 v68, v[74:75], v[76:77] offset0:18 offset1:19
	v_mov_b32_e32 v74, v20
	v_mov_b32_e32 v75, v21
	v_mov_b32_e32 v76, v18
	v_mov_b32_e32 v77, v19
	ds_write2_b64 v68, v[74:75], v[76:77] offset0:20 offset1:21
	v_mov_b32_e32 v74, v16
	v_mov_b32_e32 v75, v17
	v_mov_b32_e32 v76, v14
	v_mov_b32_e32 v77, v15
	ds_write2_b64 v68, v[74:75], v[76:77] offset0:22 offset1:23
	v_mov_b32_e32 v74, v12
	v_mov_b32_e32 v75, v13
	v_mov_b32_e32 v76, v10
	v_mov_b32_e32 v77, v11
	ds_write2_b64 v68, v[74:75], v[76:77] offset0:24 offset1:25
	v_mov_b32_e32 v74, v8
	v_mov_b32_e32 v75, v9
	v_mov_b32_e32 v76, v6
	v_mov_b32_e32 v77, v7
	ds_write2_b64 v68, v[74:75], v[76:77] offset0:26 offset1:27
	v_mov_b32_e32 v74, v0
	v_mov_b32_e32 v75, v1
	;; [unrolled: 1-line block ×3, first 2 shown]
	ds_write2_b64 v68, v[74:75], v[62:63] offset0:28 offset1:29
.LBB58_299:
	s_or_b64 exec, exec, s[0:1]
	v_cmp_lt_i32_e32 vcc, 17, v69
	s_waitcnt lgkmcnt(0)
	s_barrier
	s_and_saveexec_b64 s[0:1], vcc
	s_cbranch_execz .LBB58_301
; %bb.300:
	ds_read2_b64 v[74:77], v68 offset0:18 offset1:19
	ds_read2_b64 v[78:81], v68 offset0:20 offset1:21
	;; [unrolled: 1-line block ×3, first 2 shown]
	v_mul_f64 v[26:27], v[64:65], v[26:27]
	s_waitcnt lgkmcnt(0)
	v_fma_f64 v[24:25], -v[26:27], v[74:75], v[24:25]
	v_fma_f64 v[22:23], -v[26:27], v[76:77], v[22:23]
	ds_read2_b64 v[74:77], v68 offset0:24 offset1:25
	v_fma_f64 v[20:21], -v[26:27], v[78:79], v[20:21]
	v_fma_f64 v[18:19], -v[26:27], v[80:81], v[18:19]
	;; [unrolled: 1-line block ×3, first 2 shown]
	ds_read2_b64 v[78:81], v68 offset0:26 offset1:27
	v_fma_f64 v[14:15], -v[26:27], v[84:85], v[14:15]
	ds_read2_b64 v[82:85], v68 offset0:28 offset1:29
	s_waitcnt lgkmcnt(0)
	v_fma_f64 v[12:13], -v[26:27], v[74:75], v[12:13]
	v_fma_f64 v[10:11], -v[26:27], v[76:77], v[10:11]
	;; [unrolled: 1-line block ×6, first 2 shown]
.LBB58_301:
	s_or_b64 exec, exec, s[0:1]
	v_lshl_add_u32 v64, v69, 3, v68
	s_barrier
	ds_write_b64 v64, v[24:25]
	s_waitcnt lgkmcnt(0)
	s_barrier
	ds_read_b64 v[64:65], v68 offset:144
	s_cmp_lt_i32 s18, 20
	v_mov_b32_e32 v66, 18
	s_cbranch_scc1 .LBB58_304
; %bb.302:
	v_add_u32_e32 v73, 0x98, v68
	s_mov_b32 s0, 19
	v_mov_b32_e32 v66, 18
.LBB58_303:                             ; =>This Inner Loop Header: Depth=1
	ds_read_b64 v[74:75], v73
	v_mov_b32_e32 v76, s0
	s_add_i32 s0, s0, 1
	v_add_u32_e32 v73, 8, v73
	s_cmp_lg_u32 s18, s0
	s_waitcnt lgkmcnt(0)
	v_cmp_lt_f64_e64 vcc, |v[64:65]|, |v[74:75]|
	v_cndmask_b32_e32 v65, v65, v75, vcc
	v_cndmask_b32_e32 v64, v64, v74, vcc
	;; [unrolled: 1-line block ×3, first 2 shown]
	s_cbranch_scc1 .LBB58_303
.LBB58_304:
	s_waitcnt lgkmcnt(0)
	v_cmp_eq_f64_e32 vcc, 0, v[64:65]
	s_and_saveexec_b64 s[0:1], vcc
	s_xor_b64 s[0:1], exec, s[0:1]
; %bb.305:
	v_cmp_ne_u32_e32 vcc, 0, v72
	v_cndmask_b32_e32 v72, 19, v72, vcc
; %bb.306:
	s_andn2_saveexec_b64 s[0:1], s[0:1]
; %bb.307:
	v_div_scale_f64 v[74:75], s[2:3], v[64:65], v[64:65], 1.0
	v_rcp_f64_e32 v[76:77], v[74:75]
	v_div_scale_f64 v[78:79], vcc, 1.0, v[64:65], 1.0
	v_fma_f64 v[80:81], -v[74:75], v[76:77], 1.0
	v_fmac_f64_e32 v[76:77], v[76:77], v[80:81]
	v_fma_f64 v[80:81], -v[74:75], v[76:77], 1.0
	v_fmac_f64_e32 v[76:77], v[76:77], v[80:81]
	v_mul_f64 v[80:81], v[78:79], v[76:77]
	v_fma_f64 v[74:75], -v[74:75], v[80:81], v[78:79]
	v_div_fmas_f64 v[74:75], v[74:75], v[76:77], v[80:81]
	v_div_fixup_f64 v[64:65], v[74:75], v[64:65], 1.0
; %bb.308:
	s_or_b64 exec, exec, s[0:1]
	v_cmp_ne_u32_e32 vcc, v69, v66
	s_and_saveexec_b64 s[0:1], vcc
	s_xor_b64 s[0:1], exec, s[0:1]
	s_cbranch_execz .LBB58_314
; %bb.309:
	v_cmp_eq_u32_e32 vcc, 18, v69
	s_and_saveexec_b64 s[2:3], vcc
	s_cbranch_execz .LBB58_313
; %bb.310:
	v_cmp_ne_u32_e32 vcc, 18, v66
	s_xor_b64 s[14:15], s[6:7], -1
	s_and_b64 s[16:17], s[14:15], vcc
	s_and_saveexec_b64 s[14:15], s[16:17]
	s_cbranch_execz .LBB58_312
; %bb.311:
	v_ashrrev_i32_e32 v67, 31, v66
	v_lshlrev_b64 v[74:75], 2, v[66:67]
	v_add_co_u32_e32 v74, vcc, v4, v74
	v_addc_co_u32_e32 v75, vcc, v5, v75, vcc
	flat_load_dword v67, v[74:75]
	flat_load_dword v69, v[4:5] offset:72
	s_waitcnt vmcnt(0) lgkmcnt(0)
	flat_store_dword v[4:5], v67 offset:72
	flat_store_dword v[74:75], v69
.LBB58_312:
	s_or_b64 exec, exec, s[14:15]
	v_mov_b32_e32 v67, v66
	v_mov_b32_e32 v69, v66
.LBB58_313:
	s_or_b64 exec, exec, s[2:3]
.LBB58_314:
	s_andn2_saveexec_b64 s[0:1], s[0:1]
	s_cbranch_execz .LBB58_316
; %bb.315:
	v_mov_b32_e32 v69, 18
	ds_write2_b64 v68, v[22:23], v[20:21] offset0:19 offset1:20
	ds_write2_b64 v68, v[18:19], v[16:17] offset0:21 offset1:22
	;; [unrolled: 1-line block ×5, first 2 shown]
	ds_write_b64 v68, v[62:63] offset:232
.LBB58_316:
	s_or_b64 exec, exec, s[0:1]
	v_cmp_lt_i32_e32 vcc, 18, v69
	s_waitcnt lgkmcnt(0)
	s_barrier
	s_and_saveexec_b64 s[0:1], vcc
	s_cbranch_execz .LBB58_318
; %bb.317:
	ds_read2_b64 v[74:77], v68 offset0:19 offset1:20
	ds_read2_b64 v[78:81], v68 offset0:21 offset1:22
	v_mul_f64 v[24:25], v[64:65], v[24:25]
	ds_read2_b64 v[82:85], v68 offset0:23 offset1:24
	ds_read_b64 v[64:65], v68 offset:232
	s_waitcnt lgkmcnt(0)
	v_fma_f64 v[22:23], -v[24:25], v[74:75], v[22:23]
	v_fma_f64 v[20:21], -v[24:25], v[76:77], v[20:21]
	ds_read2_b64 v[74:77], v68 offset0:25 offset1:26
	v_fma_f64 v[18:19], -v[24:25], v[78:79], v[18:19]
	v_fma_f64 v[16:17], -v[24:25], v[80:81], v[16:17]
	ds_read2_b64 v[78:81], v68 offset0:27 offset1:28
	v_fma_f64 v[14:15], -v[24:25], v[82:83], v[14:15]
	v_fma_f64 v[12:13], -v[24:25], v[84:85], v[12:13]
	s_waitcnt lgkmcnt(0)
	v_fma_f64 v[10:11], -v[24:25], v[74:75], v[10:11]
	v_fma_f64 v[8:9], -v[24:25], v[76:77], v[8:9]
	;; [unrolled: 1-line block ×5, first 2 shown]
.LBB58_318:
	s_or_b64 exec, exec, s[0:1]
	v_lshl_add_u32 v64, v69, 3, v68
	s_barrier
	ds_write_b64 v64, v[22:23]
	s_waitcnt lgkmcnt(0)
	s_barrier
	ds_read_b64 v[64:65], v68 offset:152
	s_cmp_lt_i32 s18, 21
	v_mov_b32_e32 v66, 19
	s_cbranch_scc1 .LBB58_321
; %bb.319:
	v_add_u32_e32 v73, 0xa0, v68
	s_mov_b32 s0, 20
	v_mov_b32_e32 v66, 19
.LBB58_320:                             ; =>This Inner Loop Header: Depth=1
	ds_read_b64 v[74:75], v73
	v_mov_b32_e32 v76, s0
	s_add_i32 s0, s0, 1
	v_add_u32_e32 v73, 8, v73
	s_cmp_lg_u32 s18, s0
	s_waitcnt lgkmcnt(0)
	v_cmp_lt_f64_e64 vcc, |v[64:65]|, |v[74:75]|
	v_cndmask_b32_e32 v65, v65, v75, vcc
	v_cndmask_b32_e32 v64, v64, v74, vcc
	;; [unrolled: 1-line block ×3, first 2 shown]
	s_cbranch_scc1 .LBB58_320
.LBB58_321:
	s_waitcnt lgkmcnt(0)
	v_cmp_eq_f64_e32 vcc, 0, v[64:65]
	s_and_saveexec_b64 s[0:1], vcc
	s_xor_b64 s[0:1], exec, s[0:1]
; %bb.322:
	v_cmp_ne_u32_e32 vcc, 0, v72
	v_cndmask_b32_e32 v72, 20, v72, vcc
; %bb.323:
	s_andn2_saveexec_b64 s[0:1], s[0:1]
; %bb.324:
	v_div_scale_f64 v[74:75], s[2:3], v[64:65], v[64:65], 1.0
	v_rcp_f64_e32 v[76:77], v[74:75]
	v_div_scale_f64 v[78:79], vcc, 1.0, v[64:65], 1.0
	v_fma_f64 v[80:81], -v[74:75], v[76:77], 1.0
	v_fmac_f64_e32 v[76:77], v[76:77], v[80:81]
	v_fma_f64 v[80:81], -v[74:75], v[76:77], 1.0
	v_fmac_f64_e32 v[76:77], v[76:77], v[80:81]
	v_mul_f64 v[80:81], v[78:79], v[76:77]
	v_fma_f64 v[74:75], -v[74:75], v[80:81], v[78:79]
	v_div_fmas_f64 v[74:75], v[74:75], v[76:77], v[80:81]
	v_div_fixup_f64 v[64:65], v[74:75], v[64:65], 1.0
; %bb.325:
	s_or_b64 exec, exec, s[0:1]
	v_cmp_ne_u32_e32 vcc, v69, v66
	s_and_saveexec_b64 s[0:1], vcc
	s_xor_b64 s[0:1], exec, s[0:1]
	s_cbranch_execz .LBB58_331
; %bb.326:
	v_cmp_eq_u32_e32 vcc, 19, v69
	s_and_saveexec_b64 s[2:3], vcc
	s_cbranch_execz .LBB58_330
; %bb.327:
	v_cmp_ne_u32_e32 vcc, 19, v66
	s_xor_b64 s[14:15], s[6:7], -1
	s_and_b64 s[16:17], s[14:15], vcc
	s_and_saveexec_b64 s[14:15], s[16:17]
	s_cbranch_execz .LBB58_329
; %bb.328:
	v_ashrrev_i32_e32 v67, 31, v66
	v_lshlrev_b64 v[74:75], 2, v[66:67]
	v_add_co_u32_e32 v74, vcc, v4, v74
	v_addc_co_u32_e32 v75, vcc, v5, v75, vcc
	flat_load_dword v67, v[74:75]
	flat_load_dword v69, v[4:5] offset:76
	s_waitcnt vmcnt(0) lgkmcnt(0)
	flat_store_dword v[4:5], v67 offset:76
	flat_store_dword v[74:75], v69
.LBB58_329:
	s_or_b64 exec, exec, s[14:15]
	v_mov_b32_e32 v67, v66
	v_mov_b32_e32 v69, v66
.LBB58_330:
	s_or_b64 exec, exec, s[2:3]
.LBB58_331:
	s_andn2_saveexec_b64 s[0:1], s[0:1]
	s_cbranch_execz .LBB58_333
; %bb.332:
	v_mov_b32_e32 v74, v20
	v_mov_b32_e32 v75, v21
	v_mov_b32_e32 v76, v18
	v_mov_b32_e32 v77, v19
	ds_write2_b64 v68, v[74:75], v[76:77] offset0:20 offset1:21
	v_mov_b32_e32 v74, v16
	v_mov_b32_e32 v75, v17
	v_mov_b32_e32 v76, v14
	v_mov_b32_e32 v77, v15
	ds_write2_b64 v68, v[74:75], v[76:77] offset0:22 offset1:23
	v_mov_b32_e32 v74, v12
	v_mov_b32_e32 v75, v13
	v_mov_b32_e32 v76, v10
	v_mov_b32_e32 v77, v11
	ds_write2_b64 v68, v[74:75], v[76:77] offset0:24 offset1:25
	v_mov_b32_e32 v74, v8
	v_mov_b32_e32 v75, v9
	v_mov_b32_e32 v76, v6
	v_mov_b32_e32 v77, v7
	ds_write2_b64 v68, v[74:75], v[76:77] offset0:26 offset1:27
	v_mov_b32_e32 v74, v0
	v_mov_b32_e32 v75, v1
	;; [unrolled: 1-line block ×3, first 2 shown]
	ds_write2_b64 v68, v[74:75], v[62:63] offset0:28 offset1:29
.LBB58_333:
	s_or_b64 exec, exec, s[0:1]
	v_cmp_lt_i32_e32 vcc, 19, v69
	s_waitcnt lgkmcnt(0)
	s_barrier
	s_and_saveexec_b64 s[0:1], vcc
	s_cbranch_execz .LBB58_335
; %bb.334:
	ds_read2_b64 v[74:77], v68 offset0:20 offset1:21
	ds_read2_b64 v[78:81], v68 offset0:22 offset1:23
	v_mul_f64 v[22:23], v[64:65], v[22:23]
	ds_read2_b64 v[82:85], v68 offset0:26 offset1:27
	s_waitcnt lgkmcnt(0)
	v_fma_f64 v[20:21], -v[22:23], v[74:75], v[20:21]
	v_fma_f64 v[18:19], -v[22:23], v[76:77], v[18:19]
	ds_read2_b64 v[74:77], v68 offset0:24 offset1:25
	v_fma_f64 v[16:17], -v[22:23], v[78:79], v[16:17]
	v_fma_f64 v[14:15], -v[22:23], v[80:81], v[14:15]
	ds_read2_b64 v[78:81], v68 offset0:28 offset1:29
	v_fma_f64 v[8:9], -v[22:23], v[82:83], v[8:9]
	s_waitcnt lgkmcnt(0)
	v_fma_f64 v[12:13], -v[22:23], v[74:75], v[12:13]
	v_fma_f64 v[10:11], -v[22:23], v[76:77], v[10:11]
	;; [unrolled: 1-line block ×5, first 2 shown]
.LBB58_335:
	s_or_b64 exec, exec, s[0:1]
	v_lshl_add_u32 v64, v69, 3, v68
	s_barrier
	ds_write_b64 v64, v[20:21]
	s_waitcnt lgkmcnt(0)
	s_barrier
	ds_read_b64 v[64:65], v68 offset:160
	s_cmp_lt_i32 s18, 22
	v_mov_b32_e32 v66, 20
	s_cbranch_scc1 .LBB58_338
; %bb.336:
	v_add_u32_e32 v73, 0xa8, v68
	s_mov_b32 s0, 21
	v_mov_b32_e32 v66, 20
.LBB58_337:                             ; =>This Inner Loop Header: Depth=1
	ds_read_b64 v[74:75], v73
	v_mov_b32_e32 v76, s0
	s_add_i32 s0, s0, 1
	v_add_u32_e32 v73, 8, v73
	s_cmp_lg_u32 s18, s0
	s_waitcnt lgkmcnt(0)
	v_cmp_lt_f64_e64 vcc, |v[64:65]|, |v[74:75]|
	v_cndmask_b32_e32 v65, v65, v75, vcc
	v_cndmask_b32_e32 v64, v64, v74, vcc
	;; [unrolled: 1-line block ×3, first 2 shown]
	s_cbranch_scc1 .LBB58_337
.LBB58_338:
	s_waitcnt lgkmcnt(0)
	v_cmp_eq_f64_e32 vcc, 0, v[64:65]
	s_and_saveexec_b64 s[0:1], vcc
	s_xor_b64 s[0:1], exec, s[0:1]
; %bb.339:
	v_cmp_ne_u32_e32 vcc, 0, v72
	v_cndmask_b32_e32 v72, 21, v72, vcc
; %bb.340:
	s_andn2_saveexec_b64 s[0:1], s[0:1]
; %bb.341:
	v_div_scale_f64 v[74:75], s[2:3], v[64:65], v[64:65], 1.0
	v_rcp_f64_e32 v[76:77], v[74:75]
	v_div_scale_f64 v[78:79], vcc, 1.0, v[64:65], 1.0
	v_fma_f64 v[80:81], -v[74:75], v[76:77], 1.0
	v_fmac_f64_e32 v[76:77], v[76:77], v[80:81]
	v_fma_f64 v[80:81], -v[74:75], v[76:77], 1.0
	v_fmac_f64_e32 v[76:77], v[76:77], v[80:81]
	v_mul_f64 v[80:81], v[78:79], v[76:77]
	v_fma_f64 v[74:75], -v[74:75], v[80:81], v[78:79]
	v_div_fmas_f64 v[74:75], v[74:75], v[76:77], v[80:81]
	v_div_fixup_f64 v[64:65], v[74:75], v[64:65], 1.0
; %bb.342:
	s_or_b64 exec, exec, s[0:1]
	v_cmp_ne_u32_e32 vcc, v69, v66
	s_and_saveexec_b64 s[0:1], vcc
	s_xor_b64 s[0:1], exec, s[0:1]
	s_cbranch_execz .LBB58_348
; %bb.343:
	v_cmp_eq_u32_e32 vcc, 20, v69
	s_and_saveexec_b64 s[2:3], vcc
	s_cbranch_execz .LBB58_347
; %bb.344:
	v_cmp_ne_u32_e32 vcc, 20, v66
	s_xor_b64 s[14:15], s[6:7], -1
	s_and_b64 s[16:17], s[14:15], vcc
	s_and_saveexec_b64 s[14:15], s[16:17]
	s_cbranch_execz .LBB58_346
; %bb.345:
	v_ashrrev_i32_e32 v67, 31, v66
	v_lshlrev_b64 v[74:75], 2, v[66:67]
	v_add_co_u32_e32 v74, vcc, v4, v74
	v_addc_co_u32_e32 v75, vcc, v5, v75, vcc
	flat_load_dword v67, v[74:75]
	flat_load_dword v69, v[4:5] offset:80
	s_waitcnt vmcnt(0) lgkmcnt(0)
	flat_store_dword v[4:5], v67 offset:80
	flat_store_dword v[74:75], v69
.LBB58_346:
	s_or_b64 exec, exec, s[14:15]
	v_mov_b32_e32 v67, v66
	v_mov_b32_e32 v69, v66
.LBB58_347:
	s_or_b64 exec, exec, s[2:3]
.LBB58_348:
	s_andn2_saveexec_b64 s[0:1], s[0:1]
	s_cbranch_execz .LBB58_350
; %bb.349:
	v_mov_b32_e32 v69, 20
	ds_write2_b64 v68, v[18:19], v[16:17] offset0:21 offset1:22
	ds_write2_b64 v68, v[14:15], v[12:13] offset0:23 offset1:24
	;; [unrolled: 1-line block ×4, first 2 shown]
	ds_write_b64 v68, v[62:63] offset:232
.LBB58_350:
	s_or_b64 exec, exec, s[0:1]
	v_cmp_lt_i32_e32 vcc, 20, v69
	s_waitcnt lgkmcnt(0)
	s_barrier
	s_and_saveexec_b64 s[0:1], vcc
	s_cbranch_execz .LBB58_352
; %bb.351:
	ds_read2_b64 v[74:77], v68 offset0:21 offset1:22
	ds_read2_b64 v[78:81], v68 offset0:23 offset1:24
	v_mul_f64 v[20:21], v[64:65], v[20:21]
	ds_read_b64 v[64:65], v68 offset:232
	ds_read2_b64 v[82:85], v68 offset0:27 offset1:28
	s_waitcnt lgkmcnt(0)
	v_fma_f64 v[18:19], -v[20:21], v[74:75], v[18:19]
	v_fma_f64 v[16:17], -v[20:21], v[76:77], v[16:17]
	ds_read2_b64 v[74:77], v68 offset0:25 offset1:26
	v_fma_f64 v[14:15], -v[20:21], v[78:79], v[14:15]
	v_fma_f64 v[12:13], -v[20:21], v[80:81], v[12:13]
	;; [unrolled: 1-line block ×4, first 2 shown]
	s_waitcnt lgkmcnt(0)
	v_fma_f64 v[10:11], -v[20:21], v[74:75], v[10:11]
	v_fma_f64 v[8:9], -v[20:21], v[76:77], v[8:9]
	;; [unrolled: 1-line block ×3, first 2 shown]
.LBB58_352:
	s_or_b64 exec, exec, s[0:1]
	v_lshl_add_u32 v64, v69, 3, v68
	s_barrier
	ds_write_b64 v64, v[18:19]
	s_waitcnt lgkmcnt(0)
	s_barrier
	ds_read_b64 v[64:65], v68 offset:168
	s_cmp_lt_i32 s18, 23
	v_mov_b32_e32 v66, 21
	s_cbranch_scc1 .LBB58_355
; %bb.353:
	v_add_u32_e32 v73, 0xb0, v68
	s_mov_b32 s0, 22
	v_mov_b32_e32 v66, 21
.LBB58_354:                             ; =>This Inner Loop Header: Depth=1
	ds_read_b64 v[74:75], v73
	v_mov_b32_e32 v76, s0
	s_add_i32 s0, s0, 1
	v_add_u32_e32 v73, 8, v73
	s_cmp_lg_u32 s18, s0
	s_waitcnt lgkmcnt(0)
	v_cmp_lt_f64_e64 vcc, |v[64:65]|, |v[74:75]|
	v_cndmask_b32_e32 v65, v65, v75, vcc
	v_cndmask_b32_e32 v64, v64, v74, vcc
	;; [unrolled: 1-line block ×3, first 2 shown]
	s_cbranch_scc1 .LBB58_354
.LBB58_355:
	s_waitcnt lgkmcnt(0)
	v_cmp_eq_f64_e32 vcc, 0, v[64:65]
	s_and_saveexec_b64 s[0:1], vcc
	s_xor_b64 s[0:1], exec, s[0:1]
; %bb.356:
	v_cmp_ne_u32_e32 vcc, 0, v72
	v_cndmask_b32_e32 v72, 22, v72, vcc
; %bb.357:
	s_andn2_saveexec_b64 s[0:1], s[0:1]
; %bb.358:
	v_div_scale_f64 v[74:75], s[2:3], v[64:65], v[64:65], 1.0
	v_rcp_f64_e32 v[76:77], v[74:75]
	v_div_scale_f64 v[78:79], vcc, 1.0, v[64:65], 1.0
	v_fma_f64 v[80:81], -v[74:75], v[76:77], 1.0
	v_fmac_f64_e32 v[76:77], v[76:77], v[80:81]
	v_fma_f64 v[80:81], -v[74:75], v[76:77], 1.0
	v_fmac_f64_e32 v[76:77], v[76:77], v[80:81]
	v_mul_f64 v[80:81], v[78:79], v[76:77]
	v_fma_f64 v[74:75], -v[74:75], v[80:81], v[78:79]
	v_div_fmas_f64 v[74:75], v[74:75], v[76:77], v[80:81]
	v_div_fixup_f64 v[64:65], v[74:75], v[64:65], 1.0
; %bb.359:
	s_or_b64 exec, exec, s[0:1]
	v_cmp_ne_u32_e32 vcc, v69, v66
	s_and_saveexec_b64 s[0:1], vcc
	s_xor_b64 s[0:1], exec, s[0:1]
	s_cbranch_execz .LBB58_365
; %bb.360:
	v_cmp_eq_u32_e32 vcc, 21, v69
	s_and_saveexec_b64 s[2:3], vcc
	s_cbranch_execz .LBB58_364
; %bb.361:
	v_cmp_ne_u32_e32 vcc, 21, v66
	s_xor_b64 s[14:15], s[6:7], -1
	s_and_b64 s[16:17], s[14:15], vcc
	s_and_saveexec_b64 s[14:15], s[16:17]
	s_cbranch_execz .LBB58_363
; %bb.362:
	v_ashrrev_i32_e32 v67, 31, v66
	v_lshlrev_b64 v[74:75], 2, v[66:67]
	v_add_co_u32_e32 v74, vcc, v4, v74
	v_addc_co_u32_e32 v75, vcc, v5, v75, vcc
	flat_load_dword v67, v[74:75]
	flat_load_dword v69, v[4:5] offset:84
	s_waitcnt vmcnt(0) lgkmcnt(0)
	flat_store_dword v[4:5], v67 offset:84
	flat_store_dword v[74:75], v69
.LBB58_363:
	s_or_b64 exec, exec, s[14:15]
	v_mov_b32_e32 v67, v66
	v_mov_b32_e32 v69, v66
.LBB58_364:
	s_or_b64 exec, exec, s[2:3]
.LBB58_365:
	s_andn2_saveexec_b64 s[0:1], s[0:1]
	s_cbranch_execz .LBB58_367
; %bb.366:
	v_mov_b32_e32 v74, v16
	v_mov_b32_e32 v75, v17
	v_mov_b32_e32 v76, v14
	v_mov_b32_e32 v77, v15
	ds_write2_b64 v68, v[74:75], v[76:77] offset0:22 offset1:23
	v_mov_b32_e32 v74, v12
	v_mov_b32_e32 v75, v13
	v_mov_b32_e32 v76, v10
	v_mov_b32_e32 v77, v11
	ds_write2_b64 v68, v[74:75], v[76:77] offset0:24 offset1:25
	;; [unrolled: 5-line block ×3, first 2 shown]
	v_mov_b32_e32 v74, v0
	v_mov_b32_e32 v75, v1
	;; [unrolled: 1-line block ×3, first 2 shown]
	ds_write2_b64 v68, v[74:75], v[62:63] offset0:28 offset1:29
.LBB58_367:
	s_or_b64 exec, exec, s[0:1]
	v_cmp_lt_i32_e32 vcc, 21, v69
	s_waitcnt lgkmcnt(0)
	s_barrier
	s_and_saveexec_b64 s[0:1], vcc
	s_cbranch_execz .LBB58_369
; %bb.368:
	ds_read2_b64 v[74:77], v68 offset0:22 offset1:23
	ds_read2_b64 v[78:81], v68 offset0:24 offset1:25
	v_mul_f64 v[18:19], v[64:65], v[18:19]
	ds_read2_b64 v[82:85], v68 offset0:26 offset1:27
	s_waitcnt lgkmcnt(0)
	v_fma_f64 v[16:17], -v[18:19], v[74:75], v[16:17]
	v_fma_f64 v[14:15], -v[18:19], v[76:77], v[14:15]
	ds_read2_b64 v[74:77], v68 offset0:28 offset1:29
	v_fma_f64 v[12:13], -v[18:19], v[78:79], v[12:13]
	v_fma_f64 v[10:11], -v[18:19], v[80:81], v[10:11]
	;; [unrolled: 1-line block ×4, first 2 shown]
	s_waitcnt lgkmcnt(0)
	v_fma_f64 v[0:1], -v[18:19], v[74:75], v[0:1]
	v_fma_f64 v[62:63], -v[18:19], v[76:77], v[62:63]
.LBB58_369:
	s_or_b64 exec, exec, s[0:1]
	v_lshl_add_u32 v64, v69, 3, v68
	s_barrier
	ds_write_b64 v64, v[16:17]
	s_waitcnt lgkmcnt(0)
	s_barrier
	ds_read_b64 v[64:65], v68 offset:176
	s_cmp_lt_i32 s18, 24
	v_mov_b32_e32 v66, 22
	s_cbranch_scc1 .LBB58_372
; %bb.370:
	v_add_u32_e32 v73, 0xb8, v68
	s_mov_b32 s0, 23
	v_mov_b32_e32 v66, 22
.LBB58_371:                             ; =>This Inner Loop Header: Depth=1
	ds_read_b64 v[74:75], v73
	v_mov_b32_e32 v76, s0
	s_add_i32 s0, s0, 1
	v_add_u32_e32 v73, 8, v73
	s_cmp_lg_u32 s18, s0
	s_waitcnt lgkmcnt(0)
	v_cmp_lt_f64_e64 vcc, |v[64:65]|, |v[74:75]|
	v_cndmask_b32_e32 v65, v65, v75, vcc
	v_cndmask_b32_e32 v64, v64, v74, vcc
	;; [unrolled: 1-line block ×3, first 2 shown]
	s_cbranch_scc1 .LBB58_371
.LBB58_372:
	s_waitcnt lgkmcnt(0)
	v_cmp_eq_f64_e32 vcc, 0, v[64:65]
	s_and_saveexec_b64 s[0:1], vcc
	s_xor_b64 s[0:1], exec, s[0:1]
; %bb.373:
	v_cmp_ne_u32_e32 vcc, 0, v72
	v_cndmask_b32_e32 v72, 23, v72, vcc
; %bb.374:
	s_andn2_saveexec_b64 s[0:1], s[0:1]
; %bb.375:
	v_div_scale_f64 v[74:75], s[2:3], v[64:65], v[64:65], 1.0
	v_rcp_f64_e32 v[76:77], v[74:75]
	v_div_scale_f64 v[78:79], vcc, 1.0, v[64:65], 1.0
	v_fma_f64 v[80:81], -v[74:75], v[76:77], 1.0
	v_fmac_f64_e32 v[76:77], v[76:77], v[80:81]
	v_fma_f64 v[80:81], -v[74:75], v[76:77], 1.0
	v_fmac_f64_e32 v[76:77], v[76:77], v[80:81]
	v_mul_f64 v[80:81], v[78:79], v[76:77]
	v_fma_f64 v[74:75], -v[74:75], v[80:81], v[78:79]
	v_div_fmas_f64 v[74:75], v[74:75], v[76:77], v[80:81]
	v_div_fixup_f64 v[64:65], v[74:75], v[64:65], 1.0
; %bb.376:
	s_or_b64 exec, exec, s[0:1]
	v_cmp_ne_u32_e32 vcc, v69, v66
	s_and_saveexec_b64 s[0:1], vcc
	s_xor_b64 s[0:1], exec, s[0:1]
	s_cbranch_execz .LBB58_382
; %bb.377:
	v_cmp_eq_u32_e32 vcc, 22, v69
	s_and_saveexec_b64 s[2:3], vcc
	s_cbranch_execz .LBB58_381
; %bb.378:
	v_cmp_ne_u32_e32 vcc, 22, v66
	s_xor_b64 s[14:15], s[6:7], -1
	s_and_b64 s[16:17], s[14:15], vcc
	s_and_saveexec_b64 s[14:15], s[16:17]
	s_cbranch_execz .LBB58_380
; %bb.379:
	v_ashrrev_i32_e32 v67, 31, v66
	v_lshlrev_b64 v[74:75], 2, v[66:67]
	v_add_co_u32_e32 v74, vcc, v4, v74
	v_addc_co_u32_e32 v75, vcc, v5, v75, vcc
	flat_load_dword v67, v[74:75]
	flat_load_dword v69, v[4:5] offset:88
	s_waitcnt vmcnt(0) lgkmcnt(0)
	flat_store_dword v[4:5], v67 offset:88
	flat_store_dword v[74:75], v69
.LBB58_380:
	s_or_b64 exec, exec, s[14:15]
	v_mov_b32_e32 v67, v66
	v_mov_b32_e32 v69, v66
.LBB58_381:
	s_or_b64 exec, exec, s[2:3]
.LBB58_382:
	s_andn2_saveexec_b64 s[0:1], s[0:1]
	s_cbranch_execz .LBB58_384
; %bb.383:
	v_mov_b32_e32 v69, 22
	ds_write2_b64 v68, v[14:15], v[12:13] offset0:23 offset1:24
	ds_write2_b64 v68, v[10:11], v[8:9] offset0:25 offset1:26
	ds_write2_b64 v68, v[6:7], v[0:1] offset0:27 offset1:28
	ds_write_b64 v68, v[62:63] offset:232
.LBB58_384:
	s_or_b64 exec, exec, s[0:1]
	v_cmp_lt_i32_e32 vcc, 22, v69
	s_waitcnt lgkmcnt(0)
	s_barrier
	s_and_saveexec_b64 s[0:1], vcc
	s_cbranch_execz .LBB58_386
; %bb.385:
	ds_read2_b64 v[74:77], v68 offset0:23 offset1:24
	ds_read2_b64 v[78:81], v68 offset0:25 offset1:26
	v_mul_f64 v[16:17], v[64:65], v[16:17]
	ds_read2_b64 v[82:85], v68 offset0:27 offset1:28
	ds_read_b64 v[64:65], v68 offset:232
	s_waitcnt lgkmcnt(0)
	v_fma_f64 v[14:15], -v[16:17], v[74:75], v[14:15]
	v_fma_f64 v[12:13], -v[16:17], v[76:77], v[12:13]
	v_fma_f64 v[10:11], -v[16:17], v[78:79], v[10:11]
	v_fma_f64 v[8:9], -v[16:17], v[80:81], v[8:9]
	v_fma_f64 v[6:7], -v[16:17], v[82:83], v[6:7]
	v_fma_f64 v[0:1], -v[16:17], v[84:85], v[0:1]
	v_fma_f64 v[62:63], -v[16:17], v[64:65], v[62:63]
.LBB58_386:
	s_or_b64 exec, exec, s[0:1]
	v_lshl_add_u32 v64, v69, 3, v68
	s_barrier
	ds_write_b64 v64, v[14:15]
	s_waitcnt lgkmcnt(0)
	s_barrier
	ds_read_b64 v[64:65], v68 offset:184
	s_cmp_lt_i32 s18, 25
	v_mov_b32_e32 v66, 23
	s_cbranch_scc1 .LBB58_389
; %bb.387:
	v_add_u32_e32 v73, 0xc0, v68
	s_mov_b32 s0, 24
	v_mov_b32_e32 v66, 23
.LBB58_388:                             ; =>This Inner Loop Header: Depth=1
	ds_read_b64 v[74:75], v73
	v_mov_b32_e32 v76, s0
	s_add_i32 s0, s0, 1
	v_add_u32_e32 v73, 8, v73
	s_cmp_lg_u32 s18, s0
	s_waitcnt lgkmcnt(0)
	v_cmp_lt_f64_e64 vcc, |v[64:65]|, |v[74:75]|
	v_cndmask_b32_e32 v65, v65, v75, vcc
	v_cndmask_b32_e32 v64, v64, v74, vcc
	;; [unrolled: 1-line block ×3, first 2 shown]
	s_cbranch_scc1 .LBB58_388
.LBB58_389:
	s_waitcnt lgkmcnt(0)
	v_cmp_eq_f64_e32 vcc, 0, v[64:65]
	s_and_saveexec_b64 s[0:1], vcc
	s_xor_b64 s[0:1], exec, s[0:1]
; %bb.390:
	v_cmp_ne_u32_e32 vcc, 0, v72
	v_cndmask_b32_e32 v72, 24, v72, vcc
; %bb.391:
	s_andn2_saveexec_b64 s[0:1], s[0:1]
; %bb.392:
	v_div_scale_f64 v[74:75], s[2:3], v[64:65], v[64:65], 1.0
	v_rcp_f64_e32 v[76:77], v[74:75]
	v_div_scale_f64 v[78:79], vcc, 1.0, v[64:65], 1.0
	v_fma_f64 v[80:81], -v[74:75], v[76:77], 1.0
	v_fmac_f64_e32 v[76:77], v[76:77], v[80:81]
	v_fma_f64 v[80:81], -v[74:75], v[76:77], 1.0
	v_fmac_f64_e32 v[76:77], v[76:77], v[80:81]
	v_mul_f64 v[80:81], v[78:79], v[76:77]
	v_fma_f64 v[74:75], -v[74:75], v[80:81], v[78:79]
	v_div_fmas_f64 v[74:75], v[74:75], v[76:77], v[80:81]
	v_div_fixup_f64 v[64:65], v[74:75], v[64:65], 1.0
; %bb.393:
	s_or_b64 exec, exec, s[0:1]
	v_cmp_ne_u32_e32 vcc, v69, v66
	s_and_saveexec_b64 s[0:1], vcc
	s_xor_b64 s[0:1], exec, s[0:1]
	s_cbranch_execz .LBB58_399
; %bb.394:
	v_cmp_eq_u32_e32 vcc, 23, v69
	s_and_saveexec_b64 s[2:3], vcc
	s_cbranch_execz .LBB58_398
; %bb.395:
	v_cmp_ne_u32_e32 vcc, 23, v66
	s_xor_b64 s[14:15], s[6:7], -1
	s_and_b64 s[16:17], s[14:15], vcc
	s_and_saveexec_b64 s[14:15], s[16:17]
	s_cbranch_execz .LBB58_397
; %bb.396:
	v_ashrrev_i32_e32 v67, 31, v66
	v_lshlrev_b64 v[74:75], 2, v[66:67]
	v_add_co_u32_e32 v74, vcc, v4, v74
	v_addc_co_u32_e32 v75, vcc, v5, v75, vcc
	flat_load_dword v67, v[74:75]
	flat_load_dword v69, v[4:5] offset:92
	s_waitcnt vmcnt(0) lgkmcnt(0)
	flat_store_dword v[4:5], v67 offset:92
	flat_store_dword v[74:75], v69
.LBB58_397:
	s_or_b64 exec, exec, s[14:15]
	v_mov_b32_e32 v67, v66
	v_mov_b32_e32 v69, v66
.LBB58_398:
	s_or_b64 exec, exec, s[2:3]
.LBB58_399:
	s_andn2_saveexec_b64 s[0:1], s[0:1]
	s_cbranch_execz .LBB58_401
; %bb.400:
	v_mov_b32_e32 v74, v12
	v_mov_b32_e32 v75, v13
	;; [unrolled: 1-line block ×4, first 2 shown]
	ds_write2_b64 v68, v[74:75], v[76:77] offset0:24 offset1:25
	v_mov_b32_e32 v74, v8
	v_mov_b32_e32 v75, v9
	;; [unrolled: 1-line block ×4, first 2 shown]
	ds_write2_b64 v68, v[74:75], v[76:77] offset0:26 offset1:27
	v_mov_b32_e32 v74, v0
	v_mov_b32_e32 v75, v1
	v_mov_b32_e32 v69, 23
	ds_write2_b64 v68, v[74:75], v[62:63] offset0:28 offset1:29
.LBB58_401:
	s_or_b64 exec, exec, s[0:1]
	v_cmp_lt_i32_e32 vcc, 23, v69
	s_waitcnt lgkmcnt(0)
	s_barrier
	s_and_saveexec_b64 s[0:1], vcc
	s_cbranch_execz .LBB58_403
; %bb.402:
	ds_read2_b64 v[74:77], v68 offset0:24 offset1:25
	ds_read2_b64 v[78:81], v68 offset0:26 offset1:27
	;; [unrolled: 1-line block ×3, first 2 shown]
	v_mul_f64 v[14:15], v[64:65], v[14:15]
	s_waitcnt lgkmcnt(0)
	v_fma_f64 v[12:13], -v[14:15], v[74:75], v[12:13]
	v_fma_f64 v[10:11], -v[14:15], v[76:77], v[10:11]
	;; [unrolled: 1-line block ×6, first 2 shown]
.LBB58_403:
	s_or_b64 exec, exec, s[0:1]
	v_lshl_add_u32 v64, v69, 3, v68
	s_barrier
	ds_write_b64 v64, v[12:13]
	s_waitcnt lgkmcnt(0)
	s_barrier
	ds_read_b64 v[64:65], v68 offset:192
	s_cmp_lt_i32 s18, 26
	v_mov_b32_e32 v66, 24
	s_cbranch_scc1 .LBB58_406
; %bb.404:
	v_add_u32_e32 v73, 0xc8, v68
	s_mov_b32 s0, 25
	v_mov_b32_e32 v66, 24
.LBB58_405:                             ; =>This Inner Loop Header: Depth=1
	ds_read_b64 v[74:75], v73
	v_mov_b32_e32 v76, s0
	s_add_i32 s0, s0, 1
	v_add_u32_e32 v73, 8, v73
	s_cmp_lg_u32 s18, s0
	s_waitcnt lgkmcnt(0)
	v_cmp_lt_f64_e64 vcc, |v[64:65]|, |v[74:75]|
	v_cndmask_b32_e32 v65, v65, v75, vcc
	v_cndmask_b32_e32 v64, v64, v74, vcc
	;; [unrolled: 1-line block ×3, first 2 shown]
	s_cbranch_scc1 .LBB58_405
.LBB58_406:
	s_waitcnt lgkmcnt(0)
	v_cmp_eq_f64_e32 vcc, 0, v[64:65]
	s_and_saveexec_b64 s[0:1], vcc
	s_xor_b64 s[0:1], exec, s[0:1]
; %bb.407:
	v_cmp_ne_u32_e32 vcc, 0, v72
	v_cndmask_b32_e32 v72, 25, v72, vcc
; %bb.408:
	s_andn2_saveexec_b64 s[0:1], s[0:1]
; %bb.409:
	v_div_scale_f64 v[74:75], s[2:3], v[64:65], v[64:65], 1.0
	v_rcp_f64_e32 v[76:77], v[74:75]
	v_div_scale_f64 v[78:79], vcc, 1.0, v[64:65], 1.0
	v_fma_f64 v[80:81], -v[74:75], v[76:77], 1.0
	v_fmac_f64_e32 v[76:77], v[76:77], v[80:81]
	v_fma_f64 v[80:81], -v[74:75], v[76:77], 1.0
	v_fmac_f64_e32 v[76:77], v[76:77], v[80:81]
	v_mul_f64 v[80:81], v[78:79], v[76:77]
	v_fma_f64 v[74:75], -v[74:75], v[80:81], v[78:79]
	v_div_fmas_f64 v[74:75], v[74:75], v[76:77], v[80:81]
	v_div_fixup_f64 v[64:65], v[74:75], v[64:65], 1.0
; %bb.410:
	s_or_b64 exec, exec, s[0:1]
	v_cmp_ne_u32_e32 vcc, v69, v66
	s_and_saveexec_b64 s[0:1], vcc
	s_xor_b64 s[0:1], exec, s[0:1]
	s_cbranch_execz .LBB58_416
; %bb.411:
	v_cmp_eq_u32_e32 vcc, 24, v69
	s_and_saveexec_b64 s[2:3], vcc
	s_cbranch_execz .LBB58_415
; %bb.412:
	v_cmp_ne_u32_e32 vcc, 24, v66
	s_xor_b64 s[14:15], s[6:7], -1
	s_and_b64 s[16:17], s[14:15], vcc
	s_and_saveexec_b64 s[14:15], s[16:17]
	s_cbranch_execz .LBB58_414
; %bb.413:
	v_ashrrev_i32_e32 v67, 31, v66
	v_lshlrev_b64 v[74:75], 2, v[66:67]
	v_add_co_u32_e32 v74, vcc, v4, v74
	v_addc_co_u32_e32 v75, vcc, v5, v75, vcc
	flat_load_dword v67, v[74:75]
	flat_load_dword v69, v[4:5] offset:96
	s_waitcnt vmcnt(0) lgkmcnt(0)
	flat_store_dword v[4:5], v67 offset:96
	flat_store_dword v[74:75], v69
.LBB58_414:
	s_or_b64 exec, exec, s[14:15]
	v_mov_b32_e32 v67, v66
	v_mov_b32_e32 v69, v66
.LBB58_415:
	s_or_b64 exec, exec, s[2:3]
.LBB58_416:
	s_andn2_saveexec_b64 s[0:1], s[0:1]
	s_cbranch_execz .LBB58_418
; %bb.417:
	v_mov_b32_e32 v69, 24
	ds_write2_b64 v68, v[10:11], v[8:9] offset0:25 offset1:26
	ds_write2_b64 v68, v[6:7], v[0:1] offset0:27 offset1:28
	ds_write_b64 v68, v[62:63] offset:232
.LBB58_418:
	s_or_b64 exec, exec, s[0:1]
	v_cmp_lt_i32_e32 vcc, 24, v69
	s_waitcnt lgkmcnt(0)
	s_barrier
	s_and_saveexec_b64 s[0:1], vcc
	s_cbranch_execz .LBB58_420
; %bb.419:
	ds_read2_b64 v[74:77], v68 offset0:25 offset1:26
	ds_read2_b64 v[78:81], v68 offset0:27 offset1:28
	v_mul_f64 v[12:13], v[64:65], v[12:13]
	ds_read_b64 v[64:65], v68 offset:232
	s_waitcnt lgkmcnt(0)
	v_fma_f64 v[10:11], -v[12:13], v[74:75], v[10:11]
	v_fma_f64 v[8:9], -v[12:13], v[76:77], v[8:9]
	;; [unrolled: 1-line block ×5, first 2 shown]
.LBB58_420:
	s_or_b64 exec, exec, s[0:1]
	v_lshl_add_u32 v64, v69, 3, v68
	s_barrier
	ds_write_b64 v64, v[10:11]
	s_waitcnt lgkmcnt(0)
	s_barrier
	ds_read_b64 v[64:65], v68 offset:200
	s_cmp_lt_i32 s18, 27
	v_mov_b32_e32 v66, 25
	s_cbranch_scc1 .LBB58_423
; %bb.421:
	v_add_u32_e32 v73, 0xd0, v68
	s_mov_b32 s0, 26
	v_mov_b32_e32 v66, 25
.LBB58_422:                             ; =>This Inner Loop Header: Depth=1
	ds_read_b64 v[74:75], v73
	v_mov_b32_e32 v76, s0
	s_add_i32 s0, s0, 1
	v_add_u32_e32 v73, 8, v73
	s_cmp_lg_u32 s18, s0
	s_waitcnt lgkmcnt(0)
	v_cmp_lt_f64_e64 vcc, |v[64:65]|, |v[74:75]|
	v_cndmask_b32_e32 v65, v65, v75, vcc
	v_cndmask_b32_e32 v64, v64, v74, vcc
	;; [unrolled: 1-line block ×3, first 2 shown]
	s_cbranch_scc1 .LBB58_422
.LBB58_423:
	s_waitcnt lgkmcnt(0)
	v_cmp_eq_f64_e32 vcc, 0, v[64:65]
	s_and_saveexec_b64 s[0:1], vcc
	s_xor_b64 s[0:1], exec, s[0:1]
; %bb.424:
	v_cmp_ne_u32_e32 vcc, 0, v72
	v_cndmask_b32_e32 v72, 26, v72, vcc
; %bb.425:
	s_andn2_saveexec_b64 s[0:1], s[0:1]
; %bb.426:
	v_div_scale_f64 v[74:75], s[2:3], v[64:65], v[64:65], 1.0
	v_rcp_f64_e32 v[76:77], v[74:75]
	v_div_scale_f64 v[78:79], vcc, 1.0, v[64:65], 1.0
	v_fma_f64 v[80:81], -v[74:75], v[76:77], 1.0
	v_fmac_f64_e32 v[76:77], v[76:77], v[80:81]
	v_fma_f64 v[80:81], -v[74:75], v[76:77], 1.0
	v_fmac_f64_e32 v[76:77], v[76:77], v[80:81]
	v_mul_f64 v[80:81], v[78:79], v[76:77]
	v_fma_f64 v[74:75], -v[74:75], v[80:81], v[78:79]
	v_div_fmas_f64 v[74:75], v[74:75], v[76:77], v[80:81]
	v_div_fixup_f64 v[64:65], v[74:75], v[64:65], 1.0
; %bb.427:
	s_or_b64 exec, exec, s[0:1]
	v_cmp_ne_u32_e32 vcc, v69, v66
	s_and_saveexec_b64 s[0:1], vcc
	s_xor_b64 s[0:1], exec, s[0:1]
	s_cbranch_execz .LBB58_433
; %bb.428:
	v_cmp_eq_u32_e32 vcc, 25, v69
	s_and_saveexec_b64 s[2:3], vcc
	s_cbranch_execz .LBB58_432
; %bb.429:
	v_cmp_ne_u32_e32 vcc, 25, v66
	s_xor_b64 s[14:15], s[6:7], -1
	s_and_b64 s[16:17], s[14:15], vcc
	s_and_saveexec_b64 s[14:15], s[16:17]
	s_cbranch_execz .LBB58_431
; %bb.430:
	v_ashrrev_i32_e32 v67, 31, v66
	v_lshlrev_b64 v[74:75], 2, v[66:67]
	v_add_co_u32_e32 v74, vcc, v4, v74
	v_addc_co_u32_e32 v75, vcc, v5, v75, vcc
	flat_load_dword v67, v[74:75]
	flat_load_dword v69, v[4:5] offset:100
	s_waitcnt vmcnt(0) lgkmcnt(0)
	flat_store_dword v[4:5], v67 offset:100
	flat_store_dword v[74:75], v69
.LBB58_431:
	s_or_b64 exec, exec, s[14:15]
	v_mov_b32_e32 v67, v66
	v_mov_b32_e32 v69, v66
.LBB58_432:
	s_or_b64 exec, exec, s[2:3]
.LBB58_433:
	s_andn2_saveexec_b64 s[0:1], s[0:1]
	s_cbranch_execz .LBB58_435
; %bb.434:
	v_mov_b32_e32 v74, v8
	v_mov_b32_e32 v75, v9
	;; [unrolled: 1-line block ×4, first 2 shown]
	ds_write2_b64 v68, v[74:75], v[76:77] offset0:26 offset1:27
	v_mov_b32_e32 v74, v0
	v_mov_b32_e32 v75, v1
	;; [unrolled: 1-line block ×3, first 2 shown]
	ds_write2_b64 v68, v[74:75], v[62:63] offset0:28 offset1:29
.LBB58_435:
	s_or_b64 exec, exec, s[0:1]
	v_cmp_lt_i32_e32 vcc, 25, v69
	s_waitcnt lgkmcnt(0)
	s_barrier
	s_and_saveexec_b64 s[0:1], vcc
	s_cbranch_execz .LBB58_437
; %bb.436:
	ds_read2_b64 v[74:77], v68 offset0:26 offset1:27
	ds_read2_b64 v[78:81], v68 offset0:28 offset1:29
	v_mul_f64 v[10:11], v[64:65], v[10:11]
	s_waitcnt lgkmcnt(0)
	v_fma_f64 v[8:9], -v[10:11], v[74:75], v[8:9]
	v_fma_f64 v[6:7], -v[10:11], v[76:77], v[6:7]
	;; [unrolled: 1-line block ×4, first 2 shown]
.LBB58_437:
	s_or_b64 exec, exec, s[0:1]
	v_lshl_add_u32 v64, v69, 3, v68
	s_barrier
	ds_write_b64 v64, v[8:9]
	s_waitcnt lgkmcnt(0)
	s_barrier
	ds_read_b64 v[64:65], v68 offset:208
	s_cmp_lt_i32 s18, 28
	v_mov_b32_e32 v66, 26
	s_cbranch_scc1 .LBB58_440
; %bb.438:
	v_add_u32_e32 v73, 0xd8, v68
	s_mov_b32 s0, 27
	v_mov_b32_e32 v66, 26
.LBB58_439:                             ; =>This Inner Loop Header: Depth=1
	ds_read_b64 v[74:75], v73
	v_mov_b32_e32 v76, s0
	s_add_i32 s0, s0, 1
	v_add_u32_e32 v73, 8, v73
	s_cmp_lg_u32 s18, s0
	s_waitcnt lgkmcnt(0)
	v_cmp_lt_f64_e64 vcc, |v[64:65]|, |v[74:75]|
	v_cndmask_b32_e32 v65, v65, v75, vcc
	v_cndmask_b32_e32 v64, v64, v74, vcc
	;; [unrolled: 1-line block ×3, first 2 shown]
	s_cbranch_scc1 .LBB58_439
.LBB58_440:
	s_waitcnt lgkmcnt(0)
	v_cmp_eq_f64_e32 vcc, 0, v[64:65]
	s_and_saveexec_b64 s[0:1], vcc
	s_xor_b64 s[0:1], exec, s[0:1]
; %bb.441:
	v_cmp_ne_u32_e32 vcc, 0, v72
	v_cndmask_b32_e32 v72, 27, v72, vcc
; %bb.442:
	s_andn2_saveexec_b64 s[0:1], s[0:1]
; %bb.443:
	v_div_scale_f64 v[74:75], s[2:3], v[64:65], v[64:65], 1.0
	v_rcp_f64_e32 v[76:77], v[74:75]
	v_div_scale_f64 v[78:79], vcc, 1.0, v[64:65], 1.0
	v_fma_f64 v[80:81], -v[74:75], v[76:77], 1.0
	v_fmac_f64_e32 v[76:77], v[76:77], v[80:81]
	v_fma_f64 v[80:81], -v[74:75], v[76:77], 1.0
	v_fmac_f64_e32 v[76:77], v[76:77], v[80:81]
	v_mul_f64 v[80:81], v[78:79], v[76:77]
	v_fma_f64 v[74:75], -v[74:75], v[80:81], v[78:79]
	v_div_fmas_f64 v[74:75], v[74:75], v[76:77], v[80:81]
	v_div_fixup_f64 v[64:65], v[74:75], v[64:65], 1.0
; %bb.444:
	s_or_b64 exec, exec, s[0:1]
	v_cmp_ne_u32_e32 vcc, v69, v66
	s_and_saveexec_b64 s[0:1], vcc
	s_xor_b64 s[0:1], exec, s[0:1]
	s_cbranch_execz .LBB58_450
; %bb.445:
	v_cmp_eq_u32_e32 vcc, 26, v69
	s_and_saveexec_b64 s[2:3], vcc
	s_cbranch_execz .LBB58_449
; %bb.446:
	v_cmp_ne_u32_e32 vcc, 26, v66
	s_xor_b64 s[14:15], s[6:7], -1
	s_and_b64 s[16:17], s[14:15], vcc
	s_and_saveexec_b64 s[14:15], s[16:17]
	s_cbranch_execz .LBB58_448
; %bb.447:
	v_ashrrev_i32_e32 v67, 31, v66
	v_lshlrev_b64 v[74:75], 2, v[66:67]
	v_add_co_u32_e32 v74, vcc, v4, v74
	v_addc_co_u32_e32 v75, vcc, v5, v75, vcc
	flat_load_dword v67, v[74:75]
	flat_load_dword v69, v[4:5] offset:104
	s_waitcnt vmcnt(0) lgkmcnt(0)
	flat_store_dword v[4:5], v67 offset:104
	flat_store_dword v[74:75], v69
.LBB58_448:
	s_or_b64 exec, exec, s[14:15]
	v_mov_b32_e32 v67, v66
	v_mov_b32_e32 v69, v66
.LBB58_449:
	s_or_b64 exec, exec, s[2:3]
.LBB58_450:
	s_andn2_saveexec_b64 s[0:1], s[0:1]
	s_cbranch_execz .LBB58_452
; %bb.451:
	v_mov_b32_e32 v69, 26
	ds_write2_b64 v68, v[6:7], v[0:1] offset0:27 offset1:28
	ds_write_b64 v68, v[62:63] offset:232
.LBB58_452:
	s_or_b64 exec, exec, s[0:1]
	v_cmp_lt_i32_e32 vcc, 26, v69
	s_waitcnt lgkmcnt(0)
	s_barrier
	s_and_saveexec_b64 s[0:1], vcc
	s_cbranch_execz .LBB58_454
; %bb.453:
	ds_read2_b64 v[74:77], v68 offset0:27 offset1:28
	ds_read_b64 v[78:79], v68 offset:232
	v_mul_f64 v[8:9], v[64:65], v[8:9]
	s_waitcnt lgkmcnt(0)
	v_fma_f64 v[6:7], -v[8:9], v[74:75], v[6:7]
	v_fma_f64 v[0:1], -v[8:9], v[76:77], v[0:1]
	;; [unrolled: 1-line block ×3, first 2 shown]
.LBB58_454:
	s_or_b64 exec, exec, s[0:1]
	v_lshl_add_u32 v64, v69, 3, v68
	s_barrier
	ds_write_b64 v64, v[6:7]
	s_waitcnt lgkmcnt(0)
	s_barrier
	ds_read_b64 v[64:65], v68 offset:216
	s_cmp_lt_i32 s18, 29
	v_mov_b32_e32 v66, 27
	s_cbranch_scc1 .LBB58_457
; %bb.455:
	v_add_u32_e32 v73, 0xe0, v68
	s_mov_b32 s0, 28
	v_mov_b32_e32 v66, 27
.LBB58_456:                             ; =>This Inner Loop Header: Depth=1
	ds_read_b64 v[74:75], v73
	v_mov_b32_e32 v76, s0
	s_add_i32 s0, s0, 1
	v_add_u32_e32 v73, 8, v73
	s_cmp_lg_u32 s18, s0
	s_waitcnt lgkmcnt(0)
	v_cmp_lt_f64_e64 vcc, |v[64:65]|, |v[74:75]|
	v_cndmask_b32_e32 v65, v65, v75, vcc
	v_cndmask_b32_e32 v64, v64, v74, vcc
	;; [unrolled: 1-line block ×3, first 2 shown]
	s_cbranch_scc1 .LBB58_456
.LBB58_457:
	s_waitcnt lgkmcnt(0)
	v_cmp_eq_f64_e32 vcc, 0, v[64:65]
	s_and_saveexec_b64 s[0:1], vcc
	s_xor_b64 s[0:1], exec, s[0:1]
; %bb.458:
	v_cmp_ne_u32_e32 vcc, 0, v72
	v_cndmask_b32_e32 v72, 28, v72, vcc
; %bb.459:
	s_andn2_saveexec_b64 s[0:1], s[0:1]
; %bb.460:
	v_div_scale_f64 v[74:75], s[2:3], v[64:65], v[64:65], 1.0
	v_rcp_f64_e32 v[76:77], v[74:75]
	v_div_scale_f64 v[78:79], vcc, 1.0, v[64:65], 1.0
	v_fma_f64 v[80:81], -v[74:75], v[76:77], 1.0
	v_fmac_f64_e32 v[76:77], v[76:77], v[80:81]
	v_fma_f64 v[80:81], -v[74:75], v[76:77], 1.0
	v_fmac_f64_e32 v[76:77], v[76:77], v[80:81]
	v_mul_f64 v[80:81], v[78:79], v[76:77]
	v_fma_f64 v[74:75], -v[74:75], v[80:81], v[78:79]
	v_div_fmas_f64 v[74:75], v[74:75], v[76:77], v[80:81]
	v_div_fixup_f64 v[64:65], v[74:75], v[64:65], 1.0
; %bb.461:
	s_or_b64 exec, exec, s[0:1]
	v_cmp_ne_u32_e32 vcc, v69, v66
	s_and_saveexec_b64 s[0:1], vcc
	s_xor_b64 s[0:1], exec, s[0:1]
	s_cbranch_execz .LBB58_467
; %bb.462:
	v_cmp_eq_u32_e32 vcc, 27, v69
	s_and_saveexec_b64 s[2:3], vcc
	s_cbranch_execz .LBB58_466
; %bb.463:
	v_cmp_ne_u32_e32 vcc, 27, v66
	s_xor_b64 s[14:15], s[6:7], -1
	s_and_b64 s[16:17], s[14:15], vcc
	s_and_saveexec_b64 s[14:15], s[16:17]
	s_cbranch_execz .LBB58_465
; %bb.464:
	v_ashrrev_i32_e32 v67, 31, v66
	v_lshlrev_b64 v[74:75], 2, v[66:67]
	v_add_co_u32_e32 v74, vcc, v4, v74
	v_addc_co_u32_e32 v75, vcc, v5, v75, vcc
	flat_load_dword v67, v[74:75]
	flat_load_dword v69, v[4:5] offset:108
	s_waitcnt vmcnt(0) lgkmcnt(0)
	flat_store_dword v[4:5], v67 offset:108
	flat_store_dword v[74:75], v69
.LBB58_465:
	s_or_b64 exec, exec, s[14:15]
	v_mov_b32_e32 v67, v66
	v_mov_b32_e32 v69, v66
.LBB58_466:
	s_or_b64 exec, exec, s[2:3]
.LBB58_467:
	s_andn2_saveexec_b64 s[0:1], s[0:1]
	s_cbranch_execz .LBB58_469
; %bb.468:
	v_mov_b32_e32 v74, v0
	v_mov_b32_e32 v75, v1
	;; [unrolled: 1-line block ×3, first 2 shown]
	ds_write2_b64 v68, v[74:75], v[62:63] offset0:28 offset1:29
.LBB58_469:
	s_or_b64 exec, exec, s[0:1]
	v_cmp_lt_i32_e32 vcc, 27, v69
	s_waitcnt lgkmcnt(0)
	s_barrier
	s_and_saveexec_b64 s[0:1], vcc
	s_cbranch_execz .LBB58_471
; %bb.470:
	ds_read2_b64 v[74:77], v68 offset0:28 offset1:29
	v_mul_f64 v[6:7], v[64:65], v[6:7]
	s_waitcnt lgkmcnt(0)
	v_fma_f64 v[0:1], -v[6:7], v[74:75], v[0:1]
	v_fma_f64 v[62:63], -v[6:7], v[76:77], v[62:63]
.LBB58_471:
	s_or_b64 exec, exec, s[0:1]
	v_lshl_add_u32 v64, v69, 3, v68
	s_barrier
	ds_write_b64 v64, v[0:1]
	s_waitcnt lgkmcnt(0)
	s_barrier
	ds_read_b64 v[64:65], v68 offset:224
	s_cmp_lt_i32 s18, 30
	v_mov_b32_e32 v66, 28
	s_cbranch_scc1 .LBB58_474
; %bb.472:
	v_add_u32_e32 v73, 0xe8, v68
	s_mov_b32 s0, 29
	v_mov_b32_e32 v66, 28
.LBB58_473:                             ; =>This Inner Loop Header: Depth=1
	ds_read_b64 v[74:75], v73
	v_mov_b32_e32 v76, s0
	s_add_i32 s0, s0, 1
	v_add_u32_e32 v73, 8, v73
	s_cmp_lg_u32 s18, s0
	s_waitcnt lgkmcnt(0)
	v_cmp_lt_f64_e64 vcc, |v[64:65]|, |v[74:75]|
	v_cndmask_b32_e32 v65, v65, v75, vcc
	v_cndmask_b32_e32 v64, v64, v74, vcc
	v_cndmask_b32_e32 v66, v66, v76, vcc
	s_cbranch_scc1 .LBB58_473
.LBB58_474:
	s_waitcnt lgkmcnt(0)
	v_cmp_eq_f64_e32 vcc, 0, v[64:65]
	s_and_saveexec_b64 s[0:1], vcc
	s_xor_b64 s[0:1], exec, s[0:1]
; %bb.475:
	v_cmp_ne_u32_e32 vcc, 0, v72
	v_cndmask_b32_e32 v72, 29, v72, vcc
; %bb.476:
	s_andn2_saveexec_b64 s[0:1], s[0:1]
; %bb.477:
	v_div_scale_f64 v[74:75], s[2:3], v[64:65], v[64:65], 1.0
	v_rcp_f64_e32 v[76:77], v[74:75]
	v_div_scale_f64 v[78:79], vcc, 1.0, v[64:65], 1.0
	v_fma_f64 v[80:81], -v[74:75], v[76:77], 1.0
	v_fmac_f64_e32 v[76:77], v[76:77], v[80:81]
	v_fma_f64 v[80:81], -v[74:75], v[76:77], 1.0
	v_fmac_f64_e32 v[76:77], v[76:77], v[80:81]
	v_mul_f64 v[80:81], v[78:79], v[76:77]
	v_fma_f64 v[74:75], -v[74:75], v[80:81], v[78:79]
	v_div_fmas_f64 v[74:75], v[74:75], v[76:77], v[80:81]
	v_div_fixup_f64 v[64:65], v[74:75], v[64:65], 1.0
; %bb.478:
	s_or_b64 exec, exec, s[0:1]
	v_cmp_ne_u32_e32 vcc, v69, v66
	s_and_saveexec_b64 s[0:1], vcc
	s_xor_b64 s[0:1], exec, s[0:1]
	s_cbranch_execz .LBB58_484
; %bb.479:
	v_cmp_eq_u32_e32 vcc, 28, v69
	s_and_saveexec_b64 s[2:3], vcc
	s_cbranch_execz .LBB58_483
; %bb.480:
	v_cmp_ne_u32_e32 vcc, 28, v66
	s_xor_b64 s[14:15], s[6:7], -1
	s_and_b64 s[16:17], s[14:15], vcc
	s_and_saveexec_b64 s[14:15], s[16:17]
	s_cbranch_execz .LBB58_482
; %bb.481:
	v_ashrrev_i32_e32 v67, 31, v66
	v_lshlrev_b64 v[74:75], 2, v[66:67]
	v_add_co_u32_e32 v74, vcc, v4, v74
	v_addc_co_u32_e32 v75, vcc, v5, v75, vcc
	flat_load_dword v67, v[74:75]
	flat_load_dword v69, v[4:5] offset:112
	s_waitcnt vmcnt(0) lgkmcnt(0)
	flat_store_dword v[4:5], v67 offset:112
	flat_store_dword v[74:75], v69
.LBB58_482:
	s_or_b64 exec, exec, s[14:15]
	v_mov_b32_e32 v67, v66
	v_mov_b32_e32 v69, v66
.LBB58_483:
	s_or_b64 exec, exec, s[2:3]
.LBB58_484:
	s_andn2_saveexec_b64 s[0:1], s[0:1]
	s_cbranch_execz .LBB58_486
; %bb.485:
	v_mov_b32_e32 v69, 28
	ds_write_b64 v68, v[62:63] offset:232
.LBB58_486:
	s_or_b64 exec, exec, s[0:1]
	v_cmp_lt_i32_e32 vcc, 28, v69
	s_waitcnt lgkmcnt(0)
	s_barrier
	s_and_saveexec_b64 s[0:1], vcc
	s_cbranch_execz .LBB58_488
; %bb.487:
	ds_read_b64 v[74:75], v68 offset:232
	v_mul_f64 v[0:1], v[64:65], v[0:1]
	s_waitcnt lgkmcnt(0)
	v_fma_f64 v[62:63], -v[0:1], v[74:75], v[62:63]
.LBB58_488:
	s_or_b64 exec, exec, s[0:1]
	v_lshl_add_u32 v64, v69, 3, v68
	s_barrier
	ds_write_b64 v64, v[62:63]
	s_waitcnt lgkmcnt(0)
	s_barrier
	ds_read_b64 v[64:65], v68 offset:232
	s_cmp_lt_i32 s18, 31
	v_mov_b32_e32 v66, 29
	s_cbranch_scc1 .LBB58_491
; %bb.489:
	v_add_u32_e32 v68, 0xf0, v68
	s_mov_b32 s0, 30
	v_mov_b32_e32 v66, 29
.LBB58_490:                             ; =>This Inner Loop Header: Depth=1
	ds_read_b64 v[74:75], v68
	v_mov_b32_e32 v73, s0
	s_add_i32 s0, s0, 1
	v_add_u32_e32 v68, 8, v68
	s_cmp_lg_u32 s18, s0
	s_waitcnt lgkmcnt(0)
	v_cmp_lt_f64_e64 vcc, |v[64:65]|, |v[74:75]|
	v_cndmask_b32_e32 v65, v65, v75, vcc
	v_cndmask_b32_e32 v64, v64, v74, vcc
	;; [unrolled: 1-line block ×3, first 2 shown]
	s_cbranch_scc1 .LBB58_490
.LBB58_491:
	s_waitcnt lgkmcnt(0)
	v_cmp_eq_f64_e32 vcc, 0, v[64:65]
	s_and_saveexec_b64 s[0:1], vcc
	s_xor_b64 s[0:1], exec, s[0:1]
; %bb.492:
	v_cmp_ne_u32_e32 vcc, 0, v72
	v_cndmask_b32_e32 v72, 30, v72, vcc
; %bb.493:
	s_andn2_saveexec_b64 s[0:1], s[0:1]
; %bb.494:
	v_div_scale_f64 v[74:75], s[2:3], v[64:65], v[64:65], 1.0
	v_rcp_f64_e32 v[76:77], v[74:75]
	v_div_scale_f64 v[78:79], vcc, 1.0, v[64:65], 1.0
	v_fma_f64 v[80:81], -v[74:75], v[76:77], 1.0
	v_fmac_f64_e32 v[76:77], v[76:77], v[80:81]
	v_fma_f64 v[80:81], -v[74:75], v[76:77], 1.0
	v_fmac_f64_e32 v[76:77], v[76:77], v[80:81]
	v_mul_f64 v[80:81], v[78:79], v[76:77]
	v_fma_f64 v[74:75], -v[74:75], v[80:81], v[78:79]
	v_div_fmas_f64 v[74:75], v[74:75], v[76:77], v[80:81]
	v_div_fixup_f64 v[64:65], v[74:75], v[64:65], 1.0
; %bb.495:
	s_or_b64 exec, exec, s[0:1]
	v_cmp_ne_u32_e32 vcc, v69, v66
	v_mov_b32_e32 v68, 29
	s_and_saveexec_b64 s[0:1], vcc
	s_cbranch_execz .LBB58_501
; %bb.496:
	v_cmp_eq_u32_e32 vcc, 29, v69
	s_and_saveexec_b64 s[2:3], vcc
	s_cbranch_execz .LBB58_500
; %bb.497:
	v_cmp_ne_u32_e32 vcc, 29, v66
	s_xor_b64 s[6:7], s[6:7], -1
	s_and_b64 s[14:15], s[6:7], vcc
	s_and_saveexec_b64 s[6:7], s[14:15]
	s_cbranch_execz .LBB58_499
; %bb.498:
	v_ashrrev_i32_e32 v67, 31, v66
	v_lshlrev_b64 v[68:69], 2, v[66:67]
	v_add_co_u32_e32 v68, vcc, v4, v68
	v_addc_co_u32_e32 v69, vcc, v5, v69, vcc
	flat_load_dword v67, v[68:69]
	flat_load_dword v73, v[4:5] offset:116
	s_waitcnt vmcnt(0) lgkmcnt(0)
	flat_store_dword v[4:5], v67 offset:116
	flat_store_dword v[68:69], v73
.LBB58_499:
	s_or_b64 exec, exec, s[6:7]
	v_mov_b32_e32 v67, v66
	v_mov_b32_e32 v69, v66
.LBB58_500:
	s_or_b64 exec, exec, s[2:3]
	v_mov_b32_e32 v68, v69
.LBB58_501:
	s_or_b64 exec, exec, s[0:1]
	s_load_dwordx8 s[0:7], s[4:5], 0x28
	v_cmp_gt_i32_e32 vcc, 30, v68
	v_ashrrev_i32_e32 v69, 31, v68
	s_waitcnt lgkmcnt(0)
	s_barrier
	s_barrier
	s_and_saveexec_b64 s[14:15], vcc
	s_cbranch_execz .LBB58_503
; %bb.502:
	v_mul_lo_u32 v66, v3, s4
	v_mul_lo_u32 v73, v2, s5
	v_mad_u64_u32 v[4:5], s[4:5], v2, s4, 0
	s_lshl_b64 s[2:3], s[2:3], 2
	v_add3_u32 v5, v5, v73, v66
	s_add_u32 s0, s2, s0
	v_lshlrev_b64 v[4:5], 2, v[4:5]
	s_addc_u32 s1, s3, s1
	v_mov_b32_e32 v66, s1
	v_add_co_u32_e32 v73, vcc, s0, v4
	v_addc_co_u32_e32 v66, vcc, v66, v5, vcc
	v_lshlrev_b64 v[4:5], 2, v[68:69]
	v_add_co_u32_e32 v4, vcc, v73, v4
	v_addc_co_u32_e32 v5, vcc, v66, v5, vcc
	v_add3_u32 v66, v67, s13, 1
	global_store_dword v[4:5], v66, off
.LBB58_503:
	s_or_b64 exec, exec, s[14:15]
	v_cmp_eq_u32_e32 vcc, 0, v68
	s_and_saveexec_b64 s[2:3], vcc
	s_cbranch_execz .LBB58_506
; %bb.504:
	v_lshlrev_b64 v[2:3], 2, v[2:3]
	v_mov_b32_e32 v4, s7
	v_add_co_u32_e32 v2, vcc, s6, v2
	v_addc_co_u32_e32 v3, vcc, v4, v3, vcc
	global_load_dword v4, v[2:3], off
	v_cmp_lt_i32_e64 s[0:1], 0, v72
	s_waitcnt vmcnt(0)
	v_cmp_eq_u32_e32 vcc, 0, v4
	s_and_b64 s[0:1], vcc, s[0:1]
	s_and_b64 exec, exec, s[0:1]
	s_cbranch_execz .LBB58_506
; %bb.505:
	v_add_u32_e32 v4, s13, v72
	global_store_dword v[2:3], v4, off
.LBB58_506:
	s_or_b64 exec, exec, s[2:3]
	v_mul_f64 v[2:3], v[64:65], v[62:63]
	v_cmp_lt_i32_e32 vcc, 29, v68
	v_lshlrev_b64 v[4:5], 3, v[68:69]
	v_cndmask_b32_e32 v3, v63, v3, vcc
	v_cndmask_b32_e32 v2, v62, v2, vcc
	v_add_co_u32_e32 v4, vcc, v70, v4
	v_addc_co_u32_e32 v5, vcc, v71, v5, vcc
	global_store_dwordx2 v[4:5], v[60:61], off
	v_mov_b32_e32 v60, s11
	v_add_co_u32_e32 v4, vcc, s10, v4
	v_addc_co_u32_e32 v5, vcc, v5, v60, vcc
	global_store_dwordx2 v[4:5], v[58:59], off
	v_add_u32_e32 v4, s12, v68
	v_ashrrev_i32_e32 v5, 31, v4
	v_lshlrev_b64 v[58:59], 3, v[4:5]
	v_add_co_u32_e32 v58, vcc, v70, v58
	v_add_u32_e32 v4, s8, v4
	v_addc_co_u32_e32 v59, vcc, v71, v59, vcc
	v_ashrrev_i32_e32 v5, 31, v4
	global_store_dwordx2 v[58:59], v[56:57], off
	v_lshlrev_b64 v[56:57], 3, v[4:5]
	v_add_co_u32_e32 v56, vcc, v70, v56
	v_add_u32_e32 v4, s8, v4
	v_addc_co_u32_e32 v57, vcc, v71, v57, vcc
	v_ashrrev_i32_e32 v5, 31, v4
	global_store_dwordx2 v[56:57], v[54:55], off
	;; [unrolled: 6-line block ×26, first 2 shown]
	v_lshlrev_b64 v[6:7], 3, v[4:5]
	v_add_co_u32_e32 v6, vcc, v70, v6
	v_addc_co_u32_e32 v7, vcc, v71, v7, vcc
	global_store_dwordx2 v[6:7], v[0:1], off
	v_add_u32_e32 v0, s8, v4
	v_ashrrev_i32_e32 v1, 31, v0
	v_lshlrev_b64 v[0:1], 3, v[0:1]
	v_add_co_u32_e32 v0, vcc, v70, v0
	v_addc_co_u32_e32 v1, vcc, v71, v1, vcc
	global_store_dwordx2 v[0:1], v[2:3], off
.LBB58_507:
	s_endpgm
	.section	.rodata,"a",@progbits
	.p2align	6, 0x0
	.amdhsa_kernel _ZN9rocsolver6v33100L18getf2_small_kernelILi30EdiiPKPdEEvT1_T3_lS5_lPS5_llPT2_S5_S5_S7_l
		.amdhsa_group_segment_fixed_size 0
		.amdhsa_private_segment_fixed_size 0
		.amdhsa_kernarg_size 352
		.amdhsa_user_sgpr_count 6
		.amdhsa_user_sgpr_private_segment_buffer 1
		.amdhsa_user_sgpr_dispatch_ptr 0
		.amdhsa_user_sgpr_queue_ptr 0
		.amdhsa_user_sgpr_kernarg_segment_ptr 1
		.amdhsa_user_sgpr_dispatch_id 0
		.amdhsa_user_sgpr_flat_scratch_init 0
		.amdhsa_user_sgpr_kernarg_preload_length 0
		.amdhsa_user_sgpr_kernarg_preload_offset 0
		.amdhsa_user_sgpr_private_segment_size 0
		.amdhsa_uses_dynamic_stack 0
		.amdhsa_system_sgpr_private_segment_wavefront_offset 0
		.amdhsa_system_sgpr_workgroup_id_x 1
		.amdhsa_system_sgpr_workgroup_id_y 1
		.amdhsa_system_sgpr_workgroup_id_z 0
		.amdhsa_system_sgpr_workgroup_info 0
		.amdhsa_system_vgpr_workitem_id 1
		.amdhsa_next_free_vgpr 100
		.amdhsa_next_free_sgpr 22
		.amdhsa_accum_offset 100
		.amdhsa_reserve_vcc 1
		.amdhsa_reserve_flat_scratch 0
		.amdhsa_float_round_mode_32 0
		.amdhsa_float_round_mode_16_64 0
		.amdhsa_float_denorm_mode_32 3
		.amdhsa_float_denorm_mode_16_64 3
		.amdhsa_dx10_clamp 1
		.amdhsa_ieee_mode 1
		.amdhsa_fp16_overflow 0
		.amdhsa_tg_split 0
		.amdhsa_exception_fp_ieee_invalid_op 0
		.amdhsa_exception_fp_denorm_src 0
		.amdhsa_exception_fp_ieee_div_zero 0
		.amdhsa_exception_fp_ieee_overflow 0
		.amdhsa_exception_fp_ieee_underflow 0
		.amdhsa_exception_fp_ieee_inexact 0
		.amdhsa_exception_int_div_zero 0
	.end_amdhsa_kernel
	.section	.text._ZN9rocsolver6v33100L18getf2_small_kernelILi30EdiiPKPdEEvT1_T3_lS5_lPS5_llPT2_S5_S5_S7_l,"axG",@progbits,_ZN9rocsolver6v33100L18getf2_small_kernelILi30EdiiPKPdEEvT1_T3_lS5_lPS5_llPT2_S5_S5_S7_l,comdat
.Lfunc_end58:
	.size	_ZN9rocsolver6v33100L18getf2_small_kernelILi30EdiiPKPdEEvT1_T3_lS5_lPS5_llPT2_S5_S5_S7_l, .Lfunc_end58-_ZN9rocsolver6v33100L18getf2_small_kernelILi30EdiiPKPdEEvT1_T3_lS5_lPS5_llPT2_S5_S5_S7_l
                                        ; -- End function
	.section	.AMDGPU.csdata,"",@progbits
; Kernel info:
; codeLenInByte = 23136
; NumSgprs: 26
; NumVgprs: 100
; NumAgprs: 0
; TotalNumVgprs: 100
; ScratchSize: 0
; MemoryBound: 0
; FloatMode: 240
; IeeeMode: 1
; LDSByteSize: 0 bytes/workgroup (compile time only)
; SGPRBlocks: 3
; VGPRBlocks: 12
; NumSGPRsForWavesPerEU: 26
; NumVGPRsForWavesPerEU: 100
; AccumOffset: 100
; Occupancy: 4
; WaveLimiterHint : 1
; COMPUTE_PGM_RSRC2:SCRATCH_EN: 0
; COMPUTE_PGM_RSRC2:USER_SGPR: 6
; COMPUTE_PGM_RSRC2:TRAP_HANDLER: 0
; COMPUTE_PGM_RSRC2:TGID_X_EN: 1
; COMPUTE_PGM_RSRC2:TGID_Y_EN: 1
; COMPUTE_PGM_RSRC2:TGID_Z_EN: 0
; COMPUTE_PGM_RSRC2:TIDIG_COMP_CNT: 1
; COMPUTE_PGM_RSRC3_GFX90A:ACCUM_OFFSET: 24
; COMPUTE_PGM_RSRC3_GFX90A:TG_SPLIT: 0
	.section	.text._ZN9rocsolver6v33100L23getf2_npvt_small_kernelILi30EdiiPKPdEEvT1_T3_lS5_lPT2_S5_S5_,"axG",@progbits,_ZN9rocsolver6v33100L23getf2_npvt_small_kernelILi30EdiiPKPdEEvT1_T3_lS5_lPT2_S5_S5_,comdat
	.globl	_ZN9rocsolver6v33100L23getf2_npvt_small_kernelILi30EdiiPKPdEEvT1_T3_lS5_lPT2_S5_S5_ ; -- Begin function _ZN9rocsolver6v33100L23getf2_npvt_small_kernelILi30EdiiPKPdEEvT1_T3_lS5_lPT2_S5_S5_
	.p2align	8
	.type	_ZN9rocsolver6v33100L23getf2_npvt_small_kernelILi30EdiiPKPdEEvT1_T3_lS5_lPT2_S5_S5_,@function
_ZN9rocsolver6v33100L23getf2_npvt_small_kernelILi30EdiiPKPdEEvT1_T3_lS5_lPT2_S5_S5_: ; @_ZN9rocsolver6v33100L23getf2_npvt_small_kernelILi30EdiiPKPdEEvT1_T3_lS5_lPT2_S5_S5_
; %bb.0:
	s_load_dword s0, s[4:5], 0x44
	s_load_dwordx2 s[8:9], s[4:5], 0x30
	v_bfe_u32 v122, v0, 10, 10
	s_waitcnt lgkmcnt(0)
	s_lshr_b32 s6, s0, 16
	s_mul_i32 s7, s7, s6
	v_add_u32_e32 v2, s7, v122
	v_cmp_gt_i32_e32 vcc, s8, v2
	s_and_saveexec_b64 s[0:1], vcc
	s_cbranch_execz .LBB59_153
; %bb.1:
	s_load_dwordx4 s[12:15], s[4:5], 0x8
	s_load_dword s0, s[4:5], 0x18
	v_ashrrev_i32_e32 v3, 31, v2
	v_lshlrev_b64 v[4:5], 3, v[2:3]
	v_and_b32_e32 v182, 0x3ff, v0
	s_waitcnt lgkmcnt(0)
	v_mov_b32_e32 v1, s13
	v_add_co_u32_e32 v4, vcc, s12, v4
	v_addc_co_u32_e32 v5, vcc, v1, v5, vcc
	global_load_dwordx2 v[4:5], v[4:5], off
	s_add_i32 s1, s0, s0
	s_lshl_b64 s[2:3], s[14:15], 3
	v_add_u32_e32 v0, s1, v182
	v_mov_b32_e32 v25, s3
	v_ashrrev_i32_e32 v1, 31, v0
	v_add_u32_e32 v6, s0, v0
	v_lshlrev_b64 v[0:1], 3, v[0:1]
	v_ashrrev_i32_e32 v7, 31, v6
	v_add_u32_e32 v8, s0, v6
	v_lshlrev_b64 v[6:7], 3, v[6:7]
	;; [unrolled: 3-line block ×10, first 2 shown]
	v_add_u32_e32 v26, s0, v24
	v_ashrrev_i32_e32 v27, 31, v26
	v_add_u32_e32 v28, s0, v26
	v_ashrrev_i32_e32 v29, 31, v28
	;; [unrolled: 2-line block ×16, first 2 shown]
	v_lshlrev_b32_e32 v60, 3, v182
	s_ashr_i32 s1, s0, 31
	s_mulk_i32 s6, 0xf0
	s_waitcnt vmcnt(0)
	v_add_co_u32_e32 v58, vcc, s2, v4
	v_addc_co_u32_e32 v59, vcc, v5, v25, vcc
	v_add_co_u32_e32 v0, vcc, v58, v0
	v_addc_co_u32_e32 v1, vcc, v59, v1, vcc
	;; [unrolled: 2-line block ×10, first 2 shown]
	v_add_co_u32_e32 v20, vcc, v58, v22
	v_ashrrev_i32_e32 v25, 31, v24
	v_addc_co_u32_e32 v21, vcc, v59, v23, vcc
	v_lshlrev_b64 v[22:23], 3, v[24:25]
	v_add_co_u32_e32 v22, vcc, v58, v22
	v_addc_co_u32_e32 v23, vcc, v59, v23, vcc
	v_lshlrev_b64 v[24:25], 3, v[26:27]
	v_add_co_u32_e32 v24, vcc, v58, v24
	v_addc_co_u32_e32 v25, vcc, v59, v25, vcc
	v_lshlrev_b64 v[26:27], 3, v[28:29]
	v_add_co_u32_e32 v26, vcc, v58, v26
	v_addc_co_u32_e32 v27, vcc, v59, v27, vcc
	v_lshlrev_b64 v[28:29], 3, v[30:31]
	v_add_co_u32_e32 v28, vcc, v58, v28
	v_addc_co_u32_e32 v29, vcc, v59, v29, vcc
	v_lshlrev_b64 v[30:31], 3, v[32:33]
	v_add_co_u32_e32 v30, vcc, v58, v30
	v_addc_co_u32_e32 v31, vcc, v59, v31, vcc
	v_lshlrev_b64 v[32:33], 3, v[34:35]
	v_add_co_u32_e32 v32, vcc, v58, v32
	v_addc_co_u32_e32 v33, vcc, v59, v33, vcc
	v_lshlrev_b64 v[34:35], 3, v[36:37]
	v_add_co_u32_e32 v34, vcc, v58, v34
	v_addc_co_u32_e32 v35, vcc, v59, v35, vcc
	v_lshlrev_b64 v[36:37], 3, v[38:39]
	v_add_co_u32_e32 v36, vcc, v58, v36
	v_addc_co_u32_e32 v37, vcc, v59, v37, vcc
	v_lshlrev_b64 v[38:39], 3, v[40:41]
	v_add_co_u32_e32 v38, vcc, v58, v38
	v_addc_co_u32_e32 v39, vcc, v59, v39, vcc
	v_lshlrev_b64 v[40:41], 3, v[42:43]
	v_add_co_u32_e32 v40, vcc, v58, v40
	v_addc_co_u32_e32 v41, vcc, v59, v41, vcc
	v_lshlrev_b64 v[42:43], 3, v[44:45]
	v_add_co_u32_e32 v42, vcc, v58, v42
	v_addc_co_u32_e32 v43, vcc, v59, v43, vcc
	v_lshlrev_b64 v[44:45], 3, v[46:47]
	v_add_co_u32_e32 v44, vcc, v58, v44
	v_addc_co_u32_e32 v45, vcc, v59, v45, vcc
	v_lshlrev_b64 v[46:47], 3, v[48:49]
	v_add_co_u32_e32 v46, vcc, v58, v46
	v_addc_co_u32_e32 v47, vcc, v59, v47, vcc
	v_lshlrev_b64 v[48:49], 3, v[50:51]
	v_add_co_u32_e32 v48, vcc, v58, v48
	v_addc_co_u32_e32 v49, vcc, v59, v49, vcc
	v_lshlrev_b64 v[50:51], 3, v[52:53]
	v_add_co_u32_e32 v50, vcc, v58, v50
	v_addc_co_u32_e32 v51, vcc, v59, v51, vcc
	v_lshlrev_b64 v[52:53], 3, v[54:55]
	v_add_co_u32_e32 v52, vcc, v58, v52
	v_addc_co_u32_e32 v53, vcc, v59, v53, vcc
	v_lshlrev_b64 v[54:55], 3, v[56:57]
	v_add_u32_e32 v56, s0, v56
	v_add_co_u32_e32 v54, vcc, v58, v54
	v_ashrrev_i32_e32 v57, 31, v56
	v_addc_co_u32_e32 v55, vcc, v59, v55, vcc
	v_lshlrev_b64 v[56:57], 3, v[56:57]
	v_add_co_u32_e32 v56, vcc, v58, v56
	v_addc_co_u32_e32 v57, vcc, v59, v57, vcc
	v_add_co_u32_e32 v58, vcc, v58, v60
	v_addc_co_u32_e32 v59, vcc, 0, v59, vcc
	s_lshl_b64 s[0:1], s[0:1], 3
	v_mov_b32_e32 v61, s1
	v_add_co_u32_e32 v60, vcc, s0, v58
	v_addc_co_u32_e32 v61, vcc, v59, v61, vcc
	global_load_dwordx2 v[62:63], v[58:59], off
	global_load_dwordx2 v[90:91], v[60:61], off
	;; [unrolled: 1-line block ×30, first 2 shown]
	s_movk_i32 s0, 0xf0
	s_add_i32 s1, s6, 0
	v_mad_u32_u24 v181, v122, s0, 0
	v_lshl_add_u32 v180, v122, 3, s1
	v_cmp_ne_u32_e64 s[2:3], 0, v182
	v_cmp_eq_u32_e64 s[0:1], 0, v182
	s_and_saveexec_b64 s[6:7], s[0:1]
	s_cbranch_execz .LBB59_4
; %bb.2:
	s_waitcnt vmcnt(29)
	ds_write_b64 v180, v[62:63]
	s_waitcnt vmcnt(27)
	ds_write2_b64 v181, v[90:91], v[118:119] offset0:1 offset1:2
	s_waitcnt vmcnt(25)
	ds_write2_b64 v181, v[88:89], v[116:117] offset0:3 offset1:4
	;; [unrolled: 2-line block ×14, first 2 shown]
	s_waitcnt vmcnt(0)
	ds_write_b64 v181, v[120:121] offset:232
	ds_read_b64 v[122:123], v180
	s_waitcnt lgkmcnt(0)
	v_cmp_neq_f64_e32 vcc, 0, v[122:123]
	s_and_b64 exec, exec, vcc
	s_cbranch_execz .LBB59_4
; %bb.3:
	v_div_scale_f64 v[124:125], s[10:11], v[122:123], v[122:123], 1.0
	v_rcp_f64_e32 v[126:127], v[124:125]
	v_div_scale_f64 v[128:129], vcc, 1.0, v[122:123], 1.0
	v_fma_f64 v[130:131], -v[124:125], v[126:127], 1.0
	v_fmac_f64_e32 v[126:127], v[126:127], v[130:131]
	v_fma_f64 v[130:131], -v[124:125], v[126:127], 1.0
	v_fmac_f64_e32 v[126:127], v[126:127], v[130:131]
	v_mul_f64 v[130:131], v[128:129], v[126:127]
	v_fma_f64 v[124:125], -v[124:125], v[130:131], v[128:129]
	v_div_fmas_f64 v[124:125], v[124:125], v[126:127], v[130:131]
	v_div_fixup_f64 v[122:123], v[124:125], v[122:123], 1.0
	ds_write_b64 v180, v[122:123]
.LBB59_4:
	s_or_b64 exec, exec, s[6:7]
	s_waitcnt lgkmcnt(0)
	s_barrier
	ds_read_b64 v[122:123], v180
	s_and_saveexec_b64 s[6:7], s[2:3]
	s_cbranch_execz .LBB59_6
; %bb.5:
	ds_read2_b64 v[124:127], v181 offset0:1 offset1:2
	ds_read2_b64 v[128:131], v181 offset0:3 offset1:4
	;; [unrolled: 1-line block ×3, first 2 shown]
	s_waitcnt vmcnt(29) lgkmcnt(3)
	v_mul_f64 v[62:63], v[122:123], v[62:63]
	s_waitcnt vmcnt(28) lgkmcnt(2)
	v_fma_f64 v[90:91], -v[62:63], v[124:125], v[90:91]
	s_waitcnt vmcnt(27)
	v_fma_f64 v[118:119], -v[62:63], v[126:127], v[118:119]
	ds_read2_b64 v[124:127], v181 offset0:7 offset1:8
	s_waitcnt vmcnt(26) lgkmcnt(2)
	v_fma_f64 v[88:89], -v[62:63], v[128:129], v[88:89]
	s_waitcnt vmcnt(25)
	v_fma_f64 v[116:117], -v[62:63], v[130:131], v[116:117]
	s_waitcnt vmcnt(24) lgkmcnt(1)
	v_fma_f64 v[86:87], -v[62:63], v[132:133], v[86:87]
	ds_read2_b64 v[128:131], v181 offset0:9 offset1:10
	s_waitcnt vmcnt(23)
	v_fma_f64 v[114:115], -v[62:63], v[134:135], v[114:115]
	ds_read2_b64 v[132:135], v181 offset0:11 offset1:12
	s_waitcnt vmcnt(22) lgkmcnt(2)
	v_fma_f64 v[84:85], -v[62:63], v[124:125], v[84:85]
	s_waitcnt vmcnt(21)
	v_fma_f64 v[112:113], -v[62:63], v[126:127], v[112:113]
	s_waitcnt vmcnt(20) lgkmcnt(1)
	v_fma_f64 v[82:83], -v[62:63], v[128:129], v[82:83]
	ds_read2_b64 v[124:127], v181 offset0:13 offset1:14
	s_waitcnt vmcnt(19)
	v_fma_f64 v[110:111], -v[62:63], v[130:131], v[110:111]
	ds_read2_b64 v[128:131], v181 offset0:15 offset1:16
	s_waitcnt vmcnt(18) lgkmcnt(2)
	v_fma_f64 v[80:81], -v[62:63], v[132:133], v[80:81]
	s_waitcnt vmcnt(17)
	v_fma_f64 v[108:109], -v[62:63], v[134:135], v[108:109]
	ds_read2_b64 v[132:135], v181 offset0:17 offset1:18
	s_waitcnt vmcnt(16) lgkmcnt(2)
	v_fma_f64 v[78:79], -v[62:63], v[124:125], v[78:79]
	;; [unrolled: 5-line block ×3, first 2 shown]
	s_waitcnt vmcnt(13)
	v_fma_f64 v[104:105], -v[62:63], v[130:131], v[104:105]
	s_waitcnt vmcnt(12) lgkmcnt(1)
	v_fma_f64 v[74:75], -v[62:63], v[132:133], v[74:75]
	ds_read2_b64 v[128:131], v181 offset0:21 offset1:22
	s_waitcnt vmcnt(11)
	v_fma_f64 v[102:103], -v[62:63], v[134:135], v[102:103]
	ds_read2_b64 v[132:135], v181 offset0:23 offset1:24
	s_waitcnt vmcnt(10) lgkmcnt(2)
	v_fma_f64 v[72:73], -v[62:63], v[124:125], v[72:73]
	s_waitcnt vmcnt(9)
	v_fma_f64 v[100:101], -v[62:63], v[126:127], v[100:101]
	s_waitcnt vmcnt(8) lgkmcnt(1)
	v_fma_f64 v[70:71], -v[62:63], v[128:129], v[70:71]
	s_waitcnt vmcnt(7)
	v_fma_f64 v[98:99], -v[62:63], v[130:131], v[98:99]
	ds_read2_b64 v[124:127], v181 offset0:25 offset1:26
	ds_read2_b64 v[128:131], v181 offset0:27 offset1:28
	s_waitcnt vmcnt(6) lgkmcnt(2)
	v_fma_f64 v[68:69], -v[62:63], v[132:133], v[68:69]
	ds_read_b64 v[132:133], v181 offset:232
	s_waitcnt vmcnt(5)
	v_fma_f64 v[96:97], -v[62:63], v[134:135], v[96:97]
	s_waitcnt vmcnt(4) lgkmcnt(2)
	v_fma_f64 v[66:67], -v[62:63], v[124:125], v[66:67]
	s_waitcnt vmcnt(3)
	v_fma_f64 v[94:95], -v[62:63], v[126:127], v[94:95]
	s_waitcnt vmcnt(2) lgkmcnt(1)
	v_fma_f64 v[64:65], -v[62:63], v[128:129], v[64:65]
	s_waitcnt vmcnt(1)
	v_fma_f64 v[92:93], -v[62:63], v[130:131], v[92:93]
	s_waitcnt vmcnt(0) lgkmcnt(0)
	v_fma_f64 v[120:121], -v[62:63], v[132:133], v[120:121]
.LBB59_6:
	s_or_b64 exec, exec, s[6:7]
	v_cmp_eq_u32_e32 vcc, 1, v182
	s_waitcnt lgkmcnt(0)
	s_barrier
	s_and_saveexec_b64 s[2:3], vcc
	s_cbranch_execz .LBB59_9
; %bb.7:
	s_waitcnt vmcnt(27)
	v_mov_b32_e32 v124, v118
	v_mov_b32_e32 v125, v119
	s_waitcnt vmcnt(26)
	v_mov_b32_e32 v126, v88
	v_mov_b32_e32 v127, v89
	ds_write_b64 v180, v[90:91]
	ds_write2_b64 v181, v[124:125], v[126:127] offset0:2 offset1:3
	s_waitcnt vmcnt(25)
	v_mov_b32_e32 v124, v116
	v_mov_b32_e32 v125, v117
	s_waitcnt vmcnt(24)
	v_mov_b32_e32 v126, v86
	v_mov_b32_e32 v127, v87
	ds_write2_b64 v181, v[124:125], v[126:127] offset0:4 offset1:5
	s_waitcnt vmcnt(23)
	v_mov_b32_e32 v124, v114
	v_mov_b32_e32 v125, v115
	s_waitcnt vmcnt(22)
	v_mov_b32_e32 v126, v84
	v_mov_b32_e32 v127, v85
	;; [unrolled: 7-line block ×12, first 2 shown]
	ds_write2_b64 v181, v[124:125], v[126:127] offset0:26 offset1:27
	s_waitcnt vmcnt(1)
	v_mov_b32_e32 v124, v92
	v_mov_b32_e32 v125, v93
	s_waitcnt vmcnt(0)
	ds_write2_b64 v181, v[124:125], v[120:121] offset0:28 offset1:29
	ds_read_b64 v[124:125], v180
	s_waitcnt lgkmcnt(0)
	v_cmp_neq_f64_e32 vcc, 0, v[124:125]
	s_and_b64 exec, exec, vcc
	s_cbranch_execz .LBB59_9
; %bb.8:
	v_div_scale_f64 v[126:127], s[6:7], v[124:125], v[124:125], 1.0
	v_rcp_f64_e32 v[128:129], v[126:127]
	v_div_scale_f64 v[130:131], vcc, 1.0, v[124:125], 1.0
	v_fma_f64 v[132:133], -v[126:127], v[128:129], 1.0
	v_fmac_f64_e32 v[128:129], v[128:129], v[132:133]
	v_fma_f64 v[132:133], -v[126:127], v[128:129], 1.0
	v_fmac_f64_e32 v[128:129], v[128:129], v[132:133]
	v_mul_f64 v[132:133], v[130:131], v[128:129]
	v_fma_f64 v[126:127], -v[126:127], v[132:133], v[130:131]
	v_div_fmas_f64 v[126:127], v[126:127], v[128:129], v[132:133]
	v_div_fixup_f64 v[124:125], v[126:127], v[124:125], 1.0
	ds_write_b64 v180, v[124:125]
.LBB59_9:
	s_or_b64 exec, exec, s[2:3]
	s_waitcnt lgkmcnt(0)
	s_barrier
	ds_read_b64 v[124:125], v180
	v_cmp_lt_u32_e32 vcc, 1, v182
	s_and_saveexec_b64 s[2:3], vcc
	s_cbranch_execz .LBB59_11
; %bb.10:
	ds_read2_b64 v[126:129], v181 offset0:2 offset1:3
	ds_read2_b64 v[130:133], v181 offset0:4 offset1:5
	s_waitcnt vmcnt(28) lgkmcnt(2)
	v_mul_f64 v[90:91], v[124:125], v[90:91]
	ds_read2_b64 v[134:137], v181 offset0:6 offset1:7
	s_waitcnt vmcnt(27) lgkmcnt(2)
	v_fma_f64 v[118:119], -v[90:91], v[126:127], v[118:119]
	s_waitcnt vmcnt(26)
	v_fma_f64 v[88:89], -v[90:91], v[128:129], v[88:89]
	ds_read2_b64 v[126:129], v181 offset0:8 offset1:9
	s_waitcnt vmcnt(25) lgkmcnt(2)
	v_fma_f64 v[116:117], -v[90:91], v[130:131], v[116:117]
	s_waitcnt vmcnt(24)
	v_fma_f64 v[86:87], -v[90:91], v[132:133], v[86:87]
	;; [unrolled: 5-line block ×4, first 2 shown]
	s_waitcnt vmcnt(19) lgkmcnt(1)
	v_fma_f64 v[110:111], -v[90:91], v[130:131], v[110:111]
	ds_read2_b64 v[126:129], v181 offset0:14 offset1:15
	s_waitcnt vmcnt(18)
	v_fma_f64 v[80:81], -v[90:91], v[132:133], v[80:81]
	ds_read2_b64 v[130:133], v181 offset0:16 offset1:17
	s_waitcnt vmcnt(17) lgkmcnt(2)
	v_fma_f64 v[108:109], -v[90:91], v[134:135], v[108:109]
	s_waitcnt vmcnt(16)
	v_fma_f64 v[78:79], -v[90:91], v[136:137], v[78:79]
	s_waitcnt vmcnt(15) lgkmcnt(1)
	v_fma_f64 v[106:107], -v[90:91], v[126:127], v[106:107]
	ds_read2_b64 v[134:137], v181 offset0:18 offset1:19
	s_waitcnt vmcnt(14)
	v_fma_f64 v[76:77], -v[90:91], v[128:129], v[76:77]
	ds_read2_b64 v[126:129], v181 offset0:20 offset1:21
	s_waitcnt vmcnt(13) lgkmcnt(2)
	v_fma_f64 v[104:105], -v[90:91], v[130:131], v[104:105]
	s_waitcnt vmcnt(12)
	v_fma_f64 v[74:75], -v[90:91], v[132:133], v[74:75]
	ds_read2_b64 v[130:133], v181 offset0:22 offset1:23
	s_waitcnt vmcnt(11) lgkmcnt(2)
	v_fma_f64 v[102:103], -v[90:91], v[134:135], v[102:103]
	s_waitcnt vmcnt(10)
	v_fma_f64 v[72:73], -v[90:91], v[136:137], v[72:73]
	s_waitcnt vmcnt(9) lgkmcnt(1)
	v_fma_f64 v[100:101], -v[90:91], v[126:127], v[100:101]
	s_waitcnt vmcnt(8)
	v_fma_f64 v[70:71], -v[90:91], v[128:129], v[70:71]
	ds_read2_b64 v[126:129], v181 offset0:24 offset1:25
	s_waitcnt vmcnt(7) lgkmcnt(1)
	v_fma_f64 v[98:99], -v[90:91], v[130:131], v[98:99]
	ds_read2_b64 v[134:137], v181 offset0:26 offset1:27
	s_waitcnt vmcnt(6)
	v_fma_f64 v[68:69], -v[90:91], v[132:133], v[68:69]
	ds_read2_b64 v[130:133], v181 offset0:28 offset1:29
	s_waitcnt vmcnt(5) lgkmcnt(2)
	v_fma_f64 v[96:97], -v[90:91], v[126:127], v[96:97]
	s_waitcnt vmcnt(4)
	v_fma_f64 v[66:67], -v[90:91], v[128:129], v[66:67]
	s_waitcnt vmcnt(3) lgkmcnt(1)
	v_fma_f64 v[94:95], -v[90:91], v[134:135], v[94:95]
	s_waitcnt vmcnt(2)
	v_fma_f64 v[64:65], -v[90:91], v[136:137], v[64:65]
	;; [unrolled: 4-line block ×3, first 2 shown]
.LBB59_11:
	s_or_b64 exec, exec, s[2:3]
	v_cmp_eq_u32_e32 vcc, 2, v182
	s_waitcnt lgkmcnt(0)
	s_barrier
	s_and_saveexec_b64 s[2:3], vcc
	s_cbranch_execz .LBB59_14
; %bb.12:
	s_waitcnt vmcnt(27)
	ds_write_b64 v180, v[118:119]
	s_waitcnt vmcnt(25)
	ds_write2_b64 v181, v[88:89], v[116:117] offset0:3 offset1:4
	s_waitcnt vmcnt(23)
	ds_write2_b64 v181, v[86:87], v[114:115] offset0:5 offset1:6
	;; [unrolled: 2-line block ×13, first 2 shown]
	s_waitcnt vmcnt(0)
	ds_write_b64 v181, v[120:121] offset:232
	ds_read_b64 v[126:127], v180
	s_waitcnt lgkmcnt(0)
	v_cmp_neq_f64_e32 vcc, 0, v[126:127]
	s_and_b64 exec, exec, vcc
	s_cbranch_execz .LBB59_14
; %bb.13:
	v_div_scale_f64 v[128:129], s[6:7], v[126:127], v[126:127], 1.0
	v_rcp_f64_e32 v[130:131], v[128:129]
	v_div_scale_f64 v[132:133], vcc, 1.0, v[126:127], 1.0
	v_fma_f64 v[134:135], -v[128:129], v[130:131], 1.0
	v_fmac_f64_e32 v[130:131], v[130:131], v[134:135]
	v_fma_f64 v[134:135], -v[128:129], v[130:131], 1.0
	v_fmac_f64_e32 v[130:131], v[130:131], v[134:135]
	v_mul_f64 v[134:135], v[132:133], v[130:131]
	v_fma_f64 v[128:129], -v[128:129], v[134:135], v[132:133]
	v_div_fmas_f64 v[128:129], v[128:129], v[130:131], v[134:135]
	v_div_fixup_f64 v[126:127], v[128:129], v[126:127], 1.0
	ds_write_b64 v180, v[126:127]
.LBB59_14:
	s_or_b64 exec, exec, s[2:3]
	s_waitcnt lgkmcnt(0)
	s_barrier
	ds_read_b64 v[126:127], v180
	v_cmp_lt_u32_e32 vcc, 2, v182
	s_and_saveexec_b64 s[2:3], vcc
	s_cbranch_execz .LBB59_16
; %bb.15:
	ds_read2_b64 v[128:131], v181 offset0:3 offset1:4
	ds_read2_b64 v[132:135], v181 offset0:5 offset1:6
	s_waitcnt vmcnt(27) lgkmcnt(2)
	v_mul_f64 v[118:119], v[126:127], v[118:119]
	ds_read2_b64 v[136:139], v181 offset0:7 offset1:8
	s_waitcnt vmcnt(26) lgkmcnt(2)
	v_fma_f64 v[88:89], -v[118:119], v[128:129], v[88:89]
	s_waitcnt vmcnt(25)
	v_fma_f64 v[116:117], -v[118:119], v[130:131], v[116:117]
	ds_read2_b64 v[128:131], v181 offset0:9 offset1:10
	s_waitcnt vmcnt(24) lgkmcnt(2)
	v_fma_f64 v[86:87], -v[118:119], v[132:133], v[86:87]
	s_waitcnt vmcnt(23)
	v_fma_f64 v[114:115], -v[118:119], v[134:135], v[114:115]
	;; [unrolled: 5-line block ×4, first 2 shown]
	s_waitcnt vmcnt(18) lgkmcnt(1)
	v_fma_f64 v[80:81], -v[118:119], v[132:133], v[80:81]
	ds_read2_b64 v[128:131], v181 offset0:15 offset1:16
	s_waitcnt vmcnt(17)
	v_fma_f64 v[108:109], -v[118:119], v[134:135], v[108:109]
	ds_read2_b64 v[132:135], v181 offset0:17 offset1:18
	s_waitcnt vmcnt(16) lgkmcnt(2)
	v_fma_f64 v[78:79], -v[118:119], v[136:137], v[78:79]
	s_waitcnt vmcnt(15)
	v_fma_f64 v[106:107], -v[118:119], v[138:139], v[106:107]
	s_waitcnt vmcnt(14) lgkmcnt(1)
	v_fma_f64 v[76:77], -v[118:119], v[128:129], v[76:77]
	ds_read2_b64 v[136:139], v181 offset0:19 offset1:20
	s_waitcnt vmcnt(13)
	v_fma_f64 v[104:105], -v[118:119], v[130:131], v[104:105]
	ds_read2_b64 v[128:131], v181 offset0:21 offset1:22
	s_waitcnt vmcnt(12) lgkmcnt(2)
	v_fma_f64 v[74:75], -v[118:119], v[132:133], v[74:75]
	s_waitcnt vmcnt(11)
	v_fma_f64 v[102:103], -v[118:119], v[134:135], v[102:103]
	ds_read2_b64 v[132:135], v181 offset0:23 offset1:24
	s_waitcnt vmcnt(10) lgkmcnt(2)
	v_fma_f64 v[72:73], -v[118:119], v[136:137], v[72:73]
	s_waitcnt vmcnt(9)
	v_fma_f64 v[100:101], -v[118:119], v[138:139], v[100:101]
	s_waitcnt vmcnt(8) lgkmcnt(1)
	v_fma_f64 v[70:71], -v[118:119], v[128:129], v[70:71]
	s_waitcnt vmcnt(7)
	v_fma_f64 v[98:99], -v[118:119], v[130:131], v[98:99]
	ds_read2_b64 v[128:131], v181 offset0:25 offset1:26
	s_waitcnt vmcnt(6) lgkmcnt(1)
	v_fma_f64 v[68:69], -v[118:119], v[132:133], v[68:69]
	ds_read2_b64 v[136:139], v181 offset0:27 offset1:28
	ds_read_b64 v[132:133], v181 offset:232
	s_waitcnt vmcnt(5)
	v_fma_f64 v[96:97], -v[118:119], v[134:135], v[96:97]
	s_waitcnt vmcnt(4) lgkmcnt(2)
	v_fma_f64 v[66:67], -v[118:119], v[128:129], v[66:67]
	s_waitcnt vmcnt(3)
	v_fma_f64 v[94:95], -v[118:119], v[130:131], v[94:95]
	s_waitcnt vmcnt(2) lgkmcnt(1)
	v_fma_f64 v[64:65], -v[118:119], v[136:137], v[64:65]
	;; [unrolled: 4-line block ×3, first 2 shown]
.LBB59_16:
	s_or_b64 exec, exec, s[2:3]
	v_cmp_eq_u32_e32 vcc, 3, v182
	s_waitcnt lgkmcnt(0)
	s_barrier
	s_and_saveexec_b64 s[2:3], vcc
	s_cbranch_execz .LBB59_19
; %bb.17:
	s_waitcnt vmcnt(25)
	v_mov_b32_e32 v128, v116
	v_mov_b32_e32 v129, v117
	s_waitcnt vmcnt(24)
	v_mov_b32_e32 v130, v86
	v_mov_b32_e32 v131, v87
	ds_write_b64 v180, v[88:89]
	ds_write2_b64 v181, v[128:129], v[130:131] offset0:4 offset1:5
	s_waitcnt vmcnt(23)
	v_mov_b32_e32 v128, v114
	v_mov_b32_e32 v129, v115
	s_waitcnt vmcnt(22)
	v_mov_b32_e32 v130, v84
	v_mov_b32_e32 v131, v85
	ds_write2_b64 v181, v[128:129], v[130:131] offset0:6 offset1:7
	s_waitcnt vmcnt(21)
	v_mov_b32_e32 v128, v112
	v_mov_b32_e32 v129, v113
	s_waitcnt vmcnt(20)
	v_mov_b32_e32 v130, v82
	v_mov_b32_e32 v131, v83
	;; [unrolled: 7-line block ×11, first 2 shown]
	ds_write2_b64 v181, v[128:129], v[130:131] offset0:26 offset1:27
	s_waitcnt vmcnt(1)
	v_mov_b32_e32 v128, v92
	v_mov_b32_e32 v129, v93
	s_waitcnt vmcnt(0)
	ds_write2_b64 v181, v[128:129], v[120:121] offset0:28 offset1:29
	ds_read_b64 v[128:129], v180
	s_waitcnt lgkmcnt(0)
	v_cmp_neq_f64_e32 vcc, 0, v[128:129]
	s_and_b64 exec, exec, vcc
	s_cbranch_execz .LBB59_19
; %bb.18:
	v_div_scale_f64 v[130:131], s[6:7], v[128:129], v[128:129], 1.0
	v_rcp_f64_e32 v[132:133], v[130:131]
	v_div_scale_f64 v[134:135], vcc, 1.0, v[128:129], 1.0
	v_fma_f64 v[136:137], -v[130:131], v[132:133], 1.0
	v_fmac_f64_e32 v[132:133], v[132:133], v[136:137]
	v_fma_f64 v[136:137], -v[130:131], v[132:133], 1.0
	v_fmac_f64_e32 v[132:133], v[132:133], v[136:137]
	v_mul_f64 v[136:137], v[134:135], v[132:133]
	v_fma_f64 v[130:131], -v[130:131], v[136:137], v[134:135]
	v_div_fmas_f64 v[130:131], v[130:131], v[132:133], v[136:137]
	v_div_fixup_f64 v[128:129], v[130:131], v[128:129], 1.0
	ds_write_b64 v180, v[128:129]
.LBB59_19:
	s_or_b64 exec, exec, s[2:3]
	s_waitcnt lgkmcnt(0)
	s_barrier
	ds_read_b64 v[128:129], v180
	v_cmp_lt_u32_e32 vcc, 3, v182
	s_and_saveexec_b64 s[2:3], vcc
	s_cbranch_execz .LBB59_21
; %bb.20:
	ds_read2_b64 v[130:133], v181 offset0:4 offset1:5
	ds_read2_b64 v[134:137], v181 offset0:6 offset1:7
	s_waitcnt vmcnt(26) lgkmcnt(2)
	v_mul_f64 v[88:89], v[128:129], v[88:89]
	ds_read2_b64 v[138:141], v181 offset0:8 offset1:9
	s_waitcnt vmcnt(25) lgkmcnt(2)
	v_fma_f64 v[116:117], -v[88:89], v[130:131], v[116:117]
	s_waitcnt vmcnt(24)
	v_fma_f64 v[86:87], -v[88:89], v[132:133], v[86:87]
	ds_read2_b64 v[130:133], v181 offset0:10 offset1:11
	s_waitcnt vmcnt(23) lgkmcnt(2)
	v_fma_f64 v[114:115], -v[88:89], v[134:135], v[114:115]
	s_waitcnt vmcnt(22)
	v_fma_f64 v[84:85], -v[88:89], v[136:137], v[84:85]
	s_waitcnt vmcnt(21) lgkmcnt(1)
	v_fma_f64 v[112:113], -v[88:89], v[138:139], v[112:113]
	ds_read2_b64 v[134:137], v181 offset0:12 offset1:13
	s_waitcnt vmcnt(20)
	v_fma_f64 v[82:83], -v[88:89], v[140:141], v[82:83]
	ds_read2_b64 v[138:141], v181 offset0:14 offset1:15
	s_waitcnt vmcnt(19) lgkmcnt(2)
	v_fma_f64 v[110:111], -v[88:89], v[130:131], v[110:111]
	s_waitcnt vmcnt(18)
	v_fma_f64 v[80:81], -v[88:89], v[132:133], v[80:81]
	ds_read2_b64 v[130:133], v181 offset0:16 offset1:17
	s_waitcnt vmcnt(17) lgkmcnt(2)
	v_fma_f64 v[108:109], -v[88:89], v[134:135], v[108:109]
	;; [unrolled: 5-line block ×3, first 2 shown]
	s_waitcnt vmcnt(14)
	v_fma_f64 v[76:77], -v[88:89], v[140:141], v[76:77]
	s_waitcnt vmcnt(13) lgkmcnt(1)
	v_fma_f64 v[104:105], -v[88:89], v[130:131], v[104:105]
	ds_read2_b64 v[138:141], v181 offset0:20 offset1:21
	s_waitcnt vmcnt(12)
	v_fma_f64 v[74:75], -v[88:89], v[132:133], v[74:75]
	ds_read2_b64 v[130:133], v181 offset0:22 offset1:23
	s_waitcnt vmcnt(11) lgkmcnt(2)
	v_fma_f64 v[102:103], -v[88:89], v[134:135], v[102:103]
	s_waitcnt vmcnt(10)
	v_fma_f64 v[72:73], -v[88:89], v[136:137], v[72:73]
	s_waitcnt vmcnt(9) lgkmcnt(1)
	v_fma_f64 v[100:101], -v[88:89], v[138:139], v[100:101]
	s_waitcnt vmcnt(8)
	v_fma_f64 v[70:71], -v[88:89], v[140:141], v[70:71]
	ds_read2_b64 v[134:137], v181 offset0:24 offset1:25
	ds_read2_b64 v[138:141], v181 offset0:26 offset1:27
	s_waitcnt vmcnt(7) lgkmcnt(2)
	v_fma_f64 v[98:99], -v[88:89], v[130:131], v[98:99]
	s_waitcnt vmcnt(6)
	v_fma_f64 v[68:69], -v[88:89], v[132:133], v[68:69]
	ds_read2_b64 v[130:133], v181 offset0:28 offset1:29
	s_waitcnt vmcnt(5) lgkmcnt(2)
	v_fma_f64 v[96:97], -v[88:89], v[134:135], v[96:97]
	s_waitcnt vmcnt(4)
	v_fma_f64 v[66:67], -v[88:89], v[136:137], v[66:67]
	s_waitcnt vmcnt(3) lgkmcnt(1)
	v_fma_f64 v[94:95], -v[88:89], v[138:139], v[94:95]
	s_waitcnt vmcnt(2)
	v_fma_f64 v[64:65], -v[88:89], v[140:141], v[64:65]
	s_waitcnt vmcnt(1) lgkmcnt(0)
	v_fma_f64 v[92:93], -v[88:89], v[130:131], v[92:93]
	s_waitcnt vmcnt(0)
	v_fma_f64 v[120:121], -v[88:89], v[132:133], v[120:121]
.LBB59_21:
	s_or_b64 exec, exec, s[2:3]
	v_cmp_eq_u32_e32 vcc, 4, v182
	s_waitcnt lgkmcnt(0)
	s_barrier
	s_and_saveexec_b64 s[2:3], vcc
	s_cbranch_execz .LBB59_24
; %bb.22:
	s_waitcnt vmcnt(25)
	ds_write_b64 v180, v[116:117]
	s_waitcnt vmcnt(23)
	ds_write2_b64 v181, v[86:87], v[114:115] offset0:5 offset1:6
	s_waitcnt vmcnt(21)
	ds_write2_b64 v181, v[84:85], v[112:113] offset0:7 offset1:8
	;; [unrolled: 2-line block ×12, first 2 shown]
	s_waitcnt vmcnt(0)
	ds_write_b64 v181, v[120:121] offset:232
	ds_read_b64 v[130:131], v180
	s_waitcnt lgkmcnt(0)
	v_cmp_neq_f64_e32 vcc, 0, v[130:131]
	s_and_b64 exec, exec, vcc
	s_cbranch_execz .LBB59_24
; %bb.23:
	v_div_scale_f64 v[132:133], s[6:7], v[130:131], v[130:131], 1.0
	v_rcp_f64_e32 v[134:135], v[132:133]
	v_div_scale_f64 v[136:137], vcc, 1.0, v[130:131], 1.0
	v_fma_f64 v[138:139], -v[132:133], v[134:135], 1.0
	v_fmac_f64_e32 v[134:135], v[134:135], v[138:139]
	v_fma_f64 v[138:139], -v[132:133], v[134:135], 1.0
	v_fmac_f64_e32 v[134:135], v[134:135], v[138:139]
	v_mul_f64 v[138:139], v[136:137], v[134:135]
	v_fma_f64 v[132:133], -v[132:133], v[138:139], v[136:137]
	v_div_fmas_f64 v[132:133], v[132:133], v[134:135], v[138:139]
	v_div_fixup_f64 v[130:131], v[132:133], v[130:131], 1.0
	ds_write_b64 v180, v[130:131]
.LBB59_24:
	s_or_b64 exec, exec, s[2:3]
	s_waitcnt lgkmcnt(0)
	s_barrier
	ds_read_b64 v[130:131], v180
	v_cmp_lt_u32_e32 vcc, 4, v182
	s_and_saveexec_b64 s[2:3], vcc
	s_cbranch_execz .LBB59_26
; %bb.25:
	ds_read2_b64 v[132:135], v181 offset0:5 offset1:6
	ds_read2_b64 v[136:139], v181 offset0:7 offset1:8
	s_waitcnt vmcnt(25) lgkmcnt(2)
	v_mul_f64 v[116:117], v[130:131], v[116:117]
	ds_read2_b64 v[140:143], v181 offset0:9 offset1:10
	s_waitcnt vmcnt(24) lgkmcnt(2)
	v_fma_f64 v[86:87], -v[116:117], v[132:133], v[86:87]
	s_waitcnt vmcnt(23)
	v_fma_f64 v[114:115], -v[116:117], v[134:135], v[114:115]
	ds_read2_b64 v[132:135], v181 offset0:11 offset1:12
	s_waitcnt vmcnt(22) lgkmcnt(2)
	v_fma_f64 v[84:85], -v[116:117], v[136:137], v[84:85]
	s_waitcnt vmcnt(21)
	v_fma_f64 v[112:113], -v[116:117], v[138:139], v[112:113]
	s_waitcnt vmcnt(20) lgkmcnt(1)
	v_fma_f64 v[82:83], -v[116:117], v[140:141], v[82:83]
	ds_read2_b64 v[136:139], v181 offset0:13 offset1:14
	s_waitcnt vmcnt(19)
	v_fma_f64 v[110:111], -v[116:117], v[142:143], v[110:111]
	ds_read2_b64 v[140:143], v181 offset0:15 offset1:16
	s_waitcnt vmcnt(18) lgkmcnt(2)
	v_fma_f64 v[80:81], -v[116:117], v[132:133], v[80:81]
	s_waitcnt vmcnt(17)
	v_fma_f64 v[108:109], -v[116:117], v[134:135], v[108:109]
	ds_read2_b64 v[132:135], v181 offset0:17 offset1:18
	s_waitcnt vmcnt(16) lgkmcnt(2)
	v_fma_f64 v[78:79], -v[116:117], v[136:137], v[78:79]
	;; [unrolled: 5-line block ×3, first 2 shown]
	s_waitcnt vmcnt(13)
	v_fma_f64 v[104:105], -v[116:117], v[142:143], v[104:105]
	s_waitcnt vmcnt(12) lgkmcnt(1)
	v_fma_f64 v[74:75], -v[116:117], v[132:133], v[74:75]
	ds_read2_b64 v[140:143], v181 offset0:21 offset1:22
	s_waitcnt vmcnt(11)
	v_fma_f64 v[102:103], -v[116:117], v[134:135], v[102:103]
	ds_read2_b64 v[132:135], v181 offset0:23 offset1:24
	s_waitcnt vmcnt(10) lgkmcnt(2)
	v_fma_f64 v[72:73], -v[116:117], v[136:137], v[72:73]
	s_waitcnt vmcnt(9)
	v_fma_f64 v[100:101], -v[116:117], v[138:139], v[100:101]
	s_waitcnt vmcnt(8) lgkmcnt(1)
	v_fma_f64 v[70:71], -v[116:117], v[140:141], v[70:71]
	s_waitcnt vmcnt(7)
	v_fma_f64 v[98:99], -v[116:117], v[142:143], v[98:99]
	ds_read2_b64 v[136:139], v181 offset0:25 offset1:26
	ds_read2_b64 v[140:143], v181 offset0:27 offset1:28
	s_waitcnt vmcnt(6) lgkmcnt(2)
	v_fma_f64 v[68:69], -v[116:117], v[132:133], v[68:69]
	ds_read_b64 v[132:133], v181 offset:232
	s_waitcnt vmcnt(5)
	v_fma_f64 v[96:97], -v[116:117], v[134:135], v[96:97]
	s_waitcnt vmcnt(4) lgkmcnt(2)
	v_fma_f64 v[66:67], -v[116:117], v[136:137], v[66:67]
	s_waitcnt vmcnt(3)
	v_fma_f64 v[94:95], -v[116:117], v[138:139], v[94:95]
	s_waitcnt vmcnt(2) lgkmcnt(1)
	v_fma_f64 v[64:65], -v[116:117], v[140:141], v[64:65]
	;; [unrolled: 4-line block ×3, first 2 shown]
.LBB59_26:
	s_or_b64 exec, exec, s[2:3]
	v_cmp_eq_u32_e32 vcc, 5, v182
	s_waitcnt lgkmcnt(0)
	s_barrier
	s_and_saveexec_b64 s[2:3], vcc
	s_cbranch_execz .LBB59_29
; %bb.27:
	s_waitcnt vmcnt(23)
	v_mov_b32_e32 v132, v114
	v_mov_b32_e32 v133, v115
	s_waitcnt vmcnt(22)
	v_mov_b32_e32 v134, v84
	v_mov_b32_e32 v135, v85
	ds_write_b64 v180, v[86:87]
	ds_write2_b64 v181, v[132:133], v[134:135] offset0:6 offset1:7
	s_waitcnt vmcnt(21)
	v_mov_b32_e32 v132, v112
	v_mov_b32_e32 v133, v113
	s_waitcnt vmcnt(20)
	v_mov_b32_e32 v134, v82
	v_mov_b32_e32 v135, v83
	ds_write2_b64 v181, v[132:133], v[134:135] offset0:8 offset1:9
	s_waitcnt vmcnt(19)
	v_mov_b32_e32 v132, v110
	v_mov_b32_e32 v133, v111
	s_waitcnt vmcnt(18)
	v_mov_b32_e32 v134, v80
	v_mov_b32_e32 v135, v81
	;; [unrolled: 7-line block ×10, first 2 shown]
	ds_write2_b64 v181, v[132:133], v[134:135] offset0:26 offset1:27
	s_waitcnt vmcnt(1)
	v_mov_b32_e32 v132, v92
	v_mov_b32_e32 v133, v93
	s_waitcnt vmcnt(0)
	ds_write2_b64 v181, v[132:133], v[120:121] offset0:28 offset1:29
	ds_read_b64 v[132:133], v180
	s_waitcnt lgkmcnt(0)
	v_cmp_neq_f64_e32 vcc, 0, v[132:133]
	s_and_b64 exec, exec, vcc
	s_cbranch_execz .LBB59_29
; %bb.28:
	v_div_scale_f64 v[134:135], s[6:7], v[132:133], v[132:133], 1.0
	v_rcp_f64_e32 v[136:137], v[134:135]
	v_div_scale_f64 v[138:139], vcc, 1.0, v[132:133], 1.0
	v_fma_f64 v[140:141], -v[134:135], v[136:137], 1.0
	v_fmac_f64_e32 v[136:137], v[136:137], v[140:141]
	v_fma_f64 v[140:141], -v[134:135], v[136:137], 1.0
	v_fmac_f64_e32 v[136:137], v[136:137], v[140:141]
	v_mul_f64 v[140:141], v[138:139], v[136:137]
	v_fma_f64 v[134:135], -v[134:135], v[140:141], v[138:139]
	v_div_fmas_f64 v[134:135], v[134:135], v[136:137], v[140:141]
	v_div_fixup_f64 v[132:133], v[134:135], v[132:133], 1.0
	ds_write_b64 v180, v[132:133]
.LBB59_29:
	s_or_b64 exec, exec, s[2:3]
	s_waitcnt lgkmcnt(0)
	s_barrier
	ds_read_b64 v[132:133], v180
	v_cmp_lt_u32_e32 vcc, 5, v182
	s_and_saveexec_b64 s[2:3], vcc
	s_cbranch_execz .LBB59_31
; %bb.30:
	ds_read2_b64 v[134:137], v181 offset0:6 offset1:7
	ds_read2_b64 v[138:141], v181 offset0:8 offset1:9
	;; [unrolled: 1-line block ×3, first 2 shown]
	s_waitcnt vmcnt(24) lgkmcnt(3)
	v_mul_f64 v[86:87], v[132:133], v[86:87]
	s_waitcnt vmcnt(23) lgkmcnt(2)
	v_fma_f64 v[114:115], -v[86:87], v[134:135], v[114:115]
	s_waitcnt vmcnt(22)
	v_fma_f64 v[84:85], -v[86:87], v[136:137], v[84:85]
	ds_read2_b64 v[134:137], v181 offset0:12 offset1:13
	s_waitcnt vmcnt(21) lgkmcnt(2)
	v_fma_f64 v[112:113], -v[86:87], v[138:139], v[112:113]
	s_waitcnt vmcnt(20)
	v_fma_f64 v[82:83], -v[86:87], v[140:141], v[82:83]
	s_waitcnt vmcnt(19) lgkmcnt(1)
	v_fma_f64 v[110:111], -v[86:87], v[142:143], v[110:111]
	ds_read2_b64 v[138:141], v181 offset0:14 offset1:15
	s_waitcnt vmcnt(18)
	v_fma_f64 v[80:81], -v[86:87], v[144:145], v[80:81]
	ds_read2_b64 v[142:145], v181 offset0:16 offset1:17
	s_waitcnt vmcnt(17) lgkmcnt(2)
	v_fma_f64 v[108:109], -v[86:87], v[134:135], v[108:109]
	s_waitcnt vmcnt(16)
	v_fma_f64 v[78:79], -v[86:87], v[136:137], v[78:79]
	s_waitcnt vmcnt(15) lgkmcnt(1)
	v_fma_f64 v[106:107], -v[86:87], v[138:139], v[106:107]
	ds_read2_b64 v[134:137], v181 offset0:18 offset1:19
	s_waitcnt vmcnt(14)
	v_fma_f64 v[76:77], -v[86:87], v[140:141], v[76:77]
	ds_read2_b64 v[138:141], v181 offset0:20 offset1:21
	s_waitcnt vmcnt(13) lgkmcnt(2)
	v_fma_f64 v[104:105], -v[86:87], v[142:143], v[104:105]
	s_waitcnt vmcnt(12)
	v_fma_f64 v[74:75], -v[86:87], v[144:145], v[74:75]
	ds_read2_b64 v[142:145], v181 offset0:22 offset1:23
	s_waitcnt vmcnt(11) lgkmcnt(2)
	v_fma_f64 v[102:103], -v[86:87], v[134:135], v[102:103]
	;; [unrolled: 5-line block ×3, first 2 shown]
	s_waitcnt vmcnt(8)
	v_fma_f64 v[70:71], -v[86:87], v[140:141], v[70:71]
	s_waitcnt vmcnt(7) lgkmcnt(1)
	v_fma_f64 v[98:99], -v[86:87], v[142:143], v[98:99]
	ds_read2_b64 v[138:141], v181 offset0:26 offset1:27
	s_waitcnt vmcnt(6)
	v_fma_f64 v[68:69], -v[86:87], v[144:145], v[68:69]
	ds_read2_b64 v[142:145], v181 offset0:28 offset1:29
	s_waitcnt vmcnt(5) lgkmcnt(2)
	v_fma_f64 v[96:97], -v[86:87], v[134:135], v[96:97]
	s_waitcnt vmcnt(4)
	v_fma_f64 v[66:67], -v[86:87], v[136:137], v[66:67]
	s_waitcnt vmcnt(3) lgkmcnt(1)
	v_fma_f64 v[94:95], -v[86:87], v[138:139], v[94:95]
	s_waitcnt vmcnt(2)
	v_fma_f64 v[64:65], -v[86:87], v[140:141], v[64:65]
	;; [unrolled: 4-line block ×3, first 2 shown]
.LBB59_31:
	s_or_b64 exec, exec, s[2:3]
	v_cmp_eq_u32_e32 vcc, 6, v182
	s_waitcnt lgkmcnt(0)
	s_barrier
	s_and_saveexec_b64 s[2:3], vcc
	s_cbranch_execz .LBB59_34
; %bb.32:
	s_waitcnt vmcnt(23)
	ds_write_b64 v180, v[114:115]
	s_waitcnt vmcnt(21)
	ds_write2_b64 v181, v[84:85], v[112:113] offset0:7 offset1:8
	s_waitcnt vmcnt(19)
	ds_write2_b64 v181, v[82:83], v[110:111] offset0:9 offset1:10
	;; [unrolled: 2-line block ×11, first 2 shown]
	s_waitcnt vmcnt(0)
	ds_write_b64 v181, v[120:121] offset:232
	ds_read_b64 v[134:135], v180
	s_waitcnt lgkmcnt(0)
	v_cmp_neq_f64_e32 vcc, 0, v[134:135]
	s_and_b64 exec, exec, vcc
	s_cbranch_execz .LBB59_34
; %bb.33:
	v_div_scale_f64 v[136:137], s[6:7], v[134:135], v[134:135], 1.0
	v_rcp_f64_e32 v[138:139], v[136:137]
	v_div_scale_f64 v[140:141], vcc, 1.0, v[134:135], 1.0
	v_fma_f64 v[142:143], -v[136:137], v[138:139], 1.0
	v_fmac_f64_e32 v[138:139], v[138:139], v[142:143]
	v_fma_f64 v[142:143], -v[136:137], v[138:139], 1.0
	v_fmac_f64_e32 v[138:139], v[138:139], v[142:143]
	v_mul_f64 v[142:143], v[140:141], v[138:139]
	v_fma_f64 v[136:137], -v[136:137], v[142:143], v[140:141]
	v_div_fmas_f64 v[136:137], v[136:137], v[138:139], v[142:143]
	v_div_fixup_f64 v[134:135], v[136:137], v[134:135], 1.0
	ds_write_b64 v180, v[134:135]
.LBB59_34:
	s_or_b64 exec, exec, s[2:3]
	s_waitcnt lgkmcnt(0)
	s_barrier
	ds_read_b64 v[134:135], v180
	v_cmp_lt_u32_e32 vcc, 6, v182
	s_and_saveexec_b64 s[2:3], vcc
	s_cbranch_execz .LBB59_36
; %bb.35:
	ds_read2_b64 v[136:139], v181 offset0:7 offset1:8
	ds_read2_b64 v[140:143], v181 offset0:9 offset1:10
	;; [unrolled: 1-line block ×3, first 2 shown]
	s_waitcnt vmcnt(23) lgkmcnt(3)
	v_mul_f64 v[114:115], v[134:135], v[114:115]
	s_waitcnt vmcnt(22) lgkmcnt(2)
	v_fma_f64 v[84:85], -v[114:115], v[136:137], v[84:85]
	s_waitcnt vmcnt(21)
	v_fma_f64 v[112:113], -v[114:115], v[138:139], v[112:113]
	ds_read2_b64 v[136:139], v181 offset0:13 offset1:14
	s_waitcnt vmcnt(20) lgkmcnt(2)
	v_fma_f64 v[82:83], -v[114:115], v[140:141], v[82:83]
	s_waitcnt vmcnt(19)
	v_fma_f64 v[110:111], -v[114:115], v[142:143], v[110:111]
	s_waitcnt vmcnt(18) lgkmcnt(1)
	v_fma_f64 v[80:81], -v[114:115], v[144:145], v[80:81]
	ds_read2_b64 v[140:143], v181 offset0:15 offset1:16
	s_waitcnt vmcnt(17)
	v_fma_f64 v[108:109], -v[114:115], v[146:147], v[108:109]
	ds_read2_b64 v[144:147], v181 offset0:17 offset1:18
	s_waitcnt vmcnt(16) lgkmcnt(2)
	v_fma_f64 v[78:79], -v[114:115], v[136:137], v[78:79]
	s_waitcnt vmcnt(15)
	v_fma_f64 v[106:107], -v[114:115], v[138:139], v[106:107]
	s_waitcnt vmcnt(14) lgkmcnt(1)
	v_fma_f64 v[76:77], -v[114:115], v[140:141], v[76:77]
	ds_read2_b64 v[136:139], v181 offset0:19 offset1:20
	s_waitcnt vmcnt(13)
	v_fma_f64 v[104:105], -v[114:115], v[142:143], v[104:105]
	ds_read2_b64 v[140:143], v181 offset0:21 offset1:22
	s_waitcnt vmcnt(12) lgkmcnt(2)
	v_fma_f64 v[74:75], -v[114:115], v[144:145], v[74:75]
	s_waitcnt vmcnt(11)
	v_fma_f64 v[102:103], -v[114:115], v[146:147], v[102:103]
	ds_read2_b64 v[144:147], v181 offset0:23 offset1:24
	s_waitcnt vmcnt(10) lgkmcnt(2)
	v_fma_f64 v[72:73], -v[114:115], v[136:137], v[72:73]
	s_waitcnt vmcnt(9)
	v_fma_f64 v[100:101], -v[114:115], v[138:139], v[100:101]
	ds_read2_b64 v[136:139], v181 offset0:25 offset1:26
	s_waitcnt vmcnt(8) lgkmcnt(2)
	v_fma_f64 v[70:71], -v[114:115], v[140:141], v[70:71]
	s_waitcnt vmcnt(7)
	v_fma_f64 v[98:99], -v[114:115], v[142:143], v[98:99]
	s_waitcnt vmcnt(6) lgkmcnt(1)
	v_fma_f64 v[68:69], -v[114:115], v[144:145], v[68:69]
	ds_read2_b64 v[140:143], v181 offset0:27 offset1:28
	ds_read_b64 v[144:145], v181 offset:232
	s_waitcnt vmcnt(5)
	v_fma_f64 v[96:97], -v[114:115], v[146:147], v[96:97]
	s_waitcnt vmcnt(4) lgkmcnt(2)
	v_fma_f64 v[66:67], -v[114:115], v[136:137], v[66:67]
	s_waitcnt vmcnt(3)
	v_fma_f64 v[94:95], -v[114:115], v[138:139], v[94:95]
	s_waitcnt vmcnt(2) lgkmcnt(1)
	v_fma_f64 v[64:65], -v[114:115], v[140:141], v[64:65]
	;; [unrolled: 4-line block ×3, first 2 shown]
.LBB59_36:
	s_or_b64 exec, exec, s[2:3]
	v_cmp_eq_u32_e32 vcc, 7, v182
	s_waitcnt lgkmcnt(0)
	s_barrier
	s_and_saveexec_b64 s[2:3], vcc
	s_cbranch_execz .LBB59_39
; %bb.37:
	s_waitcnt vmcnt(21)
	v_mov_b32_e32 v136, v112
	v_mov_b32_e32 v137, v113
	s_waitcnt vmcnt(20)
	v_mov_b32_e32 v138, v82
	v_mov_b32_e32 v139, v83
	ds_write_b64 v180, v[84:85]
	ds_write2_b64 v181, v[136:137], v[138:139] offset0:8 offset1:9
	s_waitcnt vmcnt(19)
	v_mov_b32_e32 v136, v110
	v_mov_b32_e32 v137, v111
	s_waitcnt vmcnt(18)
	v_mov_b32_e32 v138, v80
	v_mov_b32_e32 v139, v81
	ds_write2_b64 v181, v[136:137], v[138:139] offset0:10 offset1:11
	s_waitcnt vmcnt(17)
	v_mov_b32_e32 v136, v108
	v_mov_b32_e32 v137, v109
	s_waitcnt vmcnt(16)
	v_mov_b32_e32 v138, v78
	v_mov_b32_e32 v139, v79
	;; [unrolled: 7-line block ×9, first 2 shown]
	ds_write2_b64 v181, v[136:137], v[138:139] offset0:26 offset1:27
	s_waitcnt vmcnt(1)
	v_mov_b32_e32 v136, v92
	v_mov_b32_e32 v137, v93
	s_waitcnt vmcnt(0)
	ds_write2_b64 v181, v[136:137], v[120:121] offset0:28 offset1:29
	ds_read_b64 v[136:137], v180
	s_waitcnt lgkmcnt(0)
	v_cmp_neq_f64_e32 vcc, 0, v[136:137]
	s_and_b64 exec, exec, vcc
	s_cbranch_execz .LBB59_39
; %bb.38:
	v_div_scale_f64 v[138:139], s[6:7], v[136:137], v[136:137], 1.0
	v_rcp_f64_e32 v[140:141], v[138:139]
	v_div_scale_f64 v[142:143], vcc, 1.0, v[136:137], 1.0
	v_fma_f64 v[144:145], -v[138:139], v[140:141], 1.0
	v_fmac_f64_e32 v[140:141], v[140:141], v[144:145]
	v_fma_f64 v[144:145], -v[138:139], v[140:141], 1.0
	v_fmac_f64_e32 v[140:141], v[140:141], v[144:145]
	v_mul_f64 v[144:145], v[142:143], v[140:141]
	v_fma_f64 v[138:139], -v[138:139], v[144:145], v[142:143]
	v_div_fmas_f64 v[138:139], v[138:139], v[140:141], v[144:145]
	v_div_fixup_f64 v[136:137], v[138:139], v[136:137], 1.0
	ds_write_b64 v180, v[136:137]
.LBB59_39:
	s_or_b64 exec, exec, s[2:3]
	s_waitcnt lgkmcnt(0)
	s_barrier
	ds_read_b64 v[136:137], v180
	v_cmp_lt_u32_e32 vcc, 7, v182
	s_and_saveexec_b64 s[2:3], vcc
	s_cbranch_execz .LBB59_41
; %bb.40:
	ds_read2_b64 v[138:141], v181 offset0:8 offset1:9
	ds_read2_b64 v[142:145], v181 offset0:10 offset1:11
	s_waitcnt vmcnt(22) lgkmcnt(2)
	v_mul_f64 v[84:85], v[136:137], v[84:85]
	ds_read2_b64 v[146:149], v181 offset0:12 offset1:13
	s_waitcnt vmcnt(21) lgkmcnt(2)
	v_fma_f64 v[112:113], -v[84:85], v[138:139], v[112:113]
	s_waitcnt vmcnt(20)
	v_fma_f64 v[82:83], -v[84:85], v[140:141], v[82:83]
	ds_read2_b64 v[138:141], v181 offset0:14 offset1:15
	s_waitcnt vmcnt(19) lgkmcnt(2)
	v_fma_f64 v[110:111], -v[84:85], v[142:143], v[110:111]
	s_waitcnt vmcnt(18)
	v_fma_f64 v[80:81], -v[84:85], v[144:145], v[80:81]
	;; [unrolled: 5-line block ×4, first 2 shown]
	s_waitcnt vmcnt(13) lgkmcnt(1)
	v_fma_f64 v[104:105], -v[84:85], v[142:143], v[104:105]
	ds_read2_b64 v[138:141], v181 offset0:20 offset1:21
	s_waitcnt vmcnt(12)
	v_fma_f64 v[74:75], -v[84:85], v[144:145], v[74:75]
	ds_read2_b64 v[142:145], v181 offset0:22 offset1:23
	s_waitcnt vmcnt(11) lgkmcnt(2)
	v_fma_f64 v[102:103], -v[84:85], v[146:147], v[102:103]
	s_waitcnt vmcnt(10)
	v_fma_f64 v[72:73], -v[84:85], v[148:149], v[72:73]
	s_waitcnt vmcnt(9) lgkmcnt(1)
	v_fma_f64 v[100:101], -v[84:85], v[138:139], v[100:101]
	s_waitcnt vmcnt(8)
	v_fma_f64 v[70:71], -v[84:85], v[140:141], v[70:71]
	ds_read2_b64 v[138:141], v181 offset0:24 offset1:25
	ds_read2_b64 v[146:149], v181 offset0:26 offset1:27
	s_waitcnt vmcnt(7) lgkmcnt(2)
	v_fma_f64 v[98:99], -v[84:85], v[142:143], v[98:99]
	s_waitcnt vmcnt(6)
	v_fma_f64 v[68:69], -v[84:85], v[144:145], v[68:69]
	ds_read2_b64 v[142:145], v181 offset0:28 offset1:29
	s_waitcnt vmcnt(5) lgkmcnt(2)
	v_fma_f64 v[96:97], -v[84:85], v[138:139], v[96:97]
	s_waitcnt vmcnt(4)
	v_fma_f64 v[66:67], -v[84:85], v[140:141], v[66:67]
	s_waitcnt vmcnt(3) lgkmcnt(1)
	v_fma_f64 v[94:95], -v[84:85], v[146:147], v[94:95]
	s_waitcnt vmcnt(2)
	v_fma_f64 v[64:65], -v[84:85], v[148:149], v[64:65]
	;; [unrolled: 4-line block ×3, first 2 shown]
.LBB59_41:
	s_or_b64 exec, exec, s[2:3]
	v_cmp_eq_u32_e32 vcc, 8, v182
	s_waitcnt lgkmcnt(0)
	s_barrier
	s_and_saveexec_b64 s[2:3], vcc
	s_cbranch_execz .LBB59_44
; %bb.42:
	s_waitcnt vmcnt(21)
	ds_write_b64 v180, v[112:113]
	s_waitcnt vmcnt(19)
	ds_write2_b64 v181, v[82:83], v[110:111] offset0:9 offset1:10
	s_waitcnt vmcnt(17)
	ds_write2_b64 v181, v[80:81], v[108:109] offset0:11 offset1:12
	;; [unrolled: 2-line block ×10, first 2 shown]
	s_waitcnt vmcnt(0)
	ds_write_b64 v181, v[120:121] offset:232
	ds_read_b64 v[138:139], v180
	s_waitcnt lgkmcnt(0)
	v_cmp_neq_f64_e32 vcc, 0, v[138:139]
	s_and_b64 exec, exec, vcc
	s_cbranch_execz .LBB59_44
; %bb.43:
	v_div_scale_f64 v[140:141], s[6:7], v[138:139], v[138:139], 1.0
	v_rcp_f64_e32 v[142:143], v[140:141]
	v_div_scale_f64 v[144:145], vcc, 1.0, v[138:139], 1.0
	v_fma_f64 v[146:147], -v[140:141], v[142:143], 1.0
	v_fmac_f64_e32 v[142:143], v[142:143], v[146:147]
	v_fma_f64 v[146:147], -v[140:141], v[142:143], 1.0
	v_fmac_f64_e32 v[142:143], v[142:143], v[146:147]
	v_mul_f64 v[146:147], v[144:145], v[142:143]
	v_fma_f64 v[140:141], -v[140:141], v[146:147], v[144:145]
	v_div_fmas_f64 v[140:141], v[140:141], v[142:143], v[146:147]
	v_div_fixup_f64 v[138:139], v[140:141], v[138:139], 1.0
	ds_write_b64 v180, v[138:139]
.LBB59_44:
	s_or_b64 exec, exec, s[2:3]
	s_waitcnt lgkmcnt(0)
	s_barrier
	ds_read_b64 v[138:139], v180
	v_cmp_lt_u32_e32 vcc, 8, v182
	s_and_saveexec_b64 s[2:3], vcc
	s_cbranch_execz .LBB59_46
; %bb.45:
	ds_read2_b64 v[140:143], v181 offset0:9 offset1:10
	ds_read2_b64 v[144:147], v181 offset0:11 offset1:12
	s_waitcnt vmcnt(21) lgkmcnt(2)
	v_mul_f64 v[112:113], v[138:139], v[112:113]
	ds_read2_b64 v[148:151], v181 offset0:13 offset1:14
	s_waitcnt vmcnt(20) lgkmcnt(2)
	v_fma_f64 v[82:83], -v[112:113], v[140:141], v[82:83]
	s_waitcnt vmcnt(19)
	v_fma_f64 v[110:111], -v[112:113], v[142:143], v[110:111]
	ds_read2_b64 v[140:143], v181 offset0:15 offset1:16
	s_waitcnt vmcnt(18) lgkmcnt(2)
	v_fma_f64 v[80:81], -v[112:113], v[144:145], v[80:81]
	s_waitcnt vmcnt(17)
	v_fma_f64 v[108:109], -v[112:113], v[146:147], v[108:109]
	;; [unrolled: 5-line block ×4, first 2 shown]
	s_waitcnt vmcnt(12) lgkmcnt(1)
	v_fma_f64 v[74:75], -v[112:113], v[144:145], v[74:75]
	ds_read2_b64 v[140:143], v181 offset0:21 offset1:22
	s_waitcnt vmcnt(11)
	v_fma_f64 v[102:103], -v[112:113], v[146:147], v[102:103]
	ds_read2_b64 v[144:147], v181 offset0:23 offset1:24
	s_waitcnt vmcnt(10) lgkmcnt(2)
	v_fma_f64 v[72:73], -v[112:113], v[148:149], v[72:73]
	s_waitcnt vmcnt(9)
	v_fma_f64 v[100:101], -v[112:113], v[150:151], v[100:101]
	s_waitcnt vmcnt(8) lgkmcnt(1)
	v_fma_f64 v[70:71], -v[112:113], v[140:141], v[70:71]
	s_waitcnt vmcnt(7)
	v_fma_f64 v[98:99], -v[112:113], v[142:143], v[98:99]
	ds_read2_b64 v[140:143], v181 offset0:25 offset1:26
	ds_read2_b64 v[148:151], v181 offset0:27 offset1:28
	s_waitcnt vmcnt(6) lgkmcnt(2)
	v_fma_f64 v[68:69], -v[112:113], v[144:145], v[68:69]
	ds_read_b64 v[144:145], v181 offset:232
	s_waitcnt vmcnt(5)
	v_fma_f64 v[96:97], -v[112:113], v[146:147], v[96:97]
	s_waitcnt vmcnt(4) lgkmcnt(2)
	v_fma_f64 v[66:67], -v[112:113], v[140:141], v[66:67]
	s_waitcnt vmcnt(3)
	v_fma_f64 v[94:95], -v[112:113], v[142:143], v[94:95]
	s_waitcnt vmcnt(2) lgkmcnt(1)
	v_fma_f64 v[64:65], -v[112:113], v[148:149], v[64:65]
	;; [unrolled: 4-line block ×3, first 2 shown]
.LBB59_46:
	s_or_b64 exec, exec, s[2:3]
	v_cmp_eq_u32_e32 vcc, 9, v182
	s_waitcnt lgkmcnt(0)
	s_barrier
	s_and_saveexec_b64 s[2:3], vcc
	s_cbranch_execz .LBB59_49
; %bb.47:
	s_waitcnt vmcnt(19)
	v_mov_b32_e32 v140, v110
	v_mov_b32_e32 v141, v111
	s_waitcnt vmcnt(18)
	v_mov_b32_e32 v142, v80
	v_mov_b32_e32 v143, v81
	ds_write_b64 v180, v[82:83]
	ds_write2_b64 v181, v[140:141], v[142:143] offset0:10 offset1:11
	s_waitcnt vmcnt(17)
	v_mov_b32_e32 v140, v108
	v_mov_b32_e32 v141, v109
	s_waitcnt vmcnt(16)
	v_mov_b32_e32 v142, v78
	v_mov_b32_e32 v143, v79
	ds_write2_b64 v181, v[140:141], v[142:143] offset0:12 offset1:13
	s_waitcnt vmcnt(15)
	v_mov_b32_e32 v140, v106
	v_mov_b32_e32 v141, v107
	s_waitcnt vmcnt(14)
	v_mov_b32_e32 v142, v76
	v_mov_b32_e32 v143, v77
	;; [unrolled: 7-line block ×8, first 2 shown]
	ds_write2_b64 v181, v[140:141], v[142:143] offset0:26 offset1:27
	s_waitcnt vmcnt(1)
	v_mov_b32_e32 v140, v92
	v_mov_b32_e32 v141, v93
	s_waitcnt vmcnt(0)
	ds_write2_b64 v181, v[140:141], v[120:121] offset0:28 offset1:29
	ds_read_b64 v[140:141], v180
	s_waitcnt lgkmcnt(0)
	v_cmp_neq_f64_e32 vcc, 0, v[140:141]
	s_and_b64 exec, exec, vcc
	s_cbranch_execz .LBB59_49
; %bb.48:
	v_div_scale_f64 v[142:143], s[6:7], v[140:141], v[140:141], 1.0
	v_rcp_f64_e32 v[144:145], v[142:143]
	v_div_scale_f64 v[146:147], vcc, 1.0, v[140:141], 1.0
	v_fma_f64 v[148:149], -v[142:143], v[144:145], 1.0
	v_fmac_f64_e32 v[144:145], v[144:145], v[148:149]
	v_fma_f64 v[148:149], -v[142:143], v[144:145], 1.0
	v_fmac_f64_e32 v[144:145], v[144:145], v[148:149]
	v_mul_f64 v[148:149], v[146:147], v[144:145]
	v_fma_f64 v[142:143], -v[142:143], v[148:149], v[146:147]
	v_div_fmas_f64 v[142:143], v[142:143], v[144:145], v[148:149]
	v_div_fixup_f64 v[140:141], v[142:143], v[140:141], 1.0
	ds_write_b64 v180, v[140:141]
.LBB59_49:
	s_or_b64 exec, exec, s[2:3]
	s_waitcnt lgkmcnt(0)
	s_barrier
	ds_read_b64 v[140:141], v180
	v_cmp_lt_u32_e32 vcc, 9, v182
	s_and_saveexec_b64 s[2:3], vcc
	s_cbranch_execz .LBB59_51
; %bb.50:
	ds_read2_b64 v[142:145], v181 offset0:10 offset1:11
	ds_read2_b64 v[146:149], v181 offset0:12 offset1:13
	s_waitcnt vmcnt(20) lgkmcnt(2)
	v_mul_f64 v[82:83], v[140:141], v[82:83]
	ds_read2_b64 v[150:153], v181 offset0:14 offset1:15
	s_waitcnt vmcnt(19) lgkmcnt(2)
	v_fma_f64 v[110:111], -v[82:83], v[142:143], v[110:111]
	s_waitcnt vmcnt(18)
	v_fma_f64 v[80:81], -v[82:83], v[144:145], v[80:81]
	ds_read2_b64 v[142:145], v181 offset0:16 offset1:17
	s_waitcnt vmcnt(17) lgkmcnt(2)
	v_fma_f64 v[108:109], -v[82:83], v[146:147], v[108:109]
	s_waitcnt vmcnt(16)
	v_fma_f64 v[78:79], -v[82:83], v[148:149], v[78:79]
	s_waitcnt vmcnt(15) lgkmcnt(1)
	v_fma_f64 v[106:107], -v[82:83], v[150:151], v[106:107]
	ds_read2_b64 v[146:149], v181 offset0:18 offset1:19
	s_waitcnt vmcnt(14)
	v_fma_f64 v[76:77], -v[82:83], v[152:153], v[76:77]
	ds_read2_b64 v[150:153], v181 offset0:20 offset1:21
	s_waitcnt vmcnt(13) lgkmcnt(2)
	v_fma_f64 v[104:105], -v[82:83], v[142:143], v[104:105]
	s_waitcnt vmcnt(12)
	v_fma_f64 v[74:75], -v[82:83], v[144:145], v[74:75]
	ds_read2_b64 v[142:145], v181 offset0:22 offset1:23
	s_waitcnt vmcnt(11) lgkmcnt(2)
	v_fma_f64 v[102:103], -v[82:83], v[146:147], v[102:103]
	;; [unrolled: 5-line block ×3, first 2 shown]
	s_waitcnt vmcnt(8)
	v_fma_f64 v[70:71], -v[82:83], v[152:153], v[70:71]
	s_waitcnt vmcnt(7) lgkmcnt(1)
	v_fma_f64 v[98:99], -v[82:83], v[142:143], v[98:99]
	ds_read2_b64 v[150:153], v181 offset0:26 offset1:27
	s_waitcnt vmcnt(6)
	v_fma_f64 v[68:69], -v[82:83], v[144:145], v[68:69]
	ds_read2_b64 v[142:145], v181 offset0:28 offset1:29
	s_waitcnt vmcnt(5) lgkmcnt(2)
	v_fma_f64 v[96:97], -v[82:83], v[146:147], v[96:97]
	s_waitcnt vmcnt(4)
	v_fma_f64 v[66:67], -v[82:83], v[148:149], v[66:67]
	s_waitcnt vmcnt(3) lgkmcnt(1)
	v_fma_f64 v[94:95], -v[82:83], v[150:151], v[94:95]
	s_waitcnt vmcnt(2)
	v_fma_f64 v[64:65], -v[82:83], v[152:153], v[64:65]
	;; [unrolled: 4-line block ×3, first 2 shown]
.LBB59_51:
	s_or_b64 exec, exec, s[2:3]
	v_cmp_eq_u32_e32 vcc, 10, v182
	s_waitcnt lgkmcnt(0)
	s_barrier
	s_and_saveexec_b64 s[2:3], vcc
	s_cbranch_execz .LBB59_54
; %bb.52:
	s_waitcnt vmcnt(19)
	ds_write_b64 v180, v[110:111]
	s_waitcnt vmcnt(17)
	ds_write2_b64 v181, v[80:81], v[108:109] offset0:11 offset1:12
	s_waitcnt vmcnt(15)
	ds_write2_b64 v181, v[78:79], v[106:107] offset0:13 offset1:14
	;; [unrolled: 2-line block ×9, first 2 shown]
	s_waitcnt vmcnt(0)
	ds_write_b64 v181, v[120:121] offset:232
	ds_read_b64 v[142:143], v180
	s_waitcnt lgkmcnt(0)
	v_cmp_neq_f64_e32 vcc, 0, v[142:143]
	s_and_b64 exec, exec, vcc
	s_cbranch_execz .LBB59_54
; %bb.53:
	v_div_scale_f64 v[144:145], s[6:7], v[142:143], v[142:143], 1.0
	v_rcp_f64_e32 v[146:147], v[144:145]
	v_div_scale_f64 v[148:149], vcc, 1.0, v[142:143], 1.0
	v_fma_f64 v[150:151], -v[144:145], v[146:147], 1.0
	v_fmac_f64_e32 v[146:147], v[146:147], v[150:151]
	v_fma_f64 v[150:151], -v[144:145], v[146:147], 1.0
	v_fmac_f64_e32 v[146:147], v[146:147], v[150:151]
	v_mul_f64 v[150:151], v[148:149], v[146:147]
	v_fma_f64 v[144:145], -v[144:145], v[150:151], v[148:149]
	v_div_fmas_f64 v[144:145], v[144:145], v[146:147], v[150:151]
	v_div_fixup_f64 v[142:143], v[144:145], v[142:143], 1.0
	ds_write_b64 v180, v[142:143]
.LBB59_54:
	s_or_b64 exec, exec, s[2:3]
	s_waitcnt lgkmcnt(0)
	s_barrier
	ds_read_b64 v[142:143], v180
	v_cmp_lt_u32_e32 vcc, 10, v182
	s_and_saveexec_b64 s[2:3], vcc
	s_cbranch_execz .LBB59_56
; %bb.55:
	ds_read2_b64 v[144:147], v181 offset0:11 offset1:12
	ds_read2_b64 v[148:151], v181 offset0:13 offset1:14
	s_waitcnt vmcnt(19) lgkmcnt(2)
	v_mul_f64 v[110:111], v[142:143], v[110:111]
	ds_read2_b64 v[152:155], v181 offset0:15 offset1:16
	s_waitcnt vmcnt(18) lgkmcnt(2)
	v_fma_f64 v[80:81], -v[110:111], v[144:145], v[80:81]
	s_waitcnt vmcnt(17)
	v_fma_f64 v[108:109], -v[110:111], v[146:147], v[108:109]
	ds_read2_b64 v[144:147], v181 offset0:17 offset1:18
	s_waitcnt vmcnt(16) lgkmcnt(2)
	v_fma_f64 v[78:79], -v[110:111], v[148:149], v[78:79]
	s_waitcnt vmcnt(15)
	v_fma_f64 v[106:107], -v[110:111], v[150:151], v[106:107]
	s_waitcnt vmcnt(14) lgkmcnt(1)
	v_fma_f64 v[76:77], -v[110:111], v[152:153], v[76:77]
	ds_read2_b64 v[148:151], v181 offset0:19 offset1:20
	s_waitcnt vmcnt(13)
	v_fma_f64 v[104:105], -v[110:111], v[154:155], v[104:105]
	ds_read2_b64 v[152:155], v181 offset0:21 offset1:22
	s_waitcnt vmcnt(12) lgkmcnt(2)
	v_fma_f64 v[74:75], -v[110:111], v[144:145], v[74:75]
	s_waitcnt vmcnt(11)
	v_fma_f64 v[102:103], -v[110:111], v[146:147], v[102:103]
	ds_read2_b64 v[144:147], v181 offset0:23 offset1:24
	s_waitcnt vmcnt(10) lgkmcnt(2)
	v_fma_f64 v[72:73], -v[110:111], v[148:149], v[72:73]
	;; [unrolled: 5-line block ×3, first 2 shown]
	s_waitcnt vmcnt(7)
	v_fma_f64 v[98:99], -v[110:111], v[154:155], v[98:99]
	s_waitcnt vmcnt(6) lgkmcnt(1)
	v_fma_f64 v[68:69], -v[110:111], v[144:145], v[68:69]
	ds_read2_b64 v[152:155], v181 offset0:27 offset1:28
	ds_read_b64 v[144:145], v181 offset:232
	s_waitcnt vmcnt(5)
	v_fma_f64 v[96:97], -v[110:111], v[146:147], v[96:97]
	s_waitcnt vmcnt(4) lgkmcnt(2)
	v_fma_f64 v[66:67], -v[110:111], v[148:149], v[66:67]
	s_waitcnt vmcnt(3)
	v_fma_f64 v[94:95], -v[110:111], v[150:151], v[94:95]
	s_waitcnt vmcnt(2) lgkmcnt(1)
	v_fma_f64 v[64:65], -v[110:111], v[152:153], v[64:65]
	;; [unrolled: 4-line block ×3, first 2 shown]
.LBB59_56:
	s_or_b64 exec, exec, s[2:3]
	v_cmp_eq_u32_e32 vcc, 11, v182
	s_waitcnt lgkmcnt(0)
	s_barrier
	s_and_saveexec_b64 s[2:3], vcc
	s_cbranch_execz .LBB59_59
; %bb.57:
	s_waitcnt vmcnt(17)
	v_mov_b32_e32 v144, v108
	v_mov_b32_e32 v145, v109
	s_waitcnt vmcnt(16)
	v_mov_b32_e32 v146, v78
	v_mov_b32_e32 v147, v79
	ds_write_b64 v180, v[80:81]
	ds_write2_b64 v181, v[144:145], v[146:147] offset0:12 offset1:13
	s_waitcnt vmcnt(15)
	v_mov_b32_e32 v144, v106
	v_mov_b32_e32 v145, v107
	s_waitcnt vmcnt(14)
	v_mov_b32_e32 v146, v76
	v_mov_b32_e32 v147, v77
	ds_write2_b64 v181, v[144:145], v[146:147] offset0:14 offset1:15
	s_waitcnt vmcnt(13)
	v_mov_b32_e32 v144, v104
	v_mov_b32_e32 v145, v105
	s_waitcnt vmcnt(12)
	v_mov_b32_e32 v146, v74
	v_mov_b32_e32 v147, v75
	;; [unrolled: 7-line block ×7, first 2 shown]
	ds_write2_b64 v181, v[144:145], v[146:147] offset0:26 offset1:27
	s_waitcnt vmcnt(1)
	v_mov_b32_e32 v144, v92
	v_mov_b32_e32 v145, v93
	s_waitcnt vmcnt(0)
	ds_write2_b64 v181, v[144:145], v[120:121] offset0:28 offset1:29
	ds_read_b64 v[144:145], v180
	s_waitcnt lgkmcnt(0)
	v_cmp_neq_f64_e32 vcc, 0, v[144:145]
	s_and_b64 exec, exec, vcc
	s_cbranch_execz .LBB59_59
; %bb.58:
	v_div_scale_f64 v[146:147], s[6:7], v[144:145], v[144:145], 1.0
	v_rcp_f64_e32 v[148:149], v[146:147]
	v_div_scale_f64 v[150:151], vcc, 1.0, v[144:145], 1.0
	v_fma_f64 v[152:153], -v[146:147], v[148:149], 1.0
	v_fmac_f64_e32 v[148:149], v[148:149], v[152:153]
	v_fma_f64 v[152:153], -v[146:147], v[148:149], 1.0
	v_fmac_f64_e32 v[148:149], v[148:149], v[152:153]
	v_mul_f64 v[152:153], v[150:151], v[148:149]
	v_fma_f64 v[146:147], -v[146:147], v[152:153], v[150:151]
	v_div_fmas_f64 v[146:147], v[146:147], v[148:149], v[152:153]
	v_div_fixup_f64 v[144:145], v[146:147], v[144:145], 1.0
	ds_write_b64 v180, v[144:145]
.LBB59_59:
	s_or_b64 exec, exec, s[2:3]
	s_waitcnt lgkmcnt(0)
	s_barrier
	ds_read_b64 v[144:145], v180
	v_cmp_lt_u32_e32 vcc, 11, v182
	s_and_saveexec_b64 s[2:3], vcc
	s_cbranch_execz .LBB59_61
; %bb.60:
	ds_read2_b64 v[146:149], v181 offset0:12 offset1:13
	ds_read2_b64 v[150:153], v181 offset0:14 offset1:15
	;; [unrolled: 1-line block ×3, first 2 shown]
	s_waitcnt vmcnt(18) lgkmcnt(3)
	v_mul_f64 v[80:81], v[144:145], v[80:81]
	s_waitcnt vmcnt(17) lgkmcnt(2)
	v_fma_f64 v[108:109], -v[80:81], v[146:147], v[108:109]
	s_waitcnt vmcnt(16)
	v_fma_f64 v[78:79], -v[80:81], v[148:149], v[78:79]
	ds_read2_b64 v[146:149], v181 offset0:18 offset1:19
	s_waitcnt vmcnt(15) lgkmcnt(2)
	v_fma_f64 v[106:107], -v[80:81], v[150:151], v[106:107]
	s_waitcnt vmcnt(14)
	v_fma_f64 v[76:77], -v[80:81], v[152:153], v[76:77]
	s_waitcnt vmcnt(13) lgkmcnt(1)
	v_fma_f64 v[104:105], -v[80:81], v[154:155], v[104:105]
	ds_read2_b64 v[150:153], v181 offset0:20 offset1:21
	s_waitcnt vmcnt(12)
	v_fma_f64 v[74:75], -v[80:81], v[156:157], v[74:75]
	ds_read2_b64 v[154:157], v181 offset0:22 offset1:23
	s_waitcnt vmcnt(11) lgkmcnt(2)
	v_fma_f64 v[102:103], -v[80:81], v[146:147], v[102:103]
	s_waitcnt vmcnt(10)
	v_fma_f64 v[72:73], -v[80:81], v[148:149], v[72:73]
	s_waitcnt vmcnt(9) lgkmcnt(1)
	v_fma_f64 v[100:101], -v[80:81], v[150:151], v[100:101]
	s_waitcnt vmcnt(8)
	v_fma_f64 v[70:71], -v[80:81], v[152:153], v[70:71]
	ds_read2_b64 v[146:149], v181 offset0:24 offset1:25
	ds_read2_b64 v[150:153], v181 offset0:26 offset1:27
	s_waitcnt vmcnt(7) lgkmcnt(2)
	v_fma_f64 v[98:99], -v[80:81], v[154:155], v[98:99]
	s_waitcnt vmcnt(6)
	v_fma_f64 v[68:69], -v[80:81], v[156:157], v[68:69]
	ds_read2_b64 v[154:157], v181 offset0:28 offset1:29
	s_waitcnt vmcnt(5) lgkmcnt(2)
	v_fma_f64 v[96:97], -v[80:81], v[146:147], v[96:97]
	s_waitcnt vmcnt(4)
	v_fma_f64 v[66:67], -v[80:81], v[148:149], v[66:67]
	s_waitcnt vmcnt(3) lgkmcnt(1)
	v_fma_f64 v[94:95], -v[80:81], v[150:151], v[94:95]
	s_waitcnt vmcnt(2)
	v_fma_f64 v[64:65], -v[80:81], v[152:153], v[64:65]
	;; [unrolled: 4-line block ×3, first 2 shown]
.LBB59_61:
	s_or_b64 exec, exec, s[2:3]
	v_cmp_eq_u32_e32 vcc, 12, v182
	s_waitcnt lgkmcnt(0)
	s_barrier
	s_and_saveexec_b64 s[2:3], vcc
	s_cbranch_execz .LBB59_64
; %bb.62:
	s_waitcnt vmcnt(17)
	ds_write_b64 v180, v[108:109]
	s_waitcnt vmcnt(15)
	ds_write2_b64 v181, v[78:79], v[106:107] offset0:13 offset1:14
	s_waitcnt vmcnt(13)
	ds_write2_b64 v181, v[76:77], v[104:105] offset0:15 offset1:16
	;; [unrolled: 2-line block ×8, first 2 shown]
	s_waitcnt vmcnt(0)
	ds_write_b64 v181, v[120:121] offset:232
	ds_read_b64 v[146:147], v180
	s_waitcnt lgkmcnt(0)
	v_cmp_neq_f64_e32 vcc, 0, v[146:147]
	s_and_b64 exec, exec, vcc
	s_cbranch_execz .LBB59_64
; %bb.63:
	v_div_scale_f64 v[148:149], s[6:7], v[146:147], v[146:147], 1.0
	v_rcp_f64_e32 v[150:151], v[148:149]
	v_div_scale_f64 v[152:153], vcc, 1.0, v[146:147], 1.0
	v_fma_f64 v[154:155], -v[148:149], v[150:151], 1.0
	v_fmac_f64_e32 v[150:151], v[150:151], v[154:155]
	v_fma_f64 v[154:155], -v[148:149], v[150:151], 1.0
	v_fmac_f64_e32 v[150:151], v[150:151], v[154:155]
	v_mul_f64 v[154:155], v[152:153], v[150:151]
	v_fma_f64 v[148:149], -v[148:149], v[154:155], v[152:153]
	v_div_fmas_f64 v[148:149], v[148:149], v[150:151], v[154:155]
	v_div_fixup_f64 v[146:147], v[148:149], v[146:147], 1.0
	ds_write_b64 v180, v[146:147]
.LBB59_64:
	s_or_b64 exec, exec, s[2:3]
	s_waitcnt lgkmcnt(0)
	s_barrier
	ds_read_b64 v[146:147], v180
	v_cmp_lt_u32_e32 vcc, 12, v182
	s_and_saveexec_b64 s[2:3], vcc
	s_cbranch_execz .LBB59_66
; %bb.65:
	ds_read2_b64 v[148:151], v181 offset0:13 offset1:14
	ds_read2_b64 v[152:155], v181 offset0:15 offset1:16
	;; [unrolled: 1-line block ×3, first 2 shown]
	s_waitcnt vmcnt(17) lgkmcnt(3)
	v_mul_f64 v[108:109], v[146:147], v[108:109]
	s_waitcnt vmcnt(16) lgkmcnt(2)
	v_fma_f64 v[78:79], -v[108:109], v[148:149], v[78:79]
	s_waitcnt vmcnt(15)
	v_fma_f64 v[106:107], -v[108:109], v[150:151], v[106:107]
	ds_read2_b64 v[148:151], v181 offset0:19 offset1:20
	s_waitcnt vmcnt(14) lgkmcnt(2)
	v_fma_f64 v[76:77], -v[108:109], v[152:153], v[76:77]
	s_waitcnt vmcnt(13)
	v_fma_f64 v[104:105], -v[108:109], v[154:155], v[104:105]
	s_waitcnt vmcnt(12) lgkmcnt(1)
	v_fma_f64 v[74:75], -v[108:109], v[156:157], v[74:75]
	ds_read2_b64 v[152:155], v181 offset0:21 offset1:22
	s_waitcnt vmcnt(11)
	v_fma_f64 v[102:103], -v[108:109], v[158:159], v[102:103]
	ds_read2_b64 v[156:159], v181 offset0:23 offset1:24
	s_waitcnt vmcnt(10) lgkmcnt(2)
	v_fma_f64 v[72:73], -v[108:109], v[148:149], v[72:73]
	s_waitcnt vmcnt(9)
	v_fma_f64 v[100:101], -v[108:109], v[150:151], v[100:101]
	s_waitcnt vmcnt(8) lgkmcnt(1)
	v_fma_f64 v[70:71], -v[108:109], v[152:153], v[70:71]
	s_waitcnt vmcnt(7)
	v_fma_f64 v[98:99], -v[108:109], v[154:155], v[98:99]
	ds_read2_b64 v[148:151], v181 offset0:25 offset1:26
	ds_read2_b64 v[152:155], v181 offset0:27 offset1:28
	s_waitcnt vmcnt(6) lgkmcnt(2)
	v_fma_f64 v[68:69], -v[108:109], v[156:157], v[68:69]
	ds_read_b64 v[156:157], v181 offset:232
	s_waitcnt vmcnt(5)
	v_fma_f64 v[96:97], -v[108:109], v[158:159], v[96:97]
	s_waitcnt vmcnt(4) lgkmcnt(2)
	v_fma_f64 v[66:67], -v[108:109], v[148:149], v[66:67]
	s_waitcnt vmcnt(3)
	v_fma_f64 v[94:95], -v[108:109], v[150:151], v[94:95]
	s_waitcnt vmcnt(2) lgkmcnt(1)
	v_fma_f64 v[64:65], -v[108:109], v[152:153], v[64:65]
	;; [unrolled: 4-line block ×3, first 2 shown]
.LBB59_66:
	s_or_b64 exec, exec, s[2:3]
	v_cmp_eq_u32_e32 vcc, 13, v182
	s_waitcnt lgkmcnt(0)
	s_barrier
	s_and_saveexec_b64 s[2:3], vcc
	s_cbranch_execz .LBB59_69
; %bb.67:
	s_waitcnt vmcnt(15)
	v_mov_b32_e32 v148, v106
	v_mov_b32_e32 v149, v107
	s_waitcnt vmcnt(14)
	v_mov_b32_e32 v150, v76
	v_mov_b32_e32 v151, v77
	ds_write_b64 v180, v[78:79]
	ds_write2_b64 v181, v[148:149], v[150:151] offset0:14 offset1:15
	s_waitcnt vmcnt(13)
	v_mov_b32_e32 v148, v104
	v_mov_b32_e32 v149, v105
	s_waitcnt vmcnt(12)
	v_mov_b32_e32 v150, v74
	v_mov_b32_e32 v151, v75
	ds_write2_b64 v181, v[148:149], v[150:151] offset0:16 offset1:17
	s_waitcnt vmcnt(11)
	v_mov_b32_e32 v148, v102
	v_mov_b32_e32 v149, v103
	s_waitcnt vmcnt(10)
	v_mov_b32_e32 v150, v72
	v_mov_b32_e32 v151, v73
	;; [unrolled: 7-line block ×6, first 2 shown]
	ds_write2_b64 v181, v[148:149], v[150:151] offset0:26 offset1:27
	s_waitcnt vmcnt(1)
	v_mov_b32_e32 v148, v92
	v_mov_b32_e32 v149, v93
	s_waitcnt vmcnt(0)
	ds_write2_b64 v181, v[148:149], v[120:121] offset0:28 offset1:29
	ds_read_b64 v[148:149], v180
	s_waitcnt lgkmcnt(0)
	v_cmp_neq_f64_e32 vcc, 0, v[148:149]
	s_and_b64 exec, exec, vcc
	s_cbranch_execz .LBB59_69
; %bb.68:
	v_div_scale_f64 v[150:151], s[6:7], v[148:149], v[148:149], 1.0
	v_rcp_f64_e32 v[152:153], v[150:151]
	v_div_scale_f64 v[154:155], vcc, 1.0, v[148:149], 1.0
	v_fma_f64 v[156:157], -v[150:151], v[152:153], 1.0
	v_fmac_f64_e32 v[152:153], v[152:153], v[156:157]
	v_fma_f64 v[156:157], -v[150:151], v[152:153], 1.0
	v_fmac_f64_e32 v[152:153], v[152:153], v[156:157]
	v_mul_f64 v[156:157], v[154:155], v[152:153]
	v_fma_f64 v[150:151], -v[150:151], v[156:157], v[154:155]
	v_div_fmas_f64 v[150:151], v[150:151], v[152:153], v[156:157]
	v_div_fixup_f64 v[148:149], v[150:151], v[148:149], 1.0
	ds_write_b64 v180, v[148:149]
.LBB59_69:
	s_or_b64 exec, exec, s[2:3]
	s_waitcnt lgkmcnt(0)
	s_barrier
	ds_read_b64 v[148:149], v180
	v_cmp_lt_u32_e32 vcc, 13, v182
	s_and_saveexec_b64 s[2:3], vcc
	s_cbranch_execz .LBB59_71
; %bb.70:
	ds_read2_b64 v[150:153], v181 offset0:14 offset1:15
	ds_read2_b64 v[154:157], v181 offset0:16 offset1:17
	s_waitcnt vmcnt(16) lgkmcnt(2)
	v_mul_f64 v[78:79], v[148:149], v[78:79]
	ds_read2_b64 v[158:161], v181 offset0:18 offset1:19
	s_waitcnt vmcnt(15) lgkmcnt(2)
	v_fma_f64 v[106:107], -v[78:79], v[150:151], v[106:107]
	s_waitcnt vmcnt(14)
	v_fma_f64 v[76:77], -v[78:79], v[152:153], v[76:77]
	ds_read2_b64 v[150:153], v181 offset0:20 offset1:21
	s_waitcnt vmcnt(13) lgkmcnt(2)
	v_fma_f64 v[104:105], -v[78:79], v[154:155], v[104:105]
	s_waitcnt vmcnt(12)
	v_fma_f64 v[74:75], -v[78:79], v[156:157], v[74:75]
	;; [unrolled: 5-line block ×3, first 2 shown]
	s_waitcnt vmcnt(9) lgkmcnt(1)
	v_fma_f64 v[100:101], -v[78:79], v[150:151], v[100:101]
	s_waitcnt vmcnt(8)
	v_fma_f64 v[70:71], -v[78:79], v[152:153], v[70:71]
	ds_read2_b64 v[150:153], v181 offset0:24 offset1:25
	s_waitcnt vmcnt(7) lgkmcnt(1)
	v_fma_f64 v[98:99], -v[78:79], v[154:155], v[98:99]
	ds_read2_b64 v[158:161], v181 offset0:26 offset1:27
	s_waitcnt vmcnt(6)
	v_fma_f64 v[68:69], -v[78:79], v[156:157], v[68:69]
	ds_read2_b64 v[154:157], v181 offset0:28 offset1:29
	s_waitcnt vmcnt(5) lgkmcnt(2)
	v_fma_f64 v[96:97], -v[78:79], v[150:151], v[96:97]
	s_waitcnt vmcnt(4)
	v_fma_f64 v[66:67], -v[78:79], v[152:153], v[66:67]
	s_waitcnt vmcnt(3) lgkmcnt(1)
	v_fma_f64 v[94:95], -v[78:79], v[158:159], v[94:95]
	s_waitcnt vmcnt(2)
	v_fma_f64 v[64:65], -v[78:79], v[160:161], v[64:65]
	;; [unrolled: 4-line block ×3, first 2 shown]
.LBB59_71:
	s_or_b64 exec, exec, s[2:3]
	v_cmp_eq_u32_e32 vcc, 14, v182
	s_waitcnt lgkmcnt(0)
	s_barrier
	s_and_saveexec_b64 s[2:3], vcc
	s_cbranch_execz .LBB59_74
; %bb.72:
	s_waitcnt vmcnt(15)
	ds_write_b64 v180, v[106:107]
	s_waitcnt vmcnt(13)
	ds_write2_b64 v181, v[76:77], v[104:105] offset0:15 offset1:16
	s_waitcnt vmcnt(11)
	ds_write2_b64 v181, v[74:75], v[102:103] offset0:17 offset1:18
	;; [unrolled: 2-line block ×7, first 2 shown]
	s_waitcnt vmcnt(0)
	ds_write_b64 v181, v[120:121] offset:232
	ds_read_b64 v[150:151], v180
	s_waitcnt lgkmcnt(0)
	v_cmp_neq_f64_e32 vcc, 0, v[150:151]
	s_and_b64 exec, exec, vcc
	s_cbranch_execz .LBB59_74
; %bb.73:
	v_div_scale_f64 v[152:153], s[6:7], v[150:151], v[150:151], 1.0
	v_rcp_f64_e32 v[154:155], v[152:153]
	v_div_scale_f64 v[156:157], vcc, 1.0, v[150:151], 1.0
	v_fma_f64 v[158:159], -v[152:153], v[154:155], 1.0
	v_fmac_f64_e32 v[154:155], v[154:155], v[158:159]
	v_fma_f64 v[158:159], -v[152:153], v[154:155], 1.0
	v_fmac_f64_e32 v[154:155], v[154:155], v[158:159]
	v_mul_f64 v[158:159], v[156:157], v[154:155]
	v_fma_f64 v[152:153], -v[152:153], v[158:159], v[156:157]
	v_div_fmas_f64 v[152:153], v[152:153], v[154:155], v[158:159]
	v_div_fixup_f64 v[150:151], v[152:153], v[150:151], 1.0
	ds_write_b64 v180, v[150:151]
.LBB59_74:
	s_or_b64 exec, exec, s[2:3]
	s_waitcnt lgkmcnt(0)
	s_barrier
	ds_read_b64 v[150:151], v180
	v_cmp_lt_u32_e32 vcc, 14, v182
	s_and_saveexec_b64 s[2:3], vcc
	s_cbranch_execz .LBB59_76
; %bb.75:
	ds_read2_b64 v[152:155], v181 offset0:15 offset1:16
	ds_read2_b64 v[156:159], v181 offset0:17 offset1:18
	s_waitcnt vmcnt(15) lgkmcnt(2)
	v_mul_f64 v[106:107], v[150:151], v[106:107]
	ds_read2_b64 v[160:163], v181 offset0:19 offset1:20
	s_waitcnt vmcnt(14) lgkmcnt(2)
	v_fma_f64 v[76:77], -v[106:107], v[152:153], v[76:77]
	s_waitcnt vmcnt(13)
	v_fma_f64 v[104:105], -v[106:107], v[154:155], v[104:105]
	ds_read2_b64 v[152:155], v181 offset0:21 offset1:22
	s_waitcnt vmcnt(12) lgkmcnt(2)
	v_fma_f64 v[74:75], -v[106:107], v[156:157], v[74:75]
	s_waitcnt vmcnt(11)
	v_fma_f64 v[102:103], -v[106:107], v[158:159], v[102:103]
	;; [unrolled: 5-line block ×3, first 2 shown]
	s_waitcnt vmcnt(8) lgkmcnt(1)
	v_fma_f64 v[70:71], -v[106:107], v[152:153], v[70:71]
	s_waitcnt vmcnt(7)
	v_fma_f64 v[98:99], -v[106:107], v[154:155], v[98:99]
	ds_read2_b64 v[152:155], v181 offset0:25 offset1:26
	s_waitcnt vmcnt(6) lgkmcnt(1)
	v_fma_f64 v[68:69], -v[106:107], v[156:157], v[68:69]
	ds_read2_b64 v[160:163], v181 offset0:27 offset1:28
	ds_read_b64 v[156:157], v181 offset:232
	s_waitcnt vmcnt(5)
	v_fma_f64 v[96:97], -v[106:107], v[158:159], v[96:97]
	s_waitcnt vmcnt(4) lgkmcnt(2)
	v_fma_f64 v[66:67], -v[106:107], v[152:153], v[66:67]
	s_waitcnt vmcnt(3)
	v_fma_f64 v[94:95], -v[106:107], v[154:155], v[94:95]
	s_waitcnt vmcnt(2) lgkmcnt(1)
	v_fma_f64 v[64:65], -v[106:107], v[160:161], v[64:65]
	;; [unrolled: 4-line block ×3, first 2 shown]
.LBB59_76:
	s_or_b64 exec, exec, s[2:3]
	v_cmp_eq_u32_e32 vcc, 15, v182
	s_waitcnt lgkmcnt(0)
	s_barrier
	s_and_saveexec_b64 s[2:3], vcc
	s_cbranch_execz .LBB59_79
; %bb.77:
	s_waitcnt vmcnt(13)
	v_mov_b32_e32 v152, v104
	v_mov_b32_e32 v153, v105
	s_waitcnt vmcnt(12)
	v_mov_b32_e32 v154, v74
	v_mov_b32_e32 v155, v75
	ds_write_b64 v180, v[76:77]
	ds_write2_b64 v181, v[152:153], v[154:155] offset0:16 offset1:17
	s_waitcnt vmcnt(11)
	v_mov_b32_e32 v152, v102
	v_mov_b32_e32 v153, v103
	s_waitcnt vmcnt(10)
	v_mov_b32_e32 v154, v72
	v_mov_b32_e32 v155, v73
	ds_write2_b64 v181, v[152:153], v[154:155] offset0:18 offset1:19
	s_waitcnt vmcnt(9)
	v_mov_b32_e32 v152, v100
	v_mov_b32_e32 v153, v101
	s_waitcnt vmcnt(8)
	v_mov_b32_e32 v154, v70
	v_mov_b32_e32 v155, v71
	;; [unrolled: 7-line block ×5, first 2 shown]
	ds_write2_b64 v181, v[152:153], v[154:155] offset0:26 offset1:27
	s_waitcnt vmcnt(1)
	v_mov_b32_e32 v152, v92
	v_mov_b32_e32 v153, v93
	s_waitcnt vmcnt(0)
	ds_write2_b64 v181, v[152:153], v[120:121] offset0:28 offset1:29
	ds_read_b64 v[152:153], v180
	s_waitcnt lgkmcnt(0)
	v_cmp_neq_f64_e32 vcc, 0, v[152:153]
	s_and_b64 exec, exec, vcc
	s_cbranch_execz .LBB59_79
; %bb.78:
	v_div_scale_f64 v[154:155], s[6:7], v[152:153], v[152:153], 1.0
	v_rcp_f64_e32 v[156:157], v[154:155]
	v_div_scale_f64 v[158:159], vcc, 1.0, v[152:153], 1.0
	v_fma_f64 v[160:161], -v[154:155], v[156:157], 1.0
	v_fmac_f64_e32 v[156:157], v[156:157], v[160:161]
	v_fma_f64 v[160:161], -v[154:155], v[156:157], 1.0
	v_fmac_f64_e32 v[156:157], v[156:157], v[160:161]
	v_mul_f64 v[160:161], v[158:159], v[156:157]
	v_fma_f64 v[154:155], -v[154:155], v[160:161], v[158:159]
	v_div_fmas_f64 v[154:155], v[154:155], v[156:157], v[160:161]
	v_div_fixup_f64 v[152:153], v[154:155], v[152:153], 1.0
	ds_write_b64 v180, v[152:153]
.LBB59_79:
	s_or_b64 exec, exec, s[2:3]
	s_waitcnt lgkmcnt(0)
	s_barrier
	ds_read_b64 v[152:153], v180
	v_cmp_lt_u32_e32 vcc, 15, v182
	s_and_saveexec_b64 s[2:3], vcc
	s_cbranch_execz .LBB59_81
; %bb.80:
	ds_read2_b64 v[154:157], v181 offset0:16 offset1:17
	s_waitcnt vmcnt(14) lgkmcnt(1)
	v_mul_f64 v[76:77], v[152:153], v[76:77]
	s_waitcnt vmcnt(13) lgkmcnt(0)
	v_fma_f64 v[104:105], -v[76:77], v[154:155], v[104:105]
	s_waitcnt vmcnt(12)
	v_fma_f64 v[74:75], -v[76:77], v[156:157], v[74:75]
	ds_read2_b64 v[154:157], v181 offset0:18 offset1:19
	s_waitcnt vmcnt(11) lgkmcnt(0)
	v_fma_f64 v[102:103], -v[76:77], v[154:155], v[102:103]
	s_waitcnt vmcnt(10)
	v_fma_f64 v[72:73], -v[76:77], v[156:157], v[72:73]
	ds_read2_b64 v[154:157], v181 offset0:20 offset1:21
	;; [unrolled: 5-line block ×6, first 2 shown]
	s_waitcnt vmcnt(1) lgkmcnt(0)
	v_fma_f64 v[92:93], -v[76:77], v[154:155], v[92:93]
	s_waitcnt vmcnt(0)
	v_fma_f64 v[120:121], -v[76:77], v[156:157], v[120:121]
.LBB59_81:
	s_or_b64 exec, exec, s[2:3]
	v_cmp_eq_u32_e32 vcc, 16, v182
	s_waitcnt lgkmcnt(0)
	s_barrier
	s_and_saveexec_b64 s[2:3], vcc
	s_cbranch_execz .LBB59_84
; %bb.82:
	s_waitcnt vmcnt(13)
	ds_write_b64 v180, v[104:105]
	s_waitcnt vmcnt(11)
	ds_write2_b64 v181, v[74:75], v[102:103] offset0:17 offset1:18
	s_waitcnt vmcnt(9)
	ds_write2_b64 v181, v[72:73], v[100:101] offset0:19 offset1:20
	;; [unrolled: 2-line block ×6, first 2 shown]
	s_waitcnt vmcnt(0)
	ds_write_b64 v181, v[120:121] offset:232
	ds_read_b64 v[154:155], v180
	s_waitcnt lgkmcnt(0)
	v_cmp_neq_f64_e32 vcc, 0, v[154:155]
	s_and_b64 exec, exec, vcc
	s_cbranch_execz .LBB59_84
; %bb.83:
	v_div_scale_f64 v[156:157], s[6:7], v[154:155], v[154:155], 1.0
	v_rcp_f64_e32 v[158:159], v[156:157]
	v_div_scale_f64 v[160:161], vcc, 1.0, v[154:155], 1.0
	v_fma_f64 v[162:163], -v[156:157], v[158:159], 1.0
	v_fmac_f64_e32 v[158:159], v[158:159], v[162:163]
	v_fma_f64 v[162:163], -v[156:157], v[158:159], 1.0
	v_fmac_f64_e32 v[158:159], v[158:159], v[162:163]
	v_mul_f64 v[162:163], v[160:161], v[158:159]
	v_fma_f64 v[156:157], -v[156:157], v[162:163], v[160:161]
	v_div_fmas_f64 v[156:157], v[156:157], v[158:159], v[162:163]
	v_div_fixup_f64 v[154:155], v[156:157], v[154:155], 1.0
	ds_write_b64 v180, v[154:155]
.LBB59_84:
	s_or_b64 exec, exec, s[2:3]
	s_waitcnt lgkmcnt(0)
	s_barrier
	ds_read_b64 v[154:155], v180
	v_cmp_lt_u32_e32 vcc, 16, v182
	s_and_saveexec_b64 s[2:3], vcc
	s_cbranch_execz .LBB59_86
; %bb.85:
	ds_read2_b64 v[156:159], v181 offset0:17 offset1:18
	ds_read2_b64 v[160:163], v181 offset0:19 offset1:20
	s_waitcnt vmcnt(13) lgkmcnt(2)
	v_mul_f64 v[104:105], v[154:155], v[104:105]
	ds_read2_b64 v[164:167], v181 offset0:21 offset1:22
	s_waitcnt vmcnt(12) lgkmcnt(2)
	v_fma_f64 v[74:75], -v[104:105], v[156:157], v[74:75]
	s_waitcnt vmcnt(11)
	v_fma_f64 v[102:103], -v[104:105], v[158:159], v[102:103]
	ds_read2_b64 v[156:159], v181 offset0:23 offset1:24
	s_waitcnt vmcnt(10) lgkmcnt(2)
	v_fma_f64 v[72:73], -v[104:105], v[160:161], v[72:73]
	s_waitcnt vmcnt(9)
	v_fma_f64 v[100:101], -v[104:105], v[162:163], v[100:101]
	s_waitcnt vmcnt(8) lgkmcnt(1)
	v_fma_f64 v[70:71], -v[104:105], v[164:165], v[70:71]
	s_waitcnt vmcnt(7)
	v_fma_f64 v[98:99], -v[104:105], v[166:167], v[98:99]
	ds_read2_b64 v[160:163], v181 offset0:25 offset1:26
	ds_read2_b64 v[164:167], v181 offset0:27 offset1:28
	s_waitcnt vmcnt(6) lgkmcnt(2)
	v_fma_f64 v[68:69], -v[104:105], v[156:157], v[68:69]
	ds_read_b64 v[156:157], v181 offset:232
	s_waitcnt vmcnt(5)
	v_fma_f64 v[96:97], -v[104:105], v[158:159], v[96:97]
	s_waitcnt vmcnt(4) lgkmcnt(2)
	v_fma_f64 v[66:67], -v[104:105], v[160:161], v[66:67]
	s_waitcnt vmcnt(3)
	v_fma_f64 v[94:95], -v[104:105], v[162:163], v[94:95]
	s_waitcnt vmcnt(2) lgkmcnt(1)
	v_fma_f64 v[64:65], -v[104:105], v[164:165], v[64:65]
	;; [unrolled: 4-line block ×3, first 2 shown]
.LBB59_86:
	s_or_b64 exec, exec, s[2:3]
	v_cmp_eq_u32_e32 vcc, 17, v182
	s_waitcnt lgkmcnt(0)
	s_barrier
	s_and_saveexec_b64 s[2:3], vcc
	s_cbranch_execz .LBB59_89
; %bb.87:
	s_waitcnt vmcnt(11)
	v_mov_b32_e32 v156, v102
	v_mov_b32_e32 v157, v103
	s_waitcnt vmcnt(10)
	v_mov_b32_e32 v158, v72
	v_mov_b32_e32 v159, v73
	ds_write_b64 v180, v[74:75]
	ds_write2_b64 v181, v[156:157], v[158:159] offset0:18 offset1:19
	s_waitcnt vmcnt(9)
	v_mov_b32_e32 v156, v100
	v_mov_b32_e32 v157, v101
	s_waitcnt vmcnt(8)
	v_mov_b32_e32 v158, v70
	v_mov_b32_e32 v159, v71
	ds_write2_b64 v181, v[156:157], v[158:159] offset0:20 offset1:21
	s_waitcnt vmcnt(7)
	v_mov_b32_e32 v156, v98
	v_mov_b32_e32 v157, v99
	s_waitcnt vmcnt(6)
	v_mov_b32_e32 v158, v68
	v_mov_b32_e32 v159, v69
	;; [unrolled: 7-line block ×4, first 2 shown]
	ds_write2_b64 v181, v[156:157], v[158:159] offset0:26 offset1:27
	s_waitcnt vmcnt(1)
	v_mov_b32_e32 v156, v92
	v_mov_b32_e32 v157, v93
	s_waitcnt vmcnt(0)
	ds_write2_b64 v181, v[156:157], v[120:121] offset0:28 offset1:29
	ds_read_b64 v[156:157], v180
	s_waitcnt lgkmcnt(0)
	v_cmp_neq_f64_e32 vcc, 0, v[156:157]
	s_and_b64 exec, exec, vcc
	s_cbranch_execz .LBB59_89
; %bb.88:
	v_div_scale_f64 v[158:159], s[6:7], v[156:157], v[156:157], 1.0
	v_rcp_f64_e32 v[160:161], v[158:159]
	v_div_scale_f64 v[162:163], vcc, 1.0, v[156:157], 1.0
	v_fma_f64 v[164:165], -v[158:159], v[160:161], 1.0
	v_fmac_f64_e32 v[160:161], v[160:161], v[164:165]
	v_fma_f64 v[164:165], -v[158:159], v[160:161], 1.0
	v_fmac_f64_e32 v[160:161], v[160:161], v[164:165]
	v_mul_f64 v[164:165], v[162:163], v[160:161]
	v_fma_f64 v[158:159], -v[158:159], v[164:165], v[162:163]
	v_div_fmas_f64 v[158:159], v[158:159], v[160:161], v[164:165]
	v_div_fixup_f64 v[156:157], v[158:159], v[156:157], 1.0
	ds_write_b64 v180, v[156:157]
.LBB59_89:
	s_or_b64 exec, exec, s[2:3]
	s_waitcnt lgkmcnt(0)
	s_barrier
	ds_read_b64 v[156:157], v180
	v_cmp_lt_u32_e32 vcc, 17, v182
	s_and_saveexec_b64 s[2:3], vcc
	s_cbranch_execz .LBB59_91
; %bb.90:
	ds_read2_b64 v[158:161], v181 offset0:18 offset1:19
	ds_read2_b64 v[162:165], v181 offset0:20 offset1:21
	;; [unrolled: 1-line block ×3, first 2 shown]
	s_waitcnt vmcnt(12) lgkmcnt(3)
	v_mul_f64 v[74:75], v[156:157], v[74:75]
	s_waitcnt vmcnt(11) lgkmcnt(2)
	v_fma_f64 v[102:103], -v[74:75], v[158:159], v[102:103]
	s_waitcnt vmcnt(10)
	v_fma_f64 v[72:73], -v[74:75], v[160:161], v[72:73]
	ds_read2_b64 v[158:161], v181 offset0:24 offset1:25
	s_waitcnt vmcnt(9) lgkmcnt(2)
	v_fma_f64 v[100:101], -v[74:75], v[162:163], v[100:101]
	s_waitcnt vmcnt(8)
	v_fma_f64 v[70:71], -v[74:75], v[164:165], v[70:71]
	s_waitcnt vmcnt(7) lgkmcnt(1)
	v_fma_f64 v[98:99], -v[74:75], v[166:167], v[98:99]
	ds_read2_b64 v[162:165], v181 offset0:26 offset1:27
	s_waitcnt vmcnt(6)
	v_fma_f64 v[68:69], -v[74:75], v[168:169], v[68:69]
	ds_read2_b64 v[166:169], v181 offset0:28 offset1:29
	s_waitcnt vmcnt(5) lgkmcnt(2)
	v_fma_f64 v[96:97], -v[74:75], v[158:159], v[96:97]
	s_waitcnt vmcnt(4)
	v_fma_f64 v[66:67], -v[74:75], v[160:161], v[66:67]
	s_waitcnt vmcnt(3) lgkmcnt(1)
	v_fma_f64 v[94:95], -v[74:75], v[162:163], v[94:95]
	s_waitcnt vmcnt(2)
	v_fma_f64 v[64:65], -v[74:75], v[164:165], v[64:65]
	;; [unrolled: 4-line block ×3, first 2 shown]
.LBB59_91:
	s_or_b64 exec, exec, s[2:3]
	v_cmp_eq_u32_e32 vcc, 18, v182
	s_waitcnt lgkmcnt(0)
	s_barrier
	s_and_saveexec_b64 s[2:3], vcc
	s_cbranch_execz .LBB59_94
; %bb.92:
	s_waitcnt vmcnt(11)
	ds_write_b64 v180, v[102:103]
	s_waitcnt vmcnt(9)
	ds_write2_b64 v181, v[72:73], v[100:101] offset0:19 offset1:20
	s_waitcnt vmcnt(7)
	ds_write2_b64 v181, v[70:71], v[98:99] offset0:21 offset1:22
	;; [unrolled: 2-line block ×5, first 2 shown]
	s_waitcnt vmcnt(0)
	ds_write_b64 v181, v[120:121] offset:232
	ds_read_b64 v[158:159], v180
	s_waitcnt lgkmcnt(0)
	v_cmp_neq_f64_e32 vcc, 0, v[158:159]
	s_and_b64 exec, exec, vcc
	s_cbranch_execz .LBB59_94
; %bb.93:
	v_div_scale_f64 v[160:161], s[6:7], v[158:159], v[158:159], 1.0
	v_rcp_f64_e32 v[162:163], v[160:161]
	v_div_scale_f64 v[164:165], vcc, 1.0, v[158:159], 1.0
	v_fma_f64 v[166:167], -v[160:161], v[162:163], 1.0
	v_fmac_f64_e32 v[162:163], v[162:163], v[166:167]
	v_fma_f64 v[166:167], -v[160:161], v[162:163], 1.0
	v_fmac_f64_e32 v[162:163], v[162:163], v[166:167]
	v_mul_f64 v[166:167], v[164:165], v[162:163]
	v_fma_f64 v[160:161], -v[160:161], v[166:167], v[164:165]
	v_div_fmas_f64 v[160:161], v[160:161], v[162:163], v[166:167]
	v_div_fixup_f64 v[158:159], v[160:161], v[158:159], 1.0
	ds_write_b64 v180, v[158:159]
.LBB59_94:
	s_or_b64 exec, exec, s[2:3]
	s_waitcnt lgkmcnt(0)
	s_barrier
	ds_read_b64 v[158:159], v180
	v_cmp_lt_u32_e32 vcc, 18, v182
	s_and_saveexec_b64 s[2:3], vcc
	s_cbranch_execz .LBB59_96
; %bb.95:
	ds_read2_b64 v[160:163], v181 offset0:19 offset1:20
	ds_read2_b64 v[164:167], v181 offset0:21 offset1:22
	;; [unrolled: 1-line block ×3, first 2 shown]
	s_waitcnt vmcnt(11) lgkmcnt(3)
	v_mul_f64 v[102:103], v[158:159], v[102:103]
	s_waitcnt vmcnt(10) lgkmcnt(2)
	v_fma_f64 v[72:73], -v[102:103], v[160:161], v[72:73]
	s_waitcnt vmcnt(9)
	v_fma_f64 v[100:101], -v[102:103], v[162:163], v[100:101]
	ds_read2_b64 v[160:163], v181 offset0:25 offset1:26
	s_waitcnt vmcnt(8) lgkmcnt(2)
	v_fma_f64 v[70:71], -v[102:103], v[164:165], v[70:71]
	s_waitcnt vmcnt(7)
	v_fma_f64 v[98:99], -v[102:103], v[166:167], v[98:99]
	s_waitcnt vmcnt(6) lgkmcnt(1)
	v_fma_f64 v[68:69], -v[102:103], v[168:169], v[68:69]
	ds_read2_b64 v[164:167], v181 offset0:27 offset1:28
	ds_read_b64 v[168:169], v181 offset:232
	s_waitcnt vmcnt(5)
	v_fma_f64 v[96:97], -v[102:103], v[170:171], v[96:97]
	s_waitcnt vmcnt(4) lgkmcnt(2)
	v_fma_f64 v[66:67], -v[102:103], v[160:161], v[66:67]
	s_waitcnt vmcnt(3)
	v_fma_f64 v[94:95], -v[102:103], v[162:163], v[94:95]
	s_waitcnt vmcnt(2) lgkmcnt(1)
	v_fma_f64 v[64:65], -v[102:103], v[164:165], v[64:65]
	s_waitcnt vmcnt(1)
	v_fma_f64 v[92:93], -v[102:103], v[166:167], v[92:93]
	s_waitcnt vmcnt(0) lgkmcnt(0)
	v_fma_f64 v[120:121], -v[102:103], v[168:169], v[120:121]
.LBB59_96:
	s_or_b64 exec, exec, s[2:3]
	v_cmp_eq_u32_e32 vcc, 19, v182
	s_waitcnt lgkmcnt(0)
	s_barrier
	s_and_saveexec_b64 s[2:3], vcc
	s_cbranch_execz .LBB59_99
; %bb.97:
	s_waitcnt vmcnt(9)
	v_mov_b32_e32 v160, v100
	v_mov_b32_e32 v161, v101
	s_waitcnt vmcnt(8)
	v_mov_b32_e32 v162, v70
	v_mov_b32_e32 v163, v71
	ds_write_b64 v180, v[72:73]
	ds_write2_b64 v181, v[160:161], v[162:163] offset0:20 offset1:21
	s_waitcnt vmcnt(7)
	v_mov_b32_e32 v160, v98
	v_mov_b32_e32 v161, v99
	s_waitcnt vmcnt(6)
	v_mov_b32_e32 v162, v68
	v_mov_b32_e32 v163, v69
	ds_write2_b64 v181, v[160:161], v[162:163] offset0:22 offset1:23
	s_waitcnt vmcnt(5)
	v_mov_b32_e32 v160, v96
	v_mov_b32_e32 v161, v97
	s_waitcnt vmcnt(4)
	v_mov_b32_e32 v162, v66
	v_mov_b32_e32 v163, v67
	;; [unrolled: 7-line block ×3, first 2 shown]
	ds_write2_b64 v181, v[160:161], v[162:163] offset0:26 offset1:27
	s_waitcnt vmcnt(1)
	v_mov_b32_e32 v160, v92
	v_mov_b32_e32 v161, v93
	s_waitcnt vmcnt(0)
	ds_write2_b64 v181, v[160:161], v[120:121] offset0:28 offset1:29
	ds_read_b64 v[160:161], v180
	s_waitcnt lgkmcnt(0)
	v_cmp_neq_f64_e32 vcc, 0, v[160:161]
	s_and_b64 exec, exec, vcc
	s_cbranch_execz .LBB59_99
; %bb.98:
	v_div_scale_f64 v[162:163], s[6:7], v[160:161], v[160:161], 1.0
	v_rcp_f64_e32 v[164:165], v[162:163]
	v_div_scale_f64 v[166:167], vcc, 1.0, v[160:161], 1.0
	v_fma_f64 v[168:169], -v[162:163], v[164:165], 1.0
	v_fmac_f64_e32 v[164:165], v[164:165], v[168:169]
	v_fma_f64 v[168:169], -v[162:163], v[164:165], 1.0
	v_fmac_f64_e32 v[164:165], v[164:165], v[168:169]
	v_mul_f64 v[168:169], v[166:167], v[164:165]
	v_fma_f64 v[162:163], -v[162:163], v[168:169], v[166:167]
	v_div_fmas_f64 v[162:163], v[162:163], v[164:165], v[168:169]
	v_div_fixup_f64 v[160:161], v[162:163], v[160:161], 1.0
	ds_write_b64 v180, v[160:161]
.LBB59_99:
	s_or_b64 exec, exec, s[2:3]
	s_waitcnt lgkmcnt(0)
	s_barrier
	ds_read_b64 v[160:161], v180
	v_cmp_lt_u32_e32 vcc, 19, v182
	s_and_saveexec_b64 s[2:3], vcc
	s_cbranch_execz .LBB59_101
; %bb.100:
	ds_read2_b64 v[162:165], v181 offset0:20 offset1:21
	ds_read2_b64 v[166:169], v181 offset0:22 offset1:23
	s_waitcnt vmcnt(10) lgkmcnt(2)
	v_mul_f64 v[72:73], v[160:161], v[72:73]
	ds_read2_b64 v[170:173], v181 offset0:26 offset1:27
	s_waitcnt vmcnt(9) lgkmcnt(2)
	v_fma_f64 v[100:101], -v[72:73], v[162:163], v[100:101]
	s_waitcnt vmcnt(8)
	v_fma_f64 v[70:71], -v[72:73], v[164:165], v[70:71]
	ds_read2_b64 v[162:165], v181 offset0:24 offset1:25
	s_waitcnt vmcnt(7) lgkmcnt(2)
	v_fma_f64 v[98:99], -v[72:73], v[166:167], v[98:99]
	s_waitcnt vmcnt(6)
	v_fma_f64 v[68:69], -v[72:73], v[168:169], v[68:69]
	ds_read2_b64 v[166:169], v181 offset0:28 offset1:29
	s_waitcnt vmcnt(3) lgkmcnt(2)
	v_fma_f64 v[94:95], -v[72:73], v[170:171], v[94:95]
	s_waitcnt lgkmcnt(1)
	v_fma_f64 v[96:97], -v[72:73], v[162:163], v[96:97]
	v_fma_f64 v[66:67], -v[72:73], v[164:165], v[66:67]
	s_waitcnt vmcnt(2)
	v_fma_f64 v[64:65], -v[72:73], v[172:173], v[64:65]
	s_waitcnt vmcnt(1) lgkmcnt(0)
	v_fma_f64 v[92:93], -v[72:73], v[166:167], v[92:93]
	s_waitcnt vmcnt(0)
	v_fma_f64 v[120:121], -v[72:73], v[168:169], v[120:121]
.LBB59_101:
	s_or_b64 exec, exec, s[2:3]
	v_cmp_eq_u32_e32 vcc, 20, v182
	s_waitcnt lgkmcnt(0)
	s_barrier
	s_and_saveexec_b64 s[2:3], vcc
	s_cbranch_execz .LBB59_104
; %bb.102:
	s_waitcnt vmcnt(9)
	ds_write_b64 v180, v[100:101]
	s_waitcnt vmcnt(7)
	ds_write2_b64 v181, v[70:71], v[98:99] offset0:21 offset1:22
	s_waitcnt vmcnt(5)
	ds_write2_b64 v181, v[68:69], v[96:97] offset0:23 offset1:24
	;; [unrolled: 2-line block ×4, first 2 shown]
	s_waitcnt vmcnt(0)
	ds_write_b64 v181, v[120:121] offset:232
	ds_read_b64 v[162:163], v180
	s_waitcnt lgkmcnt(0)
	v_cmp_neq_f64_e32 vcc, 0, v[162:163]
	s_and_b64 exec, exec, vcc
	s_cbranch_execz .LBB59_104
; %bb.103:
	v_div_scale_f64 v[164:165], s[6:7], v[162:163], v[162:163], 1.0
	v_rcp_f64_e32 v[166:167], v[164:165]
	v_div_scale_f64 v[168:169], vcc, 1.0, v[162:163], 1.0
	v_fma_f64 v[170:171], -v[164:165], v[166:167], 1.0
	v_fmac_f64_e32 v[166:167], v[166:167], v[170:171]
	v_fma_f64 v[170:171], -v[164:165], v[166:167], 1.0
	v_fmac_f64_e32 v[166:167], v[166:167], v[170:171]
	v_mul_f64 v[170:171], v[168:169], v[166:167]
	v_fma_f64 v[164:165], -v[164:165], v[170:171], v[168:169]
	v_div_fmas_f64 v[164:165], v[164:165], v[166:167], v[170:171]
	v_div_fixup_f64 v[162:163], v[164:165], v[162:163], 1.0
	ds_write_b64 v180, v[162:163]
.LBB59_104:
	s_or_b64 exec, exec, s[2:3]
	s_waitcnt lgkmcnt(0)
	s_barrier
	ds_read_b64 v[162:163], v180
	v_cmp_lt_u32_e32 vcc, 20, v182
	s_and_saveexec_b64 s[2:3], vcc
	s_cbranch_execz .LBB59_106
; %bb.105:
	ds_read2_b64 v[164:167], v181 offset0:21 offset1:22
	ds_read2_b64 v[168:171], v181 offset0:23 offset1:24
	s_waitcnt vmcnt(9) lgkmcnt(2)
	v_mul_f64 v[100:101], v[162:163], v[100:101]
	ds_read2_b64 v[172:175], v181 offset0:27 offset1:28
	s_waitcnt vmcnt(8) lgkmcnt(2)
	v_fma_f64 v[70:71], -v[100:101], v[164:165], v[70:71]
	s_waitcnt vmcnt(7)
	v_fma_f64 v[98:99], -v[100:101], v[166:167], v[98:99]
	ds_read2_b64 v[164:167], v181 offset0:25 offset1:26
	s_waitcnt vmcnt(6) lgkmcnt(2)
	v_fma_f64 v[68:69], -v[100:101], v[168:169], v[68:69]
	ds_read_b64 v[168:169], v181 offset:232
	s_waitcnt vmcnt(5)
	v_fma_f64 v[96:97], -v[100:101], v[170:171], v[96:97]
	s_waitcnt vmcnt(2) lgkmcnt(2)
	v_fma_f64 v[64:65], -v[100:101], v[172:173], v[64:65]
	s_waitcnt lgkmcnt(1)
	v_fma_f64 v[66:67], -v[100:101], v[164:165], v[66:67]
	v_fma_f64 v[94:95], -v[100:101], v[166:167], v[94:95]
	s_waitcnt vmcnt(1)
	v_fma_f64 v[92:93], -v[100:101], v[174:175], v[92:93]
	s_waitcnt vmcnt(0) lgkmcnt(0)
	v_fma_f64 v[120:121], -v[100:101], v[168:169], v[120:121]
.LBB59_106:
	s_or_b64 exec, exec, s[2:3]
	v_cmp_eq_u32_e32 vcc, 21, v182
	s_waitcnt lgkmcnt(0)
	s_barrier
	s_and_saveexec_b64 s[2:3], vcc
	s_cbranch_execz .LBB59_109
; %bb.107:
	s_waitcnt vmcnt(7)
	v_mov_b32_e32 v164, v98
	v_mov_b32_e32 v165, v99
	s_waitcnt vmcnt(6)
	v_mov_b32_e32 v166, v68
	v_mov_b32_e32 v167, v69
	ds_write_b64 v180, v[70:71]
	ds_write2_b64 v181, v[164:165], v[166:167] offset0:22 offset1:23
	s_waitcnt vmcnt(5)
	v_mov_b32_e32 v164, v96
	v_mov_b32_e32 v165, v97
	s_waitcnt vmcnt(4)
	v_mov_b32_e32 v166, v66
	v_mov_b32_e32 v167, v67
	ds_write2_b64 v181, v[164:165], v[166:167] offset0:24 offset1:25
	s_waitcnt vmcnt(3)
	v_mov_b32_e32 v164, v94
	v_mov_b32_e32 v165, v95
	s_waitcnt vmcnt(2)
	v_mov_b32_e32 v166, v64
	v_mov_b32_e32 v167, v65
	ds_write2_b64 v181, v[164:165], v[166:167] offset0:26 offset1:27
	s_waitcnt vmcnt(1)
	v_mov_b32_e32 v164, v92
	v_mov_b32_e32 v165, v93
	s_waitcnt vmcnt(0)
	ds_write2_b64 v181, v[164:165], v[120:121] offset0:28 offset1:29
	ds_read_b64 v[164:165], v180
	s_waitcnt lgkmcnt(0)
	v_cmp_neq_f64_e32 vcc, 0, v[164:165]
	s_and_b64 exec, exec, vcc
	s_cbranch_execz .LBB59_109
; %bb.108:
	v_div_scale_f64 v[166:167], s[6:7], v[164:165], v[164:165], 1.0
	v_rcp_f64_e32 v[168:169], v[166:167]
	v_div_scale_f64 v[170:171], vcc, 1.0, v[164:165], 1.0
	v_fma_f64 v[172:173], -v[166:167], v[168:169], 1.0
	v_fmac_f64_e32 v[168:169], v[168:169], v[172:173]
	v_fma_f64 v[172:173], -v[166:167], v[168:169], 1.0
	v_fmac_f64_e32 v[168:169], v[168:169], v[172:173]
	v_mul_f64 v[172:173], v[170:171], v[168:169]
	v_fma_f64 v[166:167], -v[166:167], v[172:173], v[170:171]
	v_div_fmas_f64 v[166:167], v[166:167], v[168:169], v[172:173]
	v_div_fixup_f64 v[164:165], v[166:167], v[164:165], 1.0
	ds_write_b64 v180, v[164:165]
.LBB59_109:
	s_or_b64 exec, exec, s[2:3]
	s_waitcnt lgkmcnt(0)
	s_barrier
	ds_read_b64 v[164:165], v180
	v_cmp_lt_u32_e32 vcc, 21, v182
	s_and_saveexec_b64 s[2:3], vcc
	s_cbranch_execz .LBB59_111
; %bb.110:
	ds_read2_b64 v[166:169], v181 offset0:22 offset1:23
	ds_read2_b64 v[170:173], v181 offset0:24 offset1:25
	s_waitcnt vmcnt(8) lgkmcnt(2)
	v_mul_f64 v[70:71], v[164:165], v[70:71]
	ds_read2_b64 v[174:177], v181 offset0:26 offset1:27
	s_waitcnt vmcnt(7) lgkmcnt(2)
	v_fma_f64 v[98:99], -v[70:71], v[166:167], v[98:99]
	s_waitcnt vmcnt(6)
	v_fma_f64 v[68:69], -v[70:71], v[168:169], v[68:69]
	ds_read2_b64 v[166:169], v181 offset0:28 offset1:29
	s_waitcnt vmcnt(5) lgkmcnt(2)
	v_fma_f64 v[96:97], -v[70:71], v[170:171], v[96:97]
	s_waitcnt vmcnt(4)
	v_fma_f64 v[66:67], -v[70:71], v[172:173], v[66:67]
	s_waitcnt vmcnt(3) lgkmcnt(1)
	v_fma_f64 v[94:95], -v[70:71], v[174:175], v[94:95]
	s_waitcnt vmcnt(2)
	v_fma_f64 v[64:65], -v[70:71], v[176:177], v[64:65]
	;; [unrolled: 4-line block ×3, first 2 shown]
.LBB59_111:
	s_or_b64 exec, exec, s[2:3]
	v_cmp_eq_u32_e32 vcc, 22, v182
	s_waitcnt lgkmcnt(0)
	s_barrier
	s_and_saveexec_b64 s[2:3], vcc
	s_cbranch_execz .LBB59_114
; %bb.112:
	s_waitcnt vmcnt(7)
	ds_write_b64 v180, v[98:99]
	s_waitcnt vmcnt(5)
	ds_write2_b64 v181, v[68:69], v[96:97] offset0:23 offset1:24
	s_waitcnt vmcnt(3)
	ds_write2_b64 v181, v[66:67], v[94:95] offset0:25 offset1:26
	;; [unrolled: 2-line block ×3, first 2 shown]
	s_waitcnt vmcnt(0)
	ds_write_b64 v181, v[120:121] offset:232
	ds_read_b64 v[166:167], v180
	s_waitcnt lgkmcnt(0)
	v_cmp_neq_f64_e32 vcc, 0, v[166:167]
	s_and_b64 exec, exec, vcc
	s_cbranch_execz .LBB59_114
; %bb.113:
	v_div_scale_f64 v[168:169], s[6:7], v[166:167], v[166:167], 1.0
	v_rcp_f64_e32 v[170:171], v[168:169]
	v_div_scale_f64 v[172:173], vcc, 1.0, v[166:167], 1.0
	v_fma_f64 v[174:175], -v[168:169], v[170:171], 1.0
	v_fmac_f64_e32 v[170:171], v[170:171], v[174:175]
	v_fma_f64 v[174:175], -v[168:169], v[170:171], 1.0
	v_fmac_f64_e32 v[170:171], v[170:171], v[174:175]
	v_mul_f64 v[174:175], v[172:173], v[170:171]
	v_fma_f64 v[168:169], -v[168:169], v[174:175], v[172:173]
	v_div_fmas_f64 v[168:169], v[168:169], v[170:171], v[174:175]
	v_div_fixup_f64 v[166:167], v[168:169], v[166:167], 1.0
	ds_write_b64 v180, v[166:167]
.LBB59_114:
	s_or_b64 exec, exec, s[2:3]
	s_waitcnt lgkmcnt(0)
	s_barrier
	ds_read_b64 v[166:167], v180
	v_cmp_lt_u32_e32 vcc, 22, v182
	s_and_saveexec_b64 s[2:3], vcc
	s_cbranch_execz .LBB59_116
; %bb.115:
	ds_read2_b64 v[168:171], v181 offset0:23 offset1:24
	ds_read2_b64 v[172:175], v181 offset0:25 offset1:26
	s_waitcnt vmcnt(7) lgkmcnt(2)
	v_mul_f64 v[98:99], v[166:167], v[98:99]
	ds_read2_b64 v[176:179], v181 offset0:27 offset1:28
	s_waitcnt vmcnt(6) lgkmcnt(2)
	v_fma_f64 v[68:69], -v[98:99], v[168:169], v[68:69]
	ds_read_b64 v[168:169], v181 offset:232
	s_waitcnt vmcnt(5)
	v_fma_f64 v[96:97], -v[98:99], v[170:171], v[96:97]
	s_waitcnt vmcnt(4) lgkmcnt(2)
	v_fma_f64 v[66:67], -v[98:99], v[172:173], v[66:67]
	s_waitcnt vmcnt(3)
	v_fma_f64 v[94:95], -v[98:99], v[174:175], v[94:95]
	s_waitcnt vmcnt(2) lgkmcnt(1)
	v_fma_f64 v[64:65], -v[98:99], v[176:177], v[64:65]
	;; [unrolled: 4-line block ×3, first 2 shown]
.LBB59_116:
	s_or_b64 exec, exec, s[2:3]
	v_cmp_eq_u32_e32 vcc, 23, v182
	s_waitcnt lgkmcnt(0)
	s_barrier
	s_and_saveexec_b64 s[2:3], vcc
	s_cbranch_execz .LBB59_119
; %bb.117:
	s_waitcnt vmcnt(5)
	v_mov_b32_e32 v168, v96
	v_mov_b32_e32 v169, v97
	s_waitcnt vmcnt(4)
	v_mov_b32_e32 v170, v66
	v_mov_b32_e32 v171, v67
	ds_write_b64 v180, v[68:69]
	ds_write2_b64 v181, v[168:169], v[170:171] offset0:24 offset1:25
	s_waitcnt vmcnt(3)
	v_mov_b32_e32 v168, v94
	v_mov_b32_e32 v169, v95
	s_waitcnt vmcnt(2)
	v_mov_b32_e32 v170, v64
	v_mov_b32_e32 v171, v65
	ds_write2_b64 v181, v[168:169], v[170:171] offset0:26 offset1:27
	s_waitcnt vmcnt(1)
	v_mov_b32_e32 v168, v92
	v_mov_b32_e32 v169, v93
	s_waitcnt vmcnt(0)
	ds_write2_b64 v181, v[168:169], v[120:121] offset0:28 offset1:29
	ds_read_b64 v[168:169], v180
	s_waitcnt lgkmcnt(0)
	v_cmp_neq_f64_e32 vcc, 0, v[168:169]
	s_and_b64 exec, exec, vcc
	s_cbranch_execz .LBB59_119
; %bb.118:
	v_div_scale_f64 v[170:171], s[6:7], v[168:169], v[168:169], 1.0
	v_rcp_f64_e32 v[172:173], v[170:171]
	v_div_scale_f64 v[174:175], vcc, 1.0, v[168:169], 1.0
	v_fma_f64 v[176:177], -v[170:171], v[172:173], 1.0
	v_fmac_f64_e32 v[172:173], v[172:173], v[176:177]
	v_fma_f64 v[176:177], -v[170:171], v[172:173], 1.0
	v_fmac_f64_e32 v[172:173], v[172:173], v[176:177]
	v_mul_f64 v[176:177], v[174:175], v[172:173]
	v_fma_f64 v[170:171], -v[170:171], v[176:177], v[174:175]
	v_div_fmas_f64 v[170:171], v[170:171], v[172:173], v[176:177]
	v_div_fixup_f64 v[168:169], v[170:171], v[168:169], 1.0
	ds_write_b64 v180, v[168:169]
.LBB59_119:
	s_or_b64 exec, exec, s[2:3]
	s_waitcnt lgkmcnt(0)
	s_barrier
	ds_read_b64 v[168:169], v180
	v_cmp_lt_u32_e32 vcc, 23, v182
	s_and_saveexec_b64 s[2:3], vcc
	s_cbranch_execz .LBB59_121
; %bb.120:
	ds_read2_b64 v[170:173], v181 offset0:24 offset1:25
	ds_read2_b64 v[174:177], v181 offset0:26 offset1:27
	;; [unrolled: 1-line block ×3, first 2 shown]
	s_waitcnt vmcnt(6) lgkmcnt(3)
	v_mul_f64 v[68:69], v[168:169], v[68:69]
	s_waitcnt vmcnt(5) lgkmcnt(2)
	v_fma_f64 v[96:97], -v[68:69], v[170:171], v[96:97]
	s_waitcnt vmcnt(4)
	v_fma_f64 v[66:67], -v[68:69], v[172:173], v[66:67]
	s_waitcnt vmcnt(3) lgkmcnt(1)
	v_fma_f64 v[94:95], -v[68:69], v[174:175], v[94:95]
	s_waitcnt vmcnt(2)
	v_fma_f64 v[64:65], -v[68:69], v[176:177], v[64:65]
	;; [unrolled: 4-line block ×3, first 2 shown]
.LBB59_121:
	s_or_b64 exec, exec, s[2:3]
	v_cmp_eq_u32_e32 vcc, 24, v182
	s_waitcnt lgkmcnt(0)
	s_barrier
	s_and_saveexec_b64 s[2:3], vcc
	s_cbranch_execz .LBB59_124
; %bb.122:
	s_waitcnt vmcnt(5)
	ds_write_b64 v180, v[96:97]
	s_waitcnt vmcnt(3)
	ds_write2_b64 v181, v[66:67], v[94:95] offset0:25 offset1:26
	s_waitcnt vmcnt(1)
	ds_write2_b64 v181, v[64:65], v[92:93] offset0:27 offset1:28
	s_waitcnt vmcnt(0)
	ds_write_b64 v181, v[120:121] offset:232
	ds_read_b64 v[170:171], v180
	s_waitcnt lgkmcnt(0)
	v_cmp_neq_f64_e32 vcc, 0, v[170:171]
	s_and_b64 exec, exec, vcc
	s_cbranch_execz .LBB59_124
; %bb.123:
	v_div_scale_f64 v[172:173], s[6:7], v[170:171], v[170:171], 1.0
	v_rcp_f64_e32 v[174:175], v[172:173]
	v_div_scale_f64 v[176:177], vcc, 1.0, v[170:171], 1.0
	v_fma_f64 v[178:179], -v[172:173], v[174:175], 1.0
	v_fmac_f64_e32 v[174:175], v[174:175], v[178:179]
	v_fma_f64 v[178:179], -v[172:173], v[174:175], 1.0
	v_fmac_f64_e32 v[174:175], v[174:175], v[178:179]
	v_mul_f64 v[178:179], v[176:177], v[174:175]
	v_fma_f64 v[172:173], -v[172:173], v[178:179], v[176:177]
	v_div_fmas_f64 v[172:173], v[172:173], v[174:175], v[178:179]
	v_div_fixup_f64 v[170:171], v[172:173], v[170:171], 1.0
	ds_write_b64 v180, v[170:171]
.LBB59_124:
	s_or_b64 exec, exec, s[2:3]
	s_waitcnt lgkmcnt(0)
	s_barrier
	ds_read_b64 v[170:171], v180
	v_cmp_lt_u32_e32 vcc, 24, v182
	s_and_saveexec_b64 s[2:3], vcc
	s_cbranch_execz .LBB59_126
; %bb.125:
	ds_read2_b64 v[172:175], v181 offset0:25 offset1:26
	ds_read2_b64 v[176:179], v181 offset0:27 offset1:28
	ds_read_b64 v[184:185], v181 offset:232
	s_waitcnt vmcnt(5) lgkmcnt(3)
	v_mul_f64 v[96:97], v[170:171], v[96:97]
	s_waitcnt vmcnt(4) lgkmcnt(2)
	v_fma_f64 v[66:67], -v[96:97], v[172:173], v[66:67]
	s_waitcnt vmcnt(3)
	v_fma_f64 v[94:95], -v[96:97], v[174:175], v[94:95]
	s_waitcnt vmcnt(2) lgkmcnt(1)
	v_fma_f64 v[64:65], -v[96:97], v[176:177], v[64:65]
	s_waitcnt vmcnt(1)
	v_fma_f64 v[92:93], -v[96:97], v[178:179], v[92:93]
	s_waitcnt vmcnt(0) lgkmcnt(0)
	v_fma_f64 v[120:121], -v[96:97], v[184:185], v[120:121]
.LBB59_126:
	s_or_b64 exec, exec, s[2:3]
	v_cmp_eq_u32_e32 vcc, 25, v182
	s_waitcnt lgkmcnt(0)
	s_barrier
	s_and_saveexec_b64 s[2:3], vcc
	s_cbranch_execz .LBB59_129
; %bb.127:
	s_waitcnt vmcnt(3)
	v_mov_b32_e32 v172, v94
	v_mov_b32_e32 v173, v95
	s_waitcnt vmcnt(2)
	v_mov_b32_e32 v174, v64
	v_mov_b32_e32 v175, v65
	ds_write_b64 v180, v[66:67]
	ds_write2_b64 v181, v[172:173], v[174:175] offset0:26 offset1:27
	s_waitcnt vmcnt(1)
	v_mov_b32_e32 v172, v92
	v_mov_b32_e32 v173, v93
	s_waitcnt vmcnt(0)
	ds_write2_b64 v181, v[172:173], v[120:121] offset0:28 offset1:29
	ds_read_b64 v[172:173], v180
	s_waitcnt lgkmcnt(0)
	v_cmp_neq_f64_e32 vcc, 0, v[172:173]
	s_and_b64 exec, exec, vcc
	s_cbranch_execz .LBB59_129
; %bb.128:
	v_div_scale_f64 v[174:175], s[6:7], v[172:173], v[172:173], 1.0
	v_rcp_f64_e32 v[176:177], v[174:175]
	v_div_scale_f64 v[178:179], vcc, 1.0, v[172:173], 1.0
	v_fma_f64 v[184:185], -v[174:175], v[176:177], 1.0
	v_fmac_f64_e32 v[176:177], v[176:177], v[184:185]
	v_fma_f64 v[184:185], -v[174:175], v[176:177], 1.0
	v_fmac_f64_e32 v[176:177], v[176:177], v[184:185]
	v_mul_f64 v[184:185], v[178:179], v[176:177]
	v_fma_f64 v[174:175], -v[174:175], v[184:185], v[178:179]
	v_div_fmas_f64 v[174:175], v[174:175], v[176:177], v[184:185]
	v_div_fixup_f64 v[172:173], v[174:175], v[172:173], 1.0
	ds_write_b64 v180, v[172:173]
.LBB59_129:
	s_or_b64 exec, exec, s[2:3]
	s_waitcnt lgkmcnt(0)
	s_barrier
	ds_read_b64 v[172:173], v180
	v_cmp_lt_u32_e32 vcc, 25, v182
	s_and_saveexec_b64 s[2:3], vcc
	s_cbranch_execz .LBB59_131
; %bb.130:
	ds_read2_b64 v[174:177], v181 offset0:26 offset1:27
	ds_read2_b64 v[184:187], v181 offset0:28 offset1:29
	s_waitcnt vmcnt(4) lgkmcnt(2)
	v_mul_f64 v[66:67], v[172:173], v[66:67]
	s_waitcnt vmcnt(3) lgkmcnt(1)
	v_fma_f64 v[94:95], -v[66:67], v[174:175], v[94:95]
	s_waitcnt vmcnt(2)
	v_fma_f64 v[64:65], -v[66:67], v[176:177], v[64:65]
	s_waitcnt vmcnt(1) lgkmcnt(0)
	v_fma_f64 v[92:93], -v[66:67], v[184:185], v[92:93]
	s_waitcnt vmcnt(0)
	v_fma_f64 v[120:121], -v[66:67], v[186:187], v[120:121]
.LBB59_131:
	s_or_b64 exec, exec, s[2:3]
	v_cmp_eq_u32_e32 vcc, 26, v182
	s_waitcnt lgkmcnt(0)
	s_barrier
	s_and_saveexec_b64 s[2:3], vcc
	s_cbranch_execz .LBB59_134
; %bb.132:
	s_waitcnt vmcnt(3)
	ds_write_b64 v180, v[94:95]
	s_waitcnt vmcnt(1)
	ds_write2_b64 v181, v[64:65], v[92:93] offset0:27 offset1:28
	s_waitcnt vmcnt(0)
	ds_write_b64 v181, v[120:121] offset:232
	ds_read_b64 v[174:175], v180
	s_waitcnt lgkmcnt(0)
	v_cmp_neq_f64_e32 vcc, 0, v[174:175]
	s_and_b64 exec, exec, vcc
	s_cbranch_execz .LBB59_134
; %bb.133:
	v_div_scale_f64 v[176:177], s[6:7], v[174:175], v[174:175], 1.0
	v_rcp_f64_e32 v[178:179], v[176:177]
	v_div_scale_f64 v[184:185], vcc, 1.0, v[174:175], 1.0
	v_fma_f64 v[186:187], -v[176:177], v[178:179], 1.0
	v_fmac_f64_e32 v[178:179], v[178:179], v[186:187]
	v_fma_f64 v[186:187], -v[176:177], v[178:179], 1.0
	v_fmac_f64_e32 v[178:179], v[178:179], v[186:187]
	v_mul_f64 v[186:187], v[184:185], v[178:179]
	v_fma_f64 v[176:177], -v[176:177], v[186:187], v[184:185]
	v_div_fmas_f64 v[176:177], v[176:177], v[178:179], v[186:187]
	v_div_fixup_f64 v[174:175], v[176:177], v[174:175], 1.0
	ds_write_b64 v180, v[174:175]
.LBB59_134:
	s_or_b64 exec, exec, s[2:3]
	s_waitcnt lgkmcnt(0)
	s_barrier
	ds_read_b64 v[174:175], v180
	v_cmp_lt_u32_e32 vcc, 26, v182
	s_and_saveexec_b64 s[2:3], vcc
	s_cbranch_execz .LBB59_136
; %bb.135:
	ds_read2_b64 v[176:179], v181 offset0:27 offset1:28
	ds_read_b64 v[184:185], v181 offset:232
	s_waitcnt vmcnt(3) lgkmcnt(2)
	v_mul_f64 v[94:95], v[174:175], v[94:95]
	s_waitcnt vmcnt(2) lgkmcnt(1)
	v_fma_f64 v[64:65], -v[94:95], v[176:177], v[64:65]
	s_waitcnt vmcnt(1)
	v_fma_f64 v[92:93], -v[94:95], v[178:179], v[92:93]
	s_waitcnt vmcnt(0) lgkmcnt(0)
	v_fma_f64 v[120:121], -v[94:95], v[184:185], v[120:121]
.LBB59_136:
	s_or_b64 exec, exec, s[2:3]
	v_cmp_eq_u32_e32 vcc, 27, v182
	s_waitcnt lgkmcnt(0)
	s_barrier
	s_and_saveexec_b64 s[2:3], vcc
	s_cbranch_execz .LBB59_139
; %bb.137:
	s_waitcnt vmcnt(1)
	v_mov_b32_e32 v176, v92
	v_mov_b32_e32 v177, v93
	ds_write_b64 v180, v[64:65]
	s_waitcnt vmcnt(0)
	ds_write2_b64 v181, v[176:177], v[120:121] offset0:28 offset1:29
	ds_read_b64 v[176:177], v180
	s_waitcnt lgkmcnt(0)
	v_cmp_neq_f64_e32 vcc, 0, v[176:177]
	s_and_b64 exec, exec, vcc
	s_cbranch_execz .LBB59_139
; %bb.138:
	v_div_scale_f64 v[178:179], s[6:7], v[176:177], v[176:177], 1.0
	v_rcp_f64_e32 v[184:185], v[178:179]
	v_div_scale_f64 v[186:187], vcc, 1.0, v[176:177], 1.0
	v_fma_f64 v[188:189], -v[178:179], v[184:185], 1.0
	v_fmac_f64_e32 v[184:185], v[184:185], v[188:189]
	v_fma_f64 v[188:189], -v[178:179], v[184:185], 1.0
	v_fmac_f64_e32 v[184:185], v[184:185], v[188:189]
	v_mul_f64 v[188:189], v[186:187], v[184:185]
	v_fma_f64 v[178:179], -v[178:179], v[188:189], v[186:187]
	v_div_fmas_f64 v[178:179], v[178:179], v[184:185], v[188:189]
	v_div_fixup_f64 v[176:177], v[178:179], v[176:177], 1.0
	ds_write_b64 v180, v[176:177]
.LBB59_139:
	s_or_b64 exec, exec, s[2:3]
	s_waitcnt lgkmcnt(0)
	s_barrier
	ds_read_b64 v[176:177], v180
	v_cmp_lt_u32_e32 vcc, 27, v182
	s_and_saveexec_b64 s[2:3], vcc
	s_cbranch_execz .LBB59_141
; %bb.140:
	ds_read2_b64 v[184:187], v181 offset0:28 offset1:29
	s_waitcnt vmcnt(2) lgkmcnt(1)
	v_mul_f64 v[64:65], v[176:177], v[64:65]
	s_waitcnt vmcnt(1) lgkmcnt(0)
	v_fma_f64 v[92:93], -v[64:65], v[184:185], v[92:93]
	s_waitcnt vmcnt(0)
	v_fma_f64 v[120:121], -v[64:65], v[186:187], v[120:121]
.LBB59_141:
	s_or_b64 exec, exec, s[2:3]
	v_cmp_eq_u32_e32 vcc, 28, v182
	s_waitcnt lgkmcnt(0)
	s_barrier
	s_and_saveexec_b64 s[2:3], vcc
	s_cbranch_execz .LBB59_144
; %bb.142:
	s_waitcnt vmcnt(1)
	ds_write_b64 v180, v[92:93]
	s_waitcnt vmcnt(0)
	ds_write_b64 v181, v[120:121] offset:232
	ds_read_b64 v[178:179], v180
	s_waitcnt lgkmcnt(0)
	v_cmp_neq_f64_e32 vcc, 0, v[178:179]
	s_and_b64 exec, exec, vcc
	s_cbranch_execz .LBB59_144
; %bb.143:
	v_div_scale_f64 v[184:185], s[6:7], v[178:179], v[178:179], 1.0
	v_rcp_f64_e32 v[186:187], v[184:185]
	v_div_scale_f64 v[188:189], vcc, 1.0, v[178:179], 1.0
	v_fma_f64 v[190:191], -v[184:185], v[186:187], 1.0
	v_fmac_f64_e32 v[186:187], v[186:187], v[190:191]
	v_fma_f64 v[190:191], -v[184:185], v[186:187], 1.0
	v_fmac_f64_e32 v[186:187], v[186:187], v[190:191]
	v_mul_f64 v[190:191], v[188:189], v[186:187]
	v_fma_f64 v[184:185], -v[184:185], v[190:191], v[188:189]
	v_div_fmas_f64 v[184:185], v[184:185], v[186:187], v[190:191]
	v_div_fixup_f64 v[178:179], v[184:185], v[178:179], 1.0
	ds_write_b64 v180, v[178:179]
.LBB59_144:
	s_or_b64 exec, exec, s[2:3]
	s_waitcnt lgkmcnt(0)
	s_barrier
	ds_read_b64 v[178:179], v180
	v_cmp_lt_u32_e32 vcc, 28, v182
	s_and_saveexec_b64 s[2:3], vcc
	s_cbranch_execz .LBB59_146
; %bb.145:
	ds_read_b64 v[184:185], v181 offset:232
	s_waitcnt vmcnt(1) lgkmcnt(1)
	v_mul_f64 v[92:93], v[178:179], v[92:93]
	s_waitcnt vmcnt(0) lgkmcnt(0)
	v_fma_f64 v[120:121], -v[92:93], v[184:185], v[120:121]
.LBB59_146:
	s_or_b64 exec, exec, s[2:3]
	v_cmp_eq_u32_e32 vcc, 29, v182
	s_waitcnt lgkmcnt(0)
	s_barrier
	s_and_saveexec_b64 s[2:3], vcc
	s_cbranch_execz .LBB59_149
; %bb.147:
	s_waitcnt vmcnt(0)
	v_cmp_neq_f64_e32 vcc, 0, v[120:121]
	ds_write_b64 v180, v[120:121]
	s_and_b64 exec, exec, vcc
	s_cbranch_execz .LBB59_149
; %bb.148:
	v_div_scale_f64 v[184:185], s[6:7], v[120:121], v[120:121], 1.0
	v_rcp_f64_e32 v[186:187], v[184:185]
	v_div_scale_f64 v[188:189], vcc, 1.0, v[120:121], 1.0
	v_fma_f64 v[190:191], -v[184:185], v[186:187], 1.0
	v_fmac_f64_e32 v[186:187], v[186:187], v[190:191]
	v_fma_f64 v[190:191], -v[184:185], v[186:187], 1.0
	v_fmac_f64_e32 v[186:187], v[186:187], v[190:191]
	v_mul_f64 v[190:191], v[188:189], v[186:187]
	v_fma_f64 v[184:185], -v[184:185], v[190:191], v[188:189]
	v_div_fmas_f64 v[184:185], v[184:185], v[186:187], v[190:191]
	v_div_fixup_f64 v[184:185], v[184:185], v[120:121], 1.0
	ds_write_b64 v180, v[184:185]
.LBB59_149:
	s_or_b64 exec, exec, s[2:3]
	s_waitcnt lgkmcnt(0)
	s_barrier
	ds_read_b64 v[180:181], v180
	s_waitcnt lgkmcnt(0)
	s_barrier
	s_and_saveexec_b64 s[2:3], s[0:1]
	s_cbranch_execz .LBB59_152
; %bb.150:
	v_cmp_eq_f64_e32 vcc, 0, v[122:123]
	v_cmp_neq_f64_e64 s[0:1], 0, v[124:125]
	v_cndmask_b32_e64 v122, 0, 1, vcc
	s_or_b64 vcc, s[0:1], vcc
	v_cndmask_b32_e32 v122, 2, v122, vcc
	v_cmp_eq_f64_e32 vcc, 0, v[126:127]
	v_cmp_eq_u32_e64 s[0:1], 0, v122
	s_and_b64 s[0:1], vcc, s[0:1]
	v_cndmask_b32_e64 v122, v122, 3, s[0:1]
	v_cmp_eq_f64_e32 vcc, 0, v[128:129]
	v_cmp_eq_u32_e64 s[0:1], 0, v122
	s_and_b64 s[0:1], vcc, s[0:1]
	v_cndmask_b32_e64 v122, v122, 4, s[0:1]
	;; [unrolled: 4-line block ×6, first 2 shown]
	v_cmp_eq_f64_e32 vcc, 0, v[138:139]
	v_cmp_eq_u32_e64 s[0:1], 0, v122
	s_load_dwordx2 s[4:5], s[4:5], 0x28
	s_and_b64 s[0:1], vcc, s[0:1]
	v_cndmask_b32_e64 v122, v122, 9, s[0:1]
	v_cmp_eq_f64_e32 vcc, 0, v[140:141]
	v_cmp_eq_u32_e64 s[0:1], 0, v122
	s_and_b64 s[0:1], vcc, s[0:1]
	v_lshlrev_b64 v[2:3], 2, v[2:3]
	v_cndmask_b32_e64 v122, v122, 10, s[0:1]
	s_waitcnt lgkmcnt(0)
	v_mov_b32_e32 v123, s5
	v_add_co_u32_e64 v2, s[0:1], s4, v2
	v_addc_co_u32_e64 v3, s[0:1], v123, v3, s[0:1]
	global_load_dword v123, v[2:3], off
	v_cmp_eq_f64_e32 vcc, 0, v[142:143]
	v_cmp_eq_u32_e64 s[0:1], 0, v122
	s_and_b64 s[0:1], vcc, s[0:1]
	v_cndmask_b32_e64 v122, v122, 11, s[0:1]
	v_cmp_eq_f64_e32 vcc, 0, v[144:145]
	v_cmp_eq_u32_e64 s[0:1], 0, v122
	s_and_b64 s[0:1], vcc, s[0:1]
	v_cndmask_b32_e64 v122, v122, 12, s[0:1]
	;; [unrolled: 4-line block ×20, first 2 shown]
	s_waitcnt vmcnt(0)
	v_cmp_eq_u32_e32 vcc, 0, v123
	v_cmp_ne_u32_e64 s[0:1], 0, v122
	s_and_b64 s[0:1], vcc, s[0:1]
	s_and_b64 exec, exec, s[0:1]
	s_cbranch_execz .LBB59_152
; %bb.151:
	v_add_u32_e32 v122, s9, v122
	global_store_dword v[2:3], v122, off
.LBB59_152:
	s_or_b64 exec, exec, s[2:3]
	s_waitcnt vmcnt(0)
	v_mul_f64 v[2:3], v[180:181], v[120:121]
	v_cmp_lt_u32_e32 vcc, 29, v182
	v_cndmask_b32_e32 v3, v121, v3, vcc
	v_cndmask_b32_e32 v2, v120, v2, vcc
	global_store_dwordx2 v[58:59], v[62:63], off
	global_store_dwordx2 v[60:61], v[90:91], off
	;; [unrolled: 1-line block ×30, first 2 shown]
.LBB59_153:
	s_endpgm
	.section	.rodata,"a",@progbits
	.p2align	6, 0x0
	.amdhsa_kernel _ZN9rocsolver6v33100L23getf2_npvt_small_kernelILi30EdiiPKPdEEvT1_T3_lS5_lPT2_S5_S5_
		.amdhsa_group_segment_fixed_size 0
		.amdhsa_private_segment_fixed_size 0
		.amdhsa_kernarg_size 312
		.amdhsa_user_sgpr_count 6
		.amdhsa_user_sgpr_private_segment_buffer 1
		.amdhsa_user_sgpr_dispatch_ptr 0
		.amdhsa_user_sgpr_queue_ptr 0
		.amdhsa_user_sgpr_kernarg_segment_ptr 1
		.amdhsa_user_sgpr_dispatch_id 0
		.amdhsa_user_sgpr_flat_scratch_init 0
		.amdhsa_user_sgpr_kernarg_preload_length 0
		.amdhsa_user_sgpr_kernarg_preload_offset 0
		.amdhsa_user_sgpr_private_segment_size 0
		.amdhsa_uses_dynamic_stack 0
		.amdhsa_system_sgpr_private_segment_wavefront_offset 0
		.amdhsa_system_sgpr_workgroup_id_x 1
		.amdhsa_system_sgpr_workgroup_id_y 1
		.amdhsa_system_sgpr_workgroup_id_z 0
		.amdhsa_system_sgpr_workgroup_info 0
		.amdhsa_system_vgpr_workitem_id 1
		.amdhsa_next_free_vgpr 192
		.amdhsa_next_free_sgpr 16
		.amdhsa_accum_offset 192
		.amdhsa_reserve_vcc 1
		.amdhsa_reserve_flat_scratch 0
		.amdhsa_float_round_mode_32 0
		.amdhsa_float_round_mode_16_64 0
		.amdhsa_float_denorm_mode_32 3
		.amdhsa_float_denorm_mode_16_64 3
		.amdhsa_dx10_clamp 1
		.amdhsa_ieee_mode 1
		.amdhsa_fp16_overflow 0
		.amdhsa_tg_split 0
		.amdhsa_exception_fp_ieee_invalid_op 0
		.amdhsa_exception_fp_denorm_src 0
		.amdhsa_exception_fp_ieee_div_zero 0
		.amdhsa_exception_fp_ieee_overflow 0
		.amdhsa_exception_fp_ieee_underflow 0
		.amdhsa_exception_fp_ieee_inexact 0
		.amdhsa_exception_int_div_zero 0
	.end_amdhsa_kernel
	.section	.text._ZN9rocsolver6v33100L23getf2_npvt_small_kernelILi30EdiiPKPdEEvT1_T3_lS5_lPT2_S5_S5_,"axG",@progbits,_ZN9rocsolver6v33100L23getf2_npvt_small_kernelILi30EdiiPKPdEEvT1_T3_lS5_lPT2_S5_S5_,comdat
.Lfunc_end59:
	.size	_ZN9rocsolver6v33100L23getf2_npvt_small_kernelILi30EdiiPKPdEEvT1_T3_lS5_lPT2_S5_S5_, .Lfunc_end59-_ZN9rocsolver6v33100L23getf2_npvt_small_kernelILi30EdiiPKPdEEvT1_T3_lS5_lPT2_S5_S5_
                                        ; -- End function
	.section	.AMDGPU.csdata,"",@progbits
; Kernel info:
; codeLenInByte = 19428
; NumSgprs: 20
; NumVgprs: 192
; NumAgprs: 0
; TotalNumVgprs: 192
; ScratchSize: 0
; MemoryBound: 0
; FloatMode: 240
; IeeeMode: 1
; LDSByteSize: 0 bytes/workgroup (compile time only)
; SGPRBlocks: 2
; VGPRBlocks: 23
; NumSGPRsForWavesPerEU: 20
; NumVGPRsForWavesPerEU: 192
; AccumOffset: 192
; Occupancy: 2
; WaveLimiterHint : 1
; COMPUTE_PGM_RSRC2:SCRATCH_EN: 0
; COMPUTE_PGM_RSRC2:USER_SGPR: 6
; COMPUTE_PGM_RSRC2:TRAP_HANDLER: 0
; COMPUTE_PGM_RSRC2:TGID_X_EN: 1
; COMPUTE_PGM_RSRC2:TGID_Y_EN: 1
; COMPUTE_PGM_RSRC2:TGID_Z_EN: 0
; COMPUTE_PGM_RSRC2:TIDIG_COMP_CNT: 1
; COMPUTE_PGM_RSRC3_GFX90A:ACCUM_OFFSET: 47
; COMPUTE_PGM_RSRC3_GFX90A:TG_SPLIT: 0
	.section	.text._ZN9rocsolver6v33100L18getf2_small_kernelILi31EdiiPKPdEEvT1_T3_lS5_lPS5_llPT2_S5_S5_S7_l,"axG",@progbits,_ZN9rocsolver6v33100L18getf2_small_kernelILi31EdiiPKPdEEvT1_T3_lS5_lPS5_llPT2_S5_S5_S7_l,comdat
	.globl	_ZN9rocsolver6v33100L18getf2_small_kernelILi31EdiiPKPdEEvT1_T3_lS5_lPS5_llPT2_S5_S5_S7_l ; -- Begin function _ZN9rocsolver6v33100L18getf2_small_kernelILi31EdiiPKPdEEvT1_T3_lS5_lPS5_llPT2_S5_S5_S7_l
	.p2align	8
	.type	_ZN9rocsolver6v33100L18getf2_small_kernelILi31EdiiPKPdEEvT1_T3_lS5_lPS5_llPT2_S5_S5_S7_l,@function
_ZN9rocsolver6v33100L18getf2_small_kernelILi31EdiiPKPdEEvT1_T3_lS5_lPS5_llPT2_S5_S5_S7_l: ; @_ZN9rocsolver6v33100L18getf2_small_kernelILi31EdiiPKPdEEvT1_T3_lS5_lPS5_llPT2_S5_S5_S7_l
; %bb.0:
	s_load_dword s0, s[4:5], 0x6c
	s_load_dwordx2 s[12:13], s[4:5], 0x48
	v_bfe_u32 v66, v0, 10, 10
	s_waitcnt lgkmcnt(0)
	s_lshr_b32 s0, s0, 16
	s_mul_i32 s7, s7, s0
	v_add_u32_e32 v2, s7, v66
	v_cmp_gt_i32_e32 vcc, s12, v2
	s_and_saveexec_b64 s[0:1], vcc
	s_cbranch_execz .LBB60_524
; %bb.1:
	s_load_dwordx4 s[0:3], s[4:5], 0x8
	s_load_dwordx4 s[8:11], s[4:5], 0x50
	v_ashrrev_i32_e32 v3, 31, v2
	v_lshlrev_b64 v[4:5], 3, v[2:3]
	s_waitcnt lgkmcnt(0)
	v_mov_b32_e32 v1, s1
	v_add_co_u32_e32 v4, vcc, s0, v4
	v_addc_co_u32_e32 v5, vcc, v1, v5, vcc
	global_load_dwordx2 v[6:7], v[4:5], off
	s_cmp_eq_u64 s[8:9], 0
	s_cselect_b64 s[6:7], -1, 0
	s_and_b64 vcc, exec, s[6:7]
	v_pk_mov_b32 v[4:5], 0, 0
	s_cbranch_vccnz .LBB60_3
; %bb.2:
	v_mul_lo_u32 v1, v3, s10
	v_mul_lo_u32 v8, v2, s11
	v_mad_u64_u32 v[4:5], s[0:1], v2, s10, 0
	v_add3_u32 v5, v5, v8, v1
	v_lshlrev_b64 v[4:5], 2, v[4:5]
	v_mov_b32_e32 v1, s9
	v_add_co_u32_e32 v4, vcc, s8, v4
	v_addc_co_u32_e32 v5, vcc, v1, v5, vcc
.LBB60_3:
	s_load_dword s8, s[4:5], 0x18
	s_load_dword s18, s[4:5], 0x0
	s_lshl_b64 s[0:1], s[2:3], 3
	v_and_b32_e32 v74, 0x3ff, v0
	v_mov_b32_e32 v1, s1
	s_waitcnt lgkmcnt(0)
	s_add_i32 s12, s8, s8
	s_waitcnt vmcnt(0)
	v_add_co_u32_e32 v72, vcc, s0, v6
	v_add_u32_e32 v0, s12, v74
	v_addc_co_u32_e32 v73, vcc, v7, v1, vcc
	v_ashrrev_i32_e32 v1, 31, v0
	v_lshlrev_b64 v[6:7], 3, v[0:1]
	v_add_u32_e32 v0, s8, v0
	v_add_co_u32_e32 v6, vcc, v72, v6
	v_ashrrev_i32_e32 v1, 31, v0
	v_addc_co_u32_e32 v7, vcc, v73, v7, vcc
	v_lshlrev_b64 v[8:9], 3, v[0:1]
	v_add_u32_e32 v0, s8, v0
	v_add_co_u32_e32 v8, vcc, v72, v8
	v_ashrrev_i32_e32 v1, 31, v0
	v_addc_co_u32_e32 v9, vcc, v73, v9, vcc
	;; [unrolled: 5-line block ×28, first 2 shown]
	v_lshlrev_b64 v[0:1], 3, v[0:1]
	v_add_co_u32_e32 v100, vcc, v72, v0
	v_addc_co_u32_e32 v101, vcc, v73, v1, vcc
	v_lshlrev_b32_e32 v67, 3, v74
	v_add_co_u32_e32 v0, vcc, v72, v67
	s_ashr_i32 s9, s8, 31
	v_addc_co_u32_e32 v1, vcc, 0, v73, vcc
	s_lshl_b64 s[10:11], s[8:9], 3
	v_mov_b32_e32 v32, s11
	v_add_co_u32_e32 v34, vcc, s10, v0
	v_addc_co_u32_e32 v35, vcc, v1, v32, vcc
	global_load_dwordx2 v[62:63], v[0:1], off
	global_load_dwordx2 v[60:61], v[34:35], off
	;; [unrolled: 1-line block ×15, first 2 shown]
                                        ; kill: killed $vgpr28 killed $vgpr29
                                        ; kill: killed $vgpr0 killed $vgpr1
                                        ; kill: killed $vgpr6 killed $vgpr7
                                        ; kill: killed $vgpr34 killed $vgpr35
                                        ; kill: killed $vgpr10 killed $vgpr11
                                        ; kill: killed $vgpr14 killed $vgpr15
                                        ; kill: killed $vgpr18 killed $vgpr19
                                        ; kill: killed $vgpr22 killed $vgpr23
                                        ; kill: killed $vgpr26 killed $vgpr27
                                        ; kill: killed $vgpr30 killed $vgpr31
                                        ; kill: killed $vgpr8 killed $vgpr9
                                        ; kill: killed $vgpr12 killed $vgpr13
                                        ; kill: killed $vgpr16 killed $vgpr17
                                        ; kill: killed $vgpr20 killed $vgpr21
                                        ; kill: killed $vgpr24 killed $vgpr25
	global_load_dwordx2 v[34:35], v[64:65], off
	s_nop 0
	global_load_dwordx2 v[30:31], v[68:69], off
	global_load_dwordx2 v[28:29], v[70:71], off
	;; [unrolled: 1-line block ×14, first 2 shown]
                                        ; kill: killed $vgpr96 killed $vgpr97
                                        ; kill: killed $vgpr64 killed $vgpr65
                                        ; kill: killed $vgpr70 killed $vgpr71
                                        ; kill: killed $vgpr78 killed $vgpr79
                                        ; kill: killed $vgpr82 killed $vgpr83
                                        ; kill: killed $vgpr86 killed $vgpr87
                                        ; kill: killed $vgpr90 killed $vgpr91
                                        ; kill: killed $vgpr94 killed $vgpr95
                                        ; kill: killed $vgpr98 killed $vgpr99
                                        ; kill: killed $vgpr68 killed $vgpr69
                                        ; kill: killed $vgpr76 killed $vgpr77
                                        ; kill: killed $vgpr80 killed $vgpr81
                                        ; kill: killed $vgpr84 killed $vgpr85
                                        ; kill: killed $vgpr88 killed $vgpr89
                                        ; kill: killed $vgpr92 killed $vgpr93
	global_load_dwordx2 v[64:65], v[100:101], off
	s_max_i32 s0, s18, 31
	v_mul_lo_u32 v68, s0, v66
	v_lshl_add_u32 v70, v68, 3, 0
	v_add_u32_e32 v66, v70, v67
	s_cmp_lt_i32 s18, 2
	v_lshlrev_b32_e32 v75, 3, v68
	v_mov_b32_e32 v68, 0
	s_waitcnt vmcnt(30)
	ds_write_b64 v66, v[62:63]
	s_waitcnt lgkmcnt(0)
	s_barrier
	ds_read_b64 v[66:67], v70
	s_cbranch_scc1 .LBB60_6
; %bb.4:
	v_add3_u32 v69, v75, 0, 8
	s_mov_b32 s0, 1
	v_mov_b32_e32 v68, 0
.LBB60_5:                               ; =>This Inner Loop Header: Depth=1
	ds_read_b64 v[76:77], v69
	v_mov_b32_e32 v71, s0
	s_add_i32 s0, s0, 1
	v_add_u32_e32 v69, 8, v69
	s_cmp_eq_u32 s18, s0
	s_waitcnt lgkmcnt(0)
	v_cmp_lt_f64_e64 vcc, |v[66:67]|, |v[76:77]|
	v_cndmask_b32_e32 v67, v67, v77, vcc
	v_cndmask_b32_e32 v66, v66, v76, vcc
	;; [unrolled: 1-line block ×3, first 2 shown]
	s_cbranch_scc0 .LBB60_5
.LBB60_6:
	v_cmp_ne_u32_e32 vcc, v74, v68
                                        ; implicit-def: $vgpr71
	s_and_saveexec_b64 s[0:1], vcc
	s_xor_b64 s[0:1], exec, s[0:1]
	s_cbranch_execz .LBB60_12
; %bb.7:
	v_cmp_eq_u32_e32 vcc, 0, v74
	s_and_saveexec_b64 s[2:3], vcc
	s_cbranch_execz .LBB60_11
; %bb.8:
	v_cmp_ne_u32_e32 vcc, 0, v68
	s_xor_b64 s[14:15], s[6:7], -1
	s_and_b64 s[16:17], s[14:15], vcc
	s_and_saveexec_b64 s[14:15], s[16:17]
	s_cbranch_execz .LBB60_10
; %bb.9:
	v_ashrrev_i32_e32 v69, 31, v68
	v_lshlrev_b64 v[76:77], 2, v[68:69]
	v_add_co_u32_e32 v76, vcc, v4, v76
	v_addc_co_u32_e32 v77, vcc, v5, v77, vcc
	flat_load_dword v69, v[76:77]
	flat_load_dword v71, v[4:5]
	s_waitcnt vmcnt(0) lgkmcnt(0)
	flat_store_dword v[4:5], v69
	flat_store_dword v[76:77], v71
.LBB60_10:
	s_or_b64 exec, exec, s[14:15]
	v_mov_b32_e32 v74, v68
.LBB60_11:
	s_or_b64 exec, exec, s[2:3]
	v_mov_b32_e32 v71, v74
                                        ; implicit-def: $vgpr74
.LBB60_12:
	s_or_saveexec_b64 s[0:1], s[0:1]
	v_mov_b32_e32 v69, v71
	s_xor_b64 exec, exec, s[0:1]
	s_cbranch_execz .LBB60_14
; %bb.13:
	v_mov_b32_e32 v71, 0
	v_mov_b32_e32 v69, v74
	s_waitcnt vmcnt(0)
	ds_write2_b64 v70, v[60:61], v[58:59] offset0:1 offset1:2
	ds_write2_b64 v70, v[56:57], v[54:55] offset0:3 offset1:4
	;; [unrolled: 1-line block ×15, first 2 shown]
.LBB60_14:
	s_or_b64 exec, exec, s[0:1]
	s_waitcnt lgkmcnt(0)
	v_cmp_eq_f64_e64 s[0:1], 0, v[66:67]
	v_cmp_lt_i32_e32 vcc, 0, v71
	s_barrier
	s_and_saveexec_b64 s[2:3], vcc
	s_cbranch_execz .LBB60_16
; %bb.15:
	v_div_scale_f64 v[76:77], s[14:15], v[66:67], v[66:67], 1.0
	v_rcp_f64_e32 v[78:79], v[76:77]
	v_div_scale_f64 v[80:81], vcc, 1.0, v[66:67], 1.0
	ds_read2_b64 v[84:87], v70 offset0:5 offset1:6
	v_fma_f64 v[82:83], -v[76:77], v[78:79], 1.0
	v_fmac_f64_e32 v[78:79], v[78:79], v[82:83]
	v_fma_f64 v[82:83], -v[76:77], v[78:79], 1.0
	v_fmac_f64_e32 v[78:79], v[78:79], v[82:83]
	v_mul_f64 v[82:83], v[80:81], v[78:79]
	v_fma_f64 v[76:77], -v[76:77], v[82:83], v[80:81]
	v_div_fmas_f64 v[76:77], v[76:77], v[78:79], v[82:83]
	v_div_fixup_f64 v[80:81], v[76:77], v[66:67], 1.0
	ds_read2_b64 v[76:79], v70 offset0:1 offset1:2
	v_cndmask_b32_e64 v67, v81, v67, s[0:1]
	v_cndmask_b32_e64 v66, v80, v66, s[0:1]
	ds_read2_b64 v[80:83], v70 offset0:3 offset1:4
	v_mul_f64 v[62:63], v[66:67], v[62:63]
	s_waitcnt vmcnt(0) lgkmcnt(0)
	v_fma_f64 v[60:61], -v[62:63], v[76:77], v[60:61]
	v_fma_f64 v[58:59], -v[62:63], v[78:79], v[58:59]
	ds_read2_b64 v[76:79], v70 offset0:7 offset1:8
	v_fma_f64 v[56:57], -v[62:63], v[80:81], v[56:57]
	v_fma_f64 v[54:55], -v[62:63], v[82:83], v[54:55]
	;; [unrolled: 1-line block ×3, first 2 shown]
	ds_read2_b64 v[80:83], v70 offset0:9 offset1:10
	v_fma_f64 v[50:51], -v[62:63], v[86:87], v[50:51]
	ds_read2_b64 v[84:87], v70 offset0:11 offset1:12
	s_waitcnt lgkmcnt(2)
	v_fma_f64 v[48:49], -v[62:63], v[76:77], v[48:49]
	v_fma_f64 v[46:47], -v[62:63], v[78:79], v[46:47]
	s_waitcnt lgkmcnt(1)
	v_fma_f64 v[44:45], -v[62:63], v[80:81], v[44:45]
	ds_read2_b64 v[76:79], v70 offset0:13 offset1:14
	v_fma_f64 v[42:43], -v[62:63], v[82:83], v[42:43]
	ds_read2_b64 v[80:83], v70 offset0:15 offset1:16
	s_waitcnt lgkmcnt(2)
	v_fma_f64 v[40:41], -v[62:63], v[84:85], v[40:41]
	v_fma_f64 v[38:39], -v[62:63], v[86:87], v[38:39]
	ds_read2_b64 v[84:87], v70 offset0:17 offset1:18
	s_waitcnt lgkmcnt(2)
	v_fma_f64 v[36:37], -v[62:63], v[76:77], v[36:37]
	;; [unrolled: 4-line block ×3, first 2 shown]
	v_fma_f64 v[30:31], -v[62:63], v[82:83], v[30:31]
	s_waitcnt lgkmcnt(1)
	v_fma_f64 v[28:29], -v[62:63], v[84:85], v[28:29]
	ds_read2_b64 v[80:83], v70 offset0:21 offset1:22
	v_fma_f64 v[26:27], -v[62:63], v[86:87], v[26:27]
	ds_read2_b64 v[84:87], v70 offset0:23 offset1:24
	s_waitcnt lgkmcnt(2)
	v_fma_f64 v[24:25], -v[62:63], v[76:77], v[24:25]
	v_fma_f64 v[22:23], -v[62:63], v[78:79], v[22:23]
	s_waitcnt lgkmcnt(1)
	v_fma_f64 v[20:21], -v[62:63], v[80:81], v[20:21]
	v_fma_f64 v[18:19], -v[62:63], v[82:83], v[18:19]
	ds_read2_b64 v[76:79], v70 offset0:25 offset1:26
	ds_read2_b64 v[80:83], v70 offset0:27 offset1:28
	s_waitcnt lgkmcnt(2)
	v_fma_f64 v[16:17], -v[62:63], v[84:85], v[16:17]
	v_fma_f64 v[14:15], -v[62:63], v[86:87], v[14:15]
	ds_read2_b64 v[84:87], v70 offset0:29 offset1:30
	s_waitcnt lgkmcnt(2)
	v_fma_f64 v[12:13], -v[62:63], v[76:77], v[12:13]
	v_fma_f64 v[10:11], -v[62:63], v[78:79], v[10:11]
	s_waitcnt lgkmcnt(1)
	v_fma_f64 v[8:9], -v[62:63], v[80:81], v[8:9]
	v_fma_f64 v[6:7], -v[62:63], v[82:83], v[6:7]
	;; [unrolled: 3-line block ×3, first 2 shown]
.LBB60_16:
	s_or_b64 exec, exec, s[2:3]
	v_lshl_add_u32 v66, v71, 3, v70
	s_barrier
	s_waitcnt vmcnt(0)
	ds_write_b64 v66, v[60:61]
	s_waitcnt lgkmcnt(0)
	s_barrier
	ds_read_b64 v[66:67], v70 offset:8
	s_cmp_lt_i32 s18, 3
	v_mov_b32_e32 v68, 1
	s_cbranch_scc1 .LBB60_19
; %bb.17:
	v_add3_u32 v74, v75, 0, 16
	s_mov_b32 s2, 2
	v_mov_b32_e32 v68, 1
.LBB60_18:                              ; =>This Inner Loop Header: Depth=1
	ds_read_b64 v[76:77], v74
	v_mov_b32_e32 v78, s2
	s_add_i32 s2, s2, 1
	v_add_u32_e32 v74, 8, v74
	s_cmp_lg_u32 s18, s2
	s_waitcnt lgkmcnt(0)
	v_cmp_lt_f64_e64 vcc, |v[66:67]|, |v[76:77]|
	v_cndmask_b32_e32 v67, v67, v77, vcc
	v_cndmask_b32_e32 v66, v66, v76, vcc
	;; [unrolled: 1-line block ×3, first 2 shown]
	s_cbranch_scc1 .LBB60_18
.LBB60_19:
	v_cmp_ne_u32_e32 vcc, v71, v68
	s_and_saveexec_b64 s[2:3], vcc
	s_xor_b64 s[2:3], exec, s[2:3]
	s_cbranch_execz .LBB60_25
; %bb.20:
	v_cmp_eq_u32_e32 vcc, 1, v71
	s_and_saveexec_b64 s[14:15], vcc
	s_cbranch_execz .LBB60_24
; %bb.21:
	v_cmp_ne_u32_e32 vcc, 1, v68
	s_xor_b64 s[16:17], s[6:7], -1
	s_and_b64 s[20:21], s[16:17], vcc
	s_and_saveexec_b64 s[16:17], s[20:21]
	s_cbranch_execz .LBB60_23
; %bb.22:
	v_ashrrev_i32_e32 v69, 31, v68
	v_lshlrev_b64 v[76:77], 2, v[68:69]
	v_add_co_u32_e32 v76, vcc, v4, v76
	v_addc_co_u32_e32 v77, vcc, v5, v77, vcc
	flat_load_dword v69, v[76:77]
	flat_load_dword v71, v[4:5] offset:4
	s_waitcnt vmcnt(0) lgkmcnt(0)
	flat_store_dword v[4:5], v69 offset:4
	flat_store_dword v[76:77], v71
.LBB60_23:
	s_or_b64 exec, exec, s[16:17]
	v_mov_b32_e32 v69, v68
	v_mov_b32_e32 v71, v68
.LBB60_24:
	s_or_b64 exec, exec, s[14:15]
.LBB60_25:
	s_andn2_saveexec_b64 s[2:3], s[2:3]
	s_cbranch_execz .LBB60_27
; %bb.26:
	v_mov_b32_e32 v76, v58
	v_mov_b32_e32 v77, v59
	v_mov_b32_e32 v78, v56
	v_mov_b32_e32 v79, v57
	ds_write2_b64 v70, v[76:77], v[78:79] offset0:2 offset1:3
	v_mov_b32_e32 v76, v54
	v_mov_b32_e32 v77, v55
	v_mov_b32_e32 v78, v52
	v_mov_b32_e32 v79, v53
	ds_write2_b64 v70, v[76:77], v[78:79] offset0:4 offset1:5
	;; [unrolled: 5-line block ×13, first 2 shown]
	v_mov_b32_e32 v76, v6
	v_mov_b32_e32 v77, v7
	;; [unrolled: 1-line block ×5, first 2 shown]
	ds_write2_b64 v70, v[76:77], v[78:79] offset0:28 offset1:29
	ds_write_b64 v70, v[64:65] offset:240
.LBB60_27:
	s_or_b64 exec, exec, s[2:3]
	s_waitcnt lgkmcnt(0)
	v_cmp_neq_f64_e64 s[2:3], 0, v[66:67]
	v_cmp_lt_i32_e32 vcc, 1, v71
	s_barrier
	s_and_saveexec_b64 s[14:15], vcc
	s_cbranch_execz .LBB60_29
; %bb.28:
	v_div_scale_f64 v[76:77], s[16:17], v[66:67], v[66:67], 1.0
	v_rcp_f64_e32 v[78:79], v[76:77]
	v_div_scale_f64 v[80:81], vcc, 1.0, v[66:67], 1.0
	ds_read2_b64 v[84:87], v70 offset0:6 offset1:7
	v_fma_f64 v[82:83], -v[76:77], v[78:79], 1.0
	v_fmac_f64_e32 v[78:79], v[78:79], v[82:83]
	v_fma_f64 v[82:83], -v[76:77], v[78:79], 1.0
	v_fmac_f64_e32 v[78:79], v[78:79], v[82:83]
	v_mul_f64 v[82:83], v[80:81], v[78:79]
	v_fma_f64 v[76:77], -v[76:77], v[82:83], v[80:81]
	v_div_fmas_f64 v[76:77], v[76:77], v[78:79], v[82:83]
	v_div_fixup_f64 v[80:81], v[76:77], v[66:67], 1.0
	ds_read2_b64 v[76:79], v70 offset0:2 offset1:3
	v_cndmask_b32_e64 v67, v67, v81, s[2:3]
	v_cndmask_b32_e64 v66, v66, v80, s[2:3]
	ds_read2_b64 v[80:83], v70 offset0:4 offset1:5
	v_mul_f64 v[60:61], v[66:67], v[60:61]
	s_waitcnt lgkmcnt(0)
	v_fma_f64 v[58:59], -v[60:61], v[76:77], v[58:59]
	v_fma_f64 v[56:57], -v[60:61], v[78:79], v[56:57]
	ds_read2_b64 v[76:79], v70 offset0:8 offset1:9
	v_fma_f64 v[54:55], -v[60:61], v[80:81], v[54:55]
	v_fma_f64 v[52:53], -v[60:61], v[82:83], v[52:53]
	ds_read2_b64 v[80:83], v70 offset0:10 offset1:11
	;; [unrolled: 3-line block ×3, first 2 shown]
	s_waitcnt lgkmcnt(0)
	v_fma_f64 v[46:47], -v[60:61], v[76:77], v[46:47]
	v_fma_f64 v[44:45], -v[60:61], v[78:79], v[44:45]
	;; [unrolled: 1-line block ×3, first 2 shown]
	ds_read2_b64 v[76:79], v70 offset0:14 offset1:15
	v_fma_f64 v[40:41], -v[60:61], v[82:83], v[40:41]
	ds_read2_b64 v[80:83], v70 offset0:16 offset1:17
	v_fma_f64 v[38:39], -v[60:61], v[84:85], v[38:39]
	v_fma_f64 v[36:37], -v[60:61], v[86:87], v[36:37]
	s_waitcnt lgkmcnt(0)
	v_fma_f64 v[32:33], -v[60:61], v[76:77], v[32:33]
	ds_read2_b64 v[84:87], v70 offset0:18 offset1:19
	v_fma_f64 v[34:35], -v[60:61], v[78:79], v[34:35]
	ds_read2_b64 v[76:79], v70 offset0:20 offset1:21
	v_fma_f64 v[30:31], -v[60:61], v[80:81], v[30:31]
	v_fma_f64 v[28:29], -v[60:61], v[82:83], v[28:29]
	ds_read2_b64 v[80:83], v70 offset0:22 offset1:23
	s_waitcnt lgkmcnt(0)
	v_fma_f64 v[26:27], -v[60:61], v[84:85], v[26:27]
	v_fma_f64 v[24:25], -v[60:61], v[86:87], v[24:25]
	ds_read2_b64 v[84:87], v70 offset0:24 offset1:25
	v_fma_f64 v[22:23], -v[60:61], v[76:77], v[22:23]
	v_fma_f64 v[20:21], -v[60:61], v[78:79], v[20:21]
	;; [unrolled: 1-line block ×4, first 2 shown]
	ds_read2_b64 v[76:79], v70 offset0:26 offset1:27
	ds_read2_b64 v[80:83], v70 offset0:28 offset1:29
	ds_read_b64 v[66:67], v70 offset:240
	s_waitcnt lgkmcnt(0)
	v_fma_f64 v[14:15], -v[60:61], v[84:85], v[14:15]
	v_fma_f64 v[12:13], -v[60:61], v[86:87], v[12:13]
	;; [unrolled: 1-line block ×7, first 2 shown]
.LBB60_29:
	s_or_b64 exec, exec, s[14:15]
	v_lshl_add_u32 v66, v71, 3, v70
	s_barrier
	ds_write_b64 v66, v[58:59]
	s_waitcnt lgkmcnt(0)
	s_barrier
	ds_read_b64 v[66:67], v70 offset:16
	s_mov_b32 s9, 3
	s_cmp_lt_i32 s18, 4
	v_mov_b32_e32 v68, 2
	s_cbranch_scc1 .LBB60_32
; %bb.30:
	v_add3_u32 v74, v75, 0, 24
	v_mov_b32_e32 v68, 2
.LBB60_31:                              ; =>This Inner Loop Header: Depth=1
	ds_read_b64 v[76:77], v74
	v_mov_b32_e32 v78, s9
	s_add_i32 s9, s9, 1
	v_add_u32_e32 v74, 8, v74
	s_cmp_lg_u32 s18, s9
	s_waitcnt lgkmcnt(0)
	v_cmp_lt_f64_e64 vcc, |v[66:67]|, |v[76:77]|
	v_cndmask_b32_e32 v67, v67, v77, vcc
	v_cndmask_b32_e32 v66, v66, v76, vcc
	;; [unrolled: 1-line block ×3, first 2 shown]
	s_cbranch_scc1 .LBB60_31
.LBB60_32:
	v_cndmask_b32_e64 v74, 2, 1, s[0:1]
	v_cndmask_b32_e64 v76, 0, 1, s[0:1]
	;; [unrolled: 1-line block ×3, first 2 shown]
	s_waitcnt lgkmcnt(0)
	v_cmp_eq_f64_e32 vcc, 0, v[66:67]
	s_and_saveexec_b64 s[0:1], vcc
	s_xor_b64 s[0:1], exec, s[0:1]
; %bb.33:
	v_cmp_ne_u32_e32 vcc, 0, v74
	v_cndmask_b32_e32 v74, 3, v74, vcc
; %bb.34:
	s_andn2_saveexec_b64 s[0:1], s[0:1]
; %bb.35:
	v_div_scale_f64 v[76:77], s[2:3], v[66:67], v[66:67], 1.0
	v_rcp_f64_e32 v[78:79], v[76:77]
	v_div_scale_f64 v[80:81], vcc, 1.0, v[66:67], 1.0
	v_fma_f64 v[82:83], -v[76:77], v[78:79], 1.0
	v_fmac_f64_e32 v[78:79], v[78:79], v[82:83]
	v_fma_f64 v[82:83], -v[76:77], v[78:79], 1.0
	v_fmac_f64_e32 v[78:79], v[78:79], v[82:83]
	v_mul_f64 v[82:83], v[80:81], v[78:79]
	v_fma_f64 v[76:77], -v[76:77], v[82:83], v[80:81]
	v_div_fmas_f64 v[76:77], v[76:77], v[78:79], v[82:83]
	v_div_fixup_f64 v[66:67], v[76:77], v[66:67], 1.0
; %bb.36:
	s_or_b64 exec, exec, s[0:1]
	v_cmp_ne_u32_e32 vcc, v71, v68
	s_and_saveexec_b64 s[0:1], vcc
	s_xor_b64 s[0:1], exec, s[0:1]
	s_cbranch_execz .LBB60_42
; %bb.37:
	v_cmp_eq_u32_e32 vcc, 2, v71
	s_and_saveexec_b64 s[2:3], vcc
	s_cbranch_execz .LBB60_41
; %bb.38:
	v_cmp_ne_u32_e32 vcc, 2, v68
	s_xor_b64 s[14:15], s[6:7], -1
	s_and_b64 s[16:17], s[14:15], vcc
	s_and_saveexec_b64 s[14:15], s[16:17]
	s_cbranch_execz .LBB60_40
; %bb.39:
	v_ashrrev_i32_e32 v69, 31, v68
	v_lshlrev_b64 v[76:77], 2, v[68:69]
	v_add_co_u32_e32 v76, vcc, v4, v76
	v_addc_co_u32_e32 v77, vcc, v5, v77, vcc
	flat_load_dword v69, v[76:77]
	flat_load_dword v71, v[4:5] offset:8
	s_waitcnt vmcnt(0) lgkmcnt(0)
	flat_store_dword v[4:5], v69 offset:8
	flat_store_dword v[76:77], v71
.LBB60_40:
	s_or_b64 exec, exec, s[14:15]
	v_mov_b32_e32 v69, v68
	v_mov_b32_e32 v71, v68
.LBB60_41:
	s_or_b64 exec, exec, s[2:3]
.LBB60_42:
	s_andn2_saveexec_b64 s[0:1], s[0:1]
	s_cbranch_execz .LBB60_44
; %bb.43:
	v_mov_b32_e32 v71, 2
	ds_write2_b64 v70, v[56:57], v[54:55] offset0:3 offset1:4
	ds_write2_b64 v70, v[52:53], v[50:51] offset0:5 offset1:6
	;; [unrolled: 1-line block ×14, first 2 shown]
.LBB60_44:
	s_or_b64 exec, exec, s[0:1]
	v_cmp_lt_i32_e32 vcc, 2, v71
	s_waitcnt lgkmcnt(0)
	s_barrier
	s_and_saveexec_b64 s[0:1], vcc
	s_cbranch_execz .LBB60_46
; %bb.45:
	ds_read2_b64 v[76:79], v70 offset0:3 offset1:4
	ds_read2_b64 v[80:83], v70 offset0:5 offset1:6
	v_mul_f64 v[58:59], v[66:67], v[58:59]
	ds_read2_b64 v[84:87], v70 offset0:7 offset1:8
	s_waitcnt lgkmcnt(0)
	v_fma_f64 v[56:57], -v[58:59], v[76:77], v[56:57]
	v_fma_f64 v[54:55], -v[58:59], v[78:79], v[54:55]
	ds_read2_b64 v[76:79], v70 offset0:9 offset1:10
	v_fma_f64 v[52:53], -v[58:59], v[80:81], v[52:53]
	v_fma_f64 v[50:51], -v[58:59], v[82:83], v[50:51]
	ds_read2_b64 v[80:83], v70 offset0:11 offset1:12
	;; [unrolled: 3-line block ×3, first 2 shown]
	s_waitcnt lgkmcnt(0)
	v_fma_f64 v[44:45], -v[58:59], v[76:77], v[44:45]
	v_fma_f64 v[42:43], -v[58:59], v[78:79], v[42:43]
	;; [unrolled: 1-line block ×3, first 2 shown]
	ds_read2_b64 v[76:79], v70 offset0:15 offset1:16
	v_fma_f64 v[38:39], -v[58:59], v[82:83], v[38:39]
	ds_read2_b64 v[80:83], v70 offset0:17 offset1:18
	v_fma_f64 v[36:37], -v[58:59], v[84:85], v[36:37]
	v_fma_f64 v[32:33], -v[58:59], v[86:87], v[32:33]
	s_waitcnt lgkmcnt(0)
	v_fma_f64 v[34:35], -v[58:59], v[76:77], v[34:35]
	ds_read2_b64 v[84:87], v70 offset0:19 offset1:20
	v_fma_f64 v[30:31], -v[58:59], v[78:79], v[30:31]
	ds_read2_b64 v[76:79], v70 offset0:21 offset1:22
	v_fma_f64 v[28:29], -v[58:59], v[80:81], v[28:29]
	v_fma_f64 v[26:27], -v[58:59], v[82:83], v[26:27]
	ds_read2_b64 v[80:83], v70 offset0:23 offset1:24
	s_waitcnt lgkmcnt(0)
	v_fma_f64 v[24:25], -v[58:59], v[84:85], v[24:25]
	v_fma_f64 v[22:23], -v[58:59], v[86:87], v[22:23]
	;; [unrolled: 1-line block ×4, first 2 shown]
	ds_read2_b64 v[76:79], v70 offset0:25 offset1:26
	v_fma_f64 v[16:17], -v[58:59], v[80:81], v[16:17]
	ds_read2_b64 v[84:87], v70 offset0:27 offset1:28
	v_fma_f64 v[14:15], -v[58:59], v[82:83], v[14:15]
	ds_read2_b64 v[80:83], v70 offset0:29 offset1:30
	s_waitcnt lgkmcnt(0)
	v_fma_f64 v[12:13], -v[58:59], v[76:77], v[12:13]
	v_fma_f64 v[10:11], -v[58:59], v[78:79], v[10:11]
	;; [unrolled: 1-line block ×6, first 2 shown]
.LBB60_46:
	s_or_b64 exec, exec, s[0:1]
	v_lshl_add_u32 v66, v71, 3, v70
	s_barrier
	ds_write_b64 v66, v[56:57]
	s_waitcnt lgkmcnt(0)
	s_barrier
	ds_read_b64 v[66:67], v70 offset:24
	s_cmp_lt_i32 s18, 5
	v_mov_b32_e32 v68, 3
	s_cbranch_scc1 .LBB60_49
; %bb.47:
	v_add3_u32 v76, v75, 0, 32
	s_mov_b32 s0, 4
	v_mov_b32_e32 v68, 3
.LBB60_48:                              ; =>This Inner Loop Header: Depth=1
	ds_read_b64 v[78:79], v76
	v_mov_b32_e32 v77, s0
	s_add_i32 s0, s0, 1
	v_add_u32_e32 v76, 8, v76
	s_cmp_lg_u32 s18, s0
	s_waitcnt lgkmcnt(0)
	v_cmp_lt_f64_e64 vcc, |v[66:67]|, |v[78:79]|
	v_cndmask_b32_e32 v67, v67, v79, vcc
	v_cndmask_b32_e32 v66, v66, v78, vcc
	;; [unrolled: 1-line block ×3, first 2 shown]
	s_cbranch_scc1 .LBB60_48
.LBB60_49:
	s_waitcnt lgkmcnt(0)
	v_cmp_eq_f64_e32 vcc, 0, v[66:67]
	s_and_saveexec_b64 s[0:1], vcc
	s_xor_b64 s[0:1], exec, s[0:1]
; %bb.50:
	v_cmp_ne_u32_e32 vcc, 0, v74
	v_cndmask_b32_e32 v74, 4, v74, vcc
; %bb.51:
	s_andn2_saveexec_b64 s[0:1], s[0:1]
; %bb.52:
	v_div_scale_f64 v[76:77], s[2:3], v[66:67], v[66:67], 1.0
	v_rcp_f64_e32 v[78:79], v[76:77]
	v_div_scale_f64 v[80:81], vcc, 1.0, v[66:67], 1.0
	v_fma_f64 v[82:83], -v[76:77], v[78:79], 1.0
	v_fmac_f64_e32 v[78:79], v[78:79], v[82:83]
	v_fma_f64 v[82:83], -v[76:77], v[78:79], 1.0
	v_fmac_f64_e32 v[78:79], v[78:79], v[82:83]
	v_mul_f64 v[82:83], v[80:81], v[78:79]
	v_fma_f64 v[76:77], -v[76:77], v[82:83], v[80:81]
	v_div_fmas_f64 v[76:77], v[76:77], v[78:79], v[82:83]
	v_div_fixup_f64 v[66:67], v[76:77], v[66:67], 1.0
; %bb.53:
	s_or_b64 exec, exec, s[0:1]
	v_cmp_ne_u32_e32 vcc, v71, v68
	s_and_saveexec_b64 s[0:1], vcc
	s_xor_b64 s[0:1], exec, s[0:1]
	s_cbranch_execz .LBB60_59
; %bb.54:
	v_cmp_eq_u32_e32 vcc, 3, v71
	s_and_saveexec_b64 s[2:3], vcc
	s_cbranch_execz .LBB60_58
; %bb.55:
	v_cmp_ne_u32_e32 vcc, 3, v68
	s_xor_b64 s[14:15], s[6:7], -1
	s_and_b64 s[16:17], s[14:15], vcc
	s_and_saveexec_b64 s[14:15], s[16:17]
	s_cbranch_execz .LBB60_57
; %bb.56:
	v_ashrrev_i32_e32 v69, 31, v68
	v_lshlrev_b64 v[76:77], 2, v[68:69]
	v_add_co_u32_e32 v76, vcc, v4, v76
	v_addc_co_u32_e32 v77, vcc, v5, v77, vcc
	flat_load_dword v69, v[76:77]
	flat_load_dword v71, v[4:5] offset:12
	s_waitcnt vmcnt(0) lgkmcnt(0)
	flat_store_dword v[4:5], v69 offset:12
	flat_store_dword v[76:77], v71
.LBB60_57:
	s_or_b64 exec, exec, s[14:15]
	v_mov_b32_e32 v69, v68
	v_mov_b32_e32 v71, v68
.LBB60_58:
	s_or_b64 exec, exec, s[2:3]
.LBB60_59:
	s_andn2_saveexec_b64 s[0:1], s[0:1]
	s_cbranch_execz .LBB60_61
; %bb.60:
	v_mov_b32_e32 v76, v54
	v_mov_b32_e32 v77, v55
	v_mov_b32_e32 v78, v52
	v_mov_b32_e32 v79, v53
	ds_write2_b64 v70, v[76:77], v[78:79] offset0:4 offset1:5
	v_mov_b32_e32 v76, v50
	v_mov_b32_e32 v77, v51
	v_mov_b32_e32 v78, v48
	v_mov_b32_e32 v79, v49
	ds_write2_b64 v70, v[76:77], v[78:79] offset0:6 offset1:7
	;; [unrolled: 5-line block ×12, first 2 shown]
	v_mov_b32_e32 v76, v6
	v_mov_b32_e32 v77, v7
	;; [unrolled: 1-line block ×5, first 2 shown]
	ds_write2_b64 v70, v[76:77], v[78:79] offset0:28 offset1:29
	ds_write_b64 v70, v[64:65] offset:240
.LBB60_61:
	s_or_b64 exec, exec, s[0:1]
	v_cmp_lt_i32_e32 vcc, 3, v71
	s_waitcnt lgkmcnt(0)
	s_barrier
	s_and_saveexec_b64 s[0:1], vcc
	s_cbranch_execz .LBB60_63
; %bb.62:
	ds_read2_b64 v[76:79], v70 offset0:4 offset1:5
	ds_read2_b64 v[80:83], v70 offset0:6 offset1:7
	v_mul_f64 v[56:57], v[66:67], v[56:57]
	ds_read2_b64 v[84:87], v70 offset0:8 offset1:9
	ds_read_b64 v[66:67], v70 offset:240
	s_waitcnt lgkmcnt(0)
	v_fma_f64 v[54:55], -v[56:57], v[76:77], v[54:55]
	v_fma_f64 v[52:53], -v[56:57], v[78:79], v[52:53]
	ds_read2_b64 v[76:79], v70 offset0:10 offset1:11
	v_fma_f64 v[50:51], -v[56:57], v[80:81], v[50:51]
	v_fma_f64 v[48:49], -v[56:57], v[82:83], v[48:49]
	;; [unrolled: 1-line block ×3, first 2 shown]
	ds_read2_b64 v[80:83], v70 offset0:12 offset1:13
	v_fma_f64 v[44:45], -v[56:57], v[86:87], v[44:45]
	ds_read2_b64 v[84:87], v70 offset0:14 offset1:15
	s_waitcnt lgkmcnt(0)
	v_fma_f64 v[42:43], -v[56:57], v[76:77], v[42:43]
	v_fma_f64 v[40:41], -v[56:57], v[78:79], v[40:41]
	ds_read2_b64 v[76:79], v70 offset0:16 offset1:17
	v_fma_f64 v[38:39], -v[56:57], v[80:81], v[38:39]
	v_fma_f64 v[36:37], -v[56:57], v[82:83], v[36:37]
	ds_read2_b64 v[80:83], v70 offset0:18 offset1:19
	v_fma_f64 v[32:33], -v[56:57], v[84:85], v[32:33]
	v_fma_f64 v[34:35], -v[56:57], v[86:87], v[34:35]
	s_waitcnt lgkmcnt(0)
	v_fma_f64 v[30:31], -v[56:57], v[76:77], v[30:31]
	ds_read2_b64 v[84:87], v70 offset0:20 offset1:21
	v_fma_f64 v[28:29], -v[56:57], v[78:79], v[28:29]
	ds_read2_b64 v[76:79], v70 offset0:22 offset1:23
	v_fma_f64 v[26:27], -v[56:57], v[80:81], v[26:27]
	v_fma_f64 v[24:25], -v[56:57], v[82:83], v[24:25]
	s_waitcnt lgkmcnt(0)
	v_fma_f64 v[22:23], -v[56:57], v[84:85], v[22:23]
	ds_read2_b64 v[80:83], v70 offset0:24 offset1:25
	v_fma_f64 v[20:21], -v[56:57], v[86:87], v[20:21]
	v_fma_f64 v[18:19], -v[56:57], v[76:77], v[18:19]
	;; [unrolled: 1-line block ×3, first 2 shown]
	ds_read2_b64 v[76:79], v70 offset0:26 offset1:27
	ds_read2_b64 v[84:87], v70 offset0:28 offset1:29
	s_waitcnt lgkmcnt(0)
	v_fma_f64 v[14:15], -v[56:57], v[80:81], v[14:15]
	v_fma_f64 v[12:13], -v[56:57], v[82:83], v[12:13]
	v_fma_f64 v[64:65], -v[56:57], v[66:67], v[64:65]
	v_fma_f64 v[10:11], -v[56:57], v[76:77], v[10:11]
	v_fma_f64 v[8:9], -v[56:57], v[78:79], v[8:9]
	v_fma_f64 v[6:7], -v[56:57], v[84:85], v[6:7]
	v_fma_f64 v[0:1], -v[56:57], v[86:87], v[0:1]
.LBB60_63:
	s_or_b64 exec, exec, s[0:1]
	v_lshl_add_u32 v66, v71, 3, v70
	s_barrier
	ds_write_b64 v66, v[54:55]
	s_waitcnt lgkmcnt(0)
	s_barrier
	ds_read_b64 v[66:67], v70 offset:32
	s_cmp_lt_i32 s18, 6
	v_mov_b32_e32 v68, 4
	s_cbranch_scc1 .LBB60_66
; %bb.64:
	v_add3_u32 v76, v75, 0, 40
	s_mov_b32 s0, 5
	v_mov_b32_e32 v68, 4
.LBB60_65:                              ; =>This Inner Loop Header: Depth=1
	ds_read_b64 v[78:79], v76
	v_mov_b32_e32 v77, s0
	s_add_i32 s0, s0, 1
	v_add_u32_e32 v76, 8, v76
	s_cmp_lg_u32 s18, s0
	s_waitcnt lgkmcnt(0)
	v_cmp_lt_f64_e64 vcc, |v[66:67]|, |v[78:79]|
	v_cndmask_b32_e32 v67, v67, v79, vcc
	v_cndmask_b32_e32 v66, v66, v78, vcc
	;; [unrolled: 1-line block ×3, first 2 shown]
	s_cbranch_scc1 .LBB60_65
.LBB60_66:
	s_waitcnt lgkmcnt(0)
	v_cmp_eq_f64_e32 vcc, 0, v[66:67]
	s_and_saveexec_b64 s[0:1], vcc
	s_xor_b64 s[0:1], exec, s[0:1]
; %bb.67:
	v_cmp_ne_u32_e32 vcc, 0, v74
	v_cndmask_b32_e32 v74, 5, v74, vcc
; %bb.68:
	s_andn2_saveexec_b64 s[0:1], s[0:1]
; %bb.69:
	v_div_scale_f64 v[76:77], s[2:3], v[66:67], v[66:67], 1.0
	v_rcp_f64_e32 v[78:79], v[76:77]
	v_div_scale_f64 v[80:81], vcc, 1.0, v[66:67], 1.0
	v_fma_f64 v[82:83], -v[76:77], v[78:79], 1.0
	v_fmac_f64_e32 v[78:79], v[78:79], v[82:83]
	v_fma_f64 v[82:83], -v[76:77], v[78:79], 1.0
	v_fmac_f64_e32 v[78:79], v[78:79], v[82:83]
	v_mul_f64 v[82:83], v[80:81], v[78:79]
	v_fma_f64 v[76:77], -v[76:77], v[82:83], v[80:81]
	v_div_fmas_f64 v[76:77], v[76:77], v[78:79], v[82:83]
	v_div_fixup_f64 v[66:67], v[76:77], v[66:67], 1.0
; %bb.70:
	s_or_b64 exec, exec, s[0:1]
	v_cmp_ne_u32_e32 vcc, v71, v68
	s_and_saveexec_b64 s[0:1], vcc
	s_xor_b64 s[0:1], exec, s[0:1]
	s_cbranch_execz .LBB60_76
; %bb.71:
	v_cmp_eq_u32_e32 vcc, 4, v71
	s_and_saveexec_b64 s[2:3], vcc
	s_cbranch_execz .LBB60_75
; %bb.72:
	v_cmp_ne_u32_e32 vcc, 4, v68
	s_xor_b64 s[14:15], s[6:7], -1
	s_and_b64 s[16:17], s[14:15], vcc
	s_and_saveexec_b64 s[14:15], s[16:17]
	s_cbranch_execz .LBB60_74
; %bb.73:
	v_ashrrev_i32_e32 v69, 31, v68
	v_lshlrev_b64 v[76:77], 2, v[68:69]
	v_add_co_u32_e32 v76, vcc, v4, v76
	v_addc_co_u32_e32 v77, vcc, v5, v77, vcc
	flat_load_dword v69, v[76:77]
	flat_load_dword v71, v[4:5] offset:16
	s_waitcnt vmcnt(0) lgkmcnt(0)
	flat_store_dword v[4:5], v69 offset:16
	flat_store_dword v[76:77], v71
.LBB60_74:
	s_or_b64 exec, exec, s[14:15]
	v_mov_b32_e32 v69, v68
	v_mov_b32_e32 v71, v68
.LBB60_75:
	s_or_b64 exec, exec, s[2:3]
.LBB60_76:
	s_andn2_saveexec_b64 s[0:1], s[0:1]
	s_cbranch_execz .LBB60_78
; %bb.77:
	v_mov_b32_e32 v71, 4
	ds_write2_b64 v70, v[52:53], v[50:51] offset0:5 offset1:6
	ds_write2_b64 v70, v[48:49], v[46:47] offset0:7 offset1:8
	;; [unrolled: 1-line block ×13, first 2 shown]
.LBB60_78:
	s_or_b64 exec, exec, s[0:1]
	v_cmp_lt_i32_e32 vcc, 4, v71
	s_waitcnt lgkmcnt(0)
	s_barrier
	s_and_saveexec_b64 s[0:1], vcc
	s_cbranch_execz .LBB60_80
; %bb.79:
	ds_read2_b64 v[76:79], v70 offset0:5 offset1:6
	ds_read2_b64 v[80:83], v70 offset0:7 offset1:8
	v_mul_f64 v[54:55], v[66:67], v[54:55]
	ds_read2_b64 v[84:87], v70 offset0:9 offset1:10
	s_waitcnt lgkmcnt(0)
	v_fma_f64 v[52:53], -v[54:55], v[76:77], v[52:53]
	v_fma_f64 v[50:51], -v[54:55], v[78:79], v[50:51]
	ds_read2_b64 v[76:79], v70 offset0:11 offset1:12
	v_fma_f64 v[48:49], -v[54:55], v[80:81], v[48:49]
	v_fma_f64 v[46:47], -v[54:55], v[82:83], v[46:47]
	;; [unrolled: 1-line block ×3, first 2 shown]
	ds_read2_b64 v[80:83], v70 offset0:13 offset1:14
	v_fma_f64 v[42:43], -v[54:55], v[86:87], v[42:43]
	ds_read2_b64 v[84:87], v70 offset0:15 offset1:16
	s_waitcnt lgkmcnt(0)
	v_fma_f64 v[40:41], -v[54:55], v[76:77], v[40:41]
	v_fma_f64 v[38:39], -v[54:55], v[78:79], v[38:39]
	ds_read2_b64 v[76:79], v70 offset0:17 offset1:18
	v_fma_f64 v[36:37], -v[54:55], v[80:81], v[36:37]
	v_fma_f64 v[32:33], -v[54:55], v[82:83], v[32:33]
	ds_read2_b64 v[80:83], v70 offset0:19 offset1:20
	v_fma_f64 v[34:35], -v[54:55], v[84:85], v[34:35]
	v_fma_f64 v[30:31], -v[54:55], v[86:87], v[30:31]
	s_waitcnt lgkmcnt(0)
	v_fma_f64 v[28:29], -v[54:55], v[76:77], v[28:29]
	ds_read2_b64 v[84:87], v70 offset0:21 offset1:22
	v_fma_f64 v[26:27], -v[54:55], v[78:79], v[26:27]
	ds_read2_b64 v[76:79], v70 offset0:23 offset1:24
	v_fma_f64 v[24:25], -v[54:55], v[80:81], v[24:25]
	v_fma_f64 v[22:23], -v[54:55], v[82:83], v[22:23]
	s_waitcnt lgkmcnt(0)
	v_fma_f64 v[20:21], -v[54:55], v[84:85], v[20:21]
	v_fma_f64 v[18:19], -v[54:55], v[86:87], v[18:19]
	ds_read2_b64 v[80:83], v70 offset0:25 offset1:26
	ds_read2_b64 v[84:87], v70 offset0:27 offset1:28
	v_fma_f64 v[16:17], -v[54:55], v[76:77], v[16:17]
	v_fma_f64 v[14:15], -v[54:55], v[78:79], v[14:15]
	ds_read2_b64 v[76:79], v70 offset0:29 offset1:30
	s_waitcnt lgkmcnt(0)
	v_fma_f64 v[12:13], -v[54:55], v[80:81], v[12:13]
	v_fma_f64 v[10:11], -v[54:55], v[82:83], v[10:11]
	;; [unrolled: 1-line block ×6, first 2 shown]
.LBB60_80:
	s_or_b64 exec, exec, s[0:1]
	v_lshl_add_u32 v66, v71, 3, v70
	s_barrier
	ds_write_b64 v66, v[52:53]
	s_waitcnt lgkmcnt(0)
	s_barrier
	ds_read_b64 v[66:67], v70 offset:40
	s_cmp_lt_i32 s18, 7
	v_mov_b32_e32 v68, 5
	s_cbranch_scc1 .LBB60_83
; %bb.81:
	v_add3_u32 v76, v75, 0, 48
	s_mov_b32 s0, 6
	v_mov_b32_e32 v68, 5
.LBB60_82:                              ; =>This Inner Loop Header: Depth=1
	ds_read_b64 v[78:79], v76
	v_mov_b32_e32 v77, s0
	s_add_i32 s0, s0, 1
	v_add_u32_e32 v76, 8, v76
	s_cmp_lg_u32 s18, s0
	s_waitcnt lgkmcnt(0)
	v_cmp_lt_f64_e64 vcc, |v[66:67]|, |v[78:79]|
	v_cndmask_b32_e32 v67, v67, v79, vcc
	v_cndmask_b32_e32 v66, v66, v78, vcc
	;; [unrolled: 1-line block ×3, first 2 shown]
	s_cbranch_scc1 .LBB60_82
.LBB60_83:
	s_waitcnt lgkmcnt(0)
	v_cmp_eq_f64_e32 vcc, 0, v[66:67]
	s_and_saveexec_b64 s[0:1], vcc
	s_xor_b64 s[0:1], exec, s[0:1]
; %bb.84:
	v_cmp_ne_u32_e32 vcc, 0, v74
	v_cndmask_b32_e32 v74, 6, v74, vcc
; %bb.85:
	s_andn2_saveexec_b64 s[0:1], s[0:1]
; %bb.86:
	v_div_scale_f64 v[76:77], s[2:3], v[66:67], v[66:67], 1.0
	v_rcp_f64_e32 v[78:79], v[76:77]
	v_div_scale_f64 v[80:81], vcc, 1.0, v[66:67], 1.0
	v_fma_f64 v[82:83], -v[76:77], v[78:79], 1.0
	v_fmac_f64_e32 v[78:79], v[78:79], v[82:83]
	v_fma_f64 v[82:83], -v[76:77], v[78:79], 1.0
	v_fmac_f64_e32 v[78:79], v[78:79], v[82:83]
	v_mul_f64 v[82:83], v[80:81], v[78:79]
	v_fma_f64 v[76:77], -v[76:77], v[82:83], v[80:81]
	v_div_fmas_f64 v[76:77], v[76:77], v[78:79], v[82:83]
	v_div_fixup_f64 v[66:67], v[76:77], v[66:67], 1.0
; %bb.87:
	s_or_b64 exec, exec, s[0:1]
	v_cmp_ne_u32_e32 vcc, v71, v68
	s_and_saveexec_b64 s[0:1], vcc
	s_xor_b64 s[0:1], exec, s[0:1]
	s_cbranch_execz .LBB60_93
; %bb.88:
	v_cmp_eq_u32_e32 vcc, 5, v71
	s_and_saveexec_b64 s[2:3], vcc
	s_cbranch_execz .LBB60_92
; %bb.89:
	v_cmp_ne_u32_e32 vcc, 5, v68
	s_xor_b64 s[14:15], s[6:7], -1
	s_and_b64 s[16:17], s[14:15], vcc
	s_and_saveexec_b64 s[14:15], s[16:17]
	s_cbranch_execz .LBB60_91
; %bb.90:
	v_ashrrev_i32_e32 v69, 31, v68
	v_lshlrev_b64 v[76:77], 2, v[68:69]
	v_add_co_u32_e32 v76, vcc, v4, v76
	v_addc_co_u32_e32 v77, vcc, v5, v77, vcc
	flat_load_dword v69, v[76:77]
	flat_load_dword v71, v[4:5] offset:20
	s_waitcnt vmcnt(0) lgkmcnt(0)
	flat_store_dword v[4:5], v69 offset:20
	flat_store_dword v[76:77], v71
.LBB60_91:
	s_or_b64 exec, exec, s[14:15]
	v_mov_b32_e32 v69, v68
	v_mov_b32_e32 v71, v68
.LBB60_92:
	s_or_b64 exec, exec, s[2:3]
.LBB60_93:
	s_andn2_saveexec_b64 s[0:1], s[0:1]
	s_cbranch_execz .LBB60_95
; %bb.94:
	v_mov_b32_e32 v76, v50
	v_mov_b32_e32 v77, v51
	v_mov_b32_e32 v78, v48
	v_mov_b32_e32 v79, v49
	ds_write2_b64 v70, v[76:77], v[78:79] offset0:6 offset1:7
	v_mov_b32_e32 v76, v46
	v_mov_b32_e32 v77, v47
	v_mov_b32_e32 v78, v44
	v_mov_b32_e32 v79, v45
	ds_write2_b64 v70, v[76:77], v[78:79] offset0:8 offset1:9
	;; [unrolled: 5-line block ×11, first 2 shown]
	v_mov_b32_e32 v76, v6
	v_mov_b32_e32 v77, v7
	v_mov_b32_e32 v78, v0
	v_mov_b32_e32 v79, v1
	v_mov_b32_e32 v71, 5
	ds_write2_b64 v70, v[76:77], v[78:79] offset0:28 offset1:29
	ds_write_b64 v70, v[64:65] offset:240
.LBB60_95:
	s_or_b64 exec, exec, s[0:1]
	v_cmp_lt_i32_e32 vcc, 5, v71
	s_waitcnt lgkmcnt(0)
	s_barrier
	s_and_saveexec_b64 s[0:1], vcc
	s_cbranch_execz .LBB60_97
; %bb.96:
	ds_read2_b64 v[76:79], v70 offset0:6 offset1:7
	ds_read2_b64 v[80:83], v70 offset0:8 offset1:9
	;; [unrolled: 1-line block ×3, first 2 shown]
	v_mul_f64 v[52:53], v[66:67], v[52:53]
	ds_read_b64 v[66:67], v70 offset:240
	s_waitcnt lgkmcnt(0)
	v_fma_f64 v[50:51], -v[52:53], v[76:77], v[50:51]
	v_fma_f64 v[48:49], -v[52:53], v[78:79], v[48:49]
	ds_read2_b64 v[76:79], v70 offset0:12 offset1:13
	v_fma_f64 v[46:47], -v[52:53], v[80:81], v[46:47]
	v_fma_f64 v[44:45], -v[52:53], v[82:83], v[44:45]
	;; [unrolled: 1-line block ×3, first 2 shown]
	ds_read2_b64 v[80:83], v70 offset0:14 offset1:15
	v_fma_f64 v[40:41], -v[52:53], v[86:87], v[40:41]
	ds_read2_b64 v[84:87], v70 offset0:16 offset1:17
	s_waitcnt lgkmcnt(0)
	v_fma_f64 v[38:39], -v[52:53], v[76:77], v[38:39]
	v_fma_f64 v[36:37], -v[52:53], v[78:79], v[36:37]
	;; [unrolled: 1-line block ×3, first 2 shown]
	ds_read2_b64 v[76:79], v70 offset0:18 offset1:19
	v_fma_f64 v[34:35], -v[52:53], v[82:83], v[34:35]
	ds_read2_b64 v[80:83], v70 offset0:20 offset1:21
	v_fma_f64 v[30:31], -v[52:53], v[84:85], v[30:31]
	v_fma_f64 v[28:29], -v[52:53], v[86:87], v[28:29]
	ds_read2_b64 v[84:87], v70 offset0:22 offset1:23
	s_waitcnt lgkmcnt(0)
	v_fma_f64 v[26:27], -v[52:53], v[76:77], v[26:27]
	v_fma_f64 v[24:25], -v[52:53], v[78:79], v[24:25]
	ds_read2_b64 v[76:79], v70 offset0:24 offset1:25
	v_fma_f64 v[22:23], -v[52:53], v[80:81], v[22:23]
	v_fma_f64 v[20:21], -v[52:53], v[82:83], v[20:21]
	;; [unrolled: 1-line block ×4, first 2 shown]
	ds_read2_b64 v[80:83], v70 offset0:26 offset1:27
	ds_read2_b64 v[84:87], v70 offset0:28 offset1:29
	s_waitcnt lgkmcnt(0)
	v_fma_f64 v[14:15], -v[52:53], v[76:77], v[14:15]
	v_fma_f64 v[12:13], -v[52:53], v[78:79], v[12:13]
	;; [unrolled: 1-line block ×7, first 2 shown]
.LBB60_97:
	s_or_b64 exec, exec, s[0:1]
	v_lshl_add_u32 v66, v71, 3, v70
	s_barrier
	ds_write_b64 v66, v[50:51]
	s_waitcnt lgkmcnt(0)
	s_barrier
	ds_read_b64 v[66:67], v70 offset:48
	s_cmp_lt_i32 s18, 8
	v_mov_b32_e32 v68, 6
	s_cbranch_scc1 .LBB60_100
; %bb.98:
	v_add3_u32 v76, v75, 0, 56
	s_mov_b32 s0, 7
	v_mov_b32_e32 v68, 6
.LBB60_99:                              ; =>This Inner Loop Header: Depth=1
	ds_read_b64 v[78:79], v76
	v_mov_b32_e32 v77, s0
	s_add_i32 s0, s0, 1
	v_add_u32_e32 v76, 8, v76
	s_cmp_lg_u32 s18, s0
	s_waitcnt lgkmcnt(0)
	v_cmp_lt_f64_e64 vcc, |v[66:67]|, |v[78:79]|
	v_cndmask_b32_e32 v67, v67, v79, vcc
	v_cndmask_b32_e32 v66, v66, v78, vcc
	;; [unrolled: 1-line block ×3, first 2 shown]
	s_cbranch_scc1 .LBB60_99
.LBB60_100:
	s_waitcnt lgkmcnt(0)
	v_cmp_eq_f64_e32 vcc, 0, v[66:67]
	s_and_saveexec_b64 s[0:1], vcc
	s_xor_b64 s[0:1], exec, s[0:1]
; %bb.101:
	v_cmp_ne_u32_e32 vcc, 0, v74
	v_cndmask_b32_e32 v74, 7, v74, vcc
; %bb.102:
	s_andn2_saveexec_b64 s[0:1], s[0:1]
; %bb.103:
	v_div_scale_f64 v[76:77], s[2:3], v[66:67], v[66:67], 1.0
	v_rcp_f64_e32 v[78:79], v[76:77]
	v_div_scale_f64 v[80:81], vcc, 1.0, v[66:67], 1.0
	v_fma_f64 v[82:83], -v[76:77], v[78:79], 1.0
	v_fmac_f64_e32 v[78:79], v[78:79], v[82:83]
	v_fma_f64 v[82:83], -v[76:77], v[78:79], 1.0
	v_fmac_f64_e32 v[78:79], v[78:79], v[82:83]
	v_mul_f64 v[82:83], v[80:81], v[78:79]
	v_fma_f64 v[76:77], -v[76:77], v[82:83], v[80:81]
	v_div_fmas_f64 v[76:77], v[76:77], v[78:79], v[82:83]
	v_div_fixup_f64 v[66:67], v[76:77], v[66:67], 1.0
; %bb.104:
	s_or_b64 exec, exec, s[0:1]
	v_cmp_ne_u32_e32 vcc, v71, v68
	s_and_saveexec_b64 s[0:1], vcc
	s_xor_b64 s[0:1], exec, s[0:1]
	s_cbranch_execz .LBB60_110
; %bb.105:
	v_cmp_eq_u32_e32 vcc, 6, v71
	s_and_saveexec_b64 s[2:3], vcc
	s_cbranch_execz .LBB60_109
; %bb.106:
	v_cmp_ne_u32_e32 vcc, 6, v68
	s_xor_b64 s[14:15], s[6:7], -1
	s_and_b64 s[16:17], s[14:15], vcc
	s_and_saveexec_b64 s[14:15], s[16:17]
	s_cbranch_execz .LBB60_108
; %bb.107:
	v_ashrrev_i32_e32 v69, 31, v68
	v_lshlrev_b64 v[76:77], 2, v[68:69]
	v_add_co_u32_e32 v76, vcc, v4, v76
	v_addc_co_u32_e32 v77, vcc, v5, v77, vcc
	flat_load_dword v69, v[76:77]
	flat_load_dword v71, v[4:5] offset:24
	s_waitcnt vmcnt(0) lgkmcnt(0)
	flat_store_dword v[4:5], v69 offset:24
	flat_store_dword v[76:77], v71
.LBB60_108:
	s_or_b64 exec, exec, s[14:15]
	v_mov_b32_e32 v69, v68
	v_mov_b32_e32 v71, v68
.LBB60_109:
	s_or_b64 exec, exec, s[2:3]
.LBB60_110:
	s_andn2_saveexec_b64 s[0:1], s[0:1]
	s_cbranch_execz .LBB60_112
; %bb.111:
	v_mov_b32_e32 v71, 6
	ds_write2_b64 v70, v[48:49], v[46:47] offset0:7 offset1:8
	ds_write2_b64 v70, v[44:45], v[42:43] offset0:9 offset1:10
	;; [unrolled: 1-line block ×12, first 2 shown]
.LBB60_112:
	s_or_b64 exec, exec, s[0:1]
	v_cmp_lt_i32_e32 vcc, 6, v71
	s_waitcnt lgkmcnt(0)
	s_barrier
	s_and_saveexec_b64 s[0:1], vcc
	s_cbranch_execz .LBB60_114
; %bb.113:
	ds_read2_b64 v[76:79], v70 offset0:7 offset1:8
	ds_read2_b64 v[80:83], v70 offset0:9 offset1:10
	;; [unrolled: 1-line block ×3, first 2 shown]
	v_mul_f64 v[50:51], v[66:67], v[50:51]
	s_waitcnt lgkmcnt(0)
	v_fma_f64 v[48:49], -v[50:51], v[76:77], v[48:49]
	v_fma_f64 v[46:47], -v[50:51], v[78:79], v[46:47]
	ds_read2_b64 v[76:79], v70 offset0:13 offset1:14
	v_fma_f64 v[44:45], -v[50:51], v[80:81], v[44:45]
	v_fma_f64 v[42:43], -v[50:51], v[82:83], v[42:43]
	;; [unrolled: 1-line block ×3, first 2 shown]
	ds_read2_b64 v[80:83], v70 offset0:15 offset1:16
	v_fma_f64 v[38:39], -v[50:51], v[86:87], v[38:39]
	ds_read2_b64 v[84:87], v70 offset0:17 offset1:18
	s_waitcnt lgkmcnt(0)
	v_fma_f64 v[36:37], -v[50:51], v[76:77], v[36:37]
	v_fma_f64 v[32:33], -v[50:51], v[78:79], v[32:33]
	;; [unrolled: 1-line block ×3, first 2 shown]
	ds_read2_b64 v[76:79], v70 offset0:19 offset1:20
	v_fma_f64 v[30:31], -v[50:51], v[82:83], v[30:31]
	ds_read2_b64 v[80:83], v70 offset0:21 offset1:22
	v_fma_f64 v[28:29], -v[50:51], v[84:85], v[28:29]
	v_fma_f64 v[26:27], -v[50:51], v[86:87], v[26:27]
	ds_read2_b64 v[84:87], v70 offset0:23 offset1:24
	s_waitcnt lgkmcnt(0)
	v_fma_f64 v[24:25], -v[50:51], v[76:77], v[24:25]
	v_fma_f64 v[22:23], -v[50:51], v[78:79], v[22:23]
	ds_read2_b64 v[76:79], v70 offset0:25 offset1:26
	v_fma_f64 v[20:21], -v[50:51], v[80:81], v[20:21]
	v_fma_f64 v[18:19], -v[50:51], v[82:83], v[18:19]
	;; [unrolled: 1-line block ×3, first 2 shown]
	ds_read2_b64 v[80:83], v70 offset0:27 offset1:28
	v_fma_f64 v[14:15], -v[50:51], v[86:87], v[14:15]
	ds_read2_b64 v[84:87], v70 offset0:29 offset1:30
	s_waitcnt lgkmcnt(0)
	v_fma_f64 v[12:13], -v[50:51], v[76:77], v[12:13]
	v_fma_f64 v[10:11], -v[50:51], v[78:79], v[10:11]
	;; [unrolled: 1-line block ×6, first 2 shown]
.LBB60_114:
	s_or_b64 exec, exec, s[0:1]
	v_lshl_add_u32 v66, v71, 3, v70
	s_barrier
	ds_write_b64 v66, v[48:49]
	s_waitcnt lgkmcnt(0)
	s_barrier
	ds_read_b64 v[66:67], v70 offset:56
	s_cmp_lt_i32 s18, 9
	v_mov_b32_e32 v68, 7
	s_cbranch_scc1 .LBB60_117
; %bb.115:
	v_add3_u32 v75, v75, 0, 64
	s_mov_b32 s0, 8
	v_mov_b32_e32 v68, 7
.LBB60_116:                             ; =>This Inner Loop Header: Depth=1
	ds_read_b64 v[76:77], v75
	v_mov_b32_e32 v78, s0
	s_add_i32 s0, s0, 1
	v_add_u32_e32 v75, 8, v75
	s_cmp_lg_u32 s18, s0
	s_waitcnt lgkmcnt(0)
	v_cmp_lt_f64_e64 vcc, |v[66:67]|, |v[76:77]|
	v_cndmask_b32_e32 v67, v67, v77, vcc
	v_cndmask_b32_e32 v66, v66, v76, vcc
	v_cndmask_b32_e32 v68, v68, v78, vcc
	s_cbranch_scc1 .LBB60_116
.LBB60_117:
	s_waitcnt lgkmcnt(0)
	v_cmp_eq_f64_e32 vcc, 0, v[66:67]
	s_and_saveexec_b64 s[0:1], vcc
	s_xor_b64 s[0:1], exec, s[0:1]
; %bb.118:
	v_cmp_ne_u32_e32 vcc, 0, v74
	v_cndmask_b32_e32 v74, 8, v74, vcc
; %bb.119:
	s_andn2_saveexec_b64 s[0:1], s[0:1]
; %bb.120:
	v_div_scale_f64 v[76:77], s[2:3], v[66:67], v[66:67], 1.0
	v_rcp_f64_e32 v[78:79], v[76:77]
	v_div_scale_f64 v[80:81], vcc, 1.0, v[66:67], 1.0
	v_fma_f64 v[82:83], -v[76:77], v[78:79], 1.0
	v_fmac_f64_e32 v[78:79], v[78:79], v[82:83]
	v_fma_f64 v[82:83], -v[76:77], v[78:79], 1.0
	v_fmac_f64_e32 v[78:79], v[78:79], v[82:83]
	v_mul_f64 v[82:83], v[80:81], v[78:79]
	v_fma_f64 v[76:77], -v[76:77], v[82:83], v[80:81]
	v_div_fmas_f64 v[76:77], v[76:77], v[78:79], v[82:83]
	v_div_fixup_f64 v[66:67], v[76:77], v[66:67], 1.0
; %bb.121:
	s_or_b64 exec, exec, s[0:1]
	v_cmp_ne_u32_e32 vcc, v71, v68
	s_and_saveexec_b64 s[0:1], vcc
	s_xor_b64 s[0:1], exec, s[0:1]
	s_cbranch_execz .LBB60_127
; %bb.122:
	v_cmp_eq_u32_e32 vcc, 7, v71
	s_and_saveexec_b64 s[2:3], vcc
	s_cbranch_execz .LBB60_126
; %bb.123:
	v_cmp_ne_u32_e32 vcc, 7, v68
	s_xor_b64 s[14:15], s[6:7], -1
	s_and_b64 s[16:17], s[14:15], vcc
	s_and_saveexec_b64 s[14:15], s[16:17]
	s_cbranch_execz .LBB60_125
; %bb.124:
	v_ashrrev_i32_e32 v69, 31, v68
	v_lshlrev_b64 v[76:77], 2, v[68:69]
	v_add_co_u32_e32 v76, vcc, v4, v76
	v_addc_co_u32_e32 v77, vcc, v5, v77, vcc
	flat_load_dword v69, v[76:77]
	flat_load_dword v71, v[4:5] offset:28
	s_waitcnt vmcnt(0) lgkmcnt(0)
	flat_store_dword v[4:5], v69 offset:28
	flat_store_dword v[76:77], v71
.LBB60_125:
	s_or_b64 exec, exec, s[14:15]
	v_mov_b32_e32 v69, v68
	v_mov_b32_e32 v71, v68
.LBB60_126:
	s_or_b64 exec, exec, s[2:3]
.LBB60_127:
	s_andn2_saveexec_b64 s[0:1], s[0:1]
	s_cbranch_execz .LBB60_129
; %bb.128:
	v_mov_b32_e32 v76, v46
	v_mov_b32_e32 v77, v47
	v_mov_b32_e32 v78, v44
	v_mov_b32_e32 v79, v45
	ds_write2_b64 v70, v[76:77], v[78:79] offset0:8 offset1:9
	v_mov_b32_e32 v76, v42
	v_mov_b32_e32 v77, v43
	v_mov_b32_e32 v78, v40
	v_mov_b32_e32 v79, v41
	ds_write2_b64 v70, v[76:77], v[78:79] offset0:10 offset1:11
	;; [unrolled: 5-line block ×10, first 2 shown]
	v_mov_b32_e32 v76, v6
	v_mov_b32_e32 v77, v7
	v_mov_b32_e32 v78, v0
	v_mov_b32_e32 v79, v1
	v_mov_b32_e32 v71, 7
	ds_write2_b64 v70, v[76:77], v[78:79] offset0:28 offset1:29
	ds_write_b64 v70, v[64:65] offset:240
.LBB60_129:
	s_or_b64 exec, exec, s[0:1]
	v_cmp_lt_i32_e32 vcc, 7, v71
	s_waitcnt lgkmcnt(0)
	s_barrier
	s_and_saveexec_b64 s[0:1], vcc
	s_cbranch_execz .LBB60_131
; %bb.130:
	ds_read2_b64 v[76:79], v70 offset0:8 offset1:9
	ds_read2_b64 v[80:83], v70 offset0:10 offset1:11
	v_mul_f64 v[48:49], v[66:67], v[48:49]
	ds_read2_b64 v[84:87], v70 offset0:12 offset1:13
	ds_read_b64 v[66:67], v70 offset:240
	s_waitcnt lgkmcnt(0)
	v_fma_f64 v[46:47], -v[48:49], v[76:77], v[46:47]
	v_fma_f64 v[44:45], -v[48:49], v[78:79], v[44:45]
	ds_read2_b64 v[76:79], v70 offset0:14 offset1:15
	v_fma_f64 v[42:43], -v[48:49], v[80:81], v[42:43]
	v_fma_f64 v[40:41], -v[48:49], v[82:83], v[40:41]
	ds_read2_b64 v[80:83], v70 offset0:16 offset1:17
	;; [unrolled: 3-line block ×3, first 2 shown]
	s_waitcnt lgkmcnt(0)
	v_fma_f64 v[32:33], -v[48:49], v[76:77], v[32:33]
	v_fma_f64 v[34:35], -v[48:49], v[78:79], v[34:35]
	;; [unrolled: 1-line block ×3, first 2 shown]
	ds_read2_b64 v[76:79], v70 offset0:20 offset1:21
	v_fma_f64 v[28:29], -v[48:49], v[82:83], v[28:29]
	ds_read2_b64 v[80:83], v70 offset0:22 offset1:23
	v_fma_f64 v[26:27], -v[48:49], v[84:85], v[26:27]
	v_fma_f64 v[24:25], -v[48:49], v[86:87], v[24:25]
	s_waitcnt lgkmcnt(0)
	v_fma_f64 v[22:23], -v[48:49], v[76:77], v[22:23]
	ds_read2_b64 v[84:87], v70 offset0:24 offset1:25
	v_fma_f64 v[20:21], -v[48:49], v[78:79], v[20:21]
	ds_read2_b64 v[76:79], v70 offset0:26 offset1:27
	v_fma_f64 v[18:19], -v[48:49], v[80:81], v[18:19]
	v_fma_f64 v[16:17], -v[48:49], v[82:83], v[16:17]
	ds_read2_b64 v[80:83], v70 offset0:28 offset1:29
	s_waitcnt lgkmcnt(0)
	v_fma_f64 v[14:15], -v[48:49], v[84:85], v[14:15]
	v_fma_f64 v[12:13], -v[48:49], v[86:87], v[12:13]
	;; [unrolled: 1-line block ×7, first 2 shown]
.LBB60_131:
	s_or_b64 exec, exec, s[0:1]
	v_lshl_add_u32 v66, v71, 3, v70
	s_barrier
	ds_write_b64 v66, v[46:47]
	s_waitcnt lgkmcnt(0)
	s_barrier
	ds_read_b64 v[66:67], v70 offset:64
	s_cmp_lt_i32 s18, 10
	v_mov_b32_e32 v68, 8
	s_cbranch_scc1 .LBB60_134
; %bb.132:
	v_add_u32_e32 v75, 0x48, v70
	s_mov_b32 s0, 9
	v_mov_b32_e32 v68, 8
.LBB60_133:                             ; =>This Inner Loop Header: Depth=1
	ds_read_b64 v[76:77], v75
	v_mov_b32_e32 v78, s0
	s_add_i32 s0, s0, 1
	v_add_u32_e32 v75, 8, v75
	s_cmp_lg_u32 s18, s0
	s_waitcnt lgkmcnt(0)
	v_cmp_lt_f64_e64 vcc, |v[66:67]|, |v[76:77]|
	v_cndmask_b32_e32 v67, v67, v77, vcc
	v_cndmask_b32_e32 v66, v66, v76, vcc
	;; [unrolled: 1-line block ×3, first 2 shown]
	s_cbranch_scc1 .LBB60_133
.LBB60_134:
	s_waitcnt lgkmcnt(0)
	v_cmp_eq_f64_e32 vcc, 0, v[66:67]
	s_and_saveexec_b64 s[0:1], vcc
	s_xor_b64 s[0:1], exec, s[0:1]
; %bb.135:
	v_cmp_ne_u32_e32 vcc, 0, v74
	v_cndmask_b32_e32 v74, 9, v74, vcc
; %bb.136:
	s_andn2_saveexec_b64 s[0:1], s[0:1]
; %bb.137:
	v_div_scale_f64 v[76:77], s[2:3], v[66:67], v[66:67], 1.0
	v_rcp_f64_e32 v[78:79], v[76:77]
	v_div_scale_f64 v[80:81], vcc, 1.0, v[66:67], 1.0
	v_fma_f64 v[82:83], -v[76:77], v[78:79], 1.0
	v_fmac_f64_e32 v[78:79], v[78:79], v[82:83]
	v_fma_f64 v[82:83], -v[76:77], v[78:79], 1.0
	v_fmac_f64_e32 v[78:79], v[78:79], v[82:83]
	v_mul_f64 v[82:83], v[80:81], v[78:79]
	v_fma_f64 v[76:77], -v[76:77], v[82:83], v[80:81]
	v_div_fmas_f64 v[76:77], v[76:77], v[78:79], v[82:83]
	v_div_fixup_f64 v[66:67], v[76:77], v[66:67], 1.0
; %bb.138:
	s_or_b64 exec, exec, s[0:1]
	v_cmp_ne_u32_e32 vcc, v71, v68
	s_and_saveexec_b64 s[0:1], vcc
	s_xor_b64 s[0:1], exec, s[0:1]
	s_cbranch_execz .LBB60_144
; %bb.139:
	v_cmp_eq_u32_e32 vcc, 8, v71
	s_and_saveexec_b64 s[2:3], vcc
	s_cbranch_execz .LBB60_143
; %bb.140:
	v_cmp_ne_u32_e32 vcc, 8, v68
	s_xor_b64 s[14:15], s[6:7], -1
	s_and_b64 s[16:17], s[14:15], vcc
	s_and_saveexec_b64 s[14:15], s[16:17]
	s_cbranch_execz .LBB60_142
; %bb.141:
	v_ashrrev_i32_e32 v69, 31, v68
	v_lshlrev_b64 v[76:77], 2, v[68:69]
	v_add_co_u32_e32 v76, vcc, v4, v76
	v_addc_co_u32_e32 v77, vcc, v5, v77, vcc
	flat_load_dword v69, v[76:77]
	flat_load_dword v71, v[4:5] offset:32
	s_waitcnt vmcnt(0) lgkmcnt(0)
	flat_store_dword v[4:5], v69 offset:32
	flat_store_dword v[76:77], v71
.LBB60_142:
	s_or_b64 exec, exec, s[14:15]
	v_mov_b32_e32 v69, v68
	v_mov_b32_e32 v71, v68
.LBB60_143:
	s_or_b64 exec, exec, s[2:3]
.LBB60_144:
	s_andn2_saveexec_b64 s[0:1], s[0:1]
	s_cbranch_execz .LBB60_146
; %bb.145:
	v_mov_b32_e32 v71, 8
	ds_write2_b64 v70, v[44:45], v[42:43] offset0:9 offset1:10
	ds_write2_b64 v70, v[40:41], v[38:39] offset0:11 offset1:12
	;; [unrolled: 1-line block ×11, first 2 shown]
.LBB60_146:
	s_or_b64 exec, exec, s[0:1]
	v_cmp_lt_i32_e32 vcc, 8, v71
	s_waitcnt lgkmcnt(0)
	s_barrier
	s_and_saveexec_b64 s[0:1], vcc
	s_cbranch_execz .LBB60_148
; %bb.147:
	ds_read2_b64 v[76:79], v70 offset0:9 offset1:10
	ds_read2_b64 v[80:83], v70 offset0:11 offset1:12
	v_mul_f64 v[46:47], v[66:67], v[46:47]
	ds_read2_b64 v[84:87], v70 offset0:13 offset1:14
	s_waitcnt lgkmcnt(0)
	v_fma_f64 v[44:45], -v[46:47], v[76:77], v[44:45]
	v_fma_f64 v[42:43], -v[46:47], v[78:79], v[42:43]
	ds_read2_b64 v[76:79], v70 offset0:15 offset1:16
	v_fma_f64 v[40:41], -v[46:47], v[80:81], v[40:41]
	v_fma_f64 v[38:39], -v[46:47], v[82:83], v[38:39]
	ds_read2_b64 v[80:83], v70 offset0:17 offset1:18
	;; [unrolled: 3-line block ×3, first 2 shown]
	s_waitcnt lgkmcnt(0)
	v_fma_f64 v[34:35], -v[46:47], v[76:77], v[34:35]
	v_fma_f64 v[30:31], -v[46:47], v[78:79], v[30:31]
	;; [unrolled: 1-line block ×3, first 2 shown]
	ds_read2_b64 v[76:79], v70 offset0:21 offset1:22
	v_fma_f64 v[26:27], -v[46:47], v[82:83], v[26:27]
	ds_read2_b64 v[80:83], v70 offset0:23 offset1:24
	v_fma_f64 v[24:25], -v[46:47], v[84:85], v[24:25]
	v_fma_f64 v[22:23], -v[46:47], v[86:87], v[22:23]
	s_waitcnt lgkmcnt(0)
	v_fma_f64 v[20:21], -v[46:47], v[76:77], v[20:21]
	v_fma_f64 v[18:19], -v[46:47], v[78:79], v[18:19]
	ds_read2_b64 v[76:79], v70 offset0:25 offset1:26
	ds_read2_b64 v[84:87], v70 offset0:27 offset1:28
	v_fma_f64 v[16:17], -v[46:47], v[80:81], v[16:17]
	v_fma_f64 v[14:15], -v[46:47], v[82:83], v[14:15]
	ds_read2_b64 v[80:83], v70 offset0:29 offset1:30
	s_waitcnt lgkmcnt(0)
	v_fma_f64 v[12:13], -v[46:47], v[76:77], v[12:13]
	v_fma_f64 v[10:11], -v[46:47], v[78:79], v[10:11]
	;; [unrolled: 1-line block ×6, first 2 shown]
.LBB60_148:
	s_or_b64 exec, exec, s[0:1]
	v_lshl_add_u32 v66, v71, 3, v70
	s_barrier
	ds_write_b64 v66, v[44:45]
	s_waitcnt lgkmcnt(0)
	s_barrier
	ds_read_b64 v[66:67], v70 offset:72
	s_cmp_lt_i32 s18, 11
	v_mov_b32_e32 v68, 9
	s_cbranch_scc1 .LBB60_151
; %bb.149:
	v_add_u32_e32 v75, 0x50, v70
	s_mov_b32 s0, 10
	v_mov_b32_e32 v68, 9
.LBB60_150:                             ; =>This Inner Loop Header: Depth=1
	ds_read_b64 v[76:77], v75
	v_mov_b32_e32 v78, s0
	s_add_i32 s0, s0, 1
	v_add_u32_e32 v75, 8, v75
	s_cmp_lg_u32 s18, s0
	s_waitcnt lgkmcnt(0)
	v_cmp_lt_f64_e64 vcc, |v[66:67]|, |v[76:77]|
	v_cndmask_b32_e32 v67, v67, v77, vcc
	v_cndmask_b32_e32 v66, v66, v76, vcc
	;; [unrolled: 1-line block ×3, first 2 shown]
	s_cbranch_scc1 .LBB60_150
.LBB60_151:
	s_waitcnt lgkmcnt(0)
	v_cmp_eq_f64_e32 vcc, 0, v[66:67]
	s_and_saveexec_b64 s[0:1], vcc
	s_xor_b64 s[0:1], exec, s[0:1]
; %bb.152:
	v_cmp_ne_u32_e32 vcc, 0, v74
	v_cndmask_b32_e32 v74, 10, v74, vcc
; %bb.153:
	s_andn2_saveexec_b64 s[0:1], s[0:1]
; %bb.154:
	v_div_scale_f64 v[76:77], s[2:3], v[66:67], v[66:67], 1.0
	v_rcp_f64_e32 v[78:79], v[76:77]
	v_div_scale_f64 v[80:81], vcc, 1.0, v[66:67], 1.0
	v_fma_f64 v[82:83], -v[76:77], v[78:79], 1.0
	v_fmac_f64_e32 v[78:79], v[78:79], v[82:83]
	v_fma_f64 v[82:83], -v[76:77], v[78:79], 1.0
	v_fmac_f64_e32 v[78:79], v[78:79], v[82:83]
	v_mul_f64 v[82:83], v[80:81], v[78:79]
	v_fma_f64 v[76:77], -v[76:77], v[82:83], v[80:81]
	v_div_fmas_f64 v[76:77], v[76:77], v[78:79], v[82:83]
	v_div_fixup_f64 v[66:67], v[76:77], v[66:67], 1.0
; %bb.155:
	s_or_b64 exec, exec, s[0:1]
	v_cmp_ne_u32_e32 vcc, v71, v68
	s_and_saveexec_b64 s[0:1], vcc
	s_xor_b64 s[0:1], exec, s[0:1]
	s_cbranch_execz .LBB60_161
; %bb.156:
	v_cmp_eq_u32_e32 vcc, 9, v71
	s_and_saveexec_b64 s[2:3], vcc
	s_cbranch_execz .LBB60_160
; %bb.157:
	v_cmp_ne_u32_e32 vcc, 9, v68
	s_xor_b64 s[14:15], s[6:7], -1
	s_and_b64 s[16:17], s[14:15], vcc
	s_and_saveexec_b64 s[14:15], s[16:17]
	s_cbranch_execz .LBB60_159
; %bb.158:
	v_ashrrev_i32_e32 v69, 31, v68
	v_lshlrev_b64 v[76:77], 2, v[68:69]
	v_add_co_u32_e32 v76, vcc, v4, v76
	v_addc_co_u32_e32 v77, vcc, v5, v77, vcc
	flat_load_dword v69, v[76:77]
	flat_load_dword v71, v[4:5] offset:36
	s_waitcnt vmcnt(0) lgkmcnt(0)
	flat_store_dword v[4:5], v69 offset:36
	flat_store_dword v[76:77], v71
.LBB60_159:
	s_or_b64 exec, exec, s[14:15]
	v_mov_b32_e32 v69, v68
	v_mov_b32_e32 v71, v68
.LBB60_160:
	s_or_b64 exec, exec, s[2:3]
.LBB60_161:
	s_andn2_saveexec_b64 s[0:1], s[0:1]
	s_cbranch_execz .LBB60_163
; %bb.162:
	v_mov_b32_e32 v76, v42
	v_mov_b32_e32 v77, v43
	v_mov_b32_e32 v78, v40
	v_mov_b32_e32 v79, v41
	ds_write2_b64 v70, v[76:77], v[78:79] offset0:10 offset1:11
	v_mov_b32_e32 v76, v38
	v_mov_b32_e32 v77, v39
	v_mov_b32_e32 v78, v36
	v_mov_b32_e32 v79, v37
	ds_write2_b64 v70, v[76:77], v[78:79] offset0:12 offset1:13
	;; [unrolled: 5-line block ×9, first 2 shown]
	v_mov_b32_e32 v76, v6
	v_mov_b32_e32 v77, v7
	;; [unrolled: 1-line block ×5, first 2 shown]
	ds_write2_b64 v70, v[76:77], v[78:79] offset0:28 offset1:29
	ds_write_b64 v70, v[64:65] offset:240
.LBB60_163:
	s_or_b64 exec, exec, s[0:1]
	v_cmp_lt_i32_e32 vcc, 9, v71
	s_waitcnt lgkmcnt(0)
	s_barrier
	s_and_saveexec_b64 s[0:1], vcc
	s_cbranch_execz .LBB60_165
; %bb.164:
	ds_read2_b64 v[76:79], v70 offset0:10 offset1:11
	ds_read2_b64 v[80:83], v70 offset0:12 offset1:13
	v_mul_f64 v[44:45], v[66:67], v[44:45]
	ds_read2_b64 v[84:87], v70 offset0:14 offset1:15
	ds_read_b64 v[66:67], v70 offset:240
	s_waitcnt lgkmcnt(0)
	v_fma_f64 v[42:43], -v[44:45], v[76:77], v[42:43]
	v_fma_f64 v[40:41], -v[44:45], v[78:79], v[40:41]
	ds_read2_b64 v[76:79], v70 offset0:16 offset1:17
	v_fma_f64 v[38:39], -v[44:45], v[80:81], v[38:39]
	v_fma_f64 v[36:37], -v[44:45], v[82:83], v[36:37]
	;; [unrolled: 1-line block ×3, first 2 shown]
	ds_read2_b64 v[80:83], v70 offset0:18 offset1:19
	v_fma_f64 v[34:35], -v[44:45], v[86:87], v[34:35]
	ds_read2_b64 v[84:87], v70 offset0:20 offset1:21
	s_waitcnt lgkmcnt(0)
	v_fma_f64 v[30:31], -v[44:45], v[76:77], v[30:31]
	v_fma_f64 v[28:29], -v[44:45], v[78:79], v[28:29]
	ds_read2_b64 v[76:79], v70 offset0:22 offset1:23
	v_fma_f64 v[26:27], -v[44:45], v[80:81], v[26:27]
	v_fma_f64 v[24:25], -v[44:45], v[82:83], v[24:25]
	ds_read2_b64 v[80:83], v70 offset0:24 offset1:25
	v_fma_f64 v[22:23], -v[44:45], v[84:85], v[22:23]
	v_fma_f64 v[20:21], -v[44:45], v[86:87], v[20:21]
	s_waitcnt lgkmcnt(0)
	v_fma_f64 v[18:19], -v[44:45], v[76:77], v[18:19]
	v_fma_f64 v[16:17], -v[44:45], v[78:79], v[16:17]
	ds_read2_b64 v[76:79], v70 offset0:26 offset1:27
	ds_read2_b64 v[84:87], v70 offset0:28 offset1:29
	v_fma_f64 v[14:15], -v[44:45], v[80:81], v[14:15]
	v_fma_f64 v[12:13], -v[44:45], v[82:83], v[12:13]
	;; [unrolled: 1-line block ×3, first 2 shown]
	s_waitcnt lgkmcnt(0)
	v_fma_f64 v[10:11], -v[44:45], v[76:77], v[10:11]
	v_fma_f64 v[8:9], -v[44:45], v[78:79], v[8:9]
	;; [unrolled: 1-line block ×4, first 2 shown]
.LBB60_165:
	s_or_b64 exec, exec, s[0:1]
	v_lshl_add_u32 v66, v71, 3, v70
	s_barrier
	ds_write_b64 v66, v[42:43]
	s_waitcnt lgkmcnt(0)
	s_barrier
	ds_read_b64 v[66:67], v70 offset:80
	s_cmp_lt_i32 s18, 12
	v_mov_b32_e32 v68, 10
	s_cbranch_scc1 .LBB60_168
; %bb.166:
	v_add_u32_e32 v75, 0x58, v70
	s_mov_b32 s0, 11
	v_mov_b32_e32 v68, 10
.LBB60_167:                             ; =>This Inner Loop Header: Depth=1
	ds_read_b64 v[76:77], v75
	v_mov_b32_e32 v78, s0
	s_add_i32 s0, s0, 1
	v_add_u32_e32 v75, 8, v75
	s_cmp_lg_u32 s18, s0
	s_waitcnt lgkmcnt(0)
	v_cmp_lt_f64_e64 vcc, |v[66:67]|, |v[76:77]|
	v_cndmask_b32_e32 v67, v67, v77, vcc
	v_cndmask_b32_e32 v66, v66, v76, vcc
	;; [unrolled: 1-line block ×3, first 2 shown]
	s_cbranch_scc1 .LBB60_167
.LBB60_168:
	s_waitcnt lgkmcnt(0)
	v_cmp_eq_f64_e32 vcc, 0, v[66:67]
	s_and_saveexec_b64 s[0:1], vcc
	s_xor_b64 s[0:1], exec, s[0:1]
; %bb.169:
	v_cmp_ne_u32_e32 vcc, 0, v74
	v_cndmask_b32_e32 v74, 11, v74, vcc
; %bb.170:
	s_andn2_saveexec_b64 s[0:1], s[0:1]
; %bb.171:
	v_div_scale_f64 v[76:77], s[2:3], v[66:67], v[66:67], 1.0
	v_rcp_f64_e32 v[78:79], v[76:77]
	v_div_scale_f64 v[80:81], vcc, 1.0, v[66:67], 1.0
	v_fma_f64 v[82:83], -v[76:77], v[78:79], 1.0
	v_fmac_f64_e32 v[78:79], v[78:79], v[82:83]
	v_fma_f64 v[82:83], -v[76:77], v[78:79], 1.0
	v_fmac_f64_e32 v[78:79], v[78:79], v[82:83]
	v_mul_f64 v[82:83], v[80:81], v[78:79]
	v_fma_f64 v[76:77], -v[76:77], v[82:83], v[80:81]
	v_div_fmas_f64 v[76:77], v[76:77], v[78:79], v[82:83]
	v_div_fixup_f64 v[66:67], v[76:77], v[66:67], 1.0
; %bb.172:
	s_or_b64 exec, exec, s[0:1]
	v_cmp_ne_u32_e32 vcc, v71, v68
	s_and_saveexec_b64 s[0:1], vcc
	s_xor_b64 s[0:1], exec, s[0:1]
	s_cbranch_execz .LBB60_178
; %bb.173:
	v_cmp_eq_u32_e32 vcc, 10, v71
	s_and_saveexec_b64 s[2:3], vcc
	s_cbranch_execz .LBB60_177
; %bb.174:
	v_cmp_ne_u32_e32 vcc, 10, v68
	s_xor_b64 s[14:15], s[6:7], -1
	s_and_b64 s[16:17], s[14:15], vcc
	s_and_saveexec_b64 s[14:15], s[16:17]
	s_cbranch_execz .LBB60_176
; %bb.175:
	v_ashrrev_i32_e32 v69, 31, v68
	v_lshlrev_b64 v[76:77], 2, v[68:69]
	v_add_co_u32_e32 v76, vcc, v4, v76
	v_addc_co_u32_e32 v77, vcc, v5, v77, vcc
	flat_load_dword v69, v[76:77]
	flat_load_dword v71, v[4:5] offset:40
	s_waitcnt vmcnt(0) lgkmcnt(0)
	flat_store_dword v[4:5], v69 offset:40
	flat_store_dword v[76:77], v71
.LBB60_176:
	s_or_b64 exec, exec, s[14:15]
	v_mov_b32_e32 v69, v68
	v_mov_b32_e32 v71, v68
.LBB60_177:
	s_or_b64 exec, exec, s[2:3]
.LBB60_178:
	s_andn2_saveexec_b64 s[0:1], s[0:1]
	s_cbranch_execz .LBB60_180
; %bb.179:
	v_mov_b32_e32 v71, 10
	ds_write2_b64 v70, v[40:41], v[38:39] offset0:11 offset1:12
	ds_write2_b64 v70, v[36:37], v[32:33] offset0:13 offset1:14
	;; [unrolled: 1-line block ×10, first 2 shown]
.LBB60_180:
	s_or_b64 exec, exec, s[0:1]
	v_cmp_lt_i32_e32 vcc, 10, v71
	s_waitcnt lgkmcnt(0)
	s_barrier
	s_and_saveexec_b64 s[0:1], vcc
	s_cbranch_execz .LBB60_182
; %bb.181:
	ds_read2_b64 v[76:79], v70 offset0:11 offset1:12
	ds_read2_b64 v[80:83], v70 offset0:13 offset1:14
	v_mul_f64 v[42:43], v[66:67], v[42:43]
	ds_read2_b64 v[84:87], v70 offset0:15 offset1:16
	s_waitcnt lgkmcnt(0)
	v_fma_f64 v[40:41], -v[42:43], v[76:77], v[40:41]
	v_fma_f64 v[38:39], -v[42:43], v[78:79], v[38:39]
	ds_read2_b64 v[76:79], v70 offset0:17 offset1:18
	v_fma_f64 v[36:37], -v[42:43], v[80:81], v[36:37]
	v_fma_f64 v[32:33], -v[42:43], v[82:83], v[32:33]
	;; [unrolled: 1-line block ×3, first 2 shown]
	ds_read2_b64 v[80:83], v70 offset0:19 offset1:20
	v_fma_f64 v[30:31], -v[42:43], v[86:87], v[30:31]
	ds_read2_b64 v[84:87], v70 offset0:21 offset1:22
	s_waitcnt lgkmcnt(0)
	v_fma_f64 v[28:29], -v[42:43], v[76:77], v[28:29]
	v_fma_f64 v[26:27], -v[42:43], v[78:79], v[26:27]
	ds_read2_b64 v[76:79], v70 offset0:23 offset1:24
	v_fma_f64 v[24:25], -v[42:43], v[80:81], v[24:25]
	v_fma_f64 v[22:23], -v[42:43], v[82:83], v[22:23]
	ds_read2_b64 v[80:83], v70 offset0:25 offset1:26
	v_fma_f64 v[20:21], -v[42:43], v[84:85], v[20:21]
	v_fma_f64 v[18:19], -v[42:43], v[86:87], v[18:19]
	s_waitcnt lgkmcnt(0)
	v_fma_f64 v[16:17], -v[42:43], v[76:77], v[16:17]
	ds_read2_b64 v[84:87], v70 offset0:27 offset1:28
	v_fma_f64 v[14:15], -v[42:43], v[78:79], v[14:15]
	ds_read2_b64 v[76:79], v70 offset0:29 offset1:30
	v_fma_f64 v[12:13], -v[42:43], v[80:81], v[12:13]
	v_fma_f64 v[10:11], -v[42:43], v[82:83], v[10:11]
	s_waitcnt lgkmcnt(0)
	v_fma_f64 v[8:9], -v[42:43], v[84:85], v[8:9]
	v_fma_f64 v[6:7], -v[42:43], v[86:87], v[6:7]
	v_fma_f64 v[0:1], -v[42:43], v[76:77], v[0:1]
	v_fma_f64 v[64:65], -v[42:43], v[78:79], v[64:65]
.LBB60_182:
	s_or_b64 exec, exec, s[0:1]
	v_lshl_add_u32 v66, v71, 3, v70
	s_barrier
	ds_write_b64 v66, v[40:41]
	s_waitcnt lgkmcnt(0)
	s_barrier
	ds_read_b64 v[66:67], v70 offset:88
	s_cmp_lt_i32 s18, 13
	v_mov_b32_e32 v68, 11
	s_cbranch_scc1 .LBB60_185
; %bb.183:
	v_add_u32_e32 v75, 0x60, v70
	s_mov_b32 s0, 12
	v_mov_b32_e32 v68, 11
.LBB60_184:                             ; =>This Inner Loop Header: Depth=1
	ds_read_b64 v[76:77], v75
	v_mov_b32_e32 v78, s0
	s_add_i32 s0, s0, 1
	v_add_u32_e32 v75, 8, v75
	s_cmp_lg_u32 s18, s0
	s_waitcnt lgkmcnt(0)
	v_cmp_lt_f64_e64 vcc, |v[66:67]|, |v[76:77]|
	v_cndmask_b32_e32 v67, v67, v77, vcc
	v_cndmask_b32_e32 v66, v66, v76, vcc
	;; [unrolled: 1-line block ×3, first 2 shown]
	s_cbranch_scc1 .LBB60_184
.LBB60_185:
	s_waitcnt lgkmcnt(0)
	v_cmp_eq_f64_e32 vcc, 0, v[66:67]
	s_and_saveexec_b64 s[0:1], vcc
	s_xor_b64 s[0:1], exec, s[0:1]
; %bb.186:
	v_cmp_ne_u32_e32 vcc, 0, v74
	v_cndmask_b32_e32 v74, 12, v74, vcc
; %bb.187:
	s_andn2_saveexec_b64 s[0:1], s[0:1]
; %bb.188:
	v_div_scale_f64 v[76:77], s[2:3], v[66:67], v[66:67], 1.0
	v_rcp_f64_e32 v[78:79], v[76:77]
	v_div_scale_f64 v[80:81], vcc, 1.0, v[66:67], 1.0
	v_fma_f64 v[82:83], -v[76:77], v[78:79], 1.0
	v_fmac_f64_e32 v[78:79], v[78:79], v[82:83]
	v_fma_f64 v[82:83], -v[76:77], v[78:79], 1.0
	v_fmac_f64_e32 v[78:79], v[78:79], v[82:83]
	v_mul_f64 v[82:83], v[80:81], v[78:79]
	v_fma_f64 v[76:77], -v[76:77], v[82:83], v[80:81]
	v_div_fmas_f64 v[76:77], v[76:77], v[78:79], v[82:83]
	v_div_fixup_f64 v[66:67], v[76:77], v[66:67], 1.0
; %bb.189:
	s_or_b64 exec, exec, s[0:1]
	v_cmp_ne_u32_e32 vcc, v71, v68
	s_and_saveexec_b64 s[0:1], vcc
	s_xor_b64 s[0:1], exec, s[0:1]
	s_cbranch_execz .LBB60_195
; %bb.190:
	v_cmp_eq_u32_e32 vcc, 11, v71
	s_and_saveexec_b64 s[2:3], vcc
	s_cbranch_execz .LBB60_194
; %bb.191:
	v_cmp_ne_u32_e32 vcc, 11, v68
	s_xor_b64 s[14:15], s[6:7], -1
	s_and_b64 s[16:17], s[14:15], vcc
	s_and_saveexec_b64 s[14:15], s[16:17]
	s_cbranch_execz .LBB60_193
; %bb.192:
	v_ashrrev_i32_e32 v69, 31, v68
	v_lshlrev_b64 v[76:77], 2, v[68:69]
	v_add_co_u32_e32 v76, vcc, v4, v76
	v_addc_co_u32_e32 v77, vcc, v5, v77, vcc
	flat_load_dword v69, v[76:77]
	flat_load_dword v71, v[4:5] offset:44
	s_waitcnt vmcnt(0) lgkmcnt(0)
	flat_store_dword v[4:5], v69 offset:44
	flat_store_dword v[76:77], v71
.LBB60_193:
	s_or_b64 exec, exec, s[14:15]
	v_mov_b32_e32 v69, v68
	v_mov_b32_e32 v71, v68
.LBB60_194:
	s_or_b64 exec, exec, s[2:3]
.LBB60_195:
	s_andn2_saveexec_b64 s[0:1], s[0:1]
	s_cbranch_execz .LBB60_197
; %bb.196:
	v_mov_b32_e32 v76, v38
	v_mov_b32_e32 v77, v39
	v_mov_b32_e32 v78, v36
	v_mov_b32_e32 v79, v37
	ds_write2_b64 v70, v[76:77], v[78:79] offset0:12 offset1:13
	v_mov_b32_e32 v76, v32
	v_mov_b32_e32 v77, v33
	v_mov_b32_e32 v78, v34
	v_mov_b32_e32 v79, v35
	ds_write2_b64 v70, v[76:77], v[78:79] offset0:14 offset1:15
	;; [unrolled: 5-line block ×8, first 2 shown]
	v_mov_b32_e32 v76, v6
	v_mov_b32_e32 v77, v7
	;; [unrolled: 1-line block ×5, first 2 shown]
	ds_write2_b64 v70, v[76:77], v[78:79] offset0:28 offset1:29
	ds_write_b64 v70, v[64:65] offset:240
.LBB60_197:
	s_or_b64 exec, exec, s[0:1]
	v_cmp_lt_i32_e32 vcc, 11, v71
	s_waitcnt lgkmcnt(0)
	s_barrier
	s_and_saveexec_b64 s[0:1], vcc
	s_cbranch_execz .LBB60_199
; %bb.198:
	ds_read2_b64 v[76:79], v70 offset0:12 offset1:13
	ds_read2_b64 v[80:83], v70 offset0:14 offset1:15
	;; [unrolled: 1-line block ×3, first 2 shown]
	v_mul_f64 v[40:41], v[66:67], v[40:41]
	ds_read_b64 v[66:67], v70 offset:240
	s_waitcnt lgkmcnt(0)
	v_fma_f64 v[38:39], -v[40:41], v[76:77], v[38:39]
	v_fma_f64 v[36:37], -v[40:41], v[78:79], v[36:37]
	ds_read2_b64 v[76:79], v70 offset0:18 offset1:19
	v_fma_f64 v[32:33], -v[40:41], v[80:81], v[32:33]
	v_fma_f64 v[34:35], -v[40:41], v[82:83], v[34:35]
	;; [unrolled: 1-line block ×3, first 2 shown]
	ds_read2_b64 v[80:83], v70 offset0:20 offset1:21
	v_fma_f64 v[28:29], -v[40:41], v[86:87], v[28:29]
	ds_read2_b64 v[84:87], v70 offset0:22 offset1:23
	s_waitcnt lgkmcnt(0)
	v_fma_f64 v[26:27], -v[40:41], v[76:77], v[26:27]
	v_fma_f64 v[24:25], -v[40:41], v[78:79], v[24:25]
	;; [unrolled: 1-line block ×3, first 2 shown]
	ds_read2_b64 v[76:79], v70 offset0:24 offset1:25
	v_fma_f64 v[20:21], -v[40:41], v[82:83], v[20:21]
	ds_read2_b64 v[80:83], v70 offset0:26 offset1:27
	v_fma_f64 v[18:19], -v[40:41], v[84:85], v[18:19]
	v_fma_f64 v[16:17], -v[40:41], v[86:87], v[16:17]
	ds_read2_b64 v[84:87], v70 offset0:28 offset1:29
	s_waitcnt lgkmcnt(0)
	v_fma_f64 v[14:15], -v[40:41], v[76:77], v[14:15]
	v_fma_f64 v[12:13], -v[40:41], v[78:79], v[12:13]
	;; [unrolled: 1-line block ×7, first 2 shown]
.LBB60_199:
	s_or_b64 exec, exec, s[0:1]
	v_lshl_add_u32 v66, v71, 3, v70
	s_barrier
	ds_write_b64 v66, v[38:39]
	s_waitcnt lgkmcnt(0)
	s_barrier
	ds_read_b64 v[66:67], v70 offset:96
	s_cmp_lt_i32 s18, 14
	v_mov_b32_e32 v68, 12
	s_cbranch_scc1 .LBB60_202
; %bb.200:
	v_add_u32_e32 v75, 0x68, v70
	s_mov_b32 s0, 13
	v_mov_b32_e32 v68, 12
.LBB60_201:                             ; =>This Inner Loop Header: Depth=1
	ds_read_b64 v[76:77], v75
	v_mov_b32_e32 v78, s0
	s_add_i32 s0, s0, 1
	v_add_u32_e32 v75, 8, v75
	s_cmp_lg_u32 s18, s0
	s_waitcnt lgkmcnt(0)
	v_cmp_lt_f64_e64 vcc, |v[66:67]|, |v[76:77]|
	v_cndmask_b32_e32 v67, v67, v77, vcc
	v_cndmask_b32_e32 v66, v66, v76, vcc
	;; [unrolled: 1-line block ×3, first 2 shown]
	s_cbranch_scc1 .LBB60_201
.LBB60_202:
	s_waitcnt lgkmcnt(0)
	v_cmp_eq_f64_e32 vcc, 0, v[66:67]
	s_and_saveexec_b64 s[0:1], vcc
	s_xor_b64 s[0:1], exec, s[0:1]
; %bb.203:
	v_cmp_ne_u32_e32 vcc, 0, v74
	v_cndmask_b32_e32 v74, 13, v74, vcc
; %bb.204:
	s_andn2_saveexec_b64 s[0:1], s[0:1]
; %bb.205:
	v_div_scale_f64 v[76:77], s[2:3], v[66:67], v[66:67], 1.0
	v_rcp_f64_e32 v[78:79], v[76:77]
	v_div_scale_f64 v[80:81], vcc, 1.0, v[66:67], 1.0
	v_fma_f64 v[82:83], -v[76:77], v[78:79], 1.0
	v_fmac_f64_e32 v[78:79], v[78:79], v[82:83]
	v_fma_f64 v[82:83], -v[76:77], v[78:79], 1.0
	v_fmac_f64_e32 v[78:79], v[78:79], v[82:83]
	v_mul_f64 v[82:83], v[80:81], v[78:79]
	v_fma_f64 v[76:77], -v[76:77], v[82:83], v[80:81]
	v_div_fmas_f64 v[76:77], v[76:77], v[78:79], v[82:83]
	v_div_fixup_f64 v[66:67], v[76:77], v[66:67], 1.0
; %bb.206:
	s_or_b64 exec, exec, s[0:1]
	v_cmp_ne_u32_e32 vcc, v71, v68
	s_and_saveexec_b64 s[0:1], vcc
	s_xor_b64 s[0:1], exec, s[0:1]
	s_cbranch_execz .LBB60_212
; %bb.207:
	v_cmp_eq_u32_e32 vcc, 12, v71
	s_and_saveexec_b64 s[2:3], vcc
	s_cbranch_execz .LBB60_211
; %bb.208:
	v_cmp_ne_u32_e32 vcc, 12, v68
	s_xor_b64 s[14:15], s[6:7], -1
	s_and_b64 s[16:17], s[14:15], vcc
	s_and_saveexec_b64 s[14:15], s[16:17]
	s_cbranch_execz .LBB60_210
; %bb.209:
	v_ashrrev_i32_e32 v69, 31, v68
	v_lshlrev_b64 v[76:77], 2, v[68:69]
	v_add_co_u32_e32 v76, vcc, v4, v76
	v_addc_co_u32_e32 v77, vcc, v5, v77, vcc
	flat_load_dword v69, v[76:77]
	flat_load_dword v71, v[4:5] offset:48
	s_waitcnt vmcnt(0) lgkmcnt(0)
	flat_store_dword v[4:5], v69 offset:48
	flat_store_dword v[76:77], v71
.LBB60_210:
	s_or_b64 exec, exec, s[14:15]
	v_mov_b32_e32 v69, v68
	v_mov_b32_e32 v71, v68
.LBB60_211:
	s_or_b64 exec, exec, s[2:3]
.LBB60_212:
	s_andn2_saveexec_b64 s[0:1], s[0:1]
	s_cbranch_execz .LBB60_214
; %bb.213:
	v_mov_b32_e32 v71, 12
	ds_write2_b64 v70, v[36:37], v[32:33] offset0:13 offset1:14
	ds_write2_b64 v70, v[34:35], v[30:31] offset0:15 offset1:16
	ds_write2_b64 v70, v[28:29], v[26:27] offset0:17 offset1:18
	ds_write2_b64 v70, v[24:25], v[22:23] offset0:19 offset1:20
	ds_write2_b64 v70, v[20:21], v[18:19] offset0:21 offset1:22
	ds_write2_b64 v70, v[16:17], v[14:15] offset0:23 offset1:24
	ds_write2_b64 v70, v[12:13], v[10:11] offset0:25 offset1:26
	ds_write2_b64 v70, v[8:9], v[6:7] offset0:27 offset1:28
	ds_write2_b64 v70, v[0:1], v[64:65] offset0:29 offset1:30
.LBB60_214:
	s_or_b64 exec, exec, s[0:1]
	v_cmp_lt_i32_e32 vcc, 12, v71
	s_waitcnt lgkmcnt(0)
	s_barrier
	s_and_saveexec_b64 s[0:1], vcc
	s_cbranch_execz .LBB60_216
; %bb.215:
	ds_read2_b64 v[76:79], v70 offset0:13 offset1:14
	ds_read2_b64 v[80:83], v70 offset0:15 offset1:16
	;; [unrolled: 1-line block ×3, first 2 shown]
	v_mul_f64 v[38:39], v[66:67], v[38:39]
	s_waitcnt lgkmcnt(0)
	v_fma_f64 v[36:37], -v[38:39], v[76:77], v[36:37]
	v_fma_f64 v[32:33], -v[38:39], v[78:79], v[32:33]
	ds_read2_b64 v[76:79], v70 offset0:19 offset1:20
	v_fma_f64 v[34:35], -v[38:39], v[80:81], v[34:35]
	v_fma_f64 v[30:31], -v[38:39], v[82:83], v[30:31]
	v_fma_f64 v[28:29], -v[38:39], v[84:85], v[28:29]
	ds_read2_b64 v[80:83], v70 offset0:21 offset1:22
	v_fma_f64 v[26:27], -v[38:39], v[86:87], v[26:27]
	ds_read2_b64 v[84:87], v70 offset0:23 offset1:24
	s_waitcnt lgkmcnt(0)
	v_fma_f64 v[24:25], -v[38:39], v[76:77], v[24:25]
	v_fma_f64 v[22:23], -v[38:39], v[78:79], v[22:23]
	;; [unrolled: 1-line block ×4, first 2 shown]
	ds_read2_b64 v[76:79], v70 offset0:25 offset1:26
	ds_read2_b64 v[80:83], v70 offset0:27 offset1:28
	v_fma_f64 v[16:17], -v[38:39], v[84:85], v[16:17]
	v_fma_f64 v[14:15], -v[38:39], v[86:87], v[14:15]
	ds_read2_b64 v[84:87], v70 offset0:29 offset1:30
	s_waitcnt lgkmcnt(0)
	v_fma_f64 v[12:13], -v[38:39], v[76:77], v[12:13]
	v_fma_f64 v[10:11], -v[38:39], v[78:79], v[10:11]
	;; [unrolled: 1-line block ×6, first 2 shown]
.LBB60_216:
	s_or_b64 exec, exec, s[0:1]
	v_lshl_add_u32 v66, v71, 3, v70
	s_barrier
	ds_write_b64 v66, v[36:37]
	s_waitcnt lgkmcnt(0)
	s_barrier
	ds_read_b64 v[66:67], v70 offset:104
	s_cmp_lt_i32 s18, 15
	v_mov_b32_e32 v68, 13
	s_cbranch_scc1 .LBB60_219
; %bb.217:
	v_add_u32_e32 v75, 0x70, v70
	s_mov_b32 s0, 14
	v_mov_b32_e32 v68, 13
.LBB60_218:                             ; =>This Inner Loop Header: Depth=1
	ds_read_b64 v[76:77], v75
	v_mov_b32_e32 v78, s0
	s_add_i32 s0, s0, 1
	v_add_u32_e32 v75, 8, v75
	s_cmp_lg_u32 s18, s0
	s_waitcnt lgkmcnt(0)
	v_cmp_lt_f64_e64 vcc, |v[66:67]|, |v[76:77]|
	v_cndmask_b32_e32 v67, v67, v77, vcc
	v_cndmask_b32_e32 v66, v66, v76, vcc
	;; [unrolled: 1-line block ×3, first 2 shown]
	s_cbranch_scc1 .LBB60_218
.LBB60_219:
	s_waitcnt lgkmcnt(0)
	v_cmp_eq_f64_e32 vcc, 0, v[66:67]
	s_and_saveexec_b64 s[0:1], vcc
	s_xor_b64 s[0:1], exec, s[0:1]
; %bb.220:
	v_cmp_ne_u32_e32 vcc, 0, v74
	v_cndmask_b32_e32 v74, 14, v74, vcc
; %bb.221:
	s_andn2_saveexec_b64 s[0:1], s[0:1]
; %bb.222:
	v_div_scale_f64 v[76:77], s[2:3], v[66:67], v[66:67], 1.0
	v_rcp_f64_e32 v[78:79], v[76:77]
	v_div_scale_f64 v[80:81], vcc, 1.0, v[66:67], 1.0
	v_fma_f64 v[82:83], -v[76:77], v[78:79], 1.0
	v_fmac_f64_e32 v[78:79], v[78:79], v[82:83]
	v_fma_f64 v[82:83], -v[76:77], v[78:79], 1.0
	v_fmac_f64_e32 v[78:79], v[78:79], v[82:83]
	v_mul_f64 v[82:83], v[80:81], v[78:79]
	v_fma_f64 v[76:77], -v[76:77], v[82:83], v[80:81]
	v_div_fmas_f64 v[76:77], v[76:77], v[78:79], v[82:83]
	v_div_fixup_f64 v[66:67], v[76:77], v[66:67], 1.0
; %bb.223:
	s_or_b64 exec, exec, s[0:1]
	v_cmp_ne_u32_e32 vcc, v71, v68
	s_and_saveexec_b64 s[0:1], vcc
	s_xor_b64 s[0:1], exec, s[0:1]
	s_cbranch_execz .LBB60_229
; %bb.224:
	v_cmp_eq_u32_e32 vcc, 13, v71
	s_and_saveexec_b64 s[2:3], vcc
	s_cbranch_execz .LBB60_228
; %bb.225:
	v_cmp_ne_u32_e32 vcc, 13, v68
	s_xor_b64 s[14:15], s[6:7], -1
	s_and_b64 s[16:17], s[14:15], vcc
	s_and_saveexec_b64 s[14:15], s[16:17]
	s_cbranch_execz .LBB60_227
; %bb.226:
	v_ashrrev_i32_e32 v69, 31, v68
	v_lshlrev_b64 v[76:77], 2, v[68:69]
	v_add_co_u32_e32 v76, vcc, v4, v76
	v_addc_co_u32_e32 v77, vcc, v5, v77, vcc
	flat_load_dword v69, v[76:77]
	flat_load_dword v71, v[4:5] offset:52
	s_waitcnt vmcnt(0) lgkmcnt(0)
	flat_store_dword v[4:5], v69 offset:52
	flat_store_dword v[76:77], v71
.LBB60_227:
	s_or_b64 exec, exec, s[14:15]
	v_mov_b32_e32 v69, v68
	v_mov_b32_e32 v71, v68
.LBB60_228:
	s_or_b64 exec, exec, s[2:3]
.LBB60_229:
	s_andn2_saveexec_b64 s[0:1], s[0:1]
	s_cbranch_execz .LBB60_231
; %bb.230:
	v_mov_b32_e32 v76, v32
	v_mov_b32_e32 v77, v33
	v_mov_b32_e32 v78, v34
	v_mov_b32_e32 v79, v35
	ds_write2_b64 v70, v[76:77], v[78:79] offset0:14 offset1:15
	v_mov_b32_e32 v76, v30
	v_mov_b32_e32 v77, v31
	v_mov_b32_e32 v78, v28
	v_mov_b32_e32 v79, v29
	ds_write2_b64 v70, v[76:77], v[78:79] offset0:16 offset1:17
	;; [unrolled: 5-line block ×7, first 2 shown]
	v_mov_b32_e32 v76, v6
	v_mov_b32_e32 v77, v7
	;; [unrolled: 1-line block ×5, first 2 shown]
	ds_write2_b64 v70, v[76:77], v[78:79] offset0:28 offset1:29
	ds_write_b64 v70, v[64:65] offset:240
.LBB60_231:
	s_or_b64 exec, exec, s[0:1]
	v_cmp_lt_i32_e32 vcc, 13, v71
	s_waitcnt lgkmcnt(0)
	s_barrier
	s_and_saveexec_b64 s[0:1], vcc
	s_cbranch_execz .LBB60_233
; %bb.232:
	ds_read2_b64 v[76:79], v70 offset0:14 offset1:15
	ds_read2_b64 v[80:83], v70 offset0:16 offset1:17
	v_mul_f64 v[36:37], v[66:67], v[36:37]
	ds_read2_b64 v[84:87], v70 offset0:18 offset1:19
	ds_read_b64 v[66:67], v70 offset:240
	s_waitcnt lgkmcnt(0)
	v_fma_f64 v[32:33], -v[36:37], v[76:77], v[32:33]
	v_fma_f64 v[34:35], -v[36:37], v[78:79], v[34:35]
	ds_read2_b64 v[76:79], v70 offset0:20 offset1:21
	v_fma_f64 v[30:31], -v[36:37], v[80:81], v[30:31]
	v_fma_f64 v[28:29], -v[36:37], v[82:83], v[28:29]
	ds_read2_b64 v[80:83], v70 offset0:22 offset1:23
	;; [unrolled: 3-line block ×3, first 2 shown]
	s_waitcnt lgkmcnt(0)
	v_fma_f64 v[22:23], -v[36:37], v[76:77], v[22:23]
	v_fma_f64 v[20:21], -v[36:37], v[78:79], v[20:21]
	;; [unrolled: 1-line block ×4, first 2 shown]
	ds_read2_b64 v[76:79], v70 offset0:26 offset1:27
	ds_read2_b64 v[80:83], v70 offset0:28 offset1:29
	v_fma_f64 v[14:15], -v[36:37], v[84:85], v[14:15]
	v_fma_f64 v[12:13], -v[36:37], v[86:87], v[12:13]
	;; [unrolled: 1-line block ×3, first 2 shown]
	s_waitcnt lgkmcnt(0)
	v_fma_f64 v[10:11], -v[36:37], v[76:77], v[10:11]
	v_fma_f64 v[8:9], -v[36:37], v[78:79], v[8:9]
	;; [unrolled: 1-line block ×4, first 2 shown]
.LBB60_233:
	s_or_b64 exec, exec, s[0:1]
	v_lshl_add_u32 v66, v71, 3, v70
	s_barrier
	ds_write_b64 v66, v[32:33]
	s_waitcnt lgkmcnt(0)
	s_barrier
	ds_read_b64 v[66:67], v70 offset:112
	s_cmp_lt_i32 s18, 16
	v_mov_b32_e32 v68, 14
	s_cbranch_scc1 .LBB60_236
; %bb.234:
	v_add_u32_e32 v75, 0x78, v70
	s_mov_b32 s0, 15
	v_mov_b32_e32 v68, 14
.LBB60_235:                             ; =>This Inner Loop Header: Depth=1
	ds_read_b64 v[76:77], v75
	v_mov_b32_e32 v78, s0
	s_add_i32 s0, s0, 1
	v_add_u32_e32 v75, 8, v75
	s_cmp_lg_u32 s18, s0
	s_waitcnt lgkmcnt(0)
	v_cmp_lt_f64_e64 vcc, |v[66:67]|, |v[76:77]|
	v_cndmask_b32_e32 v67, v67, v77, vcc
	v_cndmask_b32_e32 v66, v66, v76, vcc
	;; [unrolled: 1-line block ×3, first 2 shown]
	s_cbranch_scc1 .LBB60_235
.LBB60_236:
	s_waitcnt lgkmcnt(0)
	v_cmp_eq_f64_e32 vcc, 0, v[66:67]
	s_and_saveexec_b64 s[0:1], vcc
	s_xor_b64 s[0:1], exec, s[0:1]
; %bb.237:
	v_cmp_ne_u32_e32 vcc, 0, v74
	v_cndmask_b32_e32 v74, 15, v74, vcc
; %bb.238:
	s_andn2_saveexec_b64 s[0:1], s[0:1]
; %bb.239:
	v_div_scale_f64 v[76:77], s[2:3], v[66:67], v[66:67], 1.0
	v_rcp_f64_e32 v[78:79], v[76:77]
	v_div_scale_f64 v[80:81], vcc, 1.0, v[66:67], 1.0
	v_fma_f64 v[82:83], -v[76:77], v[78:79], 1.0
	v_fmac_f64_e32 v[78:79], v[78:79], v[82:83]
	v_fma_f64 v[82:83], -v[76:77], v[78:79], 1.0
	v_fmac_f64_e32 v[78:79], v[78:79], v[82:83]
	v_mul_f64 v[82:83], v[80:81], v[78:79]
	v_fma_f64 v[76:77], -v[76:77], v[82:83], v[80:81]
	v_div_fmas_f64 v[76:77], v[76:77], v[78:79], v[82:83]
	v_div_fixup_f64 v[66:67], v[76:77], v[66:67], 1.0
; %bb.240:
	s_or_b64 exec, exec, s[0:1]
	v_cmp_ne_u32_e32 vcc, v71, v68
	s_and_saveexec_b64 s[0:1], vcc
	s_xor_b64 s[0:1], exec, s[0:1]
	s_cbranch_execz .LBB60_246
; %bb.241:
	v_cmp_eq_u32_e32 vcc, 14, v71
	s_and_saveexec_b64 s[2:3], vcc
	s_cbranch_execz .LBB60_245
; %bb.242:
	v_cmp_ne_u32_e32 vcc, 14, v68
	s_xor_b64 s[14:15], s[6:7], -1
	s_and_b64 s[16:17], s[14:15], vcc
	s_and_saveexec_b64 s[14:15], s[16:17]
	s_cbranch_execz .LBB60_244
; %bb.243:
	v_ashrrev_i32_e32 v69, 31, v68
	v_lshlrev_b64 v[76:77], 2, v[68:69]
	v_add_co_u32_e32 v76, vcc, v4, v76
	v_addc_co_u32_e32 v77, vcc, v5, v77, vcc
	flat_load_dword v69, v[76:77]
	flat_load_dword v71, v[4:5] offset:56
	s_waitcnt vmcnt(0) lgkmcnt(0)
	flat_store_dword v[4:5], v69 offset:56
	flat_store_dword v[76:77], v71
.LBB60_244:
	s_or_b64 exec, exec, s[14:15]
	v_mov_b32_e32 v69, v68
	v_mov_b32_e32 v71, v68
.LBB60_245:
	s_or_b64 exec, exec, s[2:3]
.LBB60_246:
	s_andn2_saveexec_b64 s[0:1], s[0:1]
	s_cbranch_execz .LBB60_248
; %bb.247:
	v_mov_b32_e32 v71, 14
	ds_write2_b64 v70, v[34:35], v[30:31] offset0:15 offset1:16
	ds_write2_b64 v70, v[28:29], v[26:27] offset0:17 offset1:18
	;; [unrolled: 1-line block ×8, first 2 shown]
.LBB60_248:
	s_or_b64 exec, exec, s[0:1]
	v_cmp_lt_i32_e32 vcc, 14, v71
	s_waitcnt lgkmcnt(0)
	s_barrier
	s_and_saveexec_b64 s[0:1], vcc
	s_cbranch_execz .LBB60_250
; %bb.249:
	ds_read2_b64 v[76:79], v70 offset0:15 offset1:16
	ds_read2_b64 v[80:83], v70 offset0:17 offset1:18
	v_mul_f64 v[32:33], v[66:67], v[32:33]
	ds_read2_b64 v[84:87], v70 offset0:19 offset1:20
	s_waitcnt lgkmcnt(0)
	v_fma_f64 v[34:35], -v[32:33], v[76:77], v[34:35]
	v_fma_f64 v[30:31], -v[32:33], v[78:79], v[30:31]
	ds_read2_b64 v[76:79], v70 offset0:21 offset1:22
	v_fma_f64 v[28:29], -v[32:33], v[80:81], v[28:29]
	v_fma_f64 v[26:27], -v[32:33], v[82:83], v[26:27]
	ds_read2_b64 v[80:83], v70 offset0:23 offset1:24
	v_fma_f64 v[24:25], -v[32:33], v[84:85], v[24:25]
	v_fma_f64 v[22:23], -v[32:33], v[86:87], v[22:23]
	s_waitcnt lgkmcnt(0)
	v_fma_f64 v[20:21], -v[32:33], v[76:77], v[20:21]
	v_fma_f64 v[18:19], -v[32:33], v[78:79], v[18:19]
	ds_read2_b64 v[76:79], v70 offset0:25 offset1:26
	v_fma_f64 v[16:17], -v[32:33], v[80:81], v[16:17]
	ds_read2_b64 v[84:87], v70 offset0:27 offset1:28
	;; [unrolled: 2-line block ×3, first 2 shown]
	s_waitcnt lgkmcnt(0)
	v_fma_f64 v[12:13], -v[32:33], v[76:77], v[12:13]
	v_fma_f64 v[10:11], -v[32:33], v[78:79], v[10:11]
	;; [unrolled: 1-line block ×6, first 2 shown]
.LBB60_250:
	s_or_b64 exec, exec, s[0:1]
	v_lshl_add_u32 v66, v71, 3, v70
	s_barrier
	ds_write_b64 v66, v[34:35]
	s_waitcnt lgkmcnt(0)
	s_barrier
	ds_read_b64 v[66:67], v70 offset:120
	s_cmp_lt_i32 s18, 17
	v_mov_b32_e32 v68, 15
	s_cbranch_scc1 .LBB60_253
; %bb.251:
	v_add_u32_e32 v75, 0x80, v70
	s_mov_b32 s0, 16
	v_mov_b32_e32 v68, 15
.LBB60_252:                             ; =>This Inner Loop Header: Depth=1
	ds_read_b64 v[76:77], v75
	v_mov_b32_e32 v78, s0
	s_add_i32 s0, s0, 1
	v_add_u32_e32 v75, 8, v75
	s_cmp_lg_u32 s18, s0
	s_waitcnt lgkmcnt(0)
	v_cmp_lt_f64_e64 vcc, |v[66:67]|, |v[76:77]|
	v_cndmask_b32_e32 v67, v67, v77, vcc
	v_cndmask_b32_e32 v66, v66, v76, vcc
	;; [unrolled: 1-line block ×3, first 2 shown]
	s_cbranch_scc1 .LBB60_252
.LBB60_253:
	s_waitcnt lgkmcnt(0)
	v_cmp_eq_f64_e32 vcc, 0, v[66:67]
	s_and_saveexec_b64 s[0:1], vcc
	s_xor_b64 s[0:1], exec, s[0:1]
; %bb.254:
	v_cmp_ne_u32_e32 vcc, 0, v74
	v_cndmask_b32_e32 v74, 16, v74, vcc
; %bb.255:
	s_andn2_saveexec_b64 s[0:1], s[0:1]
; %bb.256:
	v_div_scale_f64 v[76:77], s[2:3], v[66:67], v[66:67], 1.0
	v_rcp_f64_e32 v[78:79], v[76:77]
	v_div_scale_f64 v[80:81], vcc, 1.0, v[66:67], 1.0
	v_fma_f64 v[82:83], -v[76:77], v[78:79], 1.0
	v_fmac_f64_e32 v[78:79], v[78:79], v[82:83]
	v_fma_f64 v[82:83], -v[76:77], v[78:79], 1.0
	v_fmac_f64_e32 v[78:79], v[78:79], v[82:83]
	v_mul_f64 v[82:83], v[80:81], v[78:79]
	v_fma_f64 v[76:77], -v[76:77], v[82:83], v[80:81]
	v_div_fmas_f64 v[76:77], v[76:77], v[78:79], v[82:83]
	v_div_fixup_f64 v[66:67], v[76:77], v[66:67], 1.0
; %bb.257:
	s_or_b64 exec, exec, s[0:1]
	v_cmp_ne_u32_e32 vcc, v71, v68
	s_and_saveexec_b64 s[0:1], vcc
	s_xor_b64 s[0:1], exec, s[0:1]
	s_cbranch_execz .LBB60_263
; %bb.258:
	v_cmp_eq_u32_e32 vcc, 15, v71
	s_and_saveexec_b64 s[2:3], vcc
	s_cbranch_execz .LBB60_262
; %bb.259:
	v_cmp_ne_u32_e32 vcc, 15, v68
	s_xor_b64 s[14:15], s[6:7], -1
	s_and_b64 s[16:17], s[14:15], vcc
	s_and_saveexec_b64 s[14:15], s[16:17]
	s_cbranch_execz .LBB60_261
; %bb.260:
	v_ashrrev_i32_e32 v69, 31, v68
	v_lshlrev_b64 v[76:77], 2, v[68:69]
	v_add_co_u32_e32 v76, vcc, v4, v76
	v_addc_co_u32_e32 v77, vcc, v5, v77, vcc
	flat_load_dword v69, v[76:77]
	flat_load_dword v71, v[4:5] offset:60
	s_waitcnt vmcnt(0) lgkmcnt(0)
	flat_store_dword v[4:5], v69 offset:60
	flat_store_dword v[76:77], v71
.LBB60_261:
	s_or_b64 exec, exec, s[14:15]
	v_mov_b32_e32 v69, v68
	v_mov_b32_e32 v71, v68
.LBB60_262:
	s_or_b64 exec, exec, s[2:3]
.LBB60_263:
	s_andn2_saveexec_b64 s[0:1], s[0:1]
	s_cbranch_execz .LBB60_265
; %bb.264:
	v_mov_b32_e32 v76, v30
	v_mov_b32_e32 v77, v31
	v_mov_b32_e32 v78, v28
	v_mov_b32_e32 v79, v29
	ds_write2_b64 v70, v[76:77], v[78:79] offset0:16 offset1:17
	v_mov_b32_e32 v76, v26
	v_mov_b32_e32 v77, v27
	v_mov_b32_e32 v78, v24
	v_mov_b32_e32 v79, v25
	ds_write2_b64 v70, v[76:77], v[78:79] offset0:18 offset1:19
	;; [unrolled: 5-line block ×6, first 2 shown]
	v_mov_b32_e32 v76, v6
	v_mov_b32_e32 v77, v7
	;; [unrolled: 1-line block ×5, first 2 shown]
	ds_write2_b64 v70, v[76:77], v[78:79] offset0:28 offset1:29
	ds_write_b64 v70, v[64:65] offset:240
.LBB60_265:
	s_or_b64 exec, exec, s[0:1]
	v_cmp_lt_i32_e32 vcc, 15, v71
	s_waitcnt lgkmcnt(0)
	s_barrier
	s_and_saveexec_b64 s[0:1], vcc
	s_cbranch_execz .LBB60_267
; %bb.266:
	ds_read2_b64 v[76:79], v70 offset0:16 offset1:17
	ds_read2_b64 v[80:83], v70 offset0:18 offset1:19
	v_mul_f64 v[34:35], v[66:67], v[34:35]
	ds_read2_b64 v[84:87], v70 offset0:20 offset1:21
	ds_read_b64 v[66:67], v70 offset:240
	s_waitcnt lgkmcnt(0)
	v_fma_f64 v[30:31], -v[34:35], v[76:77], v[30:31]
	v_fma_f64 v[28:29], -v[34:35], v[78:79], v[28:29]
	ds_read2_b64 v[76:79], v70 offset0:22 offset1:23
	v_fma_f64 v[26:27], -v[34:35], v[80:81], v[26:27]
	v_fma_f64 v[24:25], -v[34:35], v[82:83], v[24:25]
	v_fma_f64 v[22:23], -v[34:35], v[84:85], v[22:23]
	ds_read2_b64 v[80:83], v70 offset0:24 offset1:25
	v_fma_f64 v[20:21], -v[34:35], v[86:87], v[20:21]
	s_waitcnt lgkmcnt(0)
	v_fma_f64 v[18:19], -v[34:35], v[76:77], v[18:19]
	v_fma_f64 v[16:17], -v[34:35], v[78:79], v[16:17]
	ds_read2_b64 v[76:79], v70 offset0:26 offset1:27
	ds_read2_b64 v[84:87], v70 offset0:28 offset1:29
	v_fma_f64 v[14:15], -v[34:35], v[80:81], v[14:15]
	v_fma_f64 v[12:13], -v[34:35], v[82:83], v[12:13]
	;; [unrolled: 1-line block ×3, first 2 shown]
	s_waitcnt lgkmcnt(0)
	v_fma_f64 v[10:11], -v[34:35], v[76:77], v[10:11]
	v_fma_f64 v[8:9], -v[34:35], v[78:79], v[8:9]
	;; [unrolled: 1-line block ×4, first 2 shown]
.LBB60_267:
	s_or_b64 exec, exec, s[0:1]
	v_lshl_add_u32 v66, v71, 3, v70
	s_barrier
	ds_write_b64 v66, v[30:31]
	s_waitcnt lgkmcnt(0)
	s_barrier
	ds_read_b64 v[66:67], v70 offset:128
	s_cmp_lt_i32 s18, 18
	v_mov_b32_e32 v68, 16
	s_cbranch_scc1 .LBB60_270
; %bb.268:
	v_add_u32_e32 v75, 0x88, v70
	s_mov_b32 s0, 17
	v_mov_b32_e32 v68, 16
.LBB60_269:                             ; =>This Inner Loop Header: Depth=1
	ds_read_b64 v[76:77], v75
	v_mov_b32_e32 v78, s0
	s_add_i32 s0, s0, 1
	v_add_u32_e32 v75, 8, v75
	s_cmp_lg_u32 s18, s0
	s_waitcnt lgkmcnt(0)
	v_cmp_lt_f64_e64 vcc, |v[66:67]|, |v[76:77]|
	v_cndmask_b32_e32 v67, v67, v77, vcc
	v_cndmask_b32_e32 v66, v66, v76, vcc
	;; [unrolled: 1-line block ×3, first 2 shown]
	s_cbranch_scc1 .LBB60_269
.LBB60_270:
	s_waitcnt lgkmcnt(0)
	v_cmp_eq_f64_e32 vcc, 0, v[66:67]
	s_and_saveexec_b64 s[0:1], vcc
	s_xor_b64 s[0:1], exec, s[0:1]
; %bb.271:
	v_cmp_ne_u32_e32 vcc, 0, v74
	v_cndmask_b32_e32 v74, 17, v74, vcc
; %bb.272:
	s_andn2_saveexec_b64 s[0:1], s[0:1]
; %bb.273:
	v_div_scale_f64 v[76:77], s[2:3], v[66:67], v[66:67], 1.0
	v_rcp_f64_e32 v[78:79], v[76:77]
	v_div_scale_f64 v[80:81], vcc, 1.0, v[66:67], 1.0
	v_fma_f64 v[82:83], -v[76:77], v[78:79], 1.0
	v_fmac_f64_e32 v[78:79], v[78:79], v[82:83]
	v_fma_f64 v[82:83], -v[76:77], v[78:79], 1.0
	v_fmac_f64_e32 v[78:79], v[78:79], v[82:83]
	v_mul_f64 v[82:83], v[80:81], v[78:79]
	v_fma_f64 v[76:77], -v[76:77], v[82:83], v[80:81]
	v_div_fmas_f64 v[76:77], v[76:77], v[78:79], v[82:83]
	v_div_fixup_f64 v[66:67], v[76:77], v[66:67], 1.0
; %bb.274:
	s_or_b64 exec, exec, s[0:1]
	v_cmp_ne_u32_e32 vcc, v71, v68
	s_and_saveexec_b64 s[0:1], vcc
	s_xor_b64 s[0:1], exec, s[0:1]
	s_cbranch_execz .LBB60_280
; %bb.275:
	v_cmp_eq_u32_e32 vcc, 16, v71
	s_and_saveexec_b64 s[2:3], vcc
	s_cbranch_execz .LBB60_279
; %bb.276:
	v_cmp_ne_u32_e32 vcc, 16, v68
	s_xor_b64 s[14:15], s[6:7], -1
	s_and_b64 s[16:17], s[14:15], vcc
	s_and_saveexec_b64 s[14:15], s[16:17]
	s_cbranch_execz .LBB60_278
; %bb.277:
	v_ashrrev_i32_e32 v69, 31, v68
	v_lshlrev_b64 v[76:77], 2, v[68:69]
	v_add_co_u32_e32 v76, vcc, v4, v76
	v_addc_co_u32_e32 v77, vcc, v5, v77, vcc
	flat_load_dword v69, v[76:77]
	flat_load_dword v71, v[4:5] offset:64
	s_waitcnt vmcnt(0) lgkmcnt(0)
	flat_store_dword v[4:5], v69 offset:64
	flat_store_dword v[76:77], v71
.LBB60_278:
	s_or_b64 exec, exec, s[14:15]
	v_mov_b32_e32 v69, v68
	v_mov_b32_e32 v71, v68
.LBB60_279:
	s_or_b64 exec, exec, s[2:3]
.LBB60_280:
	s_andn2_saveexec_b64 s[0:1], s[0:1]
	s_cbranch_execz .LBB60_282
; %bb.281:
	v_mov_b32_e32 v71, 16
	ds_write2_b64 v70, v[28:29], v[26:27] offset0:17 offset1:18
	ds_write2_b64 v70, v[24:25], v[22:23] offset0:19 offset1:20
	;; [unrolled: 1-line block ×7, first 2 shown]
.LBB60_282:
	s_or_b64 exec, exec, s[0:1]
	v_cmp_lt_i32_e32 vcc, 16, v71
	s_waitcnt lgkmcnt(0)
	s_barrier
	s_and_saveexec_b64 s[0:1], vcc
	s_cbranch_execz .LBB60_284
; %bb.283:
	ds_read2_b64 v[76:79], v70 offset0:17 offset1:18
	ds_read2_b64 v[80:83], v70 offset0:19 offset1:20
	v_mul_f64 v[30:31], v[66:67], v[30:31]
	ds_read2_b64 v[84:87], v70 offset0:21 offset1:22
	s_waitcnt lgkmcnt(0)
	v_fma_f64 v[28:29], -v[30:31], v[76:77], v[28:29]
	v_fma_f64 v[26:27], -v[30:31], v[78:79], v[26:27]
	ds_read2_b64 v[76:79], v70 offset0:23 offset1:24
	v_fma_f64 v[24:25], -v[30:31], v[80:81], v[24:25]
	v_fma_f64 v[22:23], -v[30:31], v[82:83], v[22:23]
	;; [unrolled: 1-line block ×4, first 2 shown]
	ds_read2_b64 v[80:83], v70 offset0:25 offset1:26
	ds_read2_b64 v[84:87], v70 offset0:27 offset1:28
	s_waitcnt lgkmcnt(0)
	v_fma_f64 v[16:17], -v[30:31], v[76:77], v[16:17]
	v_fma_f64 v[14:15], -v[30:31], v[78:79], v[14:15]
	ds_read2_b64 v[76:79], v70 offset0:29 offset1:30
	v_fma_f64 v[12:13], -v[30:31], v[80:81], v[12:13]
	v_fma_f64 v[10:11], -v[30:31], v[82:83], v[10:11]
	;; [unrolled: 1-line block ×4, first 2 shown]
	s_waitcnt lgkmcnt(0)
	v_fma_f64 v[0:1], -v[30:31], v[76:77], v[0:1]
	v_fma_f64 v[64:65], -v[30:31], v[78:79], v[64:65]
.LBB60_284:
	s_or_b64 exec, exec, s[0:1]
	v_lshl_add_u32 v66, v71, 3, v70
	s_barrier
	ds_write_b64 v66, v[28:29]
	s_waitcnt lgkmcnt(0)
	s_barrier
	ds_read_b64 v[66:67], v70 offset:136
	s_cmp_lt_i32 s18, 19
	v_mov_b32_e32 v68, 17
	s_cbranch_scc1 .LBB60_287
; %bb.285:
	v_add_u32_e32 v75, 0x90, v70
	s_mov_b32 s0, 18
	v_mov_b32_e32 v68, 17
.LBB60_286:                             ; =>This Inner Loop Header: Depth=1
	ds_read_b64 v[76:77], v75
	v_mov_b32_e32 v78, s0
	s_add_i32 s0, s0, 1
	v_add_u32_e32 v75, 8, v75
	s_cmp_lg_u32 s18, s0
	s_waitcnt lgkmcnt(0)
	v_cmp_lt_f64_e64 vcc, |v[66:67]|, |v[76:77]|
	v_cndmask_b32_e32 v67, v67, v77, vcc
	v_cndmask_b32_e32 v66, v66, v76, vcc
	;; [unrolled: 1-line block ×3, first 2 shown]
	s_cbranch_scc1 .LBB60_286
.LBB60_287:
	s_waitcnt lgkmcnt(0)
	v_cmp_eq_f64_e32 vcc, 0, v[66:67]
	s_and_saveexec_b64 s[0:1], vcc
	s_xor_b64 s[0:1], exec, s[0:1]
; %bb.288:
	v_cmp_ne_u32_e32 vcc, 0, v74
	v_cndmask_b32_e32 v74, 18, v74, vcc
; %bb.289:
	s_andn2_saveexec_b64 s[0:1], s[0:1]
; %bb.290:
	v_div_scale_f64 v[76:77], s[2:3], v[66:67], v[66:67], 1.0
	v_rcp_f64_e32 v[78:79], v[76:77]
	v_div_scale_f64 v[80:81], vcc, 1.0, v[66:67], 1.0
	v_fma_f64 v[82:83], -v[76:77], v[78:79], 1.0
	v_fmac_f64_e32 v[78:79], v[78:79], v[82:83]
	v_fma_f64 v[82:83], -v[76:77], v[78:79], 1.0
	v_fmac_f64_e32 v[78:79], v[78:79], v[82:83]
	v_mul_f64 v[82:83], v[80:81], v[78:79]
	v_fma_f64 v[76:77], -v[76:77], v[82:83], v[80:81]
	v_div_fmas_f64 v[76:77], v[76:77], v[78:79], v[82:83]
	v_div_fixup_f64 v[66:67], v[76:77], v[66:67], 1.0
; %bb.291:
	s_or_b64 exec, exec, s[0:1]
	v_cmp_ne_u32_e32 vcc, v71, v68
	s_and_saveexec_b64 s[0:1], vcc
	s_xor_b64 s[0:1], exec, s[0:1]
	s_cbranch_execz .LBB60_297
; %bb.292:
	v_cmp_eq_u32_e32 vcc, 17, v71
	s_and_saveexec_b64 s[2:3], vcc
	s_cbranch_execz .LBB60_296
; %bb.293:
	v_cmp_ne_u32_e32 vcc, 17, v68
	s_xor_b64 s[14:15], s[6:7], -1
	s_and_b64 s[16:17], s[14:15], vcc
	s_and_saveexec_b64 s[14:15], s[16:17]
	s_cbranch_execz .LBB60_295
; %bb.294:
	v_ashrrev_i32_e32 v69, 31, v68
	v_lshlrev_b64 v[76:77], 2, v[68:69]
	v_add_co_u32_e32 v76, vcc, v4, v76
	v_addc_co_u32_e32 v77, vcc, v5, v77, vcc
	flat_load_dword v69, v[76:77]
	flat_load_dword v71, v[4:5] offset:68
	s_waitcnt vmcnt(0) lgkmcnt(0)
	flat_store_dword v[4:5], v69 offset:68
	flat_store_dword v[76:77], v71
.LBB60_295:
	s_or_b64 exec, exec, s[14:15]
	v_mov_b32_e32 v69, v68
	v_mov_b32_e32 v71, v68
.LBB60_296:
	s_or_b64 exec, exec, s[2:3]
.LBB60_297:
	s_andn2_saveexec_b64 s[0:1], s[0:1]
	s_cbranch_execz .LBB60_299
; %bb.298:
	v_mov_b32_e32 v76, v26
	v_mov_b32_e32 v77, v27
	v_mov_b32_e32 v78, v24
	v_mov_b32_e32 v79, v25
	ds_write2_b64 v70, v[76:77], v[78:79] offset0:18 offset1:19
	v_mov_b32_e32 v76, v22
	v_mov_b32_e32 v77, v23
	v_mov_b32_e32 v78, v20
	v_mov_b32_e32 v79, v21
	ds_write2_b64 v70, v[76:77], v[78:79] offset0:20 offset1:21
	;; [unrolled: 5-line block ×5, first 2 shown]
	v_mov_b32_e32 v76, v6
	v_mov_b32_e32 v77, v7
	;; [unrolled: 1-line block ×5, first 2 shown]
	ds_write2_b64 v70, v[76:77], v[78:79] offset0:28 offset1:29
	ds_write_b64 v70, v[64:65] offset:240
.LBB60_299:
	s_or_b64 exec, exec, s[0:1]
	v_cmp_lt_i32_e32 vcc, 17, v71
	s_waitcnt lgkmcnt(0)
	s_barrier
	s_and_saveexec_b64 s[0:1], vcc
	s_cbranch_execz .LBB60_301
; %bb.300:
	ds_read2_b64 v[76:79], v70 offset0:18 offset1:19
	ds_read2_b64 v[80:83], v70 offset0:20 offset1:21
	ds_read2_b64 v[84:87], v70 offset0:22 offset1:23
	v_mul_f64 v[28:29], v[66:67], v[28:29]
	ds_read_b64 v[66:67], v70 offset:240
	s_waitcnt lgkmcnt(0)
	v_fma_f64 v[26:27], -v[28:29], v[76:77], v[26:27]
	v_fma_f64 v[24:25], -v[28:29], v[78:79], v[24:25]
	ds_read2_b64 v[76:79], v70 offset0:24 offset1:25
	v_fma_f64 v[22:23], -v[28:29], v[80:81], v[22:23]
	v_fma_f64 v[20:21], -v[28:29], v[82:83], v[20:21]
	;; [unrolled: 1-line block ×4, first 2 shown]
	ds_read2_b64 v[80:83], v70 offset0:26 offset1:27
	ds_read2_b64 v[84:87], v70 offset0:28 offset1:29
	s_waitcnt lgkmcnt(0)
	v_fma_f64 v[14:15], -v[28:29], v[76:77], v[14:15]
	v_fma_f64 v[12:13], -v[28:29], v[78:79], v[12:13]
	;; [unrolled: 1-line block ×7, first 2 shown]
.LBB60_301:
	s_or_b64 exec, exec, s[0:1]
	v_lshl_add_u32 v66, v71, 3, v70
	s_barrier
	ds_write_b64 v66, v[26:27]
	s_waitcnt lgkmcnt(0)
	s_barrier
	ds_read_b64 v[66:67], v70 offset:144
	s_cmp_lt_i32 s18, 20
	v_mov_b32_e32 v68, 18
	s_cbranch_scc1 .LBB60_304
; %bb.302:
	v_add_u32_e32 v75, 0x98, v70
	s_mov_b32 s0, 19
	v_mov_b32_e32 v68, 18
.LBB60_303:                             ; =>This Inner Loop Header: Depth=1
	ds_read_b64 v[76:77], v75
	v_mov_b32_e32 v78, s0
	s_add_i32 s0, s0, 1
	v_add_u32_e32 v75, 8, v75
	s_cmp_lg_u32 s18, s0
	s_waitcnt lgkmcnt(0)
	v_cmp_lt_f64_e64 vcc, |v[66:67]|, |v[76:77]|
	v_cndmask_b32_e32 v67, v67, v77, vcc
	v_cndmask_b32_e32 v66, v66, v76, vcc
	;; [unrolled: 1-line block ×3, first 2 shown]
	s_cbranch_scc1 .LBB60_303
.LBB60_304:
	s_waitcnt lgkmcnt(0)
	v_cmp_eq_f64_e32 vcc, 0, v[66:67]
	s_and_saveexec_b64 s[0:1], vcc
	s_xor_b64 s[0:1], exec, s[0:1]
; %bb.305:
	v_cmp_ne_u32_e32 vcc, 0, v74
	v_cndmask_b32_e32 v74, 19, v74, vcc
; %bb.306:
	s_andn2_saveexec_b64 s[0:1], s[0:1]
; %bb.307:
	v_div_scale_f64 v[76:77], s[2:3], v[66:67], v[66:67], 1.0
	v_rcp_f64_e32 v[78:79], v[76:77]
	v_div_scale_f64 v[80:81], vcc, 1.0, v[66:67], 1.0
	v_fma_f64 v[82:83], -v[76:77], v[78:79], 1.0
	v_fmac_f64_e32 v[78:79], v[78:79], v[82:83]
	v_fma_f64 v[82:83], -v[76:77], v[78:79], 1.0
	v_fmac_f64_e32 v[78:79], v[78:79], v[82:83]
	v_mul_f64 v[82:83], v[80:81], v[78:79]
	v_fma_f64 v[76:77], -v[76:77], v[82:83], v[80:81]
	v_div_fmas_f64 v[76:77], v[76:77], v[78:79], v[82:83]
	v_div_fixup_f64 v[66:67], v[76:77], v[66:67], 1.0
; %bb.308:
	s_or_b64 exec, exec, s[0:1]
	v_cmp_ne_u32_e32 vcc, v71, v68
	s_and_saveexec_b64 s[0:1], vcc
	s_xor_b64 s[0:1], exec, s[0:1]
	s_cbranch_execz .LBB60_314
; %bb.309:
	v_cmp_eq_u32_e32 vcc, 18, v71
	s_and_saveexec_b64 s[2:3], vcc
	s_cbranch_execz .LBB60_313
; %bb.310:
	v_cmp_ne_u32_e32 vcc, 18, v68
	s_xor_b64 s[14:15], s[6:7], -1
	s_and_b64 s[16:17], s[14:15], vcc
	s_and_saveexec_b64 s[14:15], s[16:17]
	s_cbranch_execz .LBB60_312
; %bb.311:
	v_ashrrev_i32_e32 v69, 31, v68
	v_lshlrev_b64 v[76:77], 2, v[68:69]
	v_add_co_u32_e32 v76, vcc, v4, v76
	v_addc_co_u32_e32 v77, vcc, v5, v77, vcc
	flat_load_dword v69, v[76:77]
	flat_load_dword v71, v[4:5] offset:72
	s_waitcnt vmcnt(0) lgkmcnt(0)
	flat_store_dword v[4:5], v69 offset:72
	flat_store_dword v[76:77], v71
.LBB60_312:
	s_or_b64 exec, exec, s[14:15]
	v_mov_b32_e32 v69, v68
	v_mov_b32_e32 v71, v68
.LBB60_313:
	s_or_b64 exec, exec, s[2:3]
.LBB60_314:
	s_andn2_saveexec_b64 s[0:1], s[0:1]
	s_cbranch_execz .LBB60_316
; %bb.315:
	v_mov_b32_e32 v71, 18
	ds_write2_b64 v70, v[24:25], v[22:23] offset0:19 offset1:20
	ds_write2_b64 v70, v[20:21], v[18:19] offset0:21 offset1:22
	;; [unrolled: 1-line block ×6, first 2 shown]
.LBB60_316:
	s_or_b64 exec, exec, s[0:1]
	v_cmp_lt_i32_e32 vcc, 18, v71
	s_waitcnt lgkmcnt(0)
	s_barrier
	s_and_saveexec_b64 s[0:1], vcc
	s_cbranch_execz .LBB60_318
; %bb.317:
	ds_read2_b64 v[76:79], v70 offset0:19 offset1:20
	ds_read2_b64 v[80:83], v70 offset0:21 offset1:22
	ds_read2_b64 v[84:87], v70 offset0:23 offset1:24
	v_mul_f64 v[26:27], v[66:67], v[26:27]
	s_waitcnt lgkmcnt(0)
	v_fma_f64 v[24:25], -v[26:27], v[76:77], v[24:25]
	v_fma_f64 v[22:23], -v[26:27], v[78:79], v[22:23]
	ds_read2_b64 v[76:79], v70 offset0:25 offset1:26
	v_fma_f64 v[20:21], -v[26:27], v[80:81], v[20:21]
	v_fma_f64 v[18:19], -v[26:27], v[82:83], v[18:19]
	;; [unrolled: 1-line block ×3, first 2 shown]
	ds_read2_b64 v[80:83], v70 offset0:27 offset1:28
	v_fma_f64 v[14:15], -v[26:27], v[86:87], v[14:15]
	ds_read2_b64 v[84:87], v70 offset0:29 offset1:30
	s_waitcnt lgkmcnt(0)
	v_fma_f64 v[12:13], -v[26:27], v[76:77], v[12:13]
	v_fma_f64 v[10:11], -v[26:27], v[78:79], v[10:11]
	;; [unrolled: 1-line block ×6, first 2 shown]
.LBB60_318:
	s_or_b64 exec, exec, s[0:1]
	v_lshl_add_u32 v66, v71, 3, v70
	s_barrier
	ds_write_b64 v66, v[24:25]
	s_waitcnt lgkmcnt(0)
	s_barrier
	ds_read_b64 v[66:67], v70 offset:152
	s_cmp_lt_i32 s18, 21
	v_mov_b32_e32 v68, 19
	s_cbranch_scc1 .LBB60_321
; %bb.319:
	v_add_u32_e32 v75, 0xa0, v70
	s_mov_b32 s0, 20
	v_mov_b32_e32 v68, 19
.LBB60_320:                             ; =>This Inner Loop Header: Depth=1
	ds_read_b64 v[76:77], v75
	v_mov_b32_e32 v78, s0
	s_add_i32 s0, s0, 1
	v_add_u32_e32 v75, 8, v75
	s_cmp_lg_u32 s18, s0
	s_waitcnt lgkmcnt(0)
	v_cmp_lt_f64_e64 vcc, |v[66:67]|, |v[76:77]|
	v_cndmask_b32_e32 v67, v67, v77, vcc
	v_cndmask_b32_e32 v66, v66, v76, vcc
	v_cndmask_b32_e32 v68, v68, v78, vcc
	s_cbranch_scc1 .LBB60_320
.LBB60_321:
	s_waitcnt lgkmcnt(0)
	v_cmp_eq_f64_e32 vcc, 0, v[66:67]
	s_and_saveexec_b64 s[0:1], vcc
	s_xor_b64 s[0:1], exec, s[0:1]
; %bb.322:
	v_cmp_ne_u32_e32 vcc, 0, v74
	v_cndmask_b32_e32 v74, 20, v74, vcc
; %bb.323:
	s_andn2_saveexec_b64 s[0:1], s[0:1]
; %bb.324:
	v_div_scale_f64 v[76:77], s[2:3], v[66:67], v[66:67], 1.0
	v_rcp_f64_e32 v[78:79], v[76:77]
	v_div_scale_f64 v[80:81], vcc, 1.0, v[66:67], 1.0
	v_fma_f64 v[82:83], -v[76:77], v[78:79], 1.0
	v_fmac_f64_e32 v[78:79], v[78:79], v[82:83]
	v_fma_f64 v[82:83], -v[76:77], v[78:79], 1.0
	v_fmac_f64_e32 v[78:79], v[78:79], v[82:83]
	v_mul_f64 v[82:83], v[80:81], v[78:79]
	v_fma_f64 v[76:77], -v[76:77], v[82:83], v[80:81]
	v_div_fmas_f64 v[76:77], v[76:77], v[78:79], v[82:83]
	v_div_fixup_f64 v[66:67], v[76:77], v[66:67], 1.0
; %bb.325:
	s_or_b64 exec, exec, s[0:1]
	v_cmp_ne_u32_e32 vcc, v71, v68
	s_and_saveexec_b64 s[0:1], vcc
	s_xor_b64 s[0:1], exec, s[0:1]
	s_cbranch_execz .LBB60_331
; %bb.326:
	v_cmp_eq_u32_e32 vcc, 19, v71
	s_and_saveexec_b64 s[2:3], vcc
	s_cbranch_execz .LBB60_330
; %bb.327:
	v_cmp_ne_u32_e32 vcc, 19, v68
	s_xor_b64 s[14:15], s[6:7], -1
	s_and_b64 s[16:17], s[14:15], vcc
	s_and_saveexec_b64 s[14:15], s[16:17]
	s_cbranch_execz .LBB60_329
; %bb.328:
	v_ashrrev_i32_e32 v69, 31, v68
	v_lshlrev_b64 v[76:77], 2, v[68:69]
	v_add_co_u32_e32 v76, vcc, v4, v76
	v_addc_co_u32_e32 v77, vcc, v5, v77, vcc
	flat_load_dword v69, v[76:77]
	flat_load_dword v71, v[4:5] offset:76
	s_waitcnt vmcnt(0) lgkmcnt(0)
	flat_store_dword v[4:5], v69 offset:76
	flat_store_dword v[76:77], v71
.LBB60_329:
	s_or_b64 exec, exec, s[14:15]
	v_mov_b32_e32 v69, v68
	v_mov_b32_e32 v71, v68
.LBB60_330:
	s_or_b64 exec, exec, s[2:3]
.LBB60_331:
	s_andn2_saveexec_b64 s[0:1], s[0:1]
	s_cbranch_execz .LBB60_333
; %bb.332:
	v_mov_b32_e32 v76, v22
	v_mov_b32_e32 v77, v23
	v_mov_b32_e32 v78, v20
	v_mov_b32_e32 v79, v21
	ds_write2_b64 v70, v[76:77], v[78:79] offset0:20 offset1:21
	v_mov_b32_e32 v76, v18
	v_mov_b32_e32 v77, v19
	v_mov_b32_e32 v78, v16
	v_mov_b32_e32 v79, v17
	ds_write2_b64 v70, v[76:77], v[78:79] offset0:22 offset1:23
	;; [unrolled: 5-line block ×4, first 2 shown]
	v_mov_b32_e32 v76, v6
	v_mov_b32_e32 v77, v7
	;; [unrolled: 1-line block ×5, first 2 shown]
	ds_write2_b64 v70, v[76:77], v[78:79] offset0:28 offset1:29
	ds_write_b64 v70, v[64:65] offset:240
.LBB60_333:
	s_or_b64 exec, exec, s[0:1]
	v_cmp_lt_i32_e32 vcc, 19, v71
	s_waitcnt lgkmcnt(0)
	s_barrier
	s_and_saveexec_b64 s[0:1], vcc
	s_cbranch_execz .LBB60_335
; %bb.334:
	ds_read2_b64 v[76:79], v70 offset0:20 offset1:21
	ds_read2_b64 v[80:83], v70 offset0:22 offset1:23
	v_mul_f64 v[24:25], v[66:67], v[24:25]
	ds_read2_b64 v[84:87], v70 offset0:24 offset1:25
	ds_read_b64 v[66:67], v70 offset:240
	s_waitcnt lgkmcnt(0)
	v_fma_f64 v[22:23], -v[24:25], v[76:77], v[22:23]
	v_fma_f64 v[20:21], -v[24:25], v[78:79], v[20:21]
	ds_read2_b64 v[76:79], v70 offset0:26 offset1:27
	v_fma_f64 v[18:19], -v[24:25], v[80:81], v[18:19]
	v_fma_f64 v[16:17], -v[24:25], v[82:83], v[16:17]
	ds_read2_b64 v[80:83], v70 offset0:28 offset1:29
	v_fma_f64 v[14:15], -v[24:25], v[84:85], v[14:15]
	v_fma_f64 v[12:13], -v[24:25], v[86:87], v[12:13]
	s_waitcnt lgkmcnt(0)
	v_fma_f64 v[10:11], -v[24:25], v[76:77], v[10:11]
	v_fma_f64 v[8:9], -v[24:25], v[78:79], v[8:9]
	;; [unrolled: 1-line block ×5, first 2 shown]
.LBB60_335:
	s_or_b64 exec, exec, s[0:1]
	v_lshl_add_u32 v66, v71, 3, v70
	s_barrier
	ds_write_b64 v66, v[22:23]
	s_waitcnt lgkmcnt(0)
	s_barrier
	ds_read_b64 v[66:67], v70 offset:160
	s_cmp_lt_i32 s18, 22
	v_mov_b32_e32 v68, 20
	s_cbranch_scc1 .LBB60_338
; %bb.336:
	v_add_u32_e32 v75, 0xa8, v70
	s_mov_b32 s0, 21
	v_mov_b32_e32 v68, 20
.LBB60_337:                             ; =>This Inner Loop Header: Depth=1
	ds_read_b64 v[76:77], v75
	v_mov_b32_e32 v78, s0
	s_add_i32 s0, s0, 1
	v_add_u32_e32 v75, 8, v75
	s_cmp_lg_u32 s18, s0
	s_waitcnt lgkmcnt(0)
	v_cmp_lt_f64_e64 vcc, |v[66:67]|, |v[76:77]|
	v_cndmask_b32_e32 v67, v67, v77, vcc
	v_cndmask_b32_e32 v66, v66, v76, vcc
	;; [unrolled: 1-line block ×3, first 2 shown]
	s_cbranch_scc1 .LBB60_337
.LBB60_338:
	s_waitcnt lgkmcnt(0)
	v_cmp_eq_f64_e32 vcc, 0, v[66:67]
	s_and_saveexec_b64 s[0:1], vcc
	s_xor_b64 s[0:1], exec, s[0:1]
; %bb.339:
	v_cmp_ne_u32_e32 vcc, 0, v74
	v_cndmask_b32_e32 v74, 21, v74, vcc
; %bb.340:
	s_andn2_saveexec_b64 s[0:1], s[0:1]
; %bb.341:
	v_div_scale_f64 v[76:77], s[2:3], v[66:67], v[66:67], 1.0
	v_rcp_f64_e32 v[78:79], v[76:77]
	v_div_scale_f64 v[80:81], vcc, 1.0, v[66:67], 1.0
	v_fma_f64 v[82:83], -v[76:77], v[78:79], 1.0
	v_fmac_f64_e32 v[78:79], v[78:79], v[82:83]
	v_fma_f64 v[82:83], -v[76:77], v[78:79], 1.0
	v_fmac_f64_e32 v[78:79], v[78:79], v[82:83]
	v_mul_f64 v[82:83], v[80:81], v[78:79]
	v_fma_f64 v[76:77], -v[76:77], v[82:83], v[80:81]
	v_div_fmas_f64 v[76:77], v[76:77], v[78:79], v[82:83]
	v_div_fixup_f64 v[66:67], v[76:77], v[66:67], 1.0
; %bb.342:
	s_or_b64 exec, exec, s[0:1]
	v_cmp_ne_u32_e32 vcc, v71, v68
	s_and_saveexec_b64 s[0:1], vcc
	s_xor_b64 s[0:1], exec, s[0:1]
	s_cbranch_execz .LBB60_348
; %bb.343:
	v_cmp_eq_u32_e32 vcc, 20, v71
	s_and_saveexec_b64 s[2:3], vcc
	s_cbranch_execz .LBB60_347
; %bb.344:
	v_cmp_ne_u32_e32 vcc, 20, v68
	s_xor_b64 s[14:15], s[6:7], -1
	s_and_b64 s[16:17], s[14:15], vcc
	s_and_saveexec_b64 s[14:15], s[16:17]
	s_cbranch_execz .LBB60_346
; %bb.345:
	v_ashrrev_i32_e32 v69, 31, v68
	v_lshlrev_b64 v[76:77], 2, v[68:69]
	v_add_co_u32_e32 v76, vcc, v4, v76
	v_addc_co_u32_e32 v77, vcc, v5, v77, vcc
	flat_load_dword v69, v[76:77]
	flat_load_dword v71, v[4:5] offset:80
	s_waitcnt vmcnt(0) lgkmcnt(0)
	flat_store_dword v[4:5], v69 offset:80
	flat_store_dword v[76:77], v71
.LBB60_346:
	s_or_b64 exec, exec, s[14:15]
	v_mov_b32_e32 v69, v68
	v_mov_b32_e32 v71, v68
.LBB60_347:
	s_or_b64 exec, exec, s[2:3]
.LBB60_348:
	s_andn2_saveexec_b64 s[0:1], s[0:1]
	s_cbranch_execz .LBB60_350
; %bb.349:
	v_mov_b32_e32 v71, 20
	ds_write2_b64 v70, v[20:21], v[18:19] offset0:21 offset1:22
	ds_write2_b64 v70, v[16:17], v[14:15] offset0:23 offset1:24
	;; [unrolled: 1-line block ×5, first 2 shown]
.LBB60_350:
	s_or_b64 exec, exec, s[0:1]
	v_cmp_lt_i32_e32 vcc, 20, v71
	s_waitcnt lgkmcnt(0)
	s_barrier
	s_and_saveexec_b64 s[0:1], vcc
	s_cbranch_execz .LBB60_352
; %bb.351:
	ds_read2_b64 v[76:79], v70 offset0:21 offset1:22
	ds_read2_b64 v[80:83], v70 offset0:23 offset1:24
	v_mul_f64 v[22:23], v[66:67], v[22:23]
	ds_read2_b64 v[84:87], v70 offset0:27 offset1:28
	s_waitcnt lgkmcnt(0)
	v_fma_f64 v[20:21], -v[22:23], v[76:77], v[20:21]
	v_fma_f64 v[18:19], -v[22:23], v[78:79], v[18:19]
	ds_read2_b64 v[76:79], v70 offset0:25 offset1:26
	v_fma_f64 v[16:17], -v[22:23], v[80:81], v[16:17]
	v_fma_f64 v[14:15], -v[22:23], v[82:83], v[14:15]
	ds_read2_b64 v[80:83], v70 offset0:29 offset1:30
	v_fma_f64 v[8:9], -v[22:23], v[84:85], v[8:9]
	s_waitcnt lgkmcnt(0)
	v_fma_f64 v[12:13], -v[22:23], v[76:77], v[12:13]
	v_fma_f64 v[10:11], -v[22:23], v[78:79], v[10:11]
	;; [unrolled: 1-line block ×5, first 2 shown]
.LBB60_352:
	s_or_b64 exec, exec, s[0:1]
	v_lshl_add_u32 v66, v71, 3, v70
	s_barrier
	ds_write_b64 v66, v[20:21]
	s_waitcnt lgkmcnt(0)
	s_barrier
	ds_read_b64 v[66:67], v70 offset:168
	s_cmp_lt_i32 s18, 23
	v_mov_b32_e32 v68, 21
	s_cbranch_scc1 .LBB60_355
; %bb.353:
	v_add_u32_e32 v75, 0xb0, v70
	s_mov_b32 s0, 22
	v_mov_b32_e32 v68, 21
.LBB60_354:                             ; =>This Inner Loop Header: Depth=1
	ds_read_b64 v[76:77], v75
	v_mov_b32_e32 v78, s0
	s_add_i32 s0, s0, 1
	v_add_u32_e32 v75, 8, v75
	s_cmp_lg_u32 s18, s0
	s_waitcnt lgkmcnt(0)
	v_cmp_lt_f64_e64 vcc, |v[66:67]|, |v[76:77]|
	v_cndmask_b32_e32 v67, v67, v77, vcc
	v_cndmask_b32_e32 v66, v66, v76, vcc
	;; [unrolled: 1-line block ×3, first 2 shown]
	s_cbranch_scc1 .LBB60_354
.LBB60_355:
	s_waitcnt lgkmcnt(0)
	v_cmp_eq_f64_e32 vcc, 0, v[66:67]
	s_and_saveexec_b64 s[0:1], vcc
	s_xor_b64 s[0:1], exec, s[0:1]
; %bb.356:
	v_cmp_ne_u32_e32 vcc, 0, v74
	v_cndmask_b32_e32 v74, 22, v74, vcc
; %bb.357:
	s_andn2_saveexec_b64 s[0:1], s[0:1]
; %bb.358:
	v_div_scale_f64 v[76:77], s[2:3], v[66:67], v[66:67], 1.0
	v_rcp_f64_e32 v[78:79], v[76:77]
	v_div_scale_f64 v[80:81], vcc, 1.0, v[66:67], 1.0
	v_fma_f64 v[82:83], -v[76:77], v[78:79], 1.0
	v_fmac_f64_e32 v[78:79], v[78:79], v[82:83]
	v_fma_f64 v[82:83], -v[76:77], v[78:79], 1.0
	v_fmac_f64_e32 v[78:79], v[78:79], v[82:83]
	v_mul_f64 v[82:83], v[80:81], v[78:79]
	v_fma_f64 v[76:77], -v[76:77], v[82:83], v[80:81]
	v_div_fmas_f64 v[76:77], v[76:77], v[78:79], v[82:83]
	v_div_fixup_f64 v[66:67], v[76:77], v[66:67], 1.0
; %bb.359:
	s_or_b64 exec, exec, s[0:1]
	v_cmp_ne_u32_e32 vcc, v71, v68
	s_and_saveexec_b64 s[0:1], vcc
	s_xor_b64 s[0:1], exec, s[0:1]
	s_cbranch_execz .LBB60_365
; %bb.360:
	v_cmp_eq_u32_e32 vcc, 21, v71
	s_and_saveexec_b64 s[2:3], vcc
	s_cbranch_execz .LBB60_364
; %bb.361:
	v_cmp_ne_u32_e32 vcc, 21, v68
	s_xor_b64 s[14:15], s[6:7], -1
	s_and_b64 s[16:17], s[14:15], vcc
	s_and_saveexec_b64 s[14:15], s[16:17]
	s_cbranch_execz .LBB60_363
; %bb.362:
	v_ashrrev_i32_e32 v69, 31, v68
	v_lshlrev_b64 v[76:77], 2, v[68:69]
	v_add_co_u32_e32 v76, vcc, v4, v76
	v_addc_co_u32_e32 v77, vcc, v5, v77, vcc
	flat_load_dword v69, v[76:77]
	flat_load_dword v71, v[4:5] offset:84
	s_waitcnt vmcnt(0) lgkmcnt(0)
	flat_store_dword v[4:5], v69 offset:84
	flat_store_dword v[76:77], v71
.LBB60_363:
	s_or_b64 exec, exec, s[14:15]
	v_mov_b32_e32 v69, v68
	v_mov_b32_e32 v71, v68
.LBB60_364:
	s_or_b64 exec, exec, s[2:3]
.LBB60_365:
	s_andn2_saveexec_b64 s[0:1], s[0:1]
	s_cbranch_execz .LBB60_367
; %bb.366:
	v_mov_b32_e32 v76, v18
	v_mov_b32_e32 v77, v19
	v_mov_b32_e32 v78, v16
	v_mov_b32_e32 v79, v17
	ds_write2_b64 v70, v[76:77], v[78:79] offset0:22 offset1:23
	v_mov_b32_e32 v76, v14
	v_mov_b32_e32 v77, v15
	v_mov_b32_e32 v78, v12
	v_mov_b32_e32 v79, v13
	ds_write2_b64 v70, v[76:77], v[78:79] offset0:24 offset1:25
	;; [unrolled: 5-line block ×3, first 2 shown]
	v_mov_b32_e32 v76, v6
	v_mov_b32_e32 v77, v7
	;; [unrolled: 1-line block ×5, first 2 shown]
	ds_write2_b64 v70, v[76:77], v[78:79] offset0:28 offset1:29
	ds_write_b64 v70, v[64:65] offset:240
.LBB60_367:
	s_or_b64 exec, exec, s[0:1]
	v_cmp_lt_i32_e32 vcc, 21, v71
	s_waitcnt lgkmcnt(0)
	s_barrier
	s_and_saveexec_b64 s[0:1], vcc
	s_cbranch_execz .LBB60_369
; %bb.368:
	ds_read2_b64 v[76:79], v70 offset0:22 offset1:23
	ds_read2_b64 v[80:83], v70 offset0:24 offset1:25
	v_mul_f64 v[20:21], v[66:67], v[20:21]
	ds_read_b64 v[66:67], v70 offset:240
	ds_read2_b64 v[84:87], v70 offset0:28 offset1:29
	s_waitcnt lgkmcnt(0)
	v_fma_f64 v[18:19], -v[20:21], v[76:77], v[18:19]
	v_fma_f64 v[16:17], -v[20:21], v[78:79], v[16:17]
	ds_read2_b64 v[76:79], v70 offset0:26 offset1:27
	v_fma_f64 v[14:15], -v[20:21], v[80:81], v[14:15]
	v_fma_f64 v[12:13], -v[20:21], v[82:83], v[12:13]
	;; [unrolled: 1-line block ×4, first 2 shown]
	s_waitcnt lgkmcnt(0)
	v_fma_f64 v[10:11], -v[20:21], v[76:77], v[10:11]
	v_fma_f64 v[8:9], -v[20:21], v[78:79], v[8:9]
	;; [unrolled: 1-line block ×3, first 2 shown]
.LBB60_369:
	s_or_b64 exec, exec, s[0:1]
	v_lshl_add_u32 v66, v71, 3, v70
	s_barrier
	ds_write_b64 v66, v[18:19]
	s_waitcnt lgkmcnt(0)
	s_barrier
	ds_read_b64 v[66:67], v70 offset:176
	s_cmp_lt_i32 s18, 24
	v_mov_b32_e32 v68, 22
	s_cbranch_scc1 .LBB60_372
; %bb.370:
	v_add_u32_e32 v75, 0xb8, v70
	s_mov_b32 s0, 23
	v_mov_b32_e32 v68, 22
.LBB60_371:                             ; =>This Inner Loop Header: Depth=1
	ds_read_b64 v[76:77], v75
	v_mov_b32_e32 v78, s0
	s_add_i32 s0, s0, 1
	v_add_u32_e32 v75, 8, v75
	s_cmp_lg_u32 s18, s0
	s_waitcnt lgkmcnt(0)
	v_cmp_lt_f64_e64 vcc, |v[66:67]|, |v[76:77]|
	v_cndmask_b32_e32 v67, v67, v77, vcc
	v_cndmask_b32_e32 v66, v66, v76, vcc
	;; [unrolled: 1-line block ×3, first 2 shown]
	s_cbranch_scc1 .LBB60_371
.LBB60_372:
	s_waitcnt lgkmcnt(0)
	v_cmp_eq_f64_e32 vcc, 0, v[66:67]
	s_and_saveexec_b64 s[0:1], vcc
	s_xor_b64 s[0:1], exec, s[0:1]
; %bb.373:
	v_cmp_ne_u32_e32 vcc, 0, v74
	v_cndmask_b32_e32 v74, 23, v74, vcc
; %bb.374:
	s_andn2_saveexec_b64 s[0:1], s[0:1]
; %bb.375:
	v_div_scale_f64 v[76:77], s[2:3], v[66:67], v[66:67], 1.0
	v_rcp_f64_e32 v[78:79], v[76:77]
	v_div_scale_f64 v[80:81], vcc, 1.0, v[66:67], 1.0
	v_fma_f64 v[82:83], -v[76:77], v[78:79], 1.0
	v_fmac_f64_e32 v[78:79], v[78:79], v[82:83]
	v_fma_f64 v[82:83], -v[76:77], v[78:79], 1.0
	v_fmac_f64_e32 v[78:79], v[78:79], v[82:83]
	v_mul_f64 v[82:83], v[80:81], v[78:79]
	v_fma_f64 v[76:77], -v[76:77], v[82:83], v[80:81]
	v_div_fmas_f64 v[76:77], v[76:77], v[78:79], v[82:83]
	v_div_fixup_f64 v[66:67], v[76:77], v[66:67], 1.0
; %bb.376:
	s_or_b64 exec, exec, s[0:1]
	v_cmp_ne_u32_e32 vcc, v71, v68
	s_and_saveexec_b64 s[0:1], vcc
	s_xor_b64 s[0:1], exec, s[0:1]
	s_cbranch_execz .LBB60_382
; %bb.377:
	v_cmp_eq_u32_e32 vcc, 22, v71
	s_and_saveexec_b64 s[2:3], vcc
	s_cbranch_execz .LBB60_381
; %bb.378:
	v_cmp_ne_u32_e32 vcc, 22, v68
	s_xor_b64 s[14:15], s[6:7], -1
	s_and_b64 s[16:17], s[14:15], vcc
	s_and_saveexec_b64 s[14:15], s[16:17]
	s_cbranch_execz .LBB60_380
; %bb.379:
	v_ashrrev_i32_e32 v69, 31, v68
	v_lshlrev_b64 v[76:77], 2, v[68:69]
	v_add_co_u32_e32 v76, vcc, v4, v76
	v_addc_co_u32_e32 v77, vcc, v5, v77, vcc
	flat_load_dword v69, v[76:77]
	flat_load_dword v71, v[4:5] offset:88
	s_waitcnt vmcnt(0) lgkmcnt(0)
	flat_store_dword v[4:5], v69 offset:88
	flat_store_dword v[76:77], v71
.LBB60_380:
	s_or_b64 exec, exec, s[14:15]
	v_mov_b32_e32 v69, v68
	v_mov_b32_e32 v71, v68
.LBB60_381:
	s_or_b64 exec, exec, s[2:3]
.LBB60_382:
	s_andn2_saveexec_b64 s[0:1], s[0:1]
	s_cbranch_execz .LBB60_384
; %bb.383:
	v_mov_b32_e32 v71, 22
	ds_write2_b64 v70, v[16:17], v[14:15] offset0:23 offset1:24
	ds_write2_b64 v70, v[12:13], v[10:11] offset0:25 offset1:26
	;; [unrolled: 1-line block ×4, first 2 shown]
.LBB60_384:
	s_or_b64 exec, exec, s[0:1]
	v_cmp_lt_i32_e32 vcc, 22, v71
	s_waitcnt lgkmcnt(0)
	s_barrier
	s_and_saveexec_b64 s[0:1], vcc
	s_cbranch_execz .LBB60_386
; %bb.385:
	ds_read2_b64 v[76:79], v70 offset0:23 offset1:24
	ds_read2_b64 v[80:83], v70 offset0:25 offset1:26
	v_mul_f64 v[18:19], v[66:67], v[18:19]
	ds_read2_b64 v[84:87], v70 offset0:27 offset1:28
	s_waitcnt lgkmcnt(0)
	v_fma_f64 v[16:17], -v[18:19], v[76:77], v[16:17]
	v_fma_f64 v[14:15], -v[18:19], v[78:79], v[14:15]
	ds_read2_b64 v[76:79], v70 offset0:29 offset1:30
	v_fma_f64 v[12:13], -v[18:19], v[80:81], v[12:13]
	v_fma_f64 v[10:11], -v[18:19], v[82:83], v[10:11]
	;; [unrolled: 1-line block ×4, first 2 shown]
	s_waitcnt lgkmcnt(0)
	v_fma_f64 v[0:1], -v[18:19], v[76:77], v[0:1]
	v_fma_f64 v[64:65], -v[18:19], v[78:79], v[64:65]
.LBB60_386:
	s_or_b64 exec, exec, s[0:1]
	v_lshl_add_u32 v66, v71, 3, v70
	s_barrier
	ds_write_b64 v66, v[16:17]
	s_waitcnt lgkmcnt(0)
	s_barrier
	ds_read_b64 v[66:67], v70 offset:184
	s_cmp_lt_i32 s18, 25
	v_mov_b32_e32 v68, 23
	s_cbranch_scc1 .LBB60_389
; %bb.387:
	v_add_u32_e32 v75, 0xc0, v70
	s_mov_b32 s0, 24
	v_mov_b32_e32 v68, 23
.LBB60_388:                             ; =>This Inner Loop Header: Depth=1
	ds_read_b64 v[76:77], v75
	v_mov_b32_e32 v78, s0
	s_add_i32 s0, s0, 1
	v_add_u32_e32 v75, 8, v75
	s_cmp_lg_u32 s18, s0
	s_waitcnt lgkmcnt(0)
	v_cmp_lt_f64_e64 vcc, |v[66:67]|, |v[76:77]|
	v_cndmask_b32_e32 v67, v67, v77, vcc
	v_cndmask_b32_e32 v66, v66, v76, vcc
	v_cndmask_b32_e32 v68, v68, v78, vcc
	s_cbranch_scc1 .LBB60_388
.LBB60_389:
	s_waitcnt lgkmcnt(0)
	v_cmp_eq_f64_e32 vcc, 0, v[66:67]
	s_and_saveexec_b64 s[0:1], vcc
	s_xor_b64 s[0:1], exec, s[0:1]
; %bb.390:
	v_cmp_ne_u32_e32 vcc, 0, v74
	v_cndmask_b32_e32 v74, 24, v74, vcc
; %bb.391:
	s_andn2_saveexec_b64 s[0:1], s[0:1]
; %bb.392:
	v_div_scale_f64 v[76:77], s[2:3], v[66:67], v[66:67], 1.0
	v_rcp_f64_e32 v[78:79], v[76:77]
	v_div_scale_f64 v[80:81], vcc, 1.0, v[66:67], 1.0
	v_fma_f64 v[82:83], -v[76:77], v[78:79], 1.0
	v_fmac_f64_e32 v[78:79], v[78:79], v[82:83]
	v_fma_f64 v[82:83], -v[76:77], v[78:79], 1.0
	v_fmac_f64_e32 v[78:79], v[78:79], v[82:83]
	v_mul_f64 v[82:83], v[80:81], v[78:79]
	v_fma_f64 v[76:77], -v[76:77], v[82:83], v[80:81]
	v_div_fmas_f64 v[76:77], v[76:77], v[78:79], v[82:83]
	v_div_fixup_f64 v[66:67], v[76:77], v[66:67], 1.0
; %bb.393:
	s_or_b64 exec, exec, s[0:1]
	v_cmp_ne_u32_e32 vcc, v71, v68
	s_and_saveexec_b64 s[0:1], vcc
	s_xor_b64 s[0:1], exec, s[0:1]
	s_cbranch_execz .LBB60_399
; %bb.394:
	v_cmp_eq_u32_e32 vcc, 23, v71
	s_and_saveexec_b64 s[2:3], vcc
	s_cbranch_execz .LBB60_398
; %bb.395:
	v_cmp_ne_u32_e32 vcc, 23, v68
	s_xor_b64 s[14:15], s[6:7], -1
	s_and_b64 s[16:17], s[14:15], vcc
	s_and_saveexec_b64 s[14:15], s[16:17]
	s_cbranch_execz .LBB60_397
; %bb.396:
	v_ashrrev_i32_e32 v69, 31, v68
	v_lshlrev_b64 v[76:77], 2, v[68:69]
	v_add_co_u32_e32 v76, vcc, v4, v76
	v_addc_co_u32_e32 v77, vcc, v5, v77, vcc
	flat_load_dword v69, v[76:77]
	flat_load_dword v71, v[4:5] offset:92
	s_waitcnt vmcnt(0) lgkmcnt(0)
	flat_store_dword v[4:5], v69 offset:92
	flat_store_dword v[76:77], v71
.LBB60_397:
	s_or_b64 exec, exec, s[14:15]
	v_mov_b32_e32 v69, v68
	v_mov_b32_e32 v71, v68
.LBB60_398:
	s_or_b64 exec, exec, s[2:3]
.LBB60_399:
	s_andn2_saveexec_b64 s[0:1], s[0:1]
	s_cbranch_execz .LBB60_401
; %bb.400:
	v_mov_b32_e32 v76, v14
	v_mov_b32_e32 v77, v15
	;; [unrolled: 1-line block ×4, first 2 shown]
	ds_write2_b64 v70, v[76:77], v[78:79] offset0:24 offset1:25
	v_mov_b32_e32 v76, v10
	v_mov_b32_e32 v77, v11
	;; [unrolled: 1-line block ×4, first 2 shown]
	ds_write2_b64 v70, v[76:77], v[78:79] offset0:26 offset1:27
	v_mov_b32_e32 v76, v6
	v_mov_b32_e32 v77, v7
	;; [unrolled: 1-line block ×5, first 2 shown]
	ds_write2_b64 v70, v[76:77], v[78:79] offset0:28 offset1:29
	ds_write_b64 v70, v[64:65] offset:240
.LBB60_401:
	s_or_b64 exec, exec, s[0:1]
	v_cmp_lt_i32_e32 vcc, 23, v71
	s_waitcnt lgkmcnt(0)
	s_barrier
	s_and_saveexec_b64 s[0:1], vcc
	s_cbranch_execz .LBB60_403
; %bb.402:
	ds_read2_b64 v[76:79], v70 offset0:24 offset1:25
	ds_read2_b64 v[80:83], v70 offset0:26 offset1:27
	v_mul_f64 v[16:17], v[66:67], v[16:17]
	ds_read2_b64 v[84:87], v70 offset0:28 offset1:29
	ds_read_b64 v[66:67], v70 offset:240
	s_waitcnt lgkmcnt(0)
	v_fma_f64 v[14:15], -v[16:17], v[76:77], v[14:15]
	v_fma_f64 v[12:13], -v[16:17], v[78:79], v[12:13]
	;; [unrolled: 1-line block ×7, first 2 shown]
.LBB60_403:
	s_or_b64 exec, exec, s[0:1]
	v_lshl_add_u32 v66, v71, 3, v70
	s_barrier
	ds_write_b64 v66, v[14:15]
	s_waitcnt lgkmcnt(0)
	s_barrier
	ds_read_b64 v[66:67], v70 offset:192
	s_cmp_lt_i32 s18, 26
	v_mov_b32_e32 v68, 24
	s_cbranch_scc1 .LBB60_406
; %bb.404:
	v_add_u32_e32 v75, 0xc8, v70
	s_mov_b32 s0, 25
	v_mov_b32_e32 v68, 24
.LBB60_405:                             ; =>This Inner Loop Header: Depth=1
	ds_read_b64 v[76:77], v75
	v_mov_b32_e32 v78, s0
	s_add_i32 s0, s0, 1
	v_add_u32_e32 v75, 8, v75
	s_cmp_lg_u32 s18, s0
	s_waitcnt lgkmcnt(0)
	v_cmp_lt_f64_e64 vcc, |v[66:67]|, |v[76:77]|
	v_cndmask_b32_e32 v67, v67, v77, vcc
	v_cndmask_b32_e32 v66, v66, v76, vcc
	v_cndmask_b32_e32 v68, v68, v78, vcc
	s_cbranch_scc1 .LBB60_405
.LBB60_406:
	s_waitcnt lgkmcnt(0)
	v_cmp_eq_f64_e32 vcc, 0, v[66:67]
	s_and_saveexec_b64 s[0:1], vcc
	s_xor_b64 s[0:1], exec, s[0:1]
; %bb.407:
	v_cmp_ne_u32_e32 vcc, 0, v74
	v_cndmask_b32_e32 v74, 25, v74, vcc
; %bb.408:
	s_andn2_saveexec_b64 s[0:1], s[0:1]
; %bb.409:
	v_div_scale_f64 v[76:77], s[2:3], v[66:67], v[66:67], 1.0
	v_rcp_f64_e32 v[78:79], v[76:77]
	v_div_scale_f64 v[80:81], vcc, 1.0, v[66:67], 1.0
	v_fma_f64 v[82:83], -v[76:77], v[78:79], 1.0
	v_fmac_f64_e32 v[78:79], v[78:79], v[82:83]
	v_fma_f64 v[82:83], -v[76:77], v[78:79], 1.0
	v_fmac_f64_e32 v[78:79], v[78:79], v[82:83]
	v_mul_f64 v[82:83], v[80:81], v[78:79]
	v_fma_f64 v[76:77], -v[76:77], v[82:83], v[80:81]
	v_div_fmas_f64 v[76:77], v[76:77], v[78:79], v[82:83]
	v_div_fixup_f64 v[66:67], v[76:77], v[66:67], 1.0
; %bb.410:
	s_or_b64 exec, exec, s[0:1]
	v_cmp_ne_u32_e32 vcc, v71, v68
	s_and_saveexec_b64 s[0:1], vcc
	s_xor_b64 s[0:1], exec, s[0:1]
	s_cbranch_execz .LBB60_416
; %bb.411:
	v_cmp_eq_u32_e32 vcc, 24, v71
	s_and_saveexec_b64 s[2:3], vcc
	s_cbranch_execz .LBB60_415
; %bb.412:
	v_cmp_ne_u32_e32 vcc, 24, v68
	s_xor_b64 s[14:15], s[6:7], -1
	s_and_b64 s[16:17], s[14:15], vcc
	s_and_saveexec_b64 s[14:15], s[16:17]
	s_cbranch_execz .LBB60_414
; %bb.413:
	v_ashrrev_i32_e32 v69, 31, v68
	v_lshlrev_b64 v[76:77], 2, v[68:69]
	v_add_co_u32_e32 v76, vcc, v4, v76
	v_addc_co_u32_e32 v77, vcc, v5, v77, vcc
	flat_load_dword v69, v[76:77]
	flat_load_dword v71, v[4:5] offset:96
	s_waitcnt vmcnt(0) lgkmcnt(0)
	flat_store_dword v[4:5], v69 offset:96
	flat_store_dword v[76:77], v71
.LBB60_414:
	s_or_b64 exec, exec, s[14:15]
	v_mov_b32_e32 v69, v68
	v_mov_b32_e32 v71, v68
.LBB60_415:
	s_or_b64 exec, exec, s[2:3]
.LBB60_416:
	s_andn2_saveexec_b64 s[0:1], s[0:1]
	s_cbranch_execz .LBB60_418
; %bb.417:
	v_mov_b32_e32 v71, 24
	ds_write2_b64 v70, v[12:13], v[10:11] offset0:25 offset1:26
	ds_write2_b64 v70, v[8:9], v[6:7] offset0:27 offset1:28
	ds_write2_b64 v70, v[0:1], v[64:65] offset0:29 offset1:30
.LBB60_418:
	s_or_b64 exec, exec, s[0:1]
	v_cmp_lt_i32_e32 vcc, 24, v71
	s_waitcnt lgkmcnt(0)
	s_barrier
	s_and_saveexec_b64 s[0:1], vcc
	s_cbranch_execz .LBB60_420
; %bb.419:
	ds_read2_b64 v[76:79], v70 offset0:25 offset1:26
	ds_read2_b64 v[80:83], v70 offset0:27 offset1:28
	;; [unrolled: 1-line block ×3, first 2 shown]
	v_mul_f64 v[14:15], v[66:67], v[14:15]
	s_waitcnt lgkmcnt(0)
	v_fma_f64 v[12:13], -v[14:15], v[76:77], v[12:13]
	v_fma_f64 v[10:11], -v[14:15], v[78:79], v[10:11]
	;; [unrolled: 1-line block ×6, first 2 shown]
.LBB60_420:
	s_or_b64 exec, exec, s[0:1]
	v_lshl_add_u32 v66, v71, 3, v70
	s_barrier
	ds_write_b64 v66, v[12:13]
	s_waitcnt lgkmcnt(0)
	s_barrier
	ds_read_b64 v[66:67], v70 offset:200
	s_cmp_lt_i32 s18, 27
	v_mov_b32_e32 v68, 25
	s_cbranch_scc1 .LBB60_423
; %bb.421:
	v_add_u32_e32 v75, 0xd0, v70
	s_mov_b32 s0, 26
	v_mov_b32_e32 v68, 25
.LBB60_422:                             ; =>This Inner Loop Header: Depth=1
	ds_read_b64 v[76:77], v75
	v_mov_b32_e32 v78, s0
	s_add_i32 s0, s0, 1
	v_add_u32_e32 v75, 8, v75
	s_cmp_lg_u32 s18, s0
	s_waitcnt lgkmcnt(0)
	v_cmp_lt_f64_e64 vcc, |v[66:67]|, |v[76:77]|
	v_cndmask_b32_e32 v67, v67, v77, vcc
	v_cndmask_b32_e32 v66, v66, v76, vcc
	;; [unrolled: 1-line block ×3, first 2 shown]
	s_cbranch_scc1 .LBB60_422
.LBB60_423:
	s_waitcnt lgkmcnt(0)
	v_cmp_eq_f64_e32 vcc, 0, v[66:67]
	s_and_saveexec_b64 s[0:1], vcc
	s_xor_b64 s[0:1], exec, s[0:1]
; %bb.424:
	v_cmp_ne_u32_e32 vcc, 0, v74
	v_cndmask_b32_e32 v74, 26, v74, vcc
; %bb.425:
	s_andn2_saveexec_b64 s[0:1], s[0:1]
; %bb.426:
	v_div_scale_f64 v[76:77], s[2:3], v[66:67], v[66:67], 1.0
	v_rcp_f64_e32 v[78:79], v[76:77]
	v_div_scale_f64 v[80:81], vcc, 1.0, v[66:67], 1.0
	v_fma_f64 v[82:83], -v[76:77], v[78:79], 1.0
	v_fmac_f64_e32 v[78:79], v[78:79], v[82:83]
	v_fma_f64 v[82:83], -v[76:77], v[78:79], 1.0
	v_fmac_f64_e32 v[78:79], v[78:79], v[82:83]
	v_mul_f64 v[82:83], v[80:81], v[78:79]
	v_fma_f64 v[76:77], -v[76:77], v[82:83], v[80:81]
	v_div_fmas_f64 v[76:77], v[76:77], v[78:79], v[82:83]
	v_div_fixup_f64 v[66:67], v[76:77], v[66:67], 1.0
; %bb.427:
	s_or_b64 exec, exec, s[0:1]
	v_cmp_ne_u32_e32 vcc, v71, v68
	s_and_saveexec_b64 s[0:1], vcc
	s_xor_b64 s[0:1], exec, s[0:1]
	s_cbranch_execz .LBB60_433
; %bb.428:
	v_cmp_eq_u32_e32 vcc, 25, v71
	s_and_saveexec_b64 s[2:3], vcc
	s_cbranch_execz .LBB60_432
; %bb.429:
	v_cmp_ne_u32_e32 vcc, 25, v68
	s_xor_b64 s[14:15], s[6:7], -1
	s_and_b64 s[16:17], s[14:15], vcc
	s_and_saveexec_b64 s[14:15], s[16:17]
	s_cbranch_execz .LBB60_431
; %bb.430:
	v_ashrrev_i32_e32 v69, 31, v68
	v_lshlrev_b64 v[76:77], 2, v[68:69]
	v_add_co_u32_e32 v76, vcc, v4, v76
	v_addc_co_u32_e32 v77, vcc, v5, v77, vcc
	flat_load_dword v69, v[76:77]
	flat_load_dword v71, v[4:5] offset:100
	s_waitcnt vmcnt(0) lgkmcnt(0)
	flat_store_dword v[4:5], v69 offset:100
	flat_store_dword v[76:77], v71
.LBB60_431:
	s_or_b64 exec, exec, s[14:15]
	v_mov_b32_e32 v69, v68
	v_mov_b32_e32 v71, v68
.LBB60_432:
	s_or_b64 exec, exec, s[2:3]
.LBB60_433:
	s_andn2_saveexec_b64 s[0:1], s[0:1]
	s_cbranch_execz .LBB60_435
; %bb.434:
	v_mov_b32_e32 v76, v10
	v_mov_b32_e32 v77, v11
	;; [unrolled: 1-line block ×4, first 2 shown]
	ds_write2_b64 v70, v[76:77], v[78:79] offset0:26 offset1:27
	v_mov_b32_e32 v76, v6
	v_mov_b32_e32 v77, v7
	;; [unrolled: 1-line block ×5, first 2 shown]
	ds_write2_b64 v70, v[76:77], v[78:79] offset0:28 offset1:29
	ds_write_b64 v70, v[64:65] offset:240
.LBB60_435:
	s_or_b64 exec, exec, s[0:1]
	v_cmp_lt_i32_e32 vcc, 25, v71
	s_waitcnt lgkmcnt(0)
	s_barrier
	s_and_saveexec_b64 s[0:1], vcc
	s_cbranch_execz .LBB60_437
; %bb.436:
	ds_read2_b64 v[76:79], v70 offset0:26 offset1:27
	ds_read2_b64 v[80:83], v70 offset0:28 offset1:29
	v_mul_f64 v[12:13], v[66:67], v[12:13]
	ds_read_b64 v[66:67], v70 offset:240
	s_waitcnt lgkmcnt(0)
	v_fma_f64 v[10:11], -v[12:13], v[76:77], v[10:11]
	v_fma_f64 v[8:9], -v[12:13], v[78:79], v[8:9]
	;; [unrolled: 1-line block ×5, first 2 shown]
.LBB60_437:
	s_or_b64 exec, exec, s[0:1]
	v_lshl_add_u32 v66, v71, 3, v70
	s_barrier
	ds_write_b64 v66, v[10:11]
	s_waitcnt lgkmcnt(0)
	s_barrier
	ds_read_b64 v[66:67], v70 offset:208
	s_cmp_lt_i32 s18, 28
	v_mov_b32_e32 v68, 26
	s_cbranch_scc1 .LBB60_440
; %bb.438:
	v_add_u32_e32 v75, 0xd8, v70
	s_mov_b32 s0, 27
	v_mov_b32_e32 v68, 26
.LBB60_439:                             ; =>This Inner Loop Header: Depth=1
	ds_read_b64 v[76:77], v75
	v_mov_b32_e32 v78, s0
	s_add_i32 s0, s0, 1
	v_add_u32_e32 v75, 8, v75
	s_cmp_lg_u32 s18, s0
	s_waitcnt lgkmcnt(0)
	v_cmp_lt_f64_e64 vcc, |v[66:67]|, |v[76:77]|
	v_cndmask_b32_e32 v67, v67, v77, vcc
	v_cndmask_b32_e32 v66, v66, v76, vcc
	;; [unrolled: 1-line block ×3, first 2 shown]
	s_cbranch_scc1 .LBB60_439
.LBB60_440:
	s_waitcnt lgkmcnt(0)
	v_cmp_eq_f64_e32 vcc, 0, v[66:67]
	s_and_saveexec_b64 s[0:1], vcc
	s_xor_b64 s[0:1], exec, s[0:1]
; %bb.441:
	v_cmp_ne_u32_e32 vcc, 0, v74
	v_cndmask_b32_e32 v74, 27, v74, vcc
; %bb.442:
	s_andn2_saveexec_b64 s[0:1], s[0:1]
; %bb.443:
	v_div_scale_f64 v[76:77], s[2:3], v[66:67], v[66:67], 1.0
	v_rcp_f64_e32 v[78:79], v[76:77]
	v_div_scale_f64 v[80:81], vcc, 1.0, v[66:67], 1.0
	v_fma_f64 v[82:83], -v[76:77], v[78:79], 1.0
	v_fmac_f64_e32 v[78:79], v[78:79], v[82:83]
	v_fma_f64 v[82:83], -v[76:77], v[78:79], 1.0
	v_fmac_f64_e32 v[78:79], v[78:79], v[82:83]
	v_mul_f64 v[82:83], v[80:81], v[78:79]
	v_fma_f64 v[76:77], -v[76:77], v[82:83], v[80:81]
	v_div_fmas_f64 v[76:77], v[76:77], v[78:79], v[82:83]
	v_div_fixup_f64 v[66:67], v[76:77], v[66:67], 1.0
; %bb.444:
	s_or_b64 exec, exec, s[0:1]
	v_cmp_ne_u32_e32 vcc, v71, v68
	s_and_saveexec_b64 s[0:1], vcc
	s_xor_b64 s[0:1], exec, s[0:1]
	s_cbranch_execz .LBB60_450
; %bb.445:
	v_cmp_eq_u32_e32 vcc, 26, v71
	s_and_saveexec_b64 s[2:3], vcc
	s_cbranch_execz .LBB60_449
; %bb.446:
	v_cmp_ne_u32_e32 vcc, 26, v68
	s_xor_b64 s[14:15], s[6:7], -1
	s_and_b64 s[16:17], s[14:15], vcc
	s_and_saveexec_b64 s[14:15], s[16:17]
	s_cbranch_execz .LBB60_448
; %bb.447:
	v_ashrrev_i32_e32 v69, 31, v68
	v_lshlrev_b64 v[76:77], 2, v[68:69]
	v_add_co_u32_e32 v76, vcc, v4, v76
	v_addc_co_u32_e32 v77, vcc, v5, v77, vcc
	flat_load_dword v69, v[76:77]
	flat_load_dword v71, v[4:5] offset:104
	s_waitcnt vmcnt(0) lgkmcnt(0)
	flat_store_dword v[4:5], v69 offset:104
	flat_store_dword v[76:77], v71
.LBB60_448:
	s_or_b64 exec, exec, s[14:15]
	v_mov_b32_e32 v69, v68
	v_mov_b32_e32 v71, v68
.LBB60_449:
	s_or_b64 exec, exec, s[2:3]
.LBB60_450:
	s_andn2_saveexec_b64 s[0:1], s[0:1]
	s_cbranch_execz .LBB60_452
; %bb.451:
	v_mov_b32_e32 v71, 26
	ds_write2_b64 v70, v[8:9], v[6:7] offset0:27 offset1:28
	ds_write2_b64 v70, v[0:1], v[64:65] offset0:29 offset1:30
.LBB60_452:
	s_or_b64 exec, exec, s[0:1]
	v_cmp_lt_i32_e32 vcc, 26, v71
	s_waitcnt lgkmcnt(0)
	s_barrier
	s_and_saveexec_b64 s[0:1], vcc
	s_cbranch_execz .LBB60_454
; %bb.453:
	ds_read2_b64 v[76:79], v70 offset0:27 offset1:28
	ds_read2_b64 v[80:83], v70 offset0:29 offset1:30
	v_mul_f64 v[10:11], v[66:67], v[10:11]
	s_waitcnt lgkmcnt(0)
	v_fma_f64 v[8:9], -v[10:11], v[76:77], v[8:9]
	v_fma_f64 v[6:7], -v[10:11], v[78:79], v[6:7]
	;; [unrolled: 1-line block ×4, first 2 shown]
.LBB60_454:
	s_or_b64 exec, exec, s[0:1]
	v_lshl_add_u32 v66, v71, 3, v70
	s_barrier
	ds_write_b64 v66, v[8:9]
	s_waitcnt lgkmcnt(0)
	s_barrier
	ds_read_b64 v[66:67], v70 offset:216
	s_cmp_lt_i32 s18, 29
	v_mov_b32_e32 v68, 27
	s_cbranch_scc1 .LBB60_457
; %bb.455:
	v_add_u32_e32 v75, 0xe0, v70
	s_mov_b32 s0, 28
	v_mov_b32_e32 v68, 27
.LBB60_456:                             ; =>This Inner Loop Header: Depth=1
	ds_read_b64 v[76:77], v75
	v_mov_b32_e32 v78, s0
	s_add_i32 s0, s0, 1
	v_add_u32_e32 v75, 8, v75
	s_cmp_lg_u32 s18, s0
	s_waitcnt lgkmcnt(0)
	v_cmp_lt_f64_e64 vcc, |v[66:67]|, |v[76:77]|
	v_cndmask_b32_e32 v67, v67, v77, vcc
	v_cndmask_b32_e32 v66, v66, v76, vcc
	v_cndmask_b32_e32 v68, v68, v78, vcc
	s_cbranch_scc1 .LBB60_456
.LBB60_457:
	s_waitcnt lgkmcnt(0)
	v_cmp_eq_f64_e32 vcc, 0, v[66:67]
	s_and_saveexec_b64 s[0:1], vcc
	s_xor_b64 s[0:1], exec, s[0:1]
; %bb.458:
	v_cmp_ne_u32_e32 vcc, 0, v74
	v_cndmask_b32_e32 v74, 28, v74, vcc
; %bb.459:
	s_andn2_saveexec_b64 s[0:1], s[0:1]
; %bb.460:
	v_div_scale_f64 v[76:77], s[2:3], v[66:67], v[66:67], 1.0
	v_rcp_f64_e32 v[78:79], v[76:77]
	v_div_scale_f64 v[80:81], vcc, 1.0, v[66:67], 1.0
	v_fma_f64 v[82:83], -v[76:77], v[78:79], 1.0
	v_fmac_f64_e32 v[78:79], v[78:79], v[82:83]
	v_fma_f64 v[82:83], -v[76:77], v[78:79], 1.0
	v_fmac_f64_e32 v[78:79], v[78:79], v[82:83]
	v_mul_f64 v[82:83], v[80:81], v[78:79]
	v_fma_f64 v[76:77], -v[76:77], v[82:83], v[80:81]
	v_div_fmas_f64 v[76:77], v[76:77], v[78:79], v[82:83]
	v_div_fixup_f64 v[66:67], v[76:77], v[66:67], 1.0
; %bb.461:
	s_or_b64 exec, exec, s[0:1]
	v_cmp_ne_u32_e32 vcc, v71, v68
	s_and_saveexec_b64 s[0:1], vcc
	s_xor_b64 s[0:1], exec, s[0:1]
	s_cbranch_execz .LBB60_467
; %bb.462:
	v_cmp_eq_u32_e32 vcc, 27, v71
	s_and_saveexec_b64 s[2:3], vcc
	s_cbranch_execz .LBB60_466
; %bb.463:
	v_cmp_ne_u32_e32 vcc, 27, v68
	s_xor_b64 s[14:15], s[6:7], -1
	s_and_b64 s[16:17], s[14:15], vcc
	s_and_saveexec_b64 s[14:15], s[16:17]
	s_cbranch_execz .LBB60_465
; %bb.464:
	v_ashrrev_i32_e32 v69, 31, v68
	v_lshlrev_b64 v[76:77], 2, v[68:69]
	v_add_co_u32_e32 v76, vcc, v4, v76
	v_addc_co_u32_e32 v77, vcc, v5, v77, vcc
	flat_load_dword v69, v[76:77]
	flat_load_dword v71, v[4:5] offset:108
	s_waitcnt vmcnt(0) lgkmcnt(0)
	flat_store_dword v[4:5], v69 offset:108
	flat_store_dword v[76:77], v71
.LBB60_465:
	s_or_b64 exec, exec, s[14:15]
	v_mov_b32_e32 v69, v68
	v_mov_b32_e32 v71, v68
.LBB60_466:
	s_or_b64 exec, exec, s[2:3]
.LBB60_467:
	s_andn2_saveexec_b64 s[0:1], s[0:1]
	s_cbranch_execz .LBB60_469
; %bb.468:
	v_mov_b32_e32 v76, v6
	v_mov_b32_e32 v77, v7
	;; [unrolled: 1-line block ×5, first 2 shown]
	ds_write2_b64 v70, v[76:77], v[78:79] offset0:28 offset1:29
	ds_write_b64 v70, v[64:65] offset:240
.LBB60_469:
	s_or_b64 exec, exec, s[0:1]
	v_cmp_lt_i32_e32 vcc, 27, v71
	s_waitcnt lgkmcnt(0)
	s_barrier
	s_and_saveexec_b64 s[0:1], vcc
	s_cbranch_execz .LBB60_471
; %bb.470:
	ds_read2_b64 v[76:79], v70 offset0:28 offset1:29
	ds_read_b64 v[80:81], v70 offset:240
	v_mul_f64 v[8:9], v[66:67], v[8:9]
	s_waitcnt lgkmcnt(0)
	v_fma_f64 v[6:7], -v[8:9], v[76:77], v[6:7]
	v_fma_f64 v[0:1], -v[8:9], v[78:79], v[0:1]
	;; [unrolled: 1-line block ×3, first 2 shown]
.LBB60_471:
	s_or_b64 exec, exec, s[0:1]
	v_lshl_add_u32 v66, v71, 3, v70
	s_barrier
	ds_write_b64 v66, v[6:7]
	s_waitcnt lgkmcnt(0)
	s_barrier
	ds_read_b64 v[66:67], v70 offset:224
	s_cmp_lt_i32 s18, 30
	v_mov_b32_e32 v68, 28
	s_cbranch_scc1 .LBB60_474
; %bb.472:
	v_add_u32_e32 v75, 0xe8, v70
	s_mov_b32 s0, 29
	v_mov_b32_e32 v68, 28
.LBB60_473:                             ; =>This Inner Loop Header: Depth=1
	ds_read_b64 v[76:77], v75
	v_mov_b32_e32 v78, s0
	s_add_i32 s0, s0, 1
	v_add_u32_e32 v75, 8, v75
	s_cmp_lg_u32 s18, s0
	s_waitcnt lgkmcnt(0)
	v_cmp_lt_f64_e64 vcc, |v[66:67]|, |v[76:77]|
	v_cndmask_b32_e32 v67, v67, v77, vcc
	v_cndmask_b32_e32 v66, v66, v76, vcc
	;; [unrolled: 1-line block ×3, first 2 shown]
	s_cbranch_scc1 .LBB60_473
.LBB60_474:
	s_waitcnt lgkmcnt(0)
	v_cmp_eq_f64_e32 vcc, 0, v[66:67]
	s_and_saveexec_b64 s[0:1], vcc
	s_xor_b64 s[0:1], exec, s[0:1]
; %bb.475:
	v_cmp_ne_u32_e32 vcc, 0, v74
	v_cndmask_b32_e32 v74, 29, v74, vcc
; %bb.476:
	s_andn2_saveexec_b64 s[0:1], s[0:1]
; %bb.477:
	v_div_scale_f64 v[76:77], s[2:3], v[66:67], v[66:67], 1.0
	v_rcp_f64_e32 v[78:79], v[76:77]
	v_div_scale_f64 v[80:81], vcc, 1.0, v[66:67], 1.0
	v_fma_f64 v[82:83], -v[76:77], v[78:79], 1.0
	v_fmac_f64_e32 v[78:79], v[78:79], v[82:83]
	v_fma_f64 v[82:83], -v[76:77], v[78:79], 1.0
	v_fmac_f64_e32 v[78:79], v[78:79], v[82:83]
	v_mul_f64 v[82:83], v[80:81], v[78:79]
	v_fma_f64 v[76:77], -v[76:77], v[82:83], v[80:81]
	v_div_fmas_f64 v[76:77], v[76:77], v[78:79], v[82:83]
	v_div_fixup_f64 v[66:67], v[76:77], v[66:67], 1.0
; %bb.478:
	s_or_b64 exec, exec, s[0:1]
	v_cmp_ne_u32_e32 vcc, v71, v68
	s_and_saveexec_b64 s[0:1], vcc
	s_xor_b64 s[0:1], exec, s[0:1]
	s_cbranch_execz .LBB60_484
; %bb.479:
	v_cmp_eq_u32_e32 vcc, 28, v71
	s_and_saveexec_b64 s[2:3], vcc
	s_cbranch_execz .LBB60_483
; %bb.480:
	v_cmp_ne_u32_e32 vcc, 28, v68
	s_xor_b64 s[14:15], s[6:7], -1
	s_and_b64 s[16:17], s[14:15], vcc
	s_and_saveexec_b64 s[14:15], s[16:17]
	s_cbranch_execz .LBB60_482
; %bb.481:
	v_ashrrev_i32_e32 v69, 31, v68
	v_lshlrev_b64 v[76:77], 2, v[68:69]
	v_add_co_u32_e32 v76, vcc, v4, v76
	v_addc_co_u32_e32 v77, vcc, v5, v77, vcc
	flat_load_dword v69, v[76:77]
	flat_load_dword v71, v[4:5] offset:112
	s_waitcnt vmcnt(0) lgkmcnt(0)
	flat_store_dword v[4:5], v69 offset:112
	flat_store_dword v[76:77], v71
.LBB60_482:
	s_or_b64 exec, exec, s[14:15]
	v_mov_b32_e32 v69, v68
	v_mov_b32_e32 v71, v68
.LBB60_483:
	s_or_b64 exec, exec, s[2:3]
.LBB60_484:
	s_andn2_saveexec_b64 s[0:1], s[0:1]
	s_cbranch_execz .LBB60_486
; %bb.485:
	v_mov_b32_e32 v71, 28
	ds_write2_b64 v70, v[0:1], v[64:65] offset0:29 offset1:30
.LBB60_486:
	s_or_b64 exec, exec, s[0:1]
	v_cmp_lt_i32_e32 vcc, 28, v71
	s_waitcnt lgkmcnt(0)
	s_barrier
	s_and_saveexec_b64 s[0:1], vcc
	s_cbranch_execz .LBB60_488
; %bb.487:
	ds_read2_b64 v[76:79], v70 offset0:29 offset1:30
	v_mul_f64 v[6:7], v[66:67], v[6:7]
	s_waitcnt lgkmcnt(0)
	v_fma_f64 v[0:1], -v[6:7], v[76:77], v[0:1]
	v_fma_f64 v[64:65], -v[6:7], v[78:79], v[64:65]
.LBB60_488:
	s_or_b64 exec, exec, s[0:1]
	v_lshl_add_u32 v66, v71, 3, v70
	s_barrier
	ds_write_b64 v66, v[0:1]
	s_waitcnt lgkmcnt(0)
	s_barrier
	ds_read_b64 v[66:67], v70 offset:232
	s_cmp_lt_i32 s18, 31
	v_mov_b32_e32 v68, 29
	s_cbranch_scc1 .LBB60_491
; %bb.489:
	v_add_u32_e32 v75, 0xf0, v70
	s_mov_b32 s0, 30
	v_mov_b32_e32 v68, 29
.LBB60_490:                             ; =>This Inner Loop Header: Depth=1
	ds_read_b64 v[76:77], v75
	v_mov_b32_e32 v78, s0
	s_add_i32 s0, s0, 1
	v_add_u32_e32 v75, 8, v75
	s_cmp_lg_u32 s18, s0
	s_waitcnt lgkmcnt(0)
	v_cmp_lt_f64_e64 vcc, |v[66:67]|, |v[76:77]|
	v_cndmask_b32_e32 v67, v67, v77, vcc
	v_cndmask_b32_e32 v66, v66, v76, vcc
	;; [unrolled: 1-line block ×3, first 2 shown]
	s_cbranch_scc1 .LBB60_490
.LBB60_491:
	s_waitcnt lgkmcnt(0)
	v_cmp_eq_f64_e32 vcc, 0, v[66:67]
	s_and_saveexec_b64 s[0:1], vcc
	s_xor_b64 s[0:1], exec, s[0:1]
; %bb.492:
	v_cmp_ne_u32_e32 vcc, 0, v74
	v_cndmask_b32_e32 v74, 30, v74, vcc
; %bb.493:
	s_andn2_saveexec_b64 s[0:1], s[0:1]
; %bb.494:
	v_div_scale_f64 v[76:77], s[2:3], v[66:67], v[66:67], 1.0
	v_rcp_f64_e32 v[78:79], v[76:77]
	v_div_scale_f64 v[80:81], vcc, 1.0, v[66:67], 1.0
	v_fma_f64 v[82:83], -v[76:77], v[78:79], 1.0
	v_fmac_f64_e32 v[78:79], v[78:79], v[82:83]
	v_fma_f64 v[82:83], -v[76:77], v[78:79], 1.0
	v_fmac_f64_e32 v[78:79], v[78:79], v[82:83]
	v_mul_f64 v[82:83], v[80:81], v[78:79]
	v_fma_f64 v[76:77], -v[76:77], v[82:83], v[80:81]
	v_div_fmas_f64 v[76:77], v[76:77], v[78:79], v[82:83]
	v_div_fixup_f64 v[66:67], v[76:77], v[66:67], 1.0
; %bb.495:
	s_or_b64 exec, exec, s[0:1]
	v_cmp_ne_u32_e32 vcc, v71, v68
	s_and_saveexec_b64 s[0:1], vcc
	s_xor_b64 s[0:1], exec, s[0:1]
	s_cbranch_execz .LBB60_501
; %bb.496:
	v_cmp_eq_u32_e32 vcc, 29, v71
	s_and_saveexec_b64 s[2:3], vcc
	s_cbranch_execz .LBB60_500
; %bb.497:
	v_cmp_ne_u32_e32 vcc, 29, v68
	s_xor_b64 s[14:15], s[6:7], -1
	s_and_b64 s[16:17], s[14:15], vcc
	s_and_saveexec_b64 s[14:15], s[16:17]
	s_cbranch_execz .LBB60_499
; %bb.498:
	v_ashrrev_i32_e32 v69, 31, v68
	v_lshlrev_b64 v[76:77], 2, v[68:69]
	v_add_co_u32_e32 v76, vcc, v4, v76
	v_addc_co_u32_e32 v77, vcc, v5, v77, vcc
	flat_load_dword v69, v[76:77]
	flat_load_dword v71, v[4:5] offset:116
	s_waitcnt vmcnt(0) lgkmcnt(0)
	flat_store_dword v[4:5], v69 offset:116
	flat_store_dword v[76:77], v71
.LBB60_499:
	s_or_b64 exec, exec, s[14:15]
	v_mov_b32_e32 v69, v68
	v_mov_b32_e32 v71, v68
.LBB60_500:
	s_or_b64 exec, exec, s[2:3]
.LBB60_501:
	s_andn2_saveexec_b64 s[0:1], s[0:1]
	s_cbranch_execz .LBB60_503
; %bb.502:
	v_mov_b32_e32 v71, 29
	ds_write_b64 v70, v[64:65] offset:240
.LBB60_503:
	s_or_b64 exec, exec, s[0:1]
	v_cmp_lt_i32_e32 vcc, 29, v71
	s_waitcnt lgkmcnt(0)
	s_barrier
	s_and_saveexec_b64 s[0:1], vcc
	s_cbranch_execz .LBB60_505
; %bb.504:
	ds_read_b64 v[76:77], v70 offset:240
	v_mul_f64 v[0:1], v[66:67], v[0:1]
	s_waitcnt lgkmcnt(0)
	v_fma_f64 v[64:65], -v[0:1], v[76:77], v[64:65]
.LBB60_505:
	s_or_b64 exec, exec, s[0:1]
	v_lshl_add_u32 v66, v71, 3, v70
	s_barrier
	ds_write_b64 v66, v[64:65]
	s_waitcnt lgkmcnt(0)
	s_barrier
	ds_read_b64 v[66:67], v70 offset:240
	s_cmp_lt_i32 s18, 32
	v_mov_b32_e32 v68, 30
	s_cbranch_scc1 .LBB60_508
; %bb.506:
	v_add_u32_e32 v70, 0xf8, v70
	s_mov_b32 s0, 31
	v_mov_b32_e32 v68, 30
.LBB60_507:                             ; =>This Inner Loop Header: Depth=1
	ds_read_b64 v[76:77], v70
	v_mov_b32_e32 v75, s0
	s_add_i32 s0, s0, 1
	v_add_u32_e32 v70, 8, v70
	s_cmp_lg_u32 s18, s0
	s_waitcnt lgkmcnt(0)
	v_cmp_lt_f64_e64 vcc, |v[66:67]|, |v[76:77]|
	v_cndmask_b32_e32 v67, v67, v77, vcc
	v_cndmask_b32_e32 v66, v66, v76, vcc
	;; [unrolled: 1-line block ×3, first 2 shown]
	s_cbranch_scc1 .LBB60_507
.LBB60_508:
	s_waitcnt lgkmcnt(0)
	v_cmp_eq_f64_e32 vcc, 0, v[66:67]
	s_and_saveexec_b64 s[0:1], vcc
	s_xor_b64 s[0:1], exec, s[0:1]
; %bb.509:
	v_cmp_ne_u32_e32 vcc, 0, v74
	v_cndmask_b32_e32 v74, 31, v74, vcc
; %bb.510:
	s_andn2_saveexec_b64 s[0:1], s[0:1]
; %bb.511:
	v_div_scale_f64 v[76:77], s[2:3], v[66:67], v[66:67], 1.0
	v_rcp_f64_e32 v[78:79], v[76:77]
	v_div_scale_f64 v[80:81], vcc, 1.0, v[66:67], 1.0
	v_fma_f64 v[82:83], -v[76:77], v[78:79], 1.0
	v_fmac_f64_e32 v[78:79], v[78:79], v[82:83]
	v_fma_f64 v[82:83], -v[76:77], v[78:79], 1.0
	v_fmac_f64_e32 v[78:79], v[78:79], v[82:83]
	v_mul_f64 v[82:83], v[80:81], v[78:79]
	v_fma_f64 v[76:77], -v[76:77], v[82:83], v[80:81]
	v_div_fmas_f64 v[76:77], v[76:77], v[78:79], v[82:83]
	v_div_fixup_f64 v[66:67], v[76:77], v[66:67], 1.0
; %bb.512:
	s_or_b64 exec, exec, s[0:1]
	v_cmp_ne_u32_e32 vcc, v71, v68
	v_mov_b32_e32 v70, 30
	s_and_saveexec_b64 s[0:1], vcc
	s_cbranch_execz .LBB60_518
; %bb.513:
	v_cmp_eq_u32_e32 vcc, 30, v71
	s_and_saveexec_b64 s[2:3], vcc
	s_cbranch_execz .LBB60_517
; %bb.514:
	v_cmp_ne_u32_e32 vcc, 30, v68
	s_xor_b64 s[6:7], s[6:7], -1
	s_and_b64 s[14:15], s[6:7], vcc
	s_and_saveexec_b64 s[6:7], s[14:15]
	s_cbranch_execz .LBB60_516
; %bb.515:
	v_ashrrev_i32_e32 v69, 31, v68
	v_lshlrev_b64 v[70:71], 2, v[68:69]
	v_add_co_u32_e32 v70, vcc, v4, v70
	v_addc_co_u32_e32 v71, vcc, v5, v71, vcc
	flat_load_dword v69, v[70:71]
	flat_load_dword v75, v[4:5] offset:120
	s_waitcnt vmcnt(0) lgkmcnt(0)
	flat_store_dword v[4:5], v69 offset:120
	flat_store_dword v[70:71], v75
.LBB60_516:
	s_or_b64 exec, exec, s[6:7]
	v_mov_b32_e32 v69, v68
	v_mov_b32_e32 v71, v68
.LBB60_517:
	s_or_b64 exec, exec, s[2:3]
	v_mov_b32_e32 v70, v71
.LBB60_518:
	s_or_b64 exec, exec, s[0:1]
	s_load_dwordx8 s[0:7], s[4:5], 0x28
	v_cmp_gt_i32_e32 vcc, 31, v70
	v_ashrrev_i32_e32 v71, 31, v70
	s_waitcnt lgkmcnt(0)
	s_barrier
	s_barrier
	s_and_saveexec_b64 s[14:15], vcc
	s_cbranch_execz .LBB60_520
; %bb.519:
	v_mul_lo_u32 v68, v3, s4
	v_mul_lo_u32 v75, v2, s5
	v_mad_u64_u32 v[4:5], s[4:5], v2, s4, 0
	s_lshl_b64 s[2:3], s[2:3], 2
	v_add3_u32 v5, v5, v75, v68
	s_add_u32 s0, s2, s0
	v_lshlrev_b64 v[4:5], 2, v[4:5]
	s_addc_u32 s1, s3, s1
	v_mov_b32_e32 v68, s1
	v_add_co_u32_e32 v75, vcc, s0, v4
	v_addc_co_u32_e32 v68, vcc, v68, v5, vcc
	v_lshlrev_b64 v[4:5], 2, v[70:71]
	v_add_co_u32_e32 v4, vcc, v75, v4
	v_addc_co_u32_e32 v5, vcc, v68, v5, vcc
	v_add3_u32 v68, v69, s13, 1
	global_store_dword v[4:5], v68, off
.LBB60_520:
	s_or_b64 exec, exec, s[14:15]
	v_cmp_eq_u32_e32 vcc, 0, v70
	s_and_saveexec_b64 s[2:3], vcc
	s_cbranch_execz .LBB60_523
; %bb.521:
	v_lshlrev_b64 v[2:3], 2, v[2:3]
	v_mov_b32_e32 v4, s7
	v_add_co_u32_e32 v2, vcc, s6, v2
	v_addc_co_u32_e32 v3, vcc, v4, v3, vcc
	global_load_dword v4, v[2:3], off
	v_cmp_lt_i32_e64 s[0:1], 0, v74
	s_waitcnt vmcnt(0)
	v_cmp_eq_u32_e32 vcc, 0, v4
	s_and_b64 s[0:1], vcc, s[0:1]
	s_and_b64 exec, exec, s[0:1]
	s_cbranch_execz .LBB60_523
; %bb.522:
	v_add_u32_e32 v4, s13, v74
	global_store_dword v[2:3], v4, off
.LBB60_523:
	s_or_b64 exec, exec, s[2:3]
	v_mul_f64 v[2:3], v[66:67], v[64:65]
	v_cmp_lt_i32_e32 vcc, 30, v70
	v_lshlrev_b64 v[4:5], 3, v[70:71]
	v_cndmask_b32_e32 v3, v65, v3, vcc
	v_cndmask_b32_e32 v2, v64, v2, vcc
	v_add_co_u32_e32 v4, vcc, v72, v4
	v_addc_co_u32_e32 v5, vcc, v73, v5, vcc
	global_store_dwordx2 v[4:5], v[62:63], off
	v_mov_b32_e32 v62, s11
	v_add_co_u32_e32 v4, vcc, s10, v4
	v_addc_co_u32_e32 v5, vcc, v5, v62, vcc
	global_store_dwordx2 v[4:5], v[60:61], off
	v_add_u32_e32 v4, s12, v70
	v_ashrrev_i32_e32 v5, 31, v4
	v_lshlrev_b64 v[60:61], 3, v[4:5]
	v_add_co_u32_e32 v60, vcc, v72, v60
	v_add_u32_e32 v4, s8, v4
	v_addc_co_u32_e32 v61, vcc, v73, v61, vcc
	v_ashrrev_i32_e32 v5, 31, v4
	global_store_dwordx2 v[60:61], v[58:59], off
	v_lshlrev_b64 v[58:59], 3, v[4:5]
	v_add_co_u32_e32 v58, vcc, v72, v58
	v_add_u32_e32 v4, s8, v4
	v_addc_co_u32_e32 v59, vcc, v73, v59, vcc
	v_ashrrev_i32_e32 v5, 31, v4
	global_store_dwordx2 v[58:59], v[56:57], off
	;; [unrolled: 6-line block ×27, first 2 shown]
	v_lshlrev_b64 v[6:7], 3, v[4:5]
	v_add_co_u32_e32 v6, vcc, v72, v6
	v_addc_co_u32_e32 v7, vcc, v73, v7, vcc
	global_store_dwordx2 v[6:7], v[0:1], off
	v_add_u32_e32 v0, s8, v4
	v_ashrrev_i32_e32 v1, 31, v0
	v_lshlrev_b64 v[0:1], 3, v[0:1]
	v_add_co_u32_e32 v0, vcc, v72, v0
	v_addc_co_u32_e32 v1, vcc, v73, v1, vcc
	global_store_dwordx2 v[0:1], v[2:3], off
.LBB60_524:
	s_endpgm
	.section	.rodata,"a",@progbits
	.p2align	6, 0x0
	.amdhsa_kernel _ZN9rocsolver6v33100L18getf2_small_kernelILi31EdiiPKPdEEvT1_T3_lS5_lPS5_llPT2_S5_S5_S7_l
		.amdhsa_group_segment_fixed_size 0
		.amdhsa_private_segment_fixed_size 0
		.amdhsa_kernarg_size 352
		.amdhsa_user_sgpr_count 6
		.amdhsa_user_sgpr_private_segment_buffer 1
		.amdhsa_user_sgpr_dispatch_ptr 0
		.amdhsa_user_sgpr_queue_ptr 0
		.amdhsa_user_sgpr_kernarg_segment_ptr 1
		.amdhsa_user_sgpr_dispatch_id 0
		.amdhsa_user_sgpr_flat_scratch_init 0
		.amdhsa_user_sgpr_kernarg_preload_length 0
		.amdhsa_user_sgpr_kernarg_preload_offset 0
		.amdhsa_user_sgpr_private_segment_size 0
		.amdhsa_uses_dynamic_stack 0
		.amdhsa_system_sgpr_private_segment_wavefront_offset 0
		.amdhsa_system_sgpr_workgroup_id_x 1
		.amdhsa_system_sgpr_workgroup_id_y 1
		.amdhsa_system_sgpr_workgroup_id_z 0
		.amdhsa_system_sgpr_workgroup_info 0
		.amdhsa_system_vgpr_workitem_id 1
		.amdhsa_next_free_vgpr 102
		.amdhsa_next_free_sgpr 22
		.amdhsa_accum_offset 104
		.amdhsa_reserve_vcc 1
		.amdhsa_reserve_flat_scratch 0
		.amdhsa_float_round_mode_32 0
		.amdhsa_float_round_mode_16_64 0
		.amdhsa_float_denorm_mode_32 3
		.amdhsa_float_denorm_mode_16_64 3
		.amdhsa_dx10_clamp 1
		.amdhsa_ieee_mode 1
		.amdhsa_fp16_overflow 0
		.amdhsa_tg_split 0
		.amdhsa_exception_fp_ieee_invalid_op 0
		.amdhsa_exception_fp_denorm_src 0
		.amdhsa_exception_fp_ieee_div_zero 0
		.amdhsa_exception_fp_ieee_overflow 0
		.amdhsa_exception_fp_ieee_underflow 0
		.amdhsa_exception_fp_ieee_inexact 0
		.amdhsa_exception_int_div_zero 0
	.end_amdhsa_kernel
	.section	.text._ZN9rocsolver6v33100L18getf2_small_kernelILi31EdiiPKPdEEvT1_T3_lS5_lPS5_llPT2_S5_S5_S7_l,"axG",@progbits,_ZN9rocsolver6v33100L18getf2_small_kernelILi31EdiiPKPdEEvT1_T3_lS5_lPS5_llPT2_S5_S5_S7_l,comdat
.Lfunc_end60:
	.size	_ZN9rocsolver6v33100L18getf2_small_kernelILi31EdiiPKPdEEvT1_T3_lS5_lPS5_llPT2_S5_S5_S7_l, .Lfunc_end60-_ZN9rocsolver6v33100L18getf2_small_kernelILi31EdiiPKPdEEvT1_T3_lS5_lPS5_llPT2_S5_S5_S7_l
                                        ; -- End function
	.section	.AMDGPU.csdata,"",@progbits
; Kernel info:
; codeLenInByte = 24204
; NumSgprs: 26
; NumVgprs: 102
; NumAgprs: 0
; TotalNumVgprs: 102
; ScratchSize: 0
; MemoryBound: 0
; FloatMode: 240
; IeeeMode: 1
; LDSByteSize: 0 bytes/workgroup (compile time only)
; SGPRBlocks: 3
; VGPRBlocks: 12
; NumSGPRsForWavesPerEU: 26
; NumVGPRsForWavesPerEU: 102
; AccumOffset: 104
; Occupancy: 4
; WaveLimiterHint : 1
; COMPUTE_PGM_RSRC2:SCRATCH_EN: 0
; COMPUTE_PGM_RSRC2:USER_SGPR: 6
; COMPUTE_PGM_RSRC2:TRAP_HANDLER: 0
; COMPUTE_PGM_RSRC2:TGID_X_EN: 1
; COMPUTE_PGM_RSRC2:TGID_Y_EN: 1
; COMPUTE_PGM_RSRC2:TGID_Z_EN: 0
; COMPUTE_PGM_RSRC2:TIDIG_COMP_CNT: 1
; COMPUTE_PGM_RSRC3_GFX90A:ACCUM_OFFSET: 25
; COMPUTE_PGM_RSRC3_GFX90A:TG_SPLIT: 0
	.section	.text._ZN9rocsolver6v33100L23getf2_npvt_small_kernelILi31EdiiPKPdEEvT1_T3_lS5_lPT2_S5_S5_,"axG",@progbits,_ZN9rocsolver6v33100L23getf2_npvt_small_kernelILi31EdiiPKPdEEvT1_T3_lS5_lPT2_S5_S5_,comdat
	.globl	_ZN9rocsolver6v33100L23getf2_npvt_small_kernelILi31EdiiPKPdEEvT1_T3_lS5_lPT2_S5_S5_ ; -- Begin function _ZN9rocsolver6v33100L23getf2_npvt_small_kernelILi31EdiiPKPdEEvT1_T3_lS5_lPT2_S5_S5_
	.p2align	8
	.type	_ZN9rocsolver6v33100L23getf2_npvt_small_kernelILi31EdiiPKPdEEvT1_T3_lS5_lPT2_S5_S5_,@function
_ZN9rocsolver6v33100L23getf2_npvt_small_kernelILi31EdiiPKPdEEvT1_T3_lS5_lPT2_S5_S5_: ; @_ZN9rocsolver6v33100L23getf2_npvt_small_kernelILi31EdiiPKPdEEvT1_T3_lS5_lPT2_S5_S5_
; %bb.0:
	s_load_dword s0, s[4:5], 0x44
	s_load_dwordx2 s[8:9], s[4:5], 0x30
	v_bfe_u32 v126, v0, 10, 10
	s_waitcnt lgkmcnt(0)
	s_lshr_b32 s6, s0, 16
	s_mul_i32 s7, s7, s6
	v_add_u32_e32 v2, s7, v126
	v_cmp_gt_i32_e32 vcc, s8, v2
	s_and_saveexec_b64 s[0:1], vcc
	s_cbranch_execz .LBB61_158
; %bb.1:
	s_load_dwordx4 s[12:15], s[4:5], 0x8
	s_load_dword s0, s[4:5], 0x18
	v_ashrrev_i32_e32 v3, 31, v2
	v_lshlrev_b64 v[4:5], 3, v[2:3]
	v_and_b32_e32 v188, 0x3ff, v0
	s_waitcnt lgkmcnt(0)
	v_mov_b32_e32 v1, s13
	v_add_co_u32_e32 v4, vcc, s12, v4
	v_addc_co_u32_e32 v5, vcc, v1, v5, vcc
	global_load_dwordx2 v[4:5], v[4:5], off
	s_add_i32 s1, s0, s0
	s_lshl_b64 s[2:3], s[14:15], 3
	v_add_u32_e32 v0, s1, v188
	v_mov_b32_e32 v25, s3
	v_ashrrev_i32_e32 v1, 31, v0
	v_add_u32_e32 v6, s0, v0
	v_lshlrev_b64 v[0:1], 3, v[0:1]
	v_ashrrev_i32_e32 v7, 31, v6
	v_add_u32_e32 v8, s0, v6
	v_lshlrev_b64 v[6:7], 3, v[6:7]
	;; [unrolled: 3-line block ×10, first 2 shown]
	v_add_u32_e32 v26, s0, v24
	v_ashrrev_i32_e32 v27, 31, v26
	v_add_u32_e32 v28, s0, v26
	v_ashrrev_i32_e32 v29, 31, v28
	;; [unrolled: 2-line block ×17, first 2 shown]
	v_lshlrev_b32_e32 v62, 3, v188
	s_ashr_i32 s1, s0, 31
	s_mulk_i32 s6, 0xf8
	s_waitcnt vmcnt(0)
	v_add_co_u32_e32 v60, vcc, s2, v4
	v_addc_co_u32_e32 v61, vcc, v5, v25, vcc
	v_add_co_u32_e32 v0, vcc, v60, v0
	v_addc_co_u32_e32 v1, vcc, v61, v1, vcc
	v_add_co_u32_e32 v4, vcc, v60, v6
	v_addc_co_u32_e32 v5, vcc, v61, v7, vcc
	v_add_co_u32_e32 v6, vcc, v60, v8
	v_addc_co_u32_e32 v7, vcc, v61, v9, vcc
	v_add_co_u32_e32 v8, vcc, v60, v10
	v_addc_co_u32_e32 v9, vcc, v61, v11, vcc
	v_add_co_u32_e32 v10, vcc, v60, v12
	v_addc_co_u32_e32 v11, vcc, v61, v13, vcc
	v_add_co_u32_e32 v12, vcc, v60, v14
	v_addc_co_u32_e32 v13, vcc, v61, v15, vcc
	v_add_co_u32_e32 v14, vcc, v60, v16
	v_addc_co_u32_e32 v15, vcc, v61, v17, vcc
	v_add_co_u32_e32 v16, vcc, v60, v18
	v_addc_co_u32_e32 v17, vcc, v61, v19, vcc
	v_add_co_u32_e32 v18, vcc, v60, v20
	v_addc_co_u32_e32 v19, vcc, v61, v21, vcc
	v_add_co_u32_e32 v20, vcc, v60, v22
	v_ashrrev_i32_e32 v25, 31, v24
	v_addc_co_u32_e32 v21, vcc, v61, v23, vcc
	v_lshlrev_b64 v[22:23], 3, v[24:25]
	v_add_co_u32_e32 v22, vcc, v60, v22
	v_addc_co_u32_e32 v23, vcc, v61, v23, vcc
	v_lshlrev_b64 v[24:25], 3, v[26:27]
	v_add_co_u32_e32 v24, vcc, v60, v24
	;; [unrolled: 3-line block ×17, first 2 shown]
	v_addc_co_u32_e32 v55, vcc, v61, v55, vcc
	v_lshlrev_b64 v[56:57], 3, v[58:59]
	v_add_u32_e32 v58, s0, v58
	v_add_co_u32_e32 v56, vcc, v60, v56
	v_ashrrev_i32_e32 v59, 31, v58
	v_addc_co_u32_e32 v57, vcc, v61, v57, vcc
	v_lshlrev_b64 v[58:59], 3, v[58:59]
	v_add_co_u32_e32 v58, vcc, v60, v58
	v_addc_co_u32_e32 v59, vcc, v61, v59, vcc
	v_add_co_u32_e32 v60, vcc, v60, v62
	v_addc_co_u32_e32 v61, vcc, 0, v61, vcc
	s_lshl_b64 s[0:1], s[0:1], 3
	v_mov_b32_e32 v63, s1
	v_add_co_u32_e32 v62, vcc, s0, v60
	v_addc_co_u32_e32 v63, vcc, v61, v63, vcc
	global_load_dwordx2 v[64:65], v[60:61], off
	global_load_dwordx2 v[94:95], v[62:63], off
	;; [unrolled: 1-line block ×31, first 2 shown]
	s_movk_i32 s0, 0xf8
	s_add_i32 s1, s6, 0
	v_mad_u32_u24 v187, v126, s0, 0
	v_lshl_add_u32 v186, v126, 3, s1
	v_cmp_ne_u32_e64 s[2:3], 0, v188
	v_cmp_eq_u32_e64 s[0:1], 0, v188
	s_and_saveexec_b64 s[6:7], s[0:1]
	s_cbranch_execz .LBB61_4
; %bb.2:
	s_waitcnt vmcnt(30)
	ds_write_b64 v186, v[64:65]
	s_waitcnt vmcnt(28)
	ds_write2_b64 v187, v[94:95], v[122:123] offset0:1 offset1:2
	s_waitcnt vmcnt(26)
	ds_write2_b64 v187, v[92:93], v[120:121] offset0:3 offset1:4
	;; [unrolled: 2-line block ×15, first 2 shown]
	ds_read_b64 v[126:127], v186
	s_waitcnt lgkmcnt(0)
	v_cmp_neq_f64_e32 vcc, 0, v[126:127]
	s_and_b64 exec, exec, vcc
	s_cbranch_execz .LBB61_4
; %bb.3:
	v_div_scale_f64 v[128:129], s[10:11], v[126:127], v[126:127], 1.0
	v_rcp_f64_e32 v[130:131], v[128:129]
	v_div_scale_f64 v[132:133], vcc, 1.0, v[126:127], 1.0
	v_fma_f64 v[134:135], -v[128:129], v[130:131], 1.0
	v_fmac_f64_e32 v[130:131], v[130:131], v[134:135]
	v_fma_f64 v[134:135], -v[128:129], v[130:131], 1.0
	v_fmac_f64_e32 v[130:131], v[130:131], v[134:135]
	v_mul_f64 v[134:135], v[132:133], v[130:131]
	v_fma_f64 v[128:129], -v[128:129], v[134:135], v[132:133]
	v_div_fmas_f64 v[128:129], v[128:129], v[130:131], v[134:135]
	v_div_fixup_f64 v[126:127], v[128:129], v[126:127], 1.0
	ds_write_b64 v186, v[126:127]
.LBB61_4:
	s_or_b64 exec, exec, s[6:7]
	s_waitcnt lgkmcnt(0)
	s_barrier
	ds_read_b64 v[126:127], v186
	s_and_saveexec_b64 s[6:7], s[2:3]
	s_cbranch_execz .LBB61_6
; %bb.5:
	ds_read2_b64 v[128:131], v187 offset0:1 offset1:2
	ds_read2_b64 v[132:135], v187 offset0:3 offset1:4
	;; [unrolled: 1-line block ×3, first 2 shown]
	s_waitcnt vmcnt(30) lgkmcnt(3)
	v_mul_f64 v[64:65], v[126:127], v[64:65]
	s_waitcnt vmcnt(29) lgkmcnt(2)
	v_fma_f64 v[94:95], -v[64:65], v[128:129], v[94:95]
	s_waitcnt vmcnt(28)
	v_fma_f64 v[122:123], -v[64:65], v[130:131], v[122:123]
	ds_read2_b64 v[128:131], v187 offset0:7 offset1:8
	s_waitcnt vmcnt(27) lgkmcnt(2)
	v_fma_f64 v[92:93], -v[64:65], v[132:133], v[92:93]
	s_waitcnt vmcnt(26)
	v_fma_f64 v[120:121], -v[64:65], v[134:135], v[120:121]
	s_waitcnt vmcnt(25) lgkmcnt(1)
	v_fma_f64 v[90:91], -v[64:65], v[136:137], v[90:91]
	ds_read2_b64 v[132:135], v187 offset0:9 offset1:10
	s_waitcnt vmcnt(24)
	v_fma_f64 v[118:119], -v[64:65], v[138:139], v[118:119]
	ds_read2_b64 v[136:139], v187 offset0:11 offset1:12
	s_waitcnt vmcnt(23) lgkmcnt(2)
	v_fma_f64 v[88:89], -v[64:65], v[128:129], v[88:89]
	s_waitcnt vmcnt(22)
	v_fma_f64 v[116:117], -v[64:65], v[130:131], v[116:117]
	s_waitcnt vmcnt(21) lgkmcnt(1)
	v_fma_f64 v[86:87], -v[64:65], v[132:133], v[86:87]
	ds_read2_b64 v[128:131], v187 offset0:13 offset1:14
	s_waitcnt vmcnt(20)
	v_fma_f64 v[114:115], -v[64:65], v[134:135], v[114:115]
	ds_read2_b64 v[132:135], v187 offset0:15 offset1:16
	s_waitcnt vmcnt(19) lgkmcnt(2)
	v_fma_f64 v[84:85], -v[64:65], v[136:137], v[84:85]
	s_waitcnt vmcnt(18)
	v_fma_f64 v[112:113], -v[64:65], v[138:139], v[112:113]
	ds_read2_b64 v[136:139], v187 offset0:17 offset1:18
	s_waitcnt vmcnt(17) lgkmcnt(2)
	v_fma_f64 v[82:83], -v[64:65], v[128:129], v[82:83]
	;; [unrolled: 5-line block ×3, first 2 shown]
	s_waitcnt vmcnt(14)
	v_fma_f64 v[108:109], -v[64:65], v[134:135], v[108:109]
	s_waitcnt vmcnt(13) lgkmcnt(1)
	v_fma_f64 v[78:79], -v[64:65], v[136:137], v[78:79]
	ds_read2_b64 v[132:135], v187 offset0:21 offset1:22
	s_waitcnt vmcnt(12)
	v_fma_f64 v[106:107], -v[64:65], v[138:139], v[106:107]
	ds_read2_b64 v[136:139], v187 offset0:23 offset1:24
	s_waitcnt vmcnt(11) lgkmcnt(2)
	v_fma_f64 v[76:77], -v[64:65], v[128:129], v[76:77]
	s_waitcnt vmcnt(10)
	v_fma_f64 v[104:105], -v[64:65], v[130:131], v[104:105]
	s_waitcnt vmcnt(9) lgkmcnt(1)
	v_fma_f64 v[74:75], -v[64:65], v[132:133], v[74:75]
	s_waitcnt vmcnt(8)
	v_fma_f64 v[102:103], -v[64:65], v[134:135], v[102:103]
	ds_read2_b64 v[128:131], v187 offset0:25 offset1:26
	ds_read2_b64 v[132:135], v187 offset0:27 offset1:28
	s_waitcnt vmcnt(7) lgkmcnt(2)
	v_fma_f64 v[72:73], -v[64:65], v[136:137], v[72:73]
	s_waitcnt vmcnt(6)
	v_fma_f64 v[100:101], -v[64:65], v[138:139], v[100:101]
	ds_read2_b64 v[136:139], v187 offset0:29 offset1:30
	s_waitcnt vmcnt(5) lgkmcnt(2)
	v_fma_f64 v[70:71], -v[64:65], v[128:129], v[70:71]
	s_waitcnt vmcnt(4)
	v_fma_f64 v[98:99], -v[64:65], v[130:131], v[98:99]
	s_waitcnt vmcnt(3) lgkmcnt(1)
	v_fma_f64 v[68:69], -v[64:65], v[132:133], v[68:69]
	s_waitcnt vmcnt(2)
	v_fma_f64 v[96:97], -v[64:65], v[134:135], v[96:97]
	s_waitcnt vmcnt(1) lgkmcnt(0)
	v_fma_f64 v[66:67], -v[64:65], v[136:137], v[66:67]
	s_waitcnt vmcnt(0)
	v_fma_f64 v[124:125], -v[64:65], v[138:139], v[124:125]
.LBB61_6:
	s_or_b64 exec, exec, s[6:7]
	v_cmp_eq_u32_e32 vcc, 1, v188
	s_waitcnt lgkmcnt(0)
	s_barrier
	s_and_saveexec_b64 s[2:3], vcc
	s_cbranch_execz .LBB61_9
; %bb.7:
	s_waitcnt vmcnt(28)
	v_mov_b32_e32 v128, v122
	v_mov_b32_e32 v129, v123
	s_waitcnt vmcnt(27)
	v_mov_b32_e32 v130, v92
	v_mov_b32_e32 v131, v93
	ds_write_b64 v186, v[94:95]
	ds_write2_b64 v187, v[128:129], v[130:131] offset0:2 offset1:3
	s_waitcnt vmcnt(26)
	v_mov_b32_e32 v128, v120
	v_mov_b32_e32 v129, v121
	s_waitcnt vmcnt(25)
	v_mov_b32_e32 v130, v90
	v_mov_b32_e32 v131, v91
	ds_write2_b64 v187, v[128:129], v[130:131] offset0:4 offset1:5
	s_waitcnt vmcnt(24)
	v_mov_b32_e32 v128, v118
	v_mov_b32_e32 v129, v119
	s_waitcnt vmcnt(23)
	v_mov_b32_e32 v130, v88
	v_mov_b32_e32 v131, v89
	;; [unrolled: 7-line block ×13, first 2 shown]
	ds_write2_b64 v187, v[128:129], v[130:131] offset0:28 offset1:29
	s_waitcnt vmcnt(0)
	ds_write_b64 v187, v[124:125] offset:240
	ds_read_b64 v[128:129], v186
	s_waitcnt lgkmcnt(0)
	v_cmp_neq_f64_e32 vcc, 0, v[128:129]
	s_and_b64 exec, exec, vcc
	s_cbranch_execz .LBB61_9
; %bb.8:
	v_div_scale_f64 v[130:131], s[6:7], v[128:129], v[128:129], 1.0
	v_rcp_f64_e32 v[132:133], v[130:131]
	v_div_scale_f64 v[134:135], vcc, 1.0, v[128:129], 1.0
	v_fma_f64 v[136:137], -v[130:131], v[132:133], 1.0
	v_fmac_f64_e32 v[132:133], v[132:133], v[136:137]
	v_fma_f64 v[136:137], -v[130:131], v[132:133], 1.0
	v_fmac_f64_e32 v[132:133], v[132:133], v[136:137]
	v_mul_f64 v[136:137], v[134:135], v[132:133]
	v_fma_f64 v[130:131], -v[130:131], v[136:137], v[134:135]
	v_div_fmas_f64 v[130:131], v[130:131], v[132:133], v[136:137]
	v_div_fixup_f64 v[128:129], v[130:131], v[128:129], 1.0
	ds_write_b64 v186, v[128:129]
.LBB61_9:
	s_or_b64 exec, exec, s[2:3]
	s_waitcnt lgkmcnt(0)
	s_barrier
	ds_read_b64 v[128:129], v186
	v_cmp_lt_u32_e32 vcc, 1, v188
	s_and_saveexec_b64 s[2:3], vcc
	s_cbranch_execz .LBB61_11
; %bb.10:
	ds_read2_b64 v[130:133], v187 offset0:2 offset1:3
	ds_read2_b64 v[134:137], v187 offset0:4 offset1:5
	;; [unrolled: 1-line block ×3, first 2 shown]
	s_waitcnt vmcnt(29) lgkmcnt(3)
	v_mul_f64 v[94:95], v[128:129], v[94:95]
	s_waitcnt vmcnt(28) lgkmcnt(2)
	v_fma_f64 v[122:123], -v[94:95], v[130:131], v[122:123]
	s_waitcnt vmcnt(27)
	v_fma_f64 v[92:93], -v[94:95], v[132:133], v[92:93]
	ds_read2_b64 v[130:133], v187 offset0:8 offset1:9
	s_waitcnt vmcnt(26) lgkmcnt(2)
	v_fma_f64 v[120:121], -v[94:95], v[134:135], v[120:121]
	s_waitcnt vmcnt(25)
	v_fma_f64 v[90:91], -v[94:95], v[136:137], v[90:91]
	s_waitcnt vmcnt(24) lgkmcnt(1)
	v_fma_f64 v[118:119], -v[94:95], v[138:139], v[118:119]
	ds_read2_b64 v[134:137], v187 offset0:10 offset1:11
	s_waitcnt vmcnt(23)
	v_fma_f64 v[88:89], -v[94:95], v[140:141], v[88:89]
	ds_read2_b64 v[138:141], v187 offset0:12 offset1:13
	s_waitcnt vmcnt(22) lgkmcnt(2)
	v_fma_f64 v[116:117], -v[94:95], v[130:131], v[116:117]
	s_waitcnt vmcnt(21)
	v_fma_f64 v[86:87], -v[94:95], v[132:133], v[86:87]
	s_waitcnt vmcnt(20) lgkmcnt(1)
	v_fma_f64 v[114:115], -v[94:95], v[134:135], v[114:115]
	ds_read2_b64 v[130:133], v187 offset0:14 offset1:15
	s_waitcnt vmcnt(19)
	v_fma_f64 v[84:85], -v[94:95], v[136:137], v[84:85]
	ds_read2_b64 v[134:137], v187 offset0:16 offset1:17
	s_waitcnt vmcnt(18) lgkmcnt(2)
	v_fma_f64 v[112:113], -v[94:95], v[138:139], v[112:113]
	s_waitcnt vmcnt(17)
	v_fma_f64 v[82:83], -v[94:95], v[140:141], v[82:83]
	ds_read2_b64 v[138:141], v187 offset0:18 offset1:19
	s_waitcnt vmcnt(16) lgkmcnt(2)
	v_fma_f64 v[110:111], -v[94:95], v[130:131], v[110:111]
	;; [unrolled: 5-line block ×3, first 2 shown]
	s_waitcnt vmcnt(13)
	v_fma_f64 v[78:79], -v[94:95], v[136:137], v[78:79]
	s_waitcnt vmcnt(12) lgkmcnt(1)
	v_fma_f64 v[106:107], -v[94:95], v[138:139], v[106:107]
	ds_read2_b64 v[134:137], v187 offset0:22 offset1:23
	s_waitcnt vmcnt(11)
	v_fma_f64 v[76:77], -v[94:95], v[140:141], v[76:77]
	ds_read2_b64 v[138:141], v187 offset0:24 offset1:25
	s_waitcnt vmcnt(10) lgkmcnt(2)
	v_fma_f64 v[104:105], -v[94:95], v[130:131], v[104:105]
	s_waitcnt vmcnt(9)
	v_fma_f64 v[74:75], -v[94:95], v[132:133], v[74:75]
	s_waitcnt vmcnt(8) lgkmcnt(1)
	v_fma_f64 v[102:103], -v[94:95], v[134:135], v[102:103]
	s_waitcnt vmcnt(7)
	v_fma_f64 v[72:73], -v[94:95], v[136:137], v[72:73]
	ds_read2_b64 v[130:133], v187 offset0:26 offset1:27
	ds_read2_b64 v[134:137], v187 offset0:28 offset1:29
	s_waitcnt vmcnt(6) lgkmcnt(2)
	v_fma_f64 v[100:101], -v[94:95], v[138:139], v[100:101]
	ds_read_b64 v[138:139], v187 offset:240
	s_waitcnt vmcnt(5)
	v_fma_f64 v[70:71], -v[94:95], v[140:141], v[70:71]
	s_waitcnt vmcnt(4) lgkmcnt(2)
	v_fma_f64 v[98:99], -v[94:95], v[130:131], v[98:99]
	s_waitcnt vmcnt(3)
	v_fma_f64 v[68:69], -v[94:95], v[132:133], v[68:69]
	s_waitcnt vmcnt(2) lgkmcnt(1)
	v_fma_f64 v[96:97], -v[94:95], v[134:135], v[96:97]
	;; [unrolled: 4-line block ×3, first 2 shown]
.LBB61_11:
	s_or_b64 exec, exec, s[2:3]
	v_cmp_eq_u32_e32 vcc, 2, v188
	s_waitcnt lgkmcnt(0)
	s_barrier
	s_and_saveexec_b64 s[2:3], vcc
	s_cbranch_execz .LBB61_14
; %bb.12:
	s_waitcnt vmcnt(28)
	ds_write_b64 v186, v[122:123]
	s_waitcnt vmcnt(26)
	ds_write2_b64 v187, v[92:93], v[120:121] offset0:3 offset1:4
	s_waitcnt vmcnt(24)
	ds_write2_b64 v187, v[90:91], v[118:119] offset0:5 offset1:6
	;; [unrolled: 2-line block ×14, first 2 shown]
	ds_read_b64 v[130:131], v186
	s_waitcnt lgkmcnt(0)
	v_cmp_neq_f64_e32 vcc, 0, v[130:131]
	s_and_b64 exec, exec, vcc
	s_cbranch_execz .LBB61_14
; %bb.13:
	v_div_scale_f64 v[132:133], s[6:7], v[130:131], v[130:131], 1.0
	v_rcp_f64_e32 v[134:135], v[132:133]
	v_div_scale_f64 v[136:137], vcc, 1.0, v[130:131], 1.0
	v_fma_f64 v[138:139], -v[132:133], v[134:135], 1.0
	v_fmac_f64_e32 v[134:135], v[134:135], v[138:139]
	v_fma_f64 v[138:139], -v[132:133], v[134:135], 1.0
	v_fmac_f64_e32 v[134:135], v[134:135], v[138:139]
	v_mul_f64 v[138:139], v[136:137], v[134:135]
	v_fma_f64 v[132:133], -v[132:133], v[138:139], v[136:137]
	v_div_fmas_f64 v[132:133], v[132:133], v[134:135], v[138:139]
	v_div_fixup_f64 v[130:131], v[132:133], v[130:131], 1.0
	ds_write_b64 v186, v[130:131]
.LBB61_14:
	s_or_b64 exec, exec, s[2:3]
	s_waitcnt lgkmcnt(0)
	s_barrier
	ds_read_b64 v[130:131], v186
	v_cmp_lt_u32_e32 vcc, 2, v188
	s_and_saveexec_b64 s[2:3], vcc
	s_cbranch_execz .LBB61_16
; %bb.15:
	ds_read2_b64 v[132:135], v187 offset0:3 offset1:4
	ds_read2_b64 v[136:139], v187 offset0:5 offset1:6
	s_waitcnt vmcnt(28) lgkmcnt(2)
	v_mul_f64 v[122:123], v[130:131], v[122:123]
	ds_read2_b64 v[140:143], v187 offset0:7 offset1:8
	s_waitcnt vmcnt(27) lgkmcnt(2)
	v_fma_f64 v[92:93], -v[122:123], v[132:133], v[92:93]
	s_waitcnt vmcnt(26)
	v_fma_f64 v[120:121], -v[122:123], v[134:135], v[120:121]
	ds_read2_b64 v[132:135], v187 offset0:9 offset1:10
	s_waitcnt vmcnt(25) lgkmcnt(2)
	v_fma_f64 v[90:91], -v[122:123], v[136:137], v[90:91]
	s_waitcnt vmcnt(24)
	v_fma_f64 v[118:119], -v[122:123], v[138:139], v[118:119]
	;; [unrolled: 5-line block ×4, first 2 shown]
	s_waitcnt vmcnt(19) lgkmcnt(1)
	v_fma_f64 v[84:85], -v[122:123], v[136:137], v[84:85]
	ds_read2_b64 v[132:135], v187 offset0:15 offset1:16
	s_waitcnt vmcnt(18)
	v_fma_f64 v[112:113], -v[122:123], v[138:139], v[112:113]
	ds_read2_b64 v[136:139], v187 offset0:17 offset1:18
	s_waitcnt vmcnt(17) lgkmcnt(2)
	v_fma_f64 v[82:83], -v[122:123], v[140:141], v[82:83]
	s_waitcnt vmcnt(16)
	v_fma_f64 v[110:111], -v[122:123], v[142:143], v[110:111]
	s_waitcnt vmcnt(15) lgkmcnt(1)
	v_fma_f64 v[80:81], -v[122:123], v[132:133], v[80:81]
	ds_read2_b64 v[140:143], v187 offset0:19 offset1:20
	s_waitcnt vmcnt(14)
	v_fma_f64 v[108:109], -v[122:123], v[134:135], v[108:109]
	ds_read2_b64 v[132:135], v187 offset0:21 offset1:22
	s_waitcnt vmcnt(13) lgkmcnt(2)
	v_fma_f64 v[78:79], -v[122:123], v[136:137], v[78:79]
	s_waitcnt vmcnt(12)
	v_fma_f64 v[106:107], -v[122:123], v[138:139], v[106:107]
	ds_read2_b64 v[136:139], v187 offset0:23 offset1:24
	s_waitcnt vmcnt(11) lgkmcnt(2)
	v_fma_f64 v[76:77], -v[122:123], v[140:141], v[76:77]
	s_waitcnt vmcnt(10)
	v_fma_f64 v[104:105], -v[122:123], v[142:143], v[104:105]
	s_waitcnt vmcnt(9) lgkmcnt(1)
	v_fma_f64 v[74:75], -v[122:123], v[132:133], v[74:75]
	s_waitcnt vmcnt(8)
	v_fma_f64 v[102:103], -v[122:123], v[134:135], v[102:103]
	ds_read2_b64 v[132:135], v187 offset0:25 offset1:26
	s_waitcnt vmcnt(7) lgkmcnt(1)
	v_fma_f64 v[72:73], -v[122:123], v[136:137], v[72:73]
	ds_read2_b64 v[140:143], v187 offset0:27 offset1:28
	s_waitcnt vmcnt(6)
	v_fma_f64 v[100:101], -v[122:123], v[138:139], v[100:101]
	ds_read2_b64 v[136:139], v187 offset0:29 offset1:30
	s_waitcnt vmcnt(5) lgkmcnt(2)
	v_fma_f64 v[70:71], -v[122:123], v[132:133], v[70:71]
	s_waitcnt vmcnt(4)
	v_fma_f64 v[98:99], -v[122:123], v[134:135], v[98:99]
	s_waitcnt vmcnt(3) lgkmcnt(1)
	v_fma_f64 v[68:69], -v[122:123], v[140:141], v[68:69]
	s_waitcnt vmcnt(2)
	v_fma_f64 v[96:97], -v[122:123], v[142:143], v[96:97]
	s_waitcnt vmcnt(1) lgkmcnt(0)
	v_fma_f64 v[66:67], -v[122:123], v[136:137], v[66:67]
	s_waitcnt vmcnt(0)
	v_fma_f64 v[124:125], -v[122:123], v[138:139], v[124:125]
.LBB61_16:
	s_or_b64 exec, exec, s[2:3]
	v_cmp_eq_u32_e32 vcc, 3, v188
	s_waitcnt lgkmcnt(0)
	s_barrier
	s_and_saveexec_b64 s[2:3], vcc
	s_cbranch_execz .LBB61_19
; %bb.17:
	s_waitcnt vmcnt(26)
	v_mov_b32_e32 v132, v120
	v_mov_b32_e32 v133, v121
	s_waitcnt vmcnt(25)
	v_mov_b32_e32 v134, v90
	v_mov_b32_e32 v135, v91
	ds_write_b64 v186, v[92:93]
	ds_write2_b64 v187, v[132:133], v[134:135] offset0:4 offset1:5
	s_waitcnt vmcnt(24)
	v_mov_b32_e32 v132, v118
	v_mov_b32_e32 v133, v119
	s_waitcnt vmcnt(23)
	v_mov_b32_e32 v134, v88
	v_mov_b32_e32 v135, v89
	ds_write2_b64 v187, v[132:133], v[134:135] offset0:6 offset1:7
	s_waitcnt vmcnt(22)
	v_mov_b32_e32 v132, v116
	v_mov_b32_e32 v133, v117
	s_waitcnt vmcnt(21)
	v_mov_b32_e32 v134, v86
	v_mov_b32_e32 v135, v87
	;; [unrolled: 7-line block ×12, first 2 shown]
	ds_write2_b64 v187, v[132:133], v[134:135] offset0:28 offset1:29
	s_waitcnt vmcnt(0)
	ds_write_b64 v187, v[124:125] offset:240
	ds_read_b64 v[132:133], v186
	s_waitcnt lgkmcnt(0)
	v_cmp_neq_f64_e32 vcc, 0, v[132:133]
	s_and_b64 exec, exec, vcc
	s_cbranch_execz .LBB61_19
; %bb.18:
	v_div_scale_f64 v[134:135], s[6:7], v[132:133], v[132:133], 1.0
	v_rcp_f64_e32 v[136:137], v[134:135]
	v_div_scale_f64 v[138:139], vcc, 1.0, v[132:133], 1.0
	v_fma_f64 v[140:141], -v[134:135], v[136:137], 1.0
	v_fmac_f64_e32 v[136:137], v[136:137], v[140:141]
	v_fma_f64 v[140:141], -v[134:135], v[136:137], 1.0
	v_fmac_f64_e32 v[136:137], v[136:137], v[140:141]
	v_mul_f64 v[140:141], v[138:139], v[136:137]
	v_fma_f64 v[134:135], -v[134:135], v[140:141], v[138:139]
	v_div_fmas_f64 v[134:135], v[134:135], v[136:137], v[140:141]
	v_div_fixup_f64 v[132:133], v[134:135], v[132:133], 1.0
	ds_write_b64 v186, v[132:133]
.LBB61_19:
	s_or_b64 exec, exec, s[2:3]
	s_waitcnt lgkmcnt(0)
	s_barrier
	ds_read_b64 v[132:133], v186
	v_cmp_lt_u32_e32 vcc, 3, v188
	s_and_saveexec_b64 s[2:3], vcc
	s_cbranch_execz .LBB61_21
; %bb.20:
	ds_read2_b64 v[134:137], v187 offset0:4 offset1:5
	ds_read2_b64 v[138:141], v187 offset0:6 offset1:7
	s_waitcnt vmcnt(27) lgkmcnt(2)
	v_mul_f64 v[92:93], v[132:133], v[92:93]
	ds_read2_b64 v[142:145], v187 offset0:8 offset1:9
	s_waitcnt vmcnt(26) lgkmcnt(2)
	v_fma_f64 v[120:121], -v[92:93], v[134:135], v[120:121]
	s_waitcnt vmcnt(25)
	v_fma_f64 v[90:91], -v[92:93], v[136:137], v[90:91]
	ds_read2_b64 v[134:137], v187 offset0:10 offset1:11
	s_waitcnt vmcnt(24) lgkmcnt(2)
	v_fma_f64 v[118:119], -v[92:93], v[138:139], v[118:119]
	s_waitcnt vmcnt(23)
	v_fma_f64 v[88:89], -v[92:93], v[140:141], v[88:89]
	;; [unrolled: 5-line block ×4, first 2 shown]
	s_waitcnt vmcnt(18) lgkmcnt(1)
	v_fma_f64 v[112:113], -v[92:93], v[138:139], v[112:113]
	ds_read2_b64 v[134:137], v187 offset0:16 offset1:17
	s_waitcnt vmcnt(17)
	v_fma_f64 v[82:83], -v[92:93], v[140:141], v[82:83]
	ds_read2_b64 v[138:141], v187 offset0:18 offset1:19
	s_waitcnt vmcnt(16) lgkmcnt(2)
	v_fma_f64 v[110:111], -v[92:93], v[142:143], v[110:111]
	s_waitcnt vmcnt(15)
	v_fma_f64 v[80:81], -v[92:93], v[144:145], v[80:81]
	s_waitcnt vmcnt(14) lgkmcnt(1)
	v_fma_f64 v[108:109], -v[92:93], v[134:135], v[108:109]
	ds_read2_b64 v[142:145], v187 offset0:20 offset1:21
	s_waitcnt vmcnt(13)
	v_fma_f64 v[78:79], -v[92:93], v[136:137], v[78:79]
	ds_read2_b64 v[134:137], v187 offset0:22 offset1:23
	s_waitcnt vmcnt(12) lgkmcnt(2)
	v_fma_f64 v[106:107], -v[92:93], v[138:139], v[106:107]
	s_waitcnt vmcnt(11)
	v_fma_f64 v[76:77], -v[92:93], v[140:141], v[76:77]
	ds_read2_b64 v[138:141], v187 offset0:24 offset1:25
	s_waitcnt vmcnt(10) lgkmcnt(2)
	v_fma_f64 v[104:105], -v[92:93], v[142:143], v[104:105]
	s_waitcnt vmcnt(9)
	v_fma_f64 v[74:75], -v[92:93], v[144:145], v[74:75]
	s_waitcnt vmcnt(8) lgkmcnt(1)
	v_fma_f64 v[102:103], -v[92:93], v[134:135], v[102:103]
	s_waitcnt vmcnt(7)
	v_fma_f64 v[72:73], -v[92:93], v[136:137], v[72:73]
	ds_read2_b64 v[134:137], v187 offset0:26 offset1:27
	s_waitcnt vmcnt(6) lgkmcnt(1)
	v_fma_f64 v[100:101], -v[92:93], v[138:139], v[100:101]
	ds_read2_b64 v[142:145], v187 offset0:28 offset1:29
	ds_read_b64 v[138:139], v187 offset:240
	s_waitcnt vmcnt(5)
	v_fma_f64 v[70:71], -v[92:93], v[140:141], v[70:71]
	s_waitcnt vmcnt(4) lgkmcnt(2)
	v_fma_f64 v[98:99], -v[92:93], v[134:135], v[98:99]
	s_waitcnt vmcnt(3)
	v_fma_f64 v[68:69], -v[92:93], v[136:137], v[68:69]
	s_waitcnt vmcnt(2) lgkmcnt(1)
	v_fma_f64 v[96:97], -v[92:93], v[142:143], v[96:97]
	;; [unrolled: 4-line block ×3, first 2 shown]
.LBB61_21:
	s_or_b64 exec, exec, s[2:3]
	v_cmp_eq_u32_e32 vcc, 4, v188
	s_waitcnt lgkmcnt(0)
	s_barrier
	s_and_saveexec_b64 s[2:3], vcc
	s_cbranch_execz .LBB61_24
; %bb.22:
	s_waitcnt vmcnt(26)
	ds_write_b64 v186, v[120:121]
	s_waitcnt vmcnt(24)
	ds_write2_b64 v187, v[90:91], v[118:119] offset0:5 offset1:6
	s_waitcnt vmcnt(22)
	ds_write2_b64 v187, v[88:89], v[116:117] offset0:7 offset1:8
	s_waitcnt vmcnt(20)
	ds_write2_b64 v187, v[86:87], v[114:115] offset0:9 offset1:10
	s_waitcnt vmcnt(18)
	ds_write2_b64 v187, v[84:85], v[112:113] offset0:11 offset1:12
	s_waitcnt vmcnt(16)
	ds_write2_b64 v187, v[82:83], v[110:111] offset0:13 offset1:14
	s_waitcnt vmcnt(14)
	ds_write2_b64 v187, v[80:81], v[108:109] offset0:15 offset1:16
	s_waitcnt vmcnt(12)
	ds_write2_b64 v187, v[78:79], v[106:107] offset0:17 offset1:18
	s_waitcnt vmcnt(10)
	ds_write2_b64 v187, v[76:77], v[104:105] offset0:19 offset1:20
	s_waitcnt vmcnt(8)
	ds_write2_b64 v187, v[74:75], v[102:103] offset0:21 offset1:22
	s_waitcnt vmcnt(6)
	ds_write2_b64 v187, v[72:73], v[100:101] offset0:23 offset1:24
	s_waitcnt vmcnt(4)
	ds_write2_b64 v187, v[70:71], v[98:99] offset0:25 offset1:26
	s_waitcnt vmcnt(2)
	ds_write2_b64 v187, v[68:69], v[96:97] offset0:27 offset1:28
	s_waitcnt vmcnt(0)
	ds_write2_b64 v187, v[66:67], v[124:125] offset0:29 offset1:30
	ds_read_b64 v[134:135], v186
	s_waitcnt lgkmcnt(0)
	v_cmp_neq_f64_e32 vcc, 0, v[134:135]
	s_and_b64 exec, exec, vcc
	s_cbranch_execz .LBB61_24
; %bb.23:
	v_div_scale_f64 v[136:137], s[6:7], v[134:135], v[134:135], 1.0
	v_rcp_f64_e32 v[138:139], v[136:137]
	v_div_scale_f64 v[140:141], vcc, 1.0, v[134:135], 1.0
	v_fma_f64 v[142:143], -v[136:137], v[138:139], 1.0
	v_fmac_f64_e32 v[138:139], v[138:139], v[142:143]
	v_fma_f64 v[142:143], -v[136:137], v[138:139], 1.0
	v_fmac_f64_e32 v[138:139], v[138:139], v[142:143]
	v_mul_f64 v[142:143], v[140:141], v[138:139]
	v_fma_f64 v[136:137], -v[136:137], v[142:143], v[140:141]
	v_div_fmas_f64 v[136:137], v[136:137], v[138:139], v[142:143]
	v_div_fixup_f64 v[134:135], v[136:137], v[134:135], 1.0
	ds_write_b64 v186, v[134:135]
.LBB61_24:
	s_or_b64 exec, exec, s[2:3]
	s_waitcnt lgkmcnt(0)
	s_barrier
	ds_read_b64 v[134:135], v186
	v_cmp_lt_u32_e32 vcc, 4, v188
	s_and_saveexec_b64 s[2:3], vcc
	s_cbranch_execz .LBB61_26
; %bb.25:
	ds_read2_b64 v[136:139], v187 offset0:5 offset1:6
	ds_read2_b64 v[140:143], v187 offset0:7 offset1:8
	s_waitcnt vmcnt(26) lgkmcnt(2)
	v_mul_f64 v[120:121], v[134:135], v[120:121]
	ds_read2_b64 v[144:147], v187 offset0:9 offset1:10
	s_waitcnt vmcnt(25) lgkmcnt(2)
	v_fma_f64 v[90:91], -v[120:121], v[136:137], v[90:91]
	s_waitcnt vmcnt(24)
	v_fma_f64 v[118:119], -v[120:121], v[138:139], v[118:119]
	ds_read2_b64 v[136:139], v187 offset0:11 offset1:12
	s_waitcnt vmcnt(23) lgkmcnt(2)
	v_fma_f64 v[88:89], -v[120:121], v[140:141], v[88:89]
	s_waitcnt vmcnt(22)
	v_fma_f64 v[116:117], -v[120:121], v[142:143], v[116:117]
	s_waitcnt vmcnt(21) lgkmcnt(1)
	v_fma_f64 v[86:87], -v[120:121], v[144:145], v[86:87]
	ds_read2_b64 v[140:143], v187 offset0:13 offset1:14
	s_waitcnt vmcnt(20)
	v_fma_f64 v[114:115], -v[120:121], v[146:147], v[114:115]
	ds_read2_b64 v[144:147], v187 offset0:15 offset1:16
	s_waitcnt vmcnt(19) lgkmcnt(2)
	v_fma_f64 v[84:85], -v[120:121], v[136:137], v[84:85]
	s_waitcnt vmcnt(18)
	v_fma_f64 v[112:113], -v[120:121], v[138:139], v[112:113]
	ds_read2_b64 v[136:139], v187 offset0:17 offset1:18
	s_waitcnt vmcnt(17) lgkmcnt(2)
	v_fma_f64 v[82:83], -v[120:121], v[140:141], v[82:83]
	;; [unrolled: 5-line block ×3, first 2 shown]
	s_waitcnt vmcnt(14)
	v_fma_f64 v[108:109], -v[120:121], v[146:147], v[108:109]
	s_waitcnt vmcnt(13) lgkmcnt(1)
	v_fma_f64 v[78:79], -v[120:121], v[136:137], v[78:79]
	ds_read2_b64 v[144:147], v187 offset0:21 offset1:22
	s_waitcnt vmcnt(12)
	v_fma_f64 v[106:107], -v[120:121], v[138:139], v[106:107]
	ds_read2_b64 v[136:139], v187 offset0:23 offset1:24
	s_waitcnt vmcnt(11) lgkmcnt(2)
	v_fma_f64 v[76:77], -v[120:121], v[140:141], v[76:77]
	s_waitcnt vmcnt(10)
	v_fma_f64 v[104:105], -v[120:121], v[142:143], v[104:105]
	s_waitcnt vmcnt(9) lgkmcnt(1)
	v_fma_f64 v[74:75], -v[120:121], v[144:145], v[74:75]
	s_waitcnt vmcnt(8)
	v_fma_f64 v[102:103], -v[120:121], v[146:147], v[102:103]
	ds_read2_b64 v[140:143], v187 offset0:25 offset1:26
	ds_read2_b64 v[144:147], v187 offset0:27 offset1:28
	s_waitcnt vmcnt(7) lgkmcnt(2)
	v_fma_f64 v[72:73], -v[120:121], v[136:137], v[72:73]
	s_waitcnt vmcnt(6)
	v_fma_f64 v[100:101], -v[120:121], v[138:139], v[100:101]
	ds_read2_b64 v[136:139], v187 offset0:29 offset1:30
	s_waitcnt vmcnt(5) lgkmcnt(2)
	v_fma_f64 v[70:71], -v[120:121], v[140:141], v[70:71]
	s_waitcnt vmcnt(4)
	v_fma_f64 v[98:99], -v[120:121], v[142:143], v[98:99]
	s_waitcnt vmcnt(3) lgkmcnt(1)
	v_fma_f64 v[68:69], -v[120:121], v[144:145], v[68:69]
	s_waitcnt vmcnt(2)
	v_fma_f64 v[96:97], -v[120:121], v[146:147], v[96:97]
	;; [unrolled: 4-line block ×3, first 2 shown]
.LBB61_26:
	s_or_b64 exec, exec, s[2:3]
	v_cmp_eq_u32_e32 vcc, 5, v188
	s_waitcnt lgkmcnt(0)
	s_barrier
	s_and_saveexec_b64 s[2:3], vcc
	s_cbranch_execz .LBB61_29
; %bb.27:
	s_waitcnt vmcnt(24)
	v_mov_b32_e32 v136, v118
	v_mov_b32_e32 v137, v119
	s_waitcnt vmcnt(23)
	v_mov_b32_e32 v138, v88
	v_mov_b32_e32 v139, v89
	ds_write_b64 v186, v[90:91]
	ds_write2_b64 v187, v[136:137], v[138:139] offset0:6 offset1:7
	s_waitcnt vmcnt(22)
	v_mov_b32_e32 v136, v116
	v_mov_b32_e32 v137, v117
	s_waitcnt vmcnt(21)
	v_mov_b32_e32 v138, v86
	v_mov_b32_e32 v139, v87
	ds_write2_b64 v187, v[136:137], v[138:139] offset0:8 offset1:9
	s_waitcnt vmcnt(20)
	v_mov_b32_e32 v136, v114
	v_mov_b32_e32 v137, v115
	s_waitcnt vmcnt(19)
	v_mov_b32_e32 v138, v84
	v_mov_b32_e32 v139, v85
	;; [unrolled: 7-line block ×11, first 2 shown]
	ds_write2_b64 v187, v[136:137], v[138:139] offset0:28 offset1:29
	s_waitcnt vmcnt(0)
	ds_write_b64 v187, v[124:125] offset:240
	ds_read_b64 v[136:137], v186
	s_waitcnt lgkmcnt(0)
	v_cmp_neq_f64_e32 vcc, 0, v[136:137]
	s_and_b64 exec, exec, vcc
	s_cbranch_execz .LBB61_29
; %bb.28:
	v_div_scale_f64 v[138:139], s[6:7], v[136:137], v[136:137], 1.0
	v_rcp_f64_e32 v[140:141], v[138:139]
	v_div_scale_f64 v[142:143], vcc, 1.0, v[136:137], 1.0
	v_fma_f64 v[144:145], -v[138:139], v[140:141], 1.0
	v_fmac_f64_e32 v[140:141], v[140:141], v[144:145]
	v_fma_f64 v[144:145], -v[138:139], v[140:141], 1.0
	v_fmac_f64_e32 v[140:141], v[140:141], v[144:145]
	v_mul_f64 v[144:145], v[142:143], v[140:141]
	v_fma_f64 v[138:139], -v[138:139], v[144:145], v[142:143]
	v_div_fmas_f64 v[138:139], v[138:139], v[140:141], v[144:145]
	v_div_fixup_f64 v[136:137], v[138:139], v[136:137], 1.0
	ds_write_b64 v186, v[136:137]
.LBB61_29:
	s_or_b64 exec, exec, s[2:3]
	s_waitcnt lgkmcnt(0)
	s_barrier
	ds_read_b64 v[136:137], v186
	v_cmp_lt_u32_e32 vcc, 5, v188
	s_and_saveexec_b64 s[2:3], vcc
	s_cbranch_execz .LBB61_31
; %bb.30:
	ds_read2_b64 v[138:141], v187 offset0:6 offset1:7
	ds_read2_b64 v[142:145], v187 offset0:8 offset1:9
	s_waitcnt vmcnt(25) lgkmcnt(2)
	v_mul_f64 v[90:91], v[136:137], v[90:91]
	ds_read2_b64 v[146:149], v187 offset0:10 offset1:11
	s_waitcnt vmcnt(24) lgkmcnt(2)
	v_fma_f64 v[118:119], -v[90:91], v[138:139], v[118:119]
	s_waitcnt vmcnt(23)
	v_fma_f64 v[88:89], -v[90:91], v[140:141], v[88:89]
	ds_read2_b64 v[138:141], v187 offset0:12 offset1:13
	s_waitcnt vmcnt(22) lgkmcnt(2)
	v_fma_f64 v[116:117], -v[90:91], v[142:143], v[116:117]
	s_waitcnt vmcnt(21)
	v_fma_f64 v[86:87], -v[90:91], v[144:145], v[86:87]
	s_waitcnt vmcnt(20) lgkmcnt(1)
	v_fma_f64 v[114:115], -v[90:91], v[146:147], v[114:115]
	ds_read2_b64 v[142:145], v187 offset0:14 offset1:15
	s_waitcnt vmcnt(19)
	v_fma_f64 v[84:85], -v[90:91], v[148:149], v[84:85]
	ds_read2_b64 v[146:149], v187 offset0:16 offset1:17
	s_waitcnt vmcnt(18) lgkmcnt(2)
	v_fma_f64 v[112:113], -v[90:91], v[138:139], v[112:113]
	s_waitcnt vmcnt(17)
	v_fma_f64 v[82:83], -v[90:91], v[140:141], v[82:83]
	ds_read2_b64 v[138:141], v187 offset0:18 offset1:19
	s_waitcnt vmcnt(16) lgkmcnt(2)
	v_fma_f64 v[110:111], -v[90:91], v[142:143], v[110:111]
	;; [unrolled: 5-line block ×3, first 2 shown]
	s_waitcnt vmcnt(13)
	v_fma_f64 v[78:79], -v[90:91], v[148:149], v[78:79]
	s_waitcnt vmcnt(12) lgkmcnt(1)
	v_fma_f64 v[106:107], -v[90:91], v[138:139], v[106:107]
	ds_read2_b64 v[146:149], v187 offset0:22 offset1:23
	s_waitcnt vmcnt(11)
	v_fma_f64 v[76:77], -v[90:91], v[140:141], v[76:77]
	ds_read2_b64 v[138:141], v187 offset0:24 offset1:25
	s_waitcnt vmcnt(10) lgkmcnt(2)
	v_fma_f64 v[104:105], -v[90:91], v[142:143], v[104:105]
	s_waitcnt vmcnt(9)
	v_fma_f64 v[74:75], -v[90:91], v[144:145], v[74:75]
	s_waitcnt vmcnt(8) lgkmcnt(1)
	v_fma_f64 v[102:103], -v[90:91], v[146:147], v[102:103]
	s_waitcnt vmcnt(7)
	v_fma_f64 v[72:73], -v[90:91], v[148:149], v[72:73]
	ds_read2_b64 v[142:145], v187 offset0:26 offset1:27
	ds_read2_b64 v[146:149], v187 offset0:28 offset1:29
	s_waitcnt vmcnt(6) lgkmcnt(2)
	v_fma_f64 v[100:101], -v[90:91], v[138:139], v[100:101]
	ds_read_b64 v[138:139], v187 offset:240
	s_waitcnt vmcnt(5)
	v_fma_f64 v[70:71], -v[90:91], v[140:141], v[70:71]
	s_waitcnt vmcnt(4) lgkmcnt(2)
	v_fma_f64 v[98:99], -v[90:91], v[142:143], v[98:99]
	s_waitcnt vmcnt(3)
	v_fma_f64 v[68:69], -v[90:91], v[144:145], v[68:69]
	s_waitcnt vmcnt(2) lgkmcnt(1)
	v_fma_f64 v[96:97], -v[90:91], v[146:147], v[96:97]
	;; [unrolled: 4-line block ×3, first 2 shown]
.LBB61_31:
	s_or_b64 exec, exec, s[2:3]
	v_cmp_eq_u32_e32 vcc, 6, v188
	s_waitcnt lgkmcnt(0)
	s_barrier
	s_and_saveexec_b64 s[2:3], vcc
	s_cbranch_execz .LBB61_34
; %bb.32:
	s_waitcnt vmcnt(24)
	ds_write_b64 v186, v[118:119]
	s_waitcnt vmcnt(22)
	ds_write2_b64 v187, v[88:89], v[116:117] offset0:7 offset1:8
	s_waitcnt vmcnt(20)
	ds_write2_b64 v187, v[86:87], v[114:115] offset0:9 offset1:10
	;; [unrolled: 2-line block ×12, first 2 shown]
	ds_read_b64 v[138:139], v186
	s_waitcnt lgkmcnt(0)
	v_cmp_neq_f64_e32 vcc, 0, v[138:139]
	s_and_b64 exec, exec, vcc
	s_cbranch_execz .LBB61_34
; %bb.33:
	v_div_scale_f64 v[140:141], s[6:7], v[138:139], v[138:139], 1.0
	v_rcp_f64_e32 v[142:143], v[140:141]
	v_div_scale_f64 v[144:145], vcc, 1.0, v[138:139], 1.0
	v_fma_f64 v[146:147], -v[140:141], v[142:143], 1.0
	v_fmac_f64_e32 v[142:143], v[142:143], v[146:147]
	v_fma_f64 v[146:147], -v[140:141], v[142:143], 1.0
	v_fmac_f64_e32 v[142:143], v[142:143], v[146:147]
	v_mul_f64 v[146:147], v[144:145], v[142:143]
	v_fma_f64 v[140:141], -v[140:141], v[146:147], v[144:145]
	v_div_fmas_f64 v[140:141], v[140:141], v[142:143], v[146:147]
	v_div_fixup_f64 v[138:139], v[140:141], v[138:139], 1.0
	ds_write_b64 v186, v[138:139]
.LBB61_34:
	s_or_b64 exec, exec, s[2:3]
	s_waitcnt lgkmcnt(0)
	s_barrier
	ds_read_b64 v[138:139], v186
	v_cmp_lt_u32_e32 vcc, 6, v188
	s_and_saveexec_b64 s[2:3], vcc
	s_cbranch_execz .LBB61_36
; %bb.35:
	ds_read2_b64 v[140:143], v187 offset0:7 offset1:8
	ds_read2_b64 v[144:147], v187 offset0:9 offset1:10
	;; [unrolled: 1-line block ×3, first 2 shown]
	s_waitcnt vmcnt(24) lgkmcnt(3)
	v_mul_f64 v[118:119], v[138:139], v[118:119]
	s_waitcnt vmcnt(23) lgkmcnt(2)
	v_fma_f64 v[88:89], -v[118:119], v[140:141], v[88:89]
	s_waitcnt vmcnt(22)
	v_fma_f64 v[116:117], -v[118:119], v[142:143], v[116:117]
	ds_read2_b64 v[140:143], v187 offset0:13 offset1:14
	s_waitcnt vmcnt(21) lgkmcnt(2)
	v_fma_f64 v[86:87], -v[118:119], v[144:145], v[86:87]
	s_waitcnt vmcnt(20)
	v_fma_f64 v[114:115], -v[118:119], v[146:147], v[114:115]
	s_waitcnt vmcnt(19) lgkmcnt(1)
	v_fma_f64 v[84:85], -v[118:119], v[148:149], v[84:85]
	ds_read2_b64 v[144:147], v187 offset0:15 offset1:16
	s_waitcnt vmcnt(18)
	v_fma_f64 v[112:113], -v[118:119], v[150:151], v[112:113]
	ds_read2_b64 v[148:151], v187 offset0:17 offset1:18
	s_waitcnt vmcnt(17) lgkmcnt(2)
	v_fma_f64 v[82:83], -v[118:119], v[140:141], v[82:83]
	s_waitcnt vmcnt(16)
	v_fma_f64 v[110:111], -v[118:119], v[142:143], v[110:111]
	s_waitcnt vmcnt(15) lgkmcnt(1)
	v_fma_f64 v[80:81], -v[118:119], v[144:145], v[80:81]
	ds_read2_b64 v[140:143], v187 offset0:19 offset1:20
	s_waitcnt vmcnt(14)
	v_fma_f64 v[108:109], -v[118:119], v[146:147], v[108:109]
	ds_read2_b64 v[144:147], v187 offset0:21 offset1:22
	s_waitcnt vmcnt(13) lgkmcnt(2)
	v_fma_f64 v[78:79], -v[118:119], v[148:149], v[78:79]
	s_waitcnt vmcnt(12)
	v_fma_f64 v[106:107], -v[118:119], v[150:151], v[106:107]
	ds_read2_b64 v[148:151], v187 offset0:23 offset1:24
	s_waitcnt vmcnt(11) lgkmcnt(2)
	v_fma_f64 v[76:77], -v[118:119], v[140:141], v[76:77]
	;; [unrolled: 5-line block ×3, first 2 shown]
	s_waitcnt vmcnt(8)
	v_fma_f64 v[102:103], -v[118:119], v[146:147], v[102:103]
	s_waitcnt vmcnt(7) lgkmcnt(1)
	v_fma_f64 v[72:73], -v[118:119], v[148:149], v[72:73]
	ds_read2_b64 v[144:147], v187 offset0:27 offset1:28
	s_waitcnt vmcnt(6)
	v_fma_f64 v[100:101], -v[118:119], v[150:151], v[100:101]
	ds_read2_b64 v[148:151], v187 offset0:29 offset1:30
	s_waitcnt vmcnt(5) lgkmcnt(2)
	v_fma_f64 v[70:71], -v[118:119], v[140:141], v[70:71]
	s_waitcnt vmcnt(4)
	v_fma_f64 v[98:99], -v[118:119], v[142:143], v[98:99]
	s_waitcnt vmcnt(3) lgkmcnt(1)
	v_fma_f64 v[68:69], -v[118:119], v[144:145], v[68:69]
	s_waitcnt vmcnt(2)
	v_fma_f64 v[96:97], -v[118:119], v[146:147], v[96:97]
	;; [unrolled: 4-line block ×3, first 2 shown]
.LBB61_36:
	s_or_b64 exec, exec, s[2:3]
	v_cmp_eq_u32_e32 vcc, 7, v188
	s_waitcnt lgkmcnt(0)
	s_barrier
	s_and_saveexec_b64 s[2:3], vcc
	s_cbranch_execz .LBB61_39
; %bb.37:
	s_waitcnt vmcnt(22)
	v_mov_b32_e32 v140, v116
	v_mov_b32_e32 v141, v117
	s_waitcnt vmcnt(21)
	v_mov_b32_e32 v142, v86
	v_mov_b32_e32 v143, v87
	ds_write_b64 v186, v[88:89]
	ds_write2_b64 v187, v[140:141], v[142:143] offset0:8 offset1:9
	s_waitcnt vmcnt(20)
	v_mov_b32_e32 v140, v114
	v_mov_b32_e32 v141, v115
	s_waitcnt vmcnt(19)
	v_mov_b32_e32 v142, v84
	v_mov_b32_e32 v143, v85
	ds_write2_b64 v187, v[140:141], v[142:143] offset0:10 offset1:11
	s_waitcnt vmcnt(18)
	v_mov_b32_e32 v140, v112
	v_mov_b32_e32 v141, v113
	s_waitcnt vmcnt(17)
	v_mov_b32_e32 v142, v82
	v_mov_b32_e32 v143, v83
	ds_write2_b64 v187, v[140:141], v[142:143] offset0:12 offset1:13
	s_waitcnt vmcnt(16)
	v_mov_b32_e32 v140, v110
	v_mov_b32_e32 v141, v111
	s_waitcnt vmcnt(15)
	v_mov_b32_e32 v142, v80
	v_mov_b32_e32 v143, v81
	ds_write2_b64 v187, v[140:141], v[142:143] offset0:14 offset1:15
	s_waitcnt vmcnt(14)
	v_mov_b32_e32 v140, v108
	v_mov_b32_e32 v141, v109
	s_waitcnt vmcnt(13)
	v_mov_b32_e32 v142, v78
	v_mov_b32_e32 v143, v79
	ds_write2_b64 v187, v[140:141], v[142:143] offset0:16 offset1:17
	s_waitcnt vmcnt(12)
	v_mov_b32_e32 v140, v106
	v_mov_b32_e32 v141, v107
	s_waitcnt vmcnt(11)
	v_mov_b32_e32 v142, v76
	v_mov_b32_e32 v143, v77
	ds_write2_b64 v187, v[140:141], v[142:143] offset0:18 offset1:19
	s_waitcnt vmcnt(10)
	v_mov_b32_e32 v140, v104
	v_mov_b32_e32 v141, v105
	s_waitcnt vmcnt(9)
	v_mov_b32_e32 v142, v74
	v_mov_b32_e32 v143, v75
	ds_write2_b64 v187, v[140:141], v[142:143] offset0:20 offset1:21
	s_waitcnt vmcnt(8)
	v_mov_b32_e32 v140, v102
	v_mov_b32_e32 v141, v103
	s_waitcnt vmcnt(7)
	v_mov_b32_e32 v142, v72
	v_mov_b32_e32 v143, v73
	ds_write2_b64 v187, v[140:141], v[142:143] offset0:22 offset1:23
	s_waitcnt vmcnt(6)
	v_mov_b32_e32 v140, v100
	v_mov_b32_e32 v141, v101
	s_waitcnt vmcnt(5)
	v_mov_b32_e32 v142, v70
	v_mov_b32_e32 v143, v71
	ds_write2_b64 v187, v[140:141], v[142:143] offset0:24 offset1:25
	s_waitcnt vmcnt(4)
	v_mov_b32_e32 v140, v98
	v_mov_b32_e32 v141, v99
	s_waitcnt vmcnt(3)
	v_mov_b32_e32 v142, v68
	v_mov_b32_e32 v143, v69
	ds_write2_b64 v187, v[140:141], v[142:143] offset0:26 offset1:27
	s_waitcnt vmcnt(2)
	v_mov_b32_e32 v140, v96
	v_mov_b32_e32 v141, v97
	s_waitcnt vmcnt(1)
	v_mov_b32_e32 v142, v66
	v_mov_b32_e32 v143, v67
	ds_write2_b64 v187, v[140:141], v[142:143] offset0:28 offset1:29
	s_waitcnt vmcnt(0)
	ds_write_b64 v187, v[124:125] offset:240
	ds_read_b64 v[140:141], v186
	s_waitcnt lgkmcnt(0)
	v_cmp_neq_f64_e32 vcc, 0, v[140:141]
	s_and_b64 exec, exec, vcc
	s_cbranch_execz .LBB61_39
; %bb.38:
	v_div_scale_f64 v[142:143], s[6:7], v[140:141], v[140:141], 1.0
	v_rcp_f64_e32 v[144:145], v[142:143]
	v_div_scale_f64 v[146:147], vcc, 1.0, v[140:141], 1.0
	v_fma_f64 v[148:149], -v[142:143], v[144:145], 1.0
	v_fmac_f64_e32 v[144:145], v[144:145], v[148:149]
	v_fma_f64 v[148:149], -v[142:143], v[144:145], 1.0
	v_fmac_f64_e32 v[144:145], v[144:145], v[148:149]
	v_mul_f64 v[148:149], v[146:147], v[144:145]
	v_fma_f64 v[142:143], -v[142:143], v[148:149], v[146:147]
	v_div_fmas_f64 v[142:143], v[142:143], v[144:145], v[148:149]
	v_div_fixup_f64 v[140:141], v[142:143], v[140:141], 1.0
	ds_write_b64 v186, v[140:141]
.LBB61_39:
	s_or_b64 exec, exec, s[2:3]
	s_waitcnt lgkmcnt(0)
	s_barrier
	ds_read_b64 v[140:141], v186
	v_cmp_lt_u32_e32 vcc, 7, v188
	s_and_saveexec_b64 s[2:3], vcc
	s_cbranch_execz .LBB61_41
; %bb.40:
	ds_read2_b64 v[142:145], v187 offset0:8 offset1:9
	ds_read2_b64 v[146:149], v187 offset0:10 offset1:11
	;; [unrolled: 1-line block ×3, first 2 shown]
	s_waitcnt vmcnt(23) lgkmcnt(3)
	v_mul_f64 v[88:89], v[140:141], v[88:89]
	s_waitcnt vmcnt(22) lgkmcnt(2)
	v_fma_f64 v[116:117], -v[88:89], v[142:143], v[116:117]
	s_waitcnt vmcnt(21)
	v_fma_f64 v[86:87], -v[88:89], v[144:145], v[86:87]
	ds_read2_b64 v[142:145], v187 offset0:14 offset1:15
	s_waitcnt vmcnt(20) lgkmcnt(2)
	v_fma_f64 v[114:115], -v[88:89], v[146:147], v[114:115]
	s_waitcnt vmcnt(19)
	v_fma_f64 v[84:85], -v[88:89], v[148:149], v[84:85]
	s_waitcnt vmcnt(18) lgkmcnt(1)
	v_fma_f64 v[112:113], -v[88:89], v[150:151], v[112:113]
	ds_read2_b64 v[146:149], v187 offset0:16 offset1:17
	s_waitcnt vmcnt(17)
	v_fma_f64 v[82:83], -v[88:89], v[152:153], v[82:83]
	ds_read2_b64 v[150:153], v187 offset0:18 offset1:19
	s_waitcnt vmcnt(16) lgkmcnt(2)
	v_fma_f64 v[110:111], -v[88:89], v[142:143], v[110:111]
	s_waitcnt vmcnt(15)
	v_fma_f64 v[80:81], -v[88:89], v[144:145], v[80:81]
	s_waitcnt vmcnt(14) lgkmcnt(1)
	v_fma_f64 v[108:109], -v[88:89], v[146:147], v[108:109]
	ds_read2_b64 v[142:145], v187 offset0:20 offset1:21
	s_waitcnt vmcnt(13)
	v_fma_f64 v[78:79], -v[88:89], v[148:149], v[78:79]
	ds_read2_b64 v[146:149], v187 offset0:22 offset1:23
	s_waitcnt vmcnt(12) lgkmcnt(2)
	v_fma_f64 v[106:107], -v[88:89], v[150:151], v[106:107]
	s_waitcnt vmcnt(11)
	v_fma_f64 v[76:77], -v[88:89], v[152:153], v[76:77]
	ds_read2_b64 v[150:153], v187 offset0:24 offset1:25
	s_waitcnt vmcnt(10) lgkmcnt(2)
	v_fma_f64 v[104:105], -v[88:89], v[142:143], v[104:105]
	;; [unrolled: 5-line block ×3, first 2 shown]
	s_waitcnt vmcnt(7)
	v_fma_f64 v[72:73], -v[88:89], v[148:149], v[72:73]
	s_waitcnt vmcnt(6) lgkmcnt(1)
	v_fma_f64 v[100:101], -v[88:89], v[150:151], v[100:101]
	ds_read2_b64 v[146:149], v187 offset0:28 offset1:29
	ds_read_b64 v[150:151], v187 offset:240
	s_waitcnt vmcnt(5)
	v_fma_f64 v[70:71], -v[88:89], v[152:153], v[70:71]
	s_waitcnt vmcnt(4) lgkmcnt(2)
	v_fma_f64 v[98:99], -v[88:89], v[142:143], v[98:99]
	s_waitcnt vmcnt(3)
	v_fma_f64 v[68:69], -v[88:89], v[144:145], v[68:69]
	s_waitcnt vmcnt(2) lgkmcnt(1)
	v_fma_f64 v[96:97], -v[88:89], v[146:147], v[96:97]
	;; [unrolled: 4-line block ×3, first 2 shown]
.LBB61_41:
	s_or_b64 exec, exec, s[2:3]
	v_cmp_eq_u32_e32 vcc, 8, v188
	s_waitcnt lgkmcnt(0)
	s_barrier
	s_and_saveexec_b64 s[2:3], vcc
	s_cbranch_execz .LBB61_44
; %bb.42:
	s_waitcnt vmcnt(22)
	ds_write_b64 v186, v[116:117]
	s_waitcnt vmcnt(20)
	ds_write2_b64 v187, v[86:87], v[114:115] offset0:9 offset1:10
	s_waitcnt vmcnt(18)
	ds_write2_b64 v187, v[84:85], v[112:113] offset0:11 offset1:12
	;; [unrolled: 2-line block ×11, first 2 shown]
	ds_read_b64 v[142:143], v186
	s_waitcnt lgkmcnt(0)
	v_cmp_neq_f64_e32 vcc, 0, v[142:143]
	s_and_b64 exec, exec, vcc
	s_cbranch_execz .LBB61_44
; %bb.43:
	v_div_scale_f64 v[144:145], s[6:7], v[142:143], v[142:143], 1.0
	v_rcp_f64_e32 v[146:147], v[144:145]
	v_div_scale_f64 v[148:149], vcc, 1.0, v[142:143], 1.0
	v_fma_f64 v[150:151], -v[144:145], v[146:147], 1.0
	v_fmac_f64_e32 v[146:147], v[146:147], v[150:151]
	v_fma_f64 v[150:151], -v[144:145], v[146:147], 1.0
	v_fmac_f64_e32 v[146:147], v[146:147], v[150:151]
	v_mul_f64 v[150:151], v[148:149], v[146:147]
	v_fma_f64 v[144:145], -v[144:145], v[150:151], v[148:149]
	v_div_fmas_f64 v[144:145], v[144:145], v[146:147], v[150:151]
	v_div_fixup_f64 v[142:143], v[144:145], v[142:143], 1.0
	ds_write_b64 v186, v[142:143]
.LBB61_44:
	s_or_b64 exec, exec, s[2:3]
	s_waitcnt lgkmcnt(0)
	s_barrier
	ds_read_b64 v[142:143], v186
	v_cmp_lt_u32_e32 vcc, 8, v188
	s_and_saveexec_b64 s[2:3], vcc
	s_cbranch_execz .LBB61_46
; %bb.45:
	ds_read2_b64 v[144:147], v187 offset0:9 offset1:10
	ds_read2_b64 v[148:151], v187 offset0:11 offset1:12
	s_waitcnt vmcnt(22) lgkmcnt(2)
	v_mul_f64 v[116:117], v[142:143], v[116:117]
	ds_read2_b64 v[152:155], v187 offset0:13 offset1:14
	s_waitcnt vmcnt(21) lgkmcnt(2)
	v_fma_f64 v[86:87], -v[116:117], v[144:145], v[86:87]
	s_waitcnt vmcnt(20)
	v_fma_f64 v[114:115], -v[116:117], v[146:147], v[114:115]
	ds_read2_b64 v[144:147], v187 offset0:15 offset1:16
	s_waitcnt vmcnt(19) lgkmcnt(2)
	v_fma_f64 v[84:85], -v[116:117], v[148:149], v[84:85]
	s_waitcnt vmcnt(18)
	v_fma_f64 v[112:113], -v[116:117], v[150:151], v[112:113]
	;; [unrolled: 5-line block ×4, first 2 shown]
	s_waitcnt vmcnt(13) lgkmcnt(1)
	v_fma_f64 v[78:79], -v[116:117], v[148:149], v[78:79]
	ds_read2_b64 v[144:147], v187 offset0:21 offset1:22
	s_waitcnt vmcnt(12)
	v_fma_f64 v[106:107], -v[116:117], v[150:151], v[106:107]
	ds_read2_b64 v[148:151], v187 offset0:23 offset1:24
	s_waitcnt vmcnt(11) lgkmcnt(2)
	v_fma_f64 v[76:77], -v[116:117], v[152:153], v[76:77]
	s_waitcnt vmcnt(10)
	v_fma_f64 v[104:105], -v[116:117], v[154:155], v[104:105]
	s_waitcnt vmcnt(9) lgkmcnt(1)
	v_fma_f64 v[74:75], -v[116:117], v[144:145], v[74:75]
	s_waitcnt vmcnt(8)
	v_fma_f64 v[102:103], -v[116:117], v[146:147], v[102:103]
	ds_read2_b64 v[144:147], v187 offset0:25 offset1:26
	ds_read2_b64 v[152:155], v187 offset0:27 offset1:28
	s_waitcnt vmcnt(7) lgkmcnt(2)
	v_fma_f64 v[72:73], -v[116:117], v[148:149], v[72:73]
	s_waitcnt vmcnt(6)
	v_fma_f64 v[100:101], -v[116:117], v[150:151], v[100:101]
	ds_read2_b64 v[148:151], v187 offset0:29 offset1:30
	s_waitcnt vmcnt(5) lgkmcnt(2)
	v_fma_f64 v[70:71], -v[116:117], v[144:145], v[70:71]
	s_waitcnt vmcnt(4)
	v_fma_f64 v[98:99], -v[116:117], v[146:147], v[98:99]
	s_waitcnt vmcnt(3) lgkmcnt(1)
	v_fma_f64 v[68:69], -v[116:117], v[152:153], v[68:69]
	s_waitcnt vmcnt(2)
	v_fma_f64 v[96:97], -v[116:117], v[154:155], v[96:97]
	s_waitcnt vmcnt(1) lgkmcnt(0)
	v_fma_f64 v[66:67], -v[116:117], v[148:149], v[66:67]
	s_waitcnt vmcnt(0)
	v_fma_f64 v[124:125], -v[116:117], v[150:151], v[124:125]
.LBB61_46:
	s_or_b64 exec, exec, s[2:3]
	v_cmp_eq_u32_e32 vcc, 9, v188
	s_waitcnt lgkmcnt(0)
	s_barrier
	s_and_saveexec_b64 s[2:3], vcc
	s_cbranch_execz .LBB61_49
; %bb.47:
	s_waitcnt vmcnt(20)
	v_mov_b32_e32 v144, v114
	v_mov_b32_e32 v145, v115
	s_waitcnt vmcnt(19)
	v_mov_b32_e32 v146, v84
	v_mov_b32_e32 v147, v85
	ds_write_b64 v186, v[86:87]
	ds_write2_b64 v187, v[144:145], v[146:147] offset0:10 offset1:11
	s_waitcnt vmcnt(18)
	v_mov_b32_e32 v144, v112
	v_mov_b32_e32 v145, v113
	s_waitcnt vmcnt(17)
	v_mov_b32_e32 v146, v82
	v_mov_b32_e32 v147, v83
	ds_write2_b64 v187, v[144:145], v[146:147] offset0:12 offset1:13
	s_waitcnt vmcnt(16)
	v_mov_b32_e32 v144, v110
	v_mov_b32_e32 v145, v111
	s_waitcnt vmcnt(15)
	v_mov_b32_e32 v146, v80
	v_mov_b32_e32 v147, v81
	;; [unrolled: 7-line block ×9, first 2 shown]
	ds_write2_b64 v187, v[144:145], v[146:147] offset0:28 offset1:29
	s_waitcnt vmcnt(0)
	ds_write_b64 v187, v[124:125] offset:240
	ds_read_b64 v[144:145], v186
	s_waitcnt lgkmcnt(0)
	v_cmp_neq_f64_e32 vcc, 0, v[144:145]
	s_and_b64 exec, exec, vcc
	s_cbranch_execz .LBB61_49
; %bb.48:
	v_div_scale_f64 v[146:147], s[6:7], v[144:145], v[144:145], 1.0
	v_rcp_f64_e32 v[148:149], v[146:147]
	v_div_scale_f64 v[150:151], vcc, 1.0, v[144:145], 1.0
	v_fma_f64 v[152:153], -v[146:147], v[148:149], 1.0
	v_fmac_f64_e32 v[148:149], v[148:149], v[152:153]
	v_fma_f64 v[152:153], -v[146:147], v[148:149], 1.0
	v_fmac_f64_e32 v[148:149], v[148:149], v[152:153]
	v_mul_f64 v[152:153], v[150:151], v[148:149]
	v_fma_f64 v[146:147], -v[146:147], v[152:153], v[150:151]
	v_div_fmas_f64 v[146:147], v[146:147], v[148:149], v[152:153]
	v_div_fixup_f64 v[144:145], v[146:147], v[144:145], 1.0
	ds_write_b64 v186, v[144:145]
.LBB61_49:
	s_or_b64 exec, exec, s[2:3]
	s_waitcnt lgkmcnt(0)
	s_barrier
	ds_read_b64 v[144:145], v186
	v_cmp_lt_u32_e32 vcc, 9, v188
	s_and_saveexec_b64 s[2:3], vcc
	s_cbranch_execz .LBB61_51
; %bb.50:
	ds_read2_b64 v[146:149], v187 offset0:10 offset1:11
	ds_read2_b64 v[150:153], v187 offset0:12 offset1:13
	s_waitcnt vmcnt(21) lgkmcnt(2)
	v_mul_f64 v[86:87], v[144:145], v[86:87]
	ds_read2_b64 v[154:157], v187 offset0:14 offset1:15
	s_waitcnt vmcnt(20) lgkmcnt(2)
	v_fma_f64 v[114:115], -v[86:87], v[146:147], v[114:115]
	s_waitcnt vmcnt(19)
	v_fma_f64 v[84:85], -v[86:87], v[148:149], v[84:85]
	ds_read2_b64 v[146:149], v187 offset0:16 offset1:17
	s_waitcnt vmcnt(18) lgkmcnt(2)
	v_fma_f64 v[112:113], -v[86:87], v[150:151], v[112:113]
	s_waitcnt vmcnt(17)
	v_fma_f64 v[82:83], -v[86:87], v[152:153], v[82:83]
	;; [unrolled: 5-line block ×4, first 2 shown]
	s_waitcnt vmcnt(12) lgkmcnt(1)
	v_fma_f64 v[106:107], -v[86:87], v[150:151], v[106:107]
	ds_read2_b64 v[146:149], v187 offset0:22 offset1:23
	s_waitcnt vmcnt(11)
	v_fma_f64 v[76:77], -v[86:87], v[152:153], v[76:77]
	ds_read2_b64 v[150:153], v187 offset0:24 offset1:25
	s_waitcnt vmcnt(10) lgkmcnt(2)
	v_fma_f64 v[104:105], -v[86:87], v[154:155], v[104:105]
	s_waitcnt vmcnt(9)
	v_fma_f64 v[74:75], -v[86:87], v[156:157], v[74:75]
	s_waitcnt vmcnt(8) lgkmcnt(1)
	v_fma_f64 v[102:103], -v[86:87], v[146:147], v[102:103]
	s_waitcnt vmcnt(7)
	v_fma_f64 v[72:73], -v[86:87], v[148:149], v[72:73]
	ds_read2_b64 v[146:149], v187 offset0:26 offset1:27
	ds_read2_b64 v[154:157], v187 offset0:28 offset1:29
	s_waitcnt vmcnt(6) lgkmcnt(2)
	v_fma_f64 v[100:101], -v[86:87], v[150:151], v[100:101]
	ds_read_b64 v[150:151], v187 offset:240
	s_waitcnt vmcnt(5)
	v_fma_f64 v[70:71], -v[86:87], v[152:153], v[70:71]
	s_waitcnt vmcnt(4) lgkmcnt(2)
	v_fma_f64 v[98:99], -v[86:87], v[146:147], v[98:99]
	s_waitcnt vmcnt(3)
	v_fma_f64 v[68:69], -v[86:87], v[148:149], v[68:69]
	s_waitcnt vmcnt(2) lgkmcnt(1)
	v_fma_f64 v[96:97], -v[86:87], v[154:155], v[96:97]
	;; [unrolled: 4-line block ×3, first 2 shown]
.LBB61_51:
	s_or_b64 exec, exec, s[2:3]
	v_cmp_eq_u32_e32 vcc, 10, v188
	s_waitcnt lgkmcnt(0)
	s_barrier
	s_and_saveexec_b64 s[2:3], vcc
	s_cbranch_execz .LBB61_54
; %bb.52:
	s_waitcnt vmcnt(20)
	ds_write_b64 v186, v[114:115]
	s_waitcnt vmcnt(18)
	ds_write2_b64 v187, v[84:85], v[112:113] offset0:11 offset1:12
	s_waitcnt vmcnt(16)
	ds_write2_b64 v187, v[82:83], v[110:111] offset0:13 offset1:14
	;; [unrolled: 2-line block ×10, first 2 shown]
	ds_read_b64 v[146:147], v186
	s_waitcnt lgkmcnt(0)
	v_cmp_neq_f64_e32 vcc, 0, v[146:147]
	s_and_b64 exec, exec, vcc
	s_cbranch_execz .LBB61_54
; %bb.53:
	v_div_scale_f64 v[148:149], s[6:7], v[146:147], v[146:147], 1.0
	v_rcp_f64_e32 v[150:151], v[148:149]
	v_div_scale_f64 v[152:153], vcc, 1.0, v[146:147], 1.0
	v_fma_f64 v[154:155], -v[148:149], v[150:151], 1.0
	v_fmac_f64_e32 v[150:151], v[150:151], v[154:155]
	v_fma_f64 v[154:155], -v[148:149], v[150:151], 1.0
	v_fmac_f64_e32 v[150:151], v[150:151], v[154:155]
	v_mul_f64 v[154:155], v[152:153], v[150:151]
	v_fma_f64 v[148:149], -v[148:149], v[154:155], v[152:153]
	v_div_fmas_f64 v[148:149], v[148:149], v[150:151], v[154:155]
	v_div_fixup_f64 v[146:147], v[148:149], v[146:147], 1.0
	ds_write_b64 v186, v[146:147]
.LBB61_54:
	s_or_b64 exec, exec, s[2:3]
	s_waitcnt lgkmcnt(0)
	s_barrier
	ds_read_b64 v[146:147], v186
	v_cmp_lt_u32_e32 vcc, 10, v188
	s_and_saveexec_b64 s[2:3], vcc
	s_cbranch_execz .LBB61_56
; %bb.55:
	ds_read2_b64 v[148:151], v187 offset0:11 offset1:12
	ds_read2_b64 v[152:155], v187 offset0:13 offset1:14
	s_waitcnt vmcnt(20) lgkmcnt(2)
	v_mul_f64 v[114:115], v[146:147], v[114:115]
	ds_read2_b64 v[156:159], v187 offset0:15 offset1:16
	s_waitcnt vmcnt(19) lgkmcnt(2)
	v_fma_f64 v[84:85], -v[114:115], v[148:149], v[84:85]
	s_waitcnt vmcnt(18)
	v_fma_f64 v[112:113], -v[114:115], v[150:151], v[112:113]
	ds_read2_b64 v[148:151], v187 offset0:17 offset1:18
	s_waitcnt vmcnt(17) lgkmcnt(2)
	v_fma_f64 v[82:83], -v[114:115], v[152:153], v[82:83]
	s_waitcnt vmcnt(16)
	v_fma_f64 v[110:111], -v[114:115], v[154:155], v[110:111]
	s_waitcnt vmcnt(15) lgkmcnt(1)
	v_fma_f64 v[80:81], -v[114:115], v[156:157], v[80:81]
	ds_read2_b64 v[152:155], v187 offset0:19 offset1:20
	s_waitcnt vmcnt(14)
	v_fma_f64 v[108:109], -v[114:115], v[158:159], v[108:109]
	ds_read2_b64 v[156:159], v187 offset0:21 offset1:22
	s_waitcnt vmcnt(13) lgkmcnt(2)
	v_fma_f64 v[78:79], -v[114:115], v[148:149], v[78:79]
	s_waitcnt vmcnt(12)
	v_fma_f64 v[106:107], -v[114:115], v[150:151], v[106:107]
	ds_read2_b64 v[148:151], v187 offset0:23 offset1:24
	s_waitcnt vmcnt(11) lgkmcnt(2)
	v_fma_f64 v[76:77], -v[114:115], v[152:153], v[76:77]
	s_waitcnt vmcnt(10)
	v_fma_f64 v[104:105], -v[114:115], v[154:155], v[104:105]
	ds_read2_b64 v[152:155], v187 offset0:25 offset1:26
	s_waitcnt vmcnt(9) lgkmcnt(2)
	v_fma_f64 v[74:75], -v[114:115], v[156:157], v[74:75]
	s_waitcnt vmcnt(8)
	v_fma_f64 v[102:103], -v[114:115], v[158:159], v[102:103]
	s_waitcnt vmcnt(7) lgkmcnt(1)
	v_fma_f64 v[72:73], -v[114:115], v[148:149], v[72:73]
	ds_read2_b64 v[156:159], v187 offset0:27 offset1:28
	s_waitcnt vmcnt(6)
	v_fma_f64 v[100:101], -v[114:115], v[150:151], v[100:101]
	ds_read2_b64 v[148:151], v187 offset0:29 offset1:30
	s_waitcnt vmcnt(5) lgkmcnt(2)
	v_fma_f64 v[70:71], -v[114:115], v[152:153], v[70:71]
	s_waitcnt vmcnt(4)
	v_fma_f64 v[98:99], -v[114:115], v[154:155], v[98:99]
	s_waitcnt vmcnt(3) lgkmcnt(1)
	v_fma_f64 v[68:69], -v[114:115], v[156:157], v[68:69]
	s_waitcnt vmcnt(2)
	v_fma_f64 v[96:97], -v[114:115], v[158:159], v[96:97]
	;; [unrolled: 4-line block ×3, first 2 shown]
.LBB61_56:
	s_or_b64 exec, exec, s[2:3]
	v_cmp_eq_u32_e32 vcc, 11, v188
	s_waitcnt lgkmcnt(0)
	s_barrier
	s_and_saveexec_b64 s[2:3], vcc
	s_cbranch_execz .LBB61_59
; %bb.57:
	s_waitcnt vmcnt(18)
	v_mov_b32_e32 v148, v112
	v_mov_b32_e32 v149, v113
	s_waitcnt vmcnt(17)
	v_mov_b32_e32 v150, v82
	v_mov_b32_e32 v151, v83
	ds_write_b64 v186, v[84:85]
	ds_write2_b64 v187, v[148:149], v[150:151] offset0:12 offset1:13
	s_waitcnt vmcnt(16)
	v_mov_b32_e32 v148, v110
	v_mov_b32_e32 v149, v111
	s_waitcnt vmcnt(15)
	v_mov_b32_e32 v150, v80
	v_mov_b32_e32 v151, v81
	ds_write2_b64 v187, v[148:149], v[150:151] offset0:14 offset1:15
	s_waitcnt vmcnt(14)
	v_mov_b32_e32 v148, v108
	v_mov_b32_e32 v149, v109
	s_waitcnt vmcnt(13)
	v_mov_b32_e32 v150, v78
	v_mov_b32_e32 v151, v79
	;; [unrolled: 7-line block ×8, first 2 shown]
	ds_write2_b64 v187, v[148:149], v[150:151] offset0:28 offset1:29
	s_waitcnt vmcnt(0)
	ds_write_b64 v187, v[124:125] offset:240
	ds_read_b64 v[148:149], v186
	s_waitcnt lgkmcnt(0)
	v_cmp_neq_f64_e32 vcc, 0, v[148:149]
	s_and_b64 exec, exec, vcc
	s_cbranch_execz .LBB61_59
; %bb.58:
	v_div_scale_f64 v[150:151], s[6:7], v[148:149], v[148:149], 1.0
	v_rcp_f64_e32 v[152:153], v[150:151]
	v_div_scale_f64 v[154:155], vcc, 1.0, v[148:149], 1.0
	v_fma_f64 v[156:157], -v[150:151], v[152:153], 1.0
	v_fmac_f64_e32 v[152:153], v[152:153], v[156:157]
	v_fma_f64 v[156:157], -v[150:151], v[152:153], 1.0
	v_fmac_f64_e32 v[152:153], v[152:153], v[156:157]
	v_mul_f64 v[156:157], v[154:155], v[152:153]
	v_fma_f64 v[150:151], -v[150:151], v[156:157], v[154:155]
	v_div_fmas_f64 v[150:151], v[150:151], v[152:153], v[156:157]
	v_div_fixup_f64 v[148:149], v[150:151], v[148:149], 1.0
	ds_write_b64 v186, v[148:149]
.LBB61_59:
	s_or_b64 exec, exec, s[2:3]
	s_waitcnt lgkmcnt(0)
	s_barrier
	ds_read_b64 v[148:149], v186
	v_cmp_lt_u32_e32 vcc, 11, v188
	s_and_saveexec_b64 s[2:3], vcc
	s_cbranch_execz .LBB61_61
; %bb.60:
	ds_read2_b64 v[150:153], v187 offset0:12 offset1:13
	ds_read2_b64 v[154:157], v187 offset0:14 offset1:15
	s_waitcnt vmcnt(19) lgkmcnt(2)
	v_mul_f64 v[84:85], v[148:149], v[84:85]
	ds_read2_b64 v[158:161], v187 offset0:16 offset1:17
	s_waitcnt vmcnt(18) lgkmcnt(2)
	v_fma_f64 v[112:113], -v[84:85], v[150:151], v[112:113]
	s_waitcnt vmcnt(17)
	v_fma_f64 v[82:83], -v[84:85], v[152:153], v[82:83]
	ds_read2_b64 v[150:153], v187 offset0:18 offset1:19
	s_waitcnt vmcnt(16) lgkmcnt(2)
	v_fma_f64 v[110:111], -v[84:85], v[154:155], v[110:111]
	s_waitcnt vmcnt(15)
	v_fma_f64 v[80:81], -v[84:85], v[156:157], v[80:81]
	s_waitcnt vmcnt(14) lgkmcnt(1)
	v_fma_f64 v[108:109], -v[84:85], v[158:159], v[108:109]
	ds_read2_b64 v[154:157], v187 offset0:20 offset1:21
	s_waitcnt vmcnt(13)
	v_fma_f64 v[78:79], -v[84:85], v[160:161], v[78:79]
	ds_read2_b64 v[158:161], v187 offset0:22 offset1:23
	s_waitcnt vmcnt(12) lgkmcnt(2)
	v_fma_f64 v[106:107], -v[84:85], v[150:151], v[106:107]
	s_waitcnt vmcnt(11)
	v_fma_f64 v[76:77], -v[84:85], v[152:153], v[76:77]
	ds_read2_b64 v[150:153], v187 offset0:24 offset1:25
	s_waitcnt vmcnt(10) lgkmcnt(2)
	v_fma_f64 v[104:105], -v[84:85], v[154:155], v[104:105]
	;; [unrolled: 5-line block ×3, first 2 shown]
	s_waitcnt vmcnt(7)
	v_fma_f64 v[72:73], -v[84:85], v[160:161], v[72:73]
	s_waitcnt vmcnt(6) lgkmcnt(1)
	v_fma_f64 v[100:101], -v[84:85], v[150:151], v[100:101]
	ds_read2_b64 v[158:161], v187 offset0:28 offset1:29
	ds_read_b64 v[150:151], v187 offset:240
	s_waitcnt vmcnt(5)
	v_fma_f64 v[70:71], -v[84:85], v[152:153], v[70:71]
	s_waitcnt vmcnt(4) lgkmcnt(2)
	v_fma_f64 v[98:99], -v[84:85], v[154:155], v[98:99]
	s_waitcnt vmcnt(3)
	v_fma_f64 v[68:69], -v[84:85], v[156:157], v[68:69]
	s_waitcnt vmcnt(2) lgkmcnt(1)
	v_fma_f64 v[96:97], -v[84:85], v[158:159], v[96:97]
	;; [unrolled: 4-line block ×3, first 2 shown]
.LBB61_61:
	s_or_b64 exec, exec, s[2:3]
	v_cmp_eq_u32_e32 vcc, 12, v188
	s_waitcnt lgkmcnt(0)
	s_barrier
	s_and_saveexec_b64 s[2:3], vcc
	s_cbranch_execz .LBB61_64
; %bb.62:
	s_waitcnt vmcnt(18)
	ds_write_b64 v186, v[112:113]
	s_waitcnt vmcnt(16)
	ds_write2_b64 v187, v[82:83], v[110:111] offset0:13 offset1:14
	s_waitcnt vmcnt(14)
	ds_write2_b64 v187, v[80:81], v[108:109] offset0:15 offset1:16
	;; [unrolled: 2-line block ×9, first 2 shown]
	ds_read_b64 v[150:151], v186
	s_waitcnt lgkmcnt(0)
	v_cmp_neq_f64_e32 vcc, 0, v[150:151]
	s_and_b64 exec, exec, vcc
	s_cbranch_execz .LBB61_64
; %bb.63:
	v_div_scale_f64 v[152:153], s[6:7], v[150:151], v[150:151], 1.0
	v_rcp_f64_e32 v[154:155], v[152:153]
	v_div_scale_f64 v[156:157], vcc, 1.0, v[150:151], 1.0
	v_fma_f64 v[158:159], -v[152:153], v[154:155], 1.0
	v_fmac_f64_e32 v[154:155], v[154:155], v[158:159]
	v_fma_f64 v[158:159], -v[152:153], v[154:155], 1.0
	v_fmac_f64_e32 v[154:155], v[154:155], v[158:159]
	v_mul_f64 v[158:159], v[156:157], v[154:155]
	v_fma_f64 v[152:153], -v[152:153], v[158:159], v[156:157]
	v_div_fmas_f64 v[152:153], v[152:153], v[154:155], v[158:159]
	v_div_fixup_f64 v[150:151], v[152:153], v[150:151], 1.0
	ds_write_b64 v186, v[150:151]
.LBB61_64:
	s_or_b64 exec, exec, s[2:3]
	s_waitcnt lgkmcnt(0)
	s_barrier
	ds_read_b64 v[150:151], v186
	v_cmp_lt_u32_e32 vcc, 12, v188
	s_and_saveexec_b64 s[2:3], vcc
	s_cbranch_execz .LBB61_66
; %bb.65:
	ds_read2_b64 v[152:155], v187 offset0:13 offset1:14
	ds_read2_b64 v[156:159], v187 offset0:15 offset1:16
	;; [unrolled: 1-line block ×3, first 2 shown]
	s_waitcnt vmcnt(18) lgkmcnt(3)
	v_mul_f64 v[112:113], v[150:151], v[112:113]
	s_waitcnt vmcnt(17) lgkmcnt(2)
	v_fma_f64 v[82:83], -v[112:113], v[152:153], v[82:83]
	s_waitcnt vmcnt(16)
	v_fma_f64 v[110:111], -v[112:113], v[154:155], v[110:111]
	ds_read2_b64 v[152:155], v187 offset0:19 offset1:20
	s_waitcnt vmcnt(15) lgkmcnt(2)
	v_fma_f64 v[80:81], -v[112:113], v[156:157], v[80:81]
	s_waitcnt vmcnt(14)
	v_fma_f64 v[108:109], -v[112:113], v[158:159], v[108:109]
	s_waitcnt vmcnt(13) lgkmcnt(1)
	v_fma_f64 v[78:79], -v[112:113], v[160:161], v[78:79]
	ds_read2_b64 v[156:159], v187 offset0:21 offset1:22
	s_waitcnt vmcnt(12)
	v_fma_f64 v[106:107], -v[112:113], v[162:163], v[106:107]
	ds_read2_b64 v[160:163], v187 offset0:23 offset1:24
	s_waitcnt vmcnt(11) lgkmcnt(2)
	v_fma_f64 v[76:77], -v[112:113], v[152:153], v[76:77]
	s_waitcnt vmcnt(10)
	v_fma_f64 v[104:105], -v[112:113], v[154:155], v[104:105]
	s_waitcnt vmcnt(9) lgkmcnt(1)
	v_fma_f64 v[74:75], -v[112:113], v[156:157], v[74:75]
	s_waitcnt vmcnt(8)
	v_fma_f64 v[102:103], -v[112:113], v[158:159], v[102:103]
	ds_read2_b64 v[152:155], v187 offset0:25 offset1:26
	ds_read2_b64 v[156:159], v187 offset0:27 offset1:28
	s_waitcnt vmcnt(7) lgkmcnt(2)
	v_fma_f64 v[72:73], -v[112:113], v[160:161], v[72:73]
	s_waitcnt vmcnt(6)
	v_fma_f64 v[100:101], -v[112:113], v[162:163], v[100:101]
	ds_read2_b64 v[160:163], v187 offset0:29 offset1:30
	s_waitcnt vmcnt(5) lgkmcnt(2)
	v_fma_f64 v[70:71], -v[112:113], v[152:153], v[70:71]
	s_waitcnt vmcnt(4)
	v_fma_f64 v[98:99], -v[112:113], v[154:155], v[98:99]
	s_waitcnt vmcnt(3) lgkmcnt(1)
	v_fma_f64 v[68:69], -v[112:113], v[156:157], v[68:69]
	s_waitcnt vmcnt(2)
	v_fma_f64 v[96:97], -v[112:113], v[158:159], v[96:97]
	;; [unrolled: 4-line block ×3, first 2 shown]
.LBB61_66:
	s_or_b64 exec, exec, s[2:3]
	v_cmp_eq_u32_e32 vcc, 13, v188
	s_waitcnt lgkmcnt(0)
	s_barrier
	s_and_saveexec_b64 s[2:3], vcc
	s_cbranch_execz .LBB61_69
; %bb.67:
	s_waitcnt vmcnt(16)
	v_mov_b32_e32 v152, v110
	v_mov_b32_e32 v153, v111
	s_waitcnt vmcnt(15)
	v_mov_b32_e32 v154, v80
	v_mov_b32_e32 v155, v81
	ds_write_b64 v186, v[82:83]
	ds_write2_b64 v187, v[152:153], v[154:155] offset0:14 offset1:15
	s_waitcnt vmcnt(14)
	v_mov_b32_e32 v152, v108
	v_mov_b32_e32 v153, v109
	s_waitcnt vmcnt(13)
	v_mov_b32_e32 v154, v78
	v_mov_b32_e32 v155, v79
	ds_write2_b64 v187, v[152:153], v[154:155] offset0:16 offset1:17
	s_waitcnt vmcnt(12)
	v_mov_b32_e32 v152, v106
	v_mov_b32_e32 v153, v107
	s_waitcnt vmcnt(11)
	v_mov_b32_e32 v154, v76
	v_mov_b32_e32 v155, v77
	;; [unrolled: 7-line block ×7, first 2 shown]
	ds_write2_b64 v187, v[152:153], v[154:155] offset0:28 offset1:29
	s_waitcnt vmcnt(0)
	ds_write_b64 v187, v[124:125] offset:240
	ds_read_b64 v[152:153], v186
	s_waitcnt lgkmcnt(0)
	v_cmp_neq_f64_e32 vcc, 0, v[152:153]
	s_and_b64 exec, exec, vcc
	s_cbranch_execz .LBB61_69
; %bb.68:
	v_div_scale_f64 v[154:155], s[6:7], v[152:153], v[152:153], 1.0
	v_rcp_f64_e32 v[156:157], v[154:155]
	v_div_scale_f64 v[158:159], vcc, 1.0, v[152:153], 1.0
	v_fma_f64 v[160:161], -v[154:155], v[156:157], 1.0
	v_fmac_f64_e32 v[156:157], v[156:157], v[160:161]
	v_fma_f64 v[160:161], -v[154:155], v[156:157], 1.0
	v_fmac_f64_e32 v[156:157], v[156:157], v[160:161]
	v_mul_f64 v[160:161], v[158:159], v[156:157]
	v_fma_f64 v[154:155], -v[154:155], v[160:161], v[158:159]
	v_div_fmas_f64 v[154:155], v[154:155], v[156:157], v[160:161]
	v_div_fixup_f64 v[152:153], v[154:155], v[152:153], 1.0
	ds_write_b64 v186, v[152:153]
.LBB61_69:
	s_or_b64 exec, exec, s[2:3]
	s_waitcnt lgkmcnt(0)
	s_barrier
	ds_read_b64 v[152:153], v186
	v_cmp_lt_u32_e32 vcc, 13, v188
	s_and_saveexec_b64 s[2:3], vcc
	s_cbranch_execz .LBB61_71
; %bb.70:
	ds_read2_b64 v[154:157], v187 offset0:14 offset1:15
	ds_read2_b64 v[158:161], v187 offset0:16 offset1:17
	ds_read2_b64 v[162:165], v187 offset0:18 offset1:19
	s_waitcnt vmcnt(17) lgkmcnt(3)
	v_mul_f64 v[82:83], v[152:153], v[82:83]
	s_waitcnt vmcnt(16) lgkmcnt(2)
	v_fma_f64 v[110:111], -v[82:83], v[154:155], v[110:111]
	s_waitcnt vmcnt(15)
	v_fma_f64 v[80:81], -v[82:83], v[156:157], v[80:81]
	ds_read2_b64 v[154:157], v187 offset0:20 offset1:21
	s_waitcnt vmcnt(14) lgkmcnt(2)
	v_fma_f64 v[108:109], -v[82:83], v[158:159], v[108:109]
	s_waitcnt vmcnt(13)
	v_fma_f64 v[78:79], -v[82:83], v[160:161], v[78:79]
	s_waitcnt vmcnt(12) lgkmcnt(1)
	v_fma_f64 v[106:107], -v[82:83], v[162:163], v[106:107]
	ds_read2_b64 v[158:161], v187 offset0:22 offset1:23
	s_waitcnt vmcnt(11)
	v_fma_f64 v[76:77], -v[82:83], v[164:165], v[76:77]
	ds_read2_b64 v[162:165], v187 offset0:24 offset1:25
	s_waitcnt vmcnt(10) lgkmcnt(2)
	v_fma_f64 v[104:105], -v[82:83], v[154:155], v[104:105]
	s_waitcnt vmcnt(9)
	v_fma_f64 v[74:75], -v[82:83], v[156:157], v[74:75]
	s_waitcnt vmcnt(8) lgkmcnt(1)
	v_fma_f64 v[102:103], -v[82:83], v[158:159], v[102:103]
	s_waitcnt vmcnt(7)
	v_fma_f64 v[72:73], -v[82:83], v[160:161], v[72:73]
	ds_read2_b64 v[154:157], v187 offset0:26 offset1:27
	ds_read2_b64 v[158:161], v187 offset0:28 offset1:29
	s_waitcnt vmcnt(6) lgkmcnt(2)
	v_fma_f64 v[100:101], -v[82:83], v[162:163], v[100:101]
	ds_read_b64 v[162:163], v187 offset:240
	s_waitcnt vmcnt(5)
	v_fma_f64 v[70:71], -v[82:83], v[164:165], v[70:71]
	s_waitcnt vmcnt(4) lgkmcnt(2)
	v_fma_f64 v[98:99], -v[82:83], v[154:155], v[98:99]
	s_waitcnt vmcnt(3)
	v_fma_f64 v[68:69], -v[82:83], v[156:157], v[68:69]
	s_waitcnt vmcnt(2) lgkmcnt(1)
	v_fma_f64 v[96:97], -v[82:83], v[158:159], v[96:97]
	s_waitcnt vmcnt(1)
	v_fma_f64 v[66:67], -v[82:83], v[160:161], v[66:67]
	s_waitcnt vmcnt(0) lgkmcnt(0)
	v_fma_f64 v[124:125], -v[82:83], v[162:163], v[124:125]
.LBB61_71:
	s_or_b64 exec, exec, s[2:3]
	v_cmp_eq_u32_e32 vcc, 14, v188
	s_waitcnt lgkmcnt(0)
	s_barrier
	s_and_saveexec_b64 s[2:3], vcc
	s_cbranch_execz .LBB61_74
; %bb.72:
	s_waitcnt vmcnt(16)
	ds_write_b64 v186, v[110:111]
	s_waitcnt vmcnt(14)
	ds_write2_b64 v187, v[80:81], v[108:109] offset0:15 offset1:16
	s_waitcnt vmcnt(12)
	ds_write2_b64 v187, v[78:79], v[106:107] offset0:17 offset1:18
	;; [unrolled: 2-line block ×8, first 2 shown]
	ds_read_b64 v[154:155], v186
	s_waitcnt lgkmcnt(0)
	v_cmp_neq_f64_e32 vcc, 0, v[154:155]
	s_and_b64 exec, exec, vcc
	s_cbranch_execz .LBB61_74
; %bb.73:
	v_div_scale_f64 v[156:157], s[6:7], v[154:155], v[154:155], 1.0
	v_rcp_f64_e32 v[158:159], v[156:157]
	v_div_scale_f64 v[160:161], vcc, 1.0, v[154:155], 1.0
	v_fma_f64 v[162:163], -v[156:157], v[158:159], 1.0
	v_fmac_f64_e32 v[158:159], v[158:159], v[162:163]
	v_fma_f64 v[162:163], -v[156:157], v[158:159], 1.0
	v_fmac_f64_e32 v[158:159], v[158:159], v[162:163]
	v_mul_f64 v[162:163], v[160:161], v[158:159]
	v_fma_f64 v[156:157], -v[156:157], v[162:163], v[160:161]
	v_div_fmas_f64 v[156:157], v[156:157], v[158:159], v[162:163]
	v_div_fixup_f64 v[154:155], v[156:157], v[154:155], 1.0
	ds_write_b64 v186, v[154:155]
.LBB61_74:
	s_or_b64 exec, exec, s[2:3]
	s_waitcnt lgkmcnt(0)
	s_barrier
	ds_read_b64 v[154:155], v186
	v_cmp_lt_u32_e32 vcc, 14, v188
	s_and_saveexec_b64 s[2:3], vcc
	s_cbranch_execz .LBB61_76
; %bb.75:
	ds_read2_b64 v[156:159], v187 offset0:15 offset1:16
	ds_read2_b64 v[160:163], v187 offset0:17 offset1:18
	s_waitcnt vmcnt(16) lgkmcnt(2)
	v_mul_f64 v[110:111], v[154:155], v[110:111]
	ds_read2_b64 v[164:167], v187 offset0:19 offset1:20
	s_waitcnt vmcnt(15) lgkmcnt(2)
	v_fma_f64 v[80:81], -v[110:111], v[156:157], v[80:81]
	s_waitcnt vmcnt(14)
	v_fma_f64 v[108:109], -v[110:111], v[158:159], v[108:109]
	ds_read2_b64 v[156:159], v187 offset0:21 offset1:22
	s_waitcnt vmcnt(13) lgkmcnt(2)
	v_fma_f64 v[78:79], -v[110:111], v[160:161], v[78:79]
	s_waitcnt vmcnt(12)
	v_fma_f64 v[106:107], -v[110:111], v[162:163], v[106:107]
	;; [unrolled: 5-line block ×3, first 2 shown]
	s_waitcnt vmcnt(9) lgkmcnt(1)
	v_fma_f64 v[74:75], -v[110:111], v[156:157], v[74:75]
	s_waitcnt vmcnt(8)
	v_fma_f64 v[102:103], -v[110:111], v[158:159], v[102:103]
	ds_read2_b64 v[156:159], v187 offset0:25 offset1:26
	s_waitcnt vmcnt(7) lgkmcnt(1)
	v_fma_f64 v[72:73], -v[110:111], v[160:161], v[72:73]
	ds_read2_b64 v[164:167], v187 offset0:27 offset1:28
	s_waitcnt vmcnt(6)
	v_fma_f64 v[100:101], -v[110:111], v[162:163], v[100:101]
	ds_read2_b64 v[160:163], v187 offset0:29 offset1:30
	s_waitcnt vmcnt(5) lgkmcnt(2)
	v_fma_f64 v[70:71], -v[110:111], v[156:157], v[70:71]
	s_waitcnt vmcnt(4)
	v_fma_f64 v[98:99], -v[110:111], v[158:159], v[98:99]
	s_waitcnt vmcnt(3) lgkmcnt(1)
	v_fma_f64 v[68:69], -v[110:111], v[164:165], v[68:69]
	s_waitcnt vmcnt(2)
	v_fma_f64 v[96:97], -v[110:111], v[166:167], v[96:97]
	;; [unrolled: 4-line block ×3, first 2 shown]
.LBB61_76:
	s_or_b64 exec, exec, s[2:3]
	v_cmp_eq_u32_e32 vcc, 15, v188
	s_waitcnt lgkmcnt(0)
	s_barrier
	s_and_saveexec_b64 s[2:3], vcc
	s_cbranch_execz .LBB61_79
; %bb.77:
	s_waitcnt vmcnt(14)
	v_mov_b32_e32 v156, v108
	v_mov_b32_e32 v157, v109
	s_waitcnt vmcnt(13)
	v_mov_b32_e32 v158, v78
	v_mov_b32_e32 v159, v79
	ds_write_b64 v186, v[80:81]
	ds_write2_b64 v187, v[156:157], v[158:159] offset0:16 offset1:17
	s_waitcnt vmcnt(12)
	v_mov_b32_e32 v156, v106
	v_mov_b32_e32 v157, v107
	s_waitcnt vmcnt(11)
	v_mov_b32_e32 v158, v76
	v_mov_b32_e32 v159, v77
	ds_write2_b64 v187, v[156:157], v[158:159] offset0:18 offset1:19
	s_waitcnt vmcnt(10)
	v_mov_b32_e32 v156, v104
	v_mov_b32_e32 v157, v105
	s_waitcnt vmcnt(9)
	v_mov_b32_e32 v158, v74
	v_mov_b32_e32 v159, v75
	ds_write2_b64 v187, v[156:157], v[158:159] offset0:20 offset1:21
	s_waitcnt vmcnt(8)
	v_mov_b32_e32 v156, v102
	v_mov_b32_e32 v157, v103
	s_waitcnt vmcnt(7)
	v_mov_b32_e32 v158, v72
	v_mov_b32_e32 v159, v73
	ds_write2_b64 v187, v[156:157], v[158:159] offset0:22 offset1:23
	s_waitcnt vmcnt(6)
	v_mov_b32_e32 v156, v100
	v_mov_b32_e32 v157, v101
	s_waitcnt vmcnt(5)
	v_mov_b32_e32 v158, v70
	v_mov_b32_e32 v159, v71
	ds_write2_b64 v187, v[156:157], v[158:159] offset0:24 offset1:25
	s_waitcnt vmcnt(4)
	v_mov_b32_e32 v156, v98
	v_mov_b32_e32 v157, v99
	s_waitcnt vmcnt(3)
	v_mov_b32_e32 v158, v68
	v_mov_b32_e32 v159, v69
	ds_write2_b64 v187, v[156:157], v[158:159] offset0:26 offset1:27
	s_waitcnt vmcnt(2)
	v_mov_b32_e32 v156, v96
	v_mov_b32_e32 v157, v97
	s_waitcnt vmcnt(1)
	v_mov_b32_e32 v158, v66
	v_mov_b32_e32 v159, v67
	ds_write2_b64 v187, v[156:157], v[158:159] offset0:28 offset1:29
	s_waitcnt vmcnt(0)
	ds_write_b64 v187, v[124:125] offset:240
	ds_read_b64 v[156:157], v186
	s_waitcnt lgkmcnt(0)
	v_cmp_neq_f64_e32 vcc, 0, v[156:157]
	s_and_b64 exec, exec, vcc
	s_cbranch_execz .LBB61_79
; %bb.78:
	v_div_scale_f64 v[158:159], s[6:7], v[156:157], v[156:157], 1.0
	v_rcp_f64_e32 v[160:161], v[158:159]
	v_div_scale_f64 v[162:163], vcc, 1.0, v[156:157], 1.0
	v_fma_f64 v[164:165], -v[158:159], v[160:161], 1.0
	v_fmac_f64_e32 v[160:161], v[160:161], v[164:165]
	v_fma_f64 v[164:165], -v[158:159], v[160:161], 1.0
	v_fmac_f64_e32 v[160:161], v[160:161], v[164:165]
	v_mul_f64 v[164:165], v[162:163], v[160:161]
	v_fma_f64 v[158:159], -v[158:159], v[164:165], v[162:163]
	v_div_fmas_f64 v[158:159], v[158:159], v[160:161], v[164:165]
	v_div_fixup_f64 v[156:157], v[158:159], v[156:157], 1.0
	ds_write_b64 v186, v[156:157]
.LBB61_79:
	s_or_b64 exec, exec, s[2:3]
	s_waitcnt lgkmcnt(0)
	s_barrier
	ds_read_b64 v[156:157], v186
	v_cmp_lt_u32_e32 vcc, 15, v188
	s_and_saveexec_b64 s[2:3], vcc
	s_cbranch_execz .LBB61_81
; %bb.80:
	ds_read2_b64 v[158:161], v187 offset0:16 offset1:17
	ds_read2_b64 v[162:165], v187 offset0:18 offset1:19
	s_waitcnt vmcnt(15) lgkmcnt(2)
	v_mul_f64 v[80:81], v[156:157], v[80:81]
	ds_read2_b64 v[166:169], v187 offset0:20 offset1:21
	s_waitcnt vmcnt(14) lgkmcnt(2)
	v_fma_f64 v[108:109], -v[80:81], v[158:159], v[108:109]
	s_waitcnt vmcnt(13)
	v_fma_f64 v[78:79], -v[80:81], v[160:161], v[78:79]
	ds_read2_b64 v[158:161], v187 offset0:22 offset1:23
	s_waitcnt vmcnt(12) lgkmcnt(2)
	v_fma_f64 v[106:107], -v[80:81], v[162:163], v[106:107]
	s_waitcnt vmcnt(11)
	v_fma_f64 v[76:77], -v[80:81], v[164:165], v[76:77]
	;; [unrolled: 5-line block ×3, first 2 shown]
	s_waitcnt vmcnt(8) lgkmcnt(1)
	v_fma_f64 v[102:103], -v[80:81], v[158:159], v[102:103]
	s_waitcnt vmcnt(7)
	v_fma_f64 v[72:73], -v[80:81], v[160:161], v[72:73]
	ds_read2_b64 v[158:161], v187 offset0:26 offset1:27
	s_waitcnt vmcnt(6) lgkmcnt(1)
	v_fma_f64 v[100:101], -v[80:81], v[162:163], v[100:101]
	ds_read2_b64 v[166:169], v187 offset0:28 offset1:29
	ds_read_b64 v[162:163], v187 offset:240
	s_waitcnt vmcnt(5)
	v_fma_f64 v[70:71], -v[80:81], v[164:165], v[70:71]
	s_waitcnt vmcnt(4) lgkmcnt(2)
	v_fma_f64 v[98:99], -v[80:81], v[158:159], v[98:99]
	s_waitcnt vmcnt(3)
	v_fma_f64 v[68:69], -v[80:81], v[160:161], v[68:69]
	s_waitcnt vmcnt(2) lgkmcnt(1)
	v_fma_f64 v[96:97], -v[80:81], v[166:167], v[96:97]
	;; [unrolled: 4-line block ×3, first 2 shown]
.LBB61_81:
	s_or_b64 exec, exec, s[2:3]
	v_cmp_eq_u32_e32 vcc, 16, v188
	s_waitcnt lgkmcnt(0)
	s_barrier
	s_and_saveexec_b64 s[2:3], vcc
	s_cbranch_execz .LBB61_84
; %bb.82:
	s_waitcnt vmcnt(14)
	ds_write_b64 v186, v[108:109]
	s_waitcnt vmcnt(12)
	ds_write2_b64 v187, v[78:79], v[106:107] offset0:17 offset1:18
	s_waitcnt vmcnt(10)
	ds_write2_b64 v187, v[76:77], v[104:105] offset0:19 offset1:20
	s_waitcnt vmcnt(8)
	ds_write2_b64 v187, v[74:75], v[102:103] offset0:21 offset1:22
	s_waitcnt vmcnt(6)
	ds_write2_b64 v187, v[72:73], v[100:101] offset0:23 offset1:24
	s_waitcnt vmcnt(4)
	ds_write2_b64 v187, v[70:71], v[98:99] offset0:25 offset1:26
	s_waitcnt vmcnt(2)
	ds_write2_b64 v187, v[68:69], v[96:97] offset0:27 offset1:28
	s_waitcnt vmcnt(0)
	ds_write2_b64 v187, v[66:67], v[124:125] offset0:29 offset1:30
	ds_read_b64 v[158:159], v186
	s_waitcnt lgkmcnt(0)
	v_cmp_neq_f64_e32 vcc, 0, v[158:159]
	s_and_b64 exec, exec, vcc
	s_cbranch_execz .LBB61_84
; %bb.83:
	v_div_scale_f64 v[160:161], s[6:7], v[158:159], v[158:159], 1.0
	v_rcp_f64_e32 v[162:163], v[160:161]
	v_div_scale_f64 v[164:165], vcc, 1.0, v[158:159], 1.0
	v_fma_f64 v[166:167], -v[160:161], v[162:163], 1.0
	v_fmac_f64_e32 v[162:163], v[162:163], v[166:167]
	v_fma_f64 v[166:167], -v[160:161], v[162:163], 1.0
	v_fmac_f64_e32 v[162:163], v[162:163], v[166:167]
	v_mul_f64 v[166:167], v[164:165], v[162:163]
	v_fma_f64 v[160:161], -v[160:161], v[166:167], v[164:165]
	v_div_fmas_f64 v[160:161], v[160:161], v[162:163], v[166:167]
	v_div_fixup_f64 v[158:159], v[160:161], v[158:159], 1.0
	ds_write_b64 v186, v[158:159]
.LBB61_84:
	s_or_b64 exec, exec, s[2:3]
	s_waitcnt lgkmcnt(0)
	s_barrier
	ds_read_b64 v[158:159], v186
	v_cmp_lt_u32_e32 vcc, 16, v188
	s_and_saveexec_b64 s[2:3], vcc
	s_cbranch_execz .LBB61_86
; %bb.85:
	ds_read2_b64 v[160:163], v187 offset0:17 offset1:18
	ds_read2_b64 v[164:167], v187 offset0:19 offset1:20
	s_waitcnt vmcnt(14) lgkmcnt(2)
	v_mul_f64 v[108:109], v[158:159], v[108:109]
	ds_read2_b64 v[168:171], v187 offset0:21 offset1:22
	s_waitcnt vmcnt(13) lgkmcnt(2)
	v_fma_f64 v[78:79], -v[108:109], v[160:161], v[78:79]
	s_waitcnt vmcnt(12)
	v_fma_f64 v[106:107], -v[108:109], v[162:163], v[106:107]
	ds_read2_b64 v[160:163], v187 offset0:23 offset1:24
	s_waitcnt vmcnt(11) lgkmcnt(2)
	v_fma_f64 v[76:77], -v[108:109], v[164:165], v[76:77]
	s_waitcnt vmcnt(10)
	v_fma_f64 v[104:105], -v[108:109], v[166:167], v[104:105]
	s_waitcnt vmcnt(9) lgkmcnt(1)
	v_fma_f64 v[74:75], -v[108:109], v[168:169], v[74:75]
	s_waitcnt vmcnt(8)
	v_fma_f64 v[102:103], -v[108:109], v[170:171], v[102:103]
	ds_read2_b64 v[164:167], v187 offset0:25 offset1:26
	ds_read2_b64 v[168:171], v187 offset0:27 offset1:28
	s_waitcnt vmcnt(7) lgkmcnt(2)
	v_fma_f64 v[72:73], -v[108:109], v[160:161], v[72:73]
	s_waitcnt vmcnt(6)
	v_fma_f64 v[100:101], -v[108:109], v[162:163], v[100:101]
	ds_read2_b64 v[160:163], v187 offset0:29 offset1:30
	s_waitcnt vmcnt(5) lgkmcnt(2)
	v_fma_f64 v[70:71], -v[108:109], v[164:165], v[70:71]
	s_waitcnt vmcnt(4)
	v_fma_f64 v[98:99], -v[108:109], v[166:167], v[98:99]
	s_waitcnt vmcnt(3) lgkmcnt(1)
	v_fma_f64 v[68:69], -v[108:109], v[168:169], v[68:69]
	s_waitcnt vmcnt(2)
	v_fma_f64 v[96:97], -v[108:109], v[170:171], v[96:97]
	;; [unrolled: 4-line block ×3, first 2 shown]
.LBB61_86:
	s_or_b64 exec, exec, s[2:3]
	v_cmp_eq_u32_e32 vcc, 17, v188
	s_waitcnt lgkmcnt(0)
	s_barrier
	s_and_saveexec_b64 s[2:3], vcc
	s_cbranch_execz .LBB61_89
; %bb.87:
	s_waitcnt vmcnt(12)
	v_mov_b32_e32 v160, v106
	v_mov_b32_e32 v161, v107
	s_waitcnt vmcnt(11)
	v_mov_b32_e32 v162, v76
	v_mov_b32_e32 v163, v77
	ds_write_b64 v186, v[78:79]
	ds_write2_b64 v187, v[160:161], v[162:163] offset0:18 offset1:19
	s_waitcnt vmcnt(10)
	v_mov_b32_e32 v160, v104
	v_mov_b32_e32 v161, v105
	s_waitcnt vmcnt(9)
	v_mov_b32_e32 v162, v74
	v_mov_b32_e32 v163, v75
	ds_write2_b64 v187, v[160:161], v[162:163] offset0:20 offset1:21
	s_waitcnt vmcnt(8)
	v_mov_b32_e32 v160, v102
	v_mov_b32_e32 v161, v103
	s_waitcnt vmcnt(7)
	v_mov_b32_e32 v162, v72
	v_mov_b32_e32 v163, v73
	;; [unrolled: 7-line block ×5, first 2 shown]
	ds_write2_b64 v187, v[160:161], v[162:163] offset0:28 offset1:29
	s_waitcnt vmcnt(0)
	ds_write_b64 v187, v[124:125] offset:240
	ds_read_b64 v[160:161], v186
	s_waitcnt lgkmcnt(0)
	v_cmp_neq_f64_e32 vcc, 0, v[160:161]
	s_and_b64 exec, exec, vcc
	s_cbranch_execz .LBB61_89
; %bb.88:
	v_div_scale_f64 v[162:163], s[6:7], v[160:161], v[160:161], 1.0
	v_rcp_f64_e32 v[164:165], v[162:163]
	v_div_scale_f64 v[166:167], vcc, 1.0, v[160:161], 1.0
	v_fma_f64 v[168:169], -v[162:163], v[164:165], 1.0
	v_fmac_f64_e32 v[164:165], v[164:165], v[168:169]
	v_fma_f64 v[168:169], -v[162:163], v[164:165], 1.0
	v_fmac_f64_e32 v[164:165], v[164:165], v[168:169]
	v_mul_f64 v[168:169], v[166:167], v[164:165]
	v_fma_f64 v[162:163], -v[162:163], v[168:169], v[166:167]
	v_div_fmas_f64 v[162:163], v[162:163], v[164:165], v[168:169]
	v_div_fixup_f64 v[160:161], v[162:163], v[160:161], 1.0
	ds_write_b64 v186, v[160:161]
.LBB61_89:
	s_or_b64 exec, exec, s[2:3]
	s_waitcnt lgkmcnt(0)
	s_barrier
	ds_read_b64 v[160:161], v186
	v_cmp_lt_u32_e32 vcc, 17, v188
	s_and_saveexec_b64 s[2:3], vcc
	s_cbranch_execz .LBB61_91
; %bb.90:
	ds_read2_b64 v[162:165], v187 offset0:18 offset1:19
	ds_read2_b64 v[166:169], v187 offset0:20 offset1:21
	s_waitcnt vmcnt(13) lgkmcnt(2)
	v_mul_f64 v[78:79], v[160:161], v[78:79]
	ds_read2_b64 v[170:173], v187 offset0:22 offset1:23
	s_waitcnt vmcnt(12) lgkmcnt(2)
	v_fma_f64 v[106:107], -v[78:79], v[162:163], v[106:107]
	s_waitcnt vmcnt(11)
	v_fma_f64 v[76:77], -v[78:79], v[164:165], v[76:77]
	ds_read2_b64 v[162:165], v187 offset0:24 offset1:25
	s_waitcnt vmcnt(10) lgkmcnt(2)
	v_fma_f64 v[104:105], -v[78:79], v[166:167], v[104:105]
	s_waitcnt vmcnt(9)
	v_fma_f64 v[74:75], -v[78:79], v[168:169], v[74:75]
	s_waitcnt vmcnt(8) lgkmcnt(1)
	v_fma_f64 v[102:103], -v[78:79], v[170:171], v[102:103]
	s_waitcnt vmcnt(7)
	v_fma_f64 v[72:73], -v[78:79], v[172:173], v[72:73]
	ds_read2_b64 v[166:169], v187 offset0:26 offset1:27
	ds_read2_b64 v[170:173], v187 offset0:28 offset1:29
	s_waitcnt vmcnt(6) lgkmcnt(2)
	v_fma_f64 v[100:101], -v[78:79], v[162:163], v[100:101]
	ds_read_b64 v[162:163], v187 offset:240
	s_waitcnt vmcnt(5)
	v_fma_f64 v[70:71], -v[78:79], v[164:165], v[70:71]
	s_waitcnt vmcnt(4) lgkmcnt(2)
	v_fma_f64 v[98:99], -v[78:79], v[166:167], v[98:99]
	s_waitcnt vmcnt(3)
	v_fma_f64 v[68:69], -v[78:79], v[168:169], v[68:69]
	s_waitcnt vmcnt(2) lgkmcnt(1)
	v_fma_f64 v[96:97], -v[78:79], v[170:171], v[96:97]
	;; [unrolled: 4-line block ×3, first 2 shown]
.LBB61_91:
	s_or_b64 exec, exec, s[2:3]
	v_cmp_eq_u32_e32 vcc, 18, v188
	s_waitcnt lgkmcnt(0)
	s_barrier
	s_and_saveexec_b64 s[2:3], vcc
	s_cbranch_execz .LBB61_94
; %bb.92:
	s_waitcnt vmcnt(12)
	ds_write_b64 v186, v[106:107]
	s_waitcnt vmcnt(10)
	ds_write2_b64 v187, v[76:77], v[104:105] offset0:19 offset1:20
	s_waitcnt vmcnt(8)
	ds_write2_b64 v187, v[74:75], v[102:103] offset0:21 offset1:22
	;; [unrolled: 2-line block ×6, first 2 shown]
	ds_read_b64 v[162:163], v186
	s_waitcnt lgkmcnt(0)
	v_cmp_neq_f64_e32 vcc, 0, v[162:163]
	s_and_b64 exec, exec, vcc
	s_cbranch_execz .LBB61_94
; %bb.93:
	v_div_scale_f64 v[164:165], s[6:7], v[162:163], v[162:163], 1.0
	v_rcp_f64_e32 v[166:167], v[164:165]
	v_div_scale_f64 v[168:169], vcc, 1.0, v[162:163], 1.0
	v_fma_f64 v[170:171], -v[164:165], v[166:167], 1.0
	v_fmac_f64_e32 v[166:167], v[166:167], v[170:171]
	v_fma_f64 v[170:171], -v[164:165], v[166:167], 1.0
	v_fmac_f64_e32 v[166:167], v[166:167], v[170:171]
	v_mul_f64 v[170:171], v[168:169], v[166:167]
	v_fma_f64 v[164:165], -v[164:165], v[170:171], v[168:169]
	v_div_fmas_f64 v[164:165], v[164:165], v[166:167], v[170:171]
	v_div_fixup_f64 v[162:163], v[164:165], v[162:163], 1.0
	ds_write_b64 v186, v[162:163]
.LBB61_94:
	s_or_b64 exec, exec, s[2:3]
	s_waitcnt lgkmcnt(0)
	s_barrier
	ds_read_b64 v[162:163], v186
	v_cmp_lt_u32_e32 vcc, 18, v188
	s_and_saveexec_b64 s[2:3], vcc
	s_cbranch_execz .LBB61_96
; %bb.95:
	ds_read2_b64 v[164:167], v187 offset0:19 offset1:20
	ds_read2_b64 v[168:171], v187 offset0:21 offset1:22
	;; [unrolled: 1-line block ×3, first 2 shown]
	s_waitcnt vmcnt(12) lgkmcnt(3)
	v_mul_f64 v[106:107], v[162:163], v[106:107]
	s_waitcnt vmcnt(11) lgkmcnt(2)
	v_fma_f64 v[76:77], -v[106:107], v[164:165], v[76:77]
	s_waitcnt vmcnt(10)
	v_fma_f64 v[104:105], -v[106:107], v[166:167], v[104:105]
	ds_read2_b64 v[164:167], v187 offset0:25 offset1:26
	s_waitcnt vmcnt(9) lgkmcnt(2)
	v_fma_f64 v[74:75], -v[106:107], v[168:169], v[74:75]
	s_waitcnt vmcnt(8)
	v_fma_f64 v[102:103], -v[106:107], v[170:171], v[102:103]
	s_waitcnt vmcnt(7) lgkmcnt(1)
	v_fma_f64 v[72:73], -v[106:107], v[172:173], v[72:73]
	ds_read2_b64 v[168:171], v187 offset0:27 offset1:28
	s_waitcnt vmcnt(6)
	v_fma_f64 v[100:101], -v[106:107], v[174:175], v[100:101]
	ds_read2_b64 v[172:175], v187 offset0:29 offset1:30
	s_waitcnt vmcnt(5) lgkmcnt(2)
	v_fma_f64 v[70:71], -v[106:107], v[164:165], v[70:71]
	s_waitcnt vmcnt(4)
	v_fma_f64 v[98:99], -v[106:107], v[166:167], v[98:99]
	s_waitcnt vmcnt(3) lgkmcnt(1)
	v_fma_f64 v[68:69], -v[106:107], v[168:169], v[68:69]
	s_waitcnt vmcnt(2)
	v_fma_f64 v[96:97], -v[106:107], v[170:171], v[96:97]
	;; [unrolled: 4-line block ×3, first 2 shown]
.LBB61_96:
	s_or_b64 exec, exec, s[2:3]
	v_cmp_eq_u32_e32 vcc, 19, v188
	s_waitcnt lgkmcnt(0)
	s_barrier
	s_and_saveexec_b64 s[2:3], vcc
	s_cbranch_execz .LBB61_99
; %bb.97:
	s_waitcnt vmcnt(10)
	v_mov_b32_e32 v164, v104
	v_mov_b32_e32 v165, v105
	s_waitcnt vmcnt(9)
	v_mov_b32_e32 v166, v74
	v_mov_b32_e32 v167, v75
	ds_write_b64 v186, v[76:77]
	ds_write2_b64 v187, v[164:165], v[166:167] offset0:20 offset1:21
	s_waitcnt vmcnt(8)
	v_mov_b32_e32 v164, v102
	v_mov_b32_e32 v165, v103
	s_waitcnt vmcnt(7)
	v_mov_b32_e32 v166, v72
	v_mov_b32_e32 v167, v73
	ds_write2_b64 v187, v[164:165], v[166:167] offset0:22 offset1:23
	s_waitcnt vmcnt(6)
	v_mov_b32_e32 v164, v100
	v_mov_b32_e32 v165, v101
	s_waitcnt vmcnt(5)
	v_mov_b32_e32 v166, v70
	v_mov_b32_e32 v167, v71
	;; [unrolled: 7-line block ×4, first 2 shown]
	ds_write2_b64 v187, v[164:165], v[166:167] offset0:28 offset1:29
	s_waitcnt vmcnt(0)
	ds_write_b64 v187, v[124:125] offset:240
	ds_read_b64 v[164:165], v186
	s_waitcnt lgkmcnt(0)
	v_cmp_neq_f64_e32 vcc, 0, v[164:165]
	s_and_b64 exec, exec, vcc
	s_cbranch_execz .LBB61_99
; %bb.98:
	v_div_scale_f64 v[166:167], s[6:7], v[164:165], v[164:165], 1.0
	v_rcp_f64_e32 v[168:169], v[166:167]
	v_div_scale_f64 v[170:171], vcc, 1.0, v[164:165], 1.0
	v_fma_f64 v[172:173], -v[166:167], v[168:169], 1.0
	v_fmac_f64_e32 v[168:169], v[168:169], v[172:173]
	v_fma_f64 v[172:173], -v[166:167], v[168:169], 1.0
	v_fmac_f64_e32 v[168:169], v[168:169], v[172:173]
	v_mul_f64 v[172:173], v[170:171], v[168:169]
	v_fma_f64 v[166:167], -v[166:167], v[172:173], v[170:171]
	v_div_fmas_f64 v[166:167], v[166:167], v[168:169], v[172:173]
	v_div_fixup_f64 v[164:165], v[166:167], v[164:165], 1.0
	ds_write_b64 v186, v[164:165]
.LBB61_99:
	s_or_b64 exec, exec, s[2:3]
	s_waitcnt lgkmcnt(0)
	s_barrier
	ds_read_b64 v[164:165], v186
	v_cmp_lt_u32_e32 vcc, 19, v188
	s_and_saveexec_b64 s[2:3], vcc
	s_cbranch_execz .LBB61_101
; %bb.100:
	ds_read2_b64 v[166:169], v187 offset0:20 offset1:21
	ds_read2_b64 v[170:173], v187 offset0:22 offset1:23
	;; [unrolled: 1-line block ×3, first 2 shown]
	s_waitcnt vmcnt(11) lgkmcnt(3)
	v_mul_f64 v[76:77], v[164:165], v[76:77]
	s_waitcnt vmcnt(10) lgkmcnt(2)
	v_fma_f64 v[104:105], -v[76:77], v[166:167], v[104:105]
	s_waitcnt vmcnt(9)
	v_fma_f64 v[74:75], -v[76:77], v[168:169], v[74:75]
	ds_read2_b64 v[166:169], v187 offset0:26 offset1:27
	s_waitcnt vmcnt(8) lgkmcnt(2)
	v_fma_f64 v[102:103], -v[76:77], v[170:171], v[102:103]
	s_waitcnt vmcnt(7)
	v_fma_f64 v[72:73], -v[76:77], v[172:173], v[72:73]
	s_waitcnt vmcnt(6) lgkmcnt(1)
	v_fma_f64 v[100:101], -v[76:77], v[174:175], v[100:101]
	ds_read2_b64 v[170:173], v187 offset0:28 offset1:29
	ds_read_b64 v[174:175], v187 offset:240
	s_waitcnt vmcnt(5)
	v_fma_f64 v[70:71], -v[76:77], v[176:177], v[70:71]
	s_waitcnt vmcnt(4) lgkmcnt(2)
	v_fma_f64 v[98:99], -v[76:77], v[166:167], v[98:99]
	s_waitcnt vmcnt(3)
	v_fma_f64 v[68:69], -v[76:77], v[168:169], v[68:69]
	s_waitcnt vmcnt(2) lgkmcnt(1)
	v_fma_f64 v[96:97], -v[76:77], v[170:171], v[96:97]
	;; [unrolled: 4-line block ×3, first 2 shown]
.LBB61_101:
	s_or_b64 exec, exec, s[2:3]
	v_cmp_eq_u32_e32 vcc, 20, v188
	s_waitcnt lgkmcnt(0)
	s_barrier
	s_and_saveexec_b64 s[2:3], vcc
	s_cbranch_execz .LBB61_104
; %bb.102:
	s_waitcnt vmcnt(10)
	ds_write_b64 v186, v[104:105]
	s_waitcnt vmcnt(8)
	ds_write2_b64 v187, v[74:75], v[102:103] offset0:21 offset1:22
	s_waitcnt vmcnt(6)
	ds_write2_b64 v187, v[72:73], v[100:101] offset0:23 offset1:24
	;; [unrolled: 2-line block ×5, first 2 shown]
	ds_read_b64 v[166:167], v186
	s_waitcnt lgkmcnt(0)
	v_cmp_neq_f64_e32 vcc, 0, v[166:167]
	s_and_b64 exec, exec, vcc
	s_cbranch_execz .LBB61_104
; %bb.103:
	v_div_scale_f64 v[168:169], s[6:7], v[166:167], v[166:167], 1.0
	v_rcp_f64_e32 v[170:171], v[168:169]
	v_div_scale_f64 v[172:173], vcc, 1.0, v[166:167], 1.0
	v_fma_f64 v[174:175], -v[168:169], v[170:171], 1.0
	v_fmac_f64_e32 v[170:171], v[170:171], v[174:175]
	v_fma_f64 v[174:175], -v[168:169], v[170:171], 1.0
	v_fmac_f64_e32 v[170:171], v[170:171], v[174:175]
	v_mul_f64 v[174:175], v[172:173], v[170:171]
	v_fma_f64 v[168:169], -v[168:169], v[174:175], v[172:173]
	v_div_fmas_f64 v[168:169], v[168:169], v[170:171], v[174:175]
	v_div_fixup_f64 v[166:167], v[168:169], v[166:167], 1.0
	ds_write_b64 v186, v[166:167]
.LBB61_104:
	s_or_b64 exec, exec, s[2:3]
	s_waitcnt lgkmcnt(0)
	s_barrier
	ds_read_b64 v[166:167], v186
	v_cmp_lt_u32_e32 vcc, 20, v188
	s_and_saveexec_b64 s[2:3], vcc
	s_cbranch_execz .LBB61_106
; %bb.105:
	ds_read2_b64 v[168:171], v187 offset0:21 offset1:22
	ds_read2_b64 v[172:175], v187 offset0:23 offset1:24
	s_waitcnt vmcnt(10) lgkmcnt(2)
	v_mul_f64 v[104:105], v[166:167], v[104:105]
	ds_read2_b64 v[176:179], v187 offset0:27 offset1:28
	s_waitcnt vmcnt(9) lgkmcnt(2)
	v_fma_f64 v[74:75], -v[104:105], v[168:169], v[74:75]
	s_waitcnt vmcnt(8)
	v_fma_f64 v[102:103], -v[104:105], v[170:171], v[102:103]
	ds_read2_b64 v[168:171], v187 offset0:25 offset1:26
	s_waitcnt vmcnt(7) lgkmcnt(2)
	v_fma_f64 v[72:73], -v[104:105], v[172:173], v[72:73]
	s_waitcnt vmcnt(6)
	v_fma_f64 v[100:101], -v[104:105], v[174:175], v[100:101]
	ds_read2_b64 v[172:175], v187 offset0:29 offset1:30
	s_waitcnt vmcnt(3) lgkmcnt(2)
	v_fma_f64 v[68:69], -v[104:105], v[176:177], v[68:69]
	s_waitcnt lgkmcnt(1)
	v_fma_f64 v[70:71], -v[104:105], v[168:169], v[70:71]
	v_fma_f64 v[98:99], -v[104:105], v[170:171], v[98:99]
	s_waitcnt vmcnt(2)
	v_fma_f64 v[96:97], -v[104:105], v[178:179], v[96:97]
	s_waitcnt vmcnt(1) lgkmcnt(0)
	v_fma_f64 v[66:67], -v[104:105], v[172:173], v[66:67]
	s_waitcnt vmcnt(0)
	v_fma_f64 v[124:125], -v[104:105], v[174:175], v[124:125]
.LBB61_106:
	s_or_b64 exec, exec, s[2:3]
	v_cmp_eq_u32_e32 vcc, 21, v188
	s_waitcnt lgkmcnt(0)
	s_barrier
	s_and_saveexec_b64 s[2:3], vcc
	s_cbranch_execz .LBB61_109
; %bb.107:
	s_waitcnt vmcnt(8)
	v_mov_b32_e32 v168, v102
	v_mov_b32_e32 v169, v103
	s_waitcnt vmcnt(7)
	v_mov_b32_e32 v170, v72
	v_mov_b32_e32 v171, v73
	ds_write_b64 v186, v[74:75]
	ds_write2_b64 v187, v[168:169], v[170:171] offset0:22 offset1:23
	s_waitcnt vmcnt(6)
	v_mov_b32_e32 v168, v100
	v_mov_b32_e32 v169, v101
	s_waitcnt vmcnt(5)
	v_mov_b32_e32 v170, v70
	v_mov_b32_e32 v171, v71
	ds_write2_b64 v187, v[168:169], v[170:171] offset0:24 offset1:25
	s_waitcnt vmcnt(4)
	v_mov_b32_e32 v168, v98
	v_mov_b32_e32 v169, v99
	s_waitcnt vmcnt(3)
	v_mov_b32_e32 v170, v68
	v_mov_b32_e32 v171, v69
	;; [unrolled: 7-line block ×3, first 2 shown]
	ds_write2_b64 v187, v[168:169], v[170:171] offset0:28 offset1:29
	s_waitcnt vmcnt(0)
	ds_write_b64 v187, v[124:125] offset:240
	ds_read_b64 v[168:169], v186
	s_waitcnt lgkmcnt(0)
	v_cmp_neq_f64_e32 vcc, 0, v[168:169]
	s_and_b64 exec, exec, vcc
	s_cbranch_execz .LBB61_109
; %bb.108:
	v_div_scale_f64 v[170:171], s[6:7], v[168:169], v[168:169], 1.0
	v_rcp_f64_e32 v[172:173], v[170:171]
	v_div_scale_f64 v[174:175], vcc, 1.0, v[168:169], 1.0
	v_fma_f64 v[176:177], -v[170:171], v[172:173], 1.0
	v_fmac_f64_e32 v[172:173], v[172:173], v[176:177]
	v_fma_f64 v[176:177], -v[170:171], v[172:173], 1.0
	v_fmac_f64_e32 v[172:173], v[172:173], v[176:177]
	v_mul_f64 v[176:177], v[174:175], v[172:173]
	v_fma_f64 v[170:171], -v[170:171], v[176:177], v[174:175]
	v_div_fmas_f64 v[170:171], v[170:171], v[172:173], v[176:177]
	v_div_fixup_f64 v[168:169], v[170:171], v[168:169], 1.0
	ds_write_b64 v186, v[168:169]
.LBB61_109:
	s_or_b64 exec, exec, s[2:3]
	s_waitcnt lgkmcnt(0)
	s_barrier
	ds_read_b64 v[168:169], v186
	v_cmp_lt_u32_e32 vcc, 21, v188
	s_and_saveexec_b64 s[2:3], vcc
	s_cbranch_execz .LBB61_111
; %bb.110:
	ds_read2_b64 v[170:173], v187 offset0:22 offset1:23
	ds_read2_b64 v[174:177], v187 offset0:24 offset1:25
	s_waitcnt vmcnt(9) lgkmcnt(2)
	v_mul_f64 v[74:75], v[168:169], v[74:75]
	ds_read2_b64 v[178:181], v187 offset0:28 offset1:29
	s_waitcnt vmcnt(8) lgkmcnt(2)
	v_fma_f64 v[102:103], -v[74:75], v[170:171], v[102:103]
	s_waitcnt vmcnt(7)
	v_fma_f64 v[72:73], -v[74:75], v[172:173], v[72:73]
	ds_read2_b64 v[170:173], v187 offset0:26 offset1:27
	s_waitcnt vmcnt(6) lgkmcnt(2)
	v_fma_f64 v[100:101], -v[74:75], v[174:175], v[100:101]
	ds_read_b64 v[174:175], v187 offset:240
	s_waitcnt vmcnt(5)
	v_fma_f64 v[70:71], -v[74:75], v[176:177], v[70:71]
	s_waitcnt vmcnt(2) lgkmcnt(2)
	v_fma_f64 v[96:97], -v[74:75], v[178:179], v[96:97]
	s_waitcnt lgkmcnt(1)
	v_fma_f64 v[98:99], -v[74:75], v[170:171], v[98:99]
	v_fma_f64 v[68:69], -v[74:75], v[172:173], v[68:69]
	s_waitcnt vmcnt(1)
	v_fma_f64 v[66:67], -v[74:75], v[180:181], v[66:67]
	s_waitcnt vmcnt(0) lgkmcnt(0)
	v_fma_f64 v[124:125], -v[74:75], v[174:175], v[124:125]
.LBB61_111:
	s_or_b64 exec, exec, s[2:3]
	v_cmp_eq_u32_e32 vcc, 22, v188
	s_waitcnt lgkmcnt(0)
	s_barrier
	s_and_saveexec_b64 s[2:3], vcc
	s_cbranch_execz .LBB61_114
; %bb.112:
	s_waitcnt vmcnt(8)
	ds_write_b64 v186, v[102:103]
	s_waitcnt vmcnt(6)
	ds_write2_b64 v187, v[72:73], v[100:101] offset0:23 offset1:24
	s_waitcnt vmcnt(4)
	ds_write2_b64 v187, v[70:71], v[98:99] offset0:25 offset1:26
	;; [unrolled: 2-line block ×4, first 2 shown]
	ds_read_b64 v[170:171], v186
	s_waitcnt lgkmcnt(0)
	v_cmp_neq_f64_e32 vcc, 0, v[170:171]
	s_and_b64 exec, exec, vcc
	s_cbranch_execz .LBB61_114
; %bb.113:
	v_div_scale_f64 v[172:173], s[6:7], v[170:171], v[170:171], 1.0
	v_rcp_f64_e32 v[174:175], v[172:173]
	v_div_scale_f64 v[176:177], vcc, 1.0, v[170:171], 1.0
	v_fma_f64 v[178:179], -v[172:173], v[174:175], 1.0
	v_fmac_f64_e32 v[174:175], v[174:175], v[178:179]
	v_fma_f64 v[178:179], -v[172:173], v[174:175], 1.0
	v_fmac_f64_e32 v[174:175], v[174:175], v[178:179]
	v_mul_f64 v[178:179], v[176:177], v[174:175]
	v_fma_f64 v[172:173], -v[172:173], v[178:179], v[176:177]
	v_div_fmas_f64 v[172:173], v[172:173], v[174:175], v[178:179]
	v_div_fixup_f64 v[170:171], v[172:173], v[170:171], 1.0
	ds_write_b64 v186, v[170:171]
.LBB61_114:
	s_or_b64 exec, exec, s[2:3]
	s_waitcnt lgkmcnt(0)
	s_barrier
	ds_read_b64 v[170:171], v186
	v_cmp_lt_u32_e32 vcc, 22, v188
	s_and_saveexec_b64 s[2:3], vcc
	s_cbranch_execz .LBB61_116
; %bb.115:
	ds_read2_b64 v[172:175], v187 offset0:23 offset1:24
	ds_read2_b64 v[176:179], v187 offset0:25 offset1:26
	s_waitcnt vmcnt(8) lgkmcnt(2)
	v_mul_f64 v[102:103], v[170:171], v[102:103]
	ds_read2_b64 v[180:183], v187 offset0:27 offset1:28
	s_waitcnt vmcnt(7) lgkmcnt(2)
	v_fma_f64 v[72:73], -v[102:103], v[172:173], v[72:73]
	s_waitcnt vmcnt(6)
	v_fma_f64 v[100:101], -v[102:103], v[174:175], v[100:101]
	ds_read2_b64 v[172:175], v187 offset0:29 offset1:30
	s_waitcnt vmcnt(5) lgkmcnt(2)
	v_fma_f64 v[70:71], -v[102:103], v[176:177], v[70:71]
	s_waitcnt vmcnt(4)
	v_fma_f64 v[98:99], -v[102:103], v[178:179], v[98:99]
	s_waitcnt vmcnt(3) lgkmcnt(1)
	v_fma_f64 v[68:69], -v[102:103], v[180:181], v[68:69]
	s_waitcnt vmcnt(2)
	v_fma_f64 v[96:97], -v[102:103], v[182:183], v[96:97]
	;; [unrolled: 4-line block ×3, first 2 shown]
.LBB61_116:
	s_or_b64 exec, exec, s[2:3]
	v_cmp_eq_u32_e32 vcc, 23, v188
	s_waitcnt lgkmcnt(0)
	s_barrier
	s_and_saveexec_b64 s[2:3], vcc
	s_cbranch_execz .LBB61_119
; %bb.117:
	s_waitcnt vmcnt(6)
	v_mov_b32_e32 v172, v100
	v_mov_b32_e32 v173, v101
	s_waitcnt vmcnt(5)
	v_mov_b32_e32 v174, v70
	v_mov_b32_e32 v175, v71
	ds_write_b64 v186, v[72:73]
	ds_write2_b64 v187, v[172:173], v[174:175] offset0:24 offset1:25
	s_waitcnt vmcnt(4)
	v_mov_b32_e32 v172, v98
	v_mov_b32_e32 v173, v99
	s_waitcnt vmcnt(3)
	v_mov_b32_e32 v174, v68
	v_mov_b32_e32 v175, v69
	ds_write2_b64 v187, v[172:173], v[174:175] offset0:26 offset1:27
	s_waitcnt vmcnt(2)
	v_mov_b32_e32 v172, v96
	v_mov_b32_e32 v173, v97
	s_waitcnt vmcnt(1)
	v_mov_b32_e32 v174, v66
	v_mov_b32_e32 v175, v67
	ds_write2_b64 v187, v[172:173], v[174:175] offset0:28 offset1:29
	s_waitcnt vmcnt(0)
	ds_write_b64 v187, v[124:125] offset:240
	ds_read_b64 v[172:173], v186
	s_waitcnt lgkmcnt(0)
	v_cmp_neq_f64_e32 vcc, 0, v[172:173]
	s_and_b64 exec, exec, vcc
	s_cbranch_execz .LBB61_119
; %bb.118:
	v_div_scale_f64 v[174:175], s[6:7], v[172:173], v[172:173], 1.0
	v_rcp_f64_e32 v[176:177], v[174:175]
	v_div_scale_f64 v[178:179], vcc, 1.0, v[172:173], 1.0
	v_fma_f64 v[180:181], -v[174:175], v[176:177], 1.0
	v_fmac_f64_e32 v[176:177], v[176:177], v[180:181]
	v_fma_f64 v[180:181], -v[174:175], v[176:177], 1.0
	v_fmac_f64_e32 v[176:177], v[176:177], v[180:181]
	v_mul_f64 v[180:181], v[178:179], v[176:177]
	v_fma_f64 v[174:175], -v[174:175], v[180:181], v[178:179]
	v_div_fmas_f64 v[174:175], v[174:175], v[176:177], v[180:181]
	v_div_fixup_f64 v[172:173], v[174:175], v[172:173], 1.0
	ds_write_b64 v186, v[172:173]
.LBB61_119:
	s_or_b64 exec, exec, s[2:3]
	s_waitcnt lgkmcnt(0)
	s_barrier
	ds_read_b64 v[172:173], v186
	v_cmp_lt_u32_e32 vcc, 23, v188
	s_and_saveexec_b64 s[2:3], vcc
	s_cbranch_execz .LBB61_121
; %bb.120:
	ds_read2_b64 v[174:177], v187 offset0:24 offset1:25
	ds_read2_b64 v[178:181], v187 offset0:26 offset1:27
	s_waitcnt vmcnt(7) lgkmcnt(2)
	v_mul_f64 v[72:73], v[172:173], v[72:73]
	ds_read2_b64 v[182:185], v187 offset0:28 offset1:29
	s_waitcnt vmcnt(6) lgkmcnt(2)
	v_fma_f64 v[100:101], -v[72:73], v[174:175], v[100:101]
	ds_read_b64 v[174:175], v187 offset:240
	s_waitcnt vmcnt(5)
	v_fma_f64 v[70:71], -v[72:73], v[176:177], v[70:71]
	s_waitcnt vmcnt(4) lgkmcnt(2)
	v_fma_f64 v[98:99], -v[72:73], v[178:179], v[98:99]
	s_waitcnt vmcnt(3)
	v_fma_f64 v[68:69], -v[72:73], v[180:181], v[68:69]
	s_waitcnt vmcnt(2) lgkmcnt(1)
	v_fma_f64 v[96:97], -v[72:73], v[182:183], v[96:97]
	;; [unrolled: 4-line block ×3, first 2 shown]
.LBB61_121:
	s_or_b64 exec, exec, s[2:3]
	v_cmp_eq_u32_e32 vcc, 24, v188
	s_waitcnt lgkmcnt(0)
	s_barrier
	s_and_saveexec_b64 s[2:3], vcc
	s_cbranch_execz .LBB61_124
; %bb.122:
	s_waitcnt vmcnt(6)
	ds_write_b64 v186, v[100:101]
	s_waitcnt vmcnt(4)
	ds_write2_b64 v187, v[70:71], v[98:99] offset0:25 offset1:26
	s_waitcnt vmcnt(2)
	ds_write2_b64 v187, v[68:69], v[96:97] offset0:27 offset1:28
	;; [unrolled: 2-line block ×3, first 2 shown]
	ds_read_b64 v[174:175], v186
	s_waitcnt lgkmcnt(0)
	v_cmp_neq_f64_e32 vcc, 0, v[174:175]
	s_and_b64 exec, exec, vcc
	s_cbranch_execz .LBB61_124
; %bb.123:
	v_div_scale_f64 v[176:177], s[6:7], v[174:175], v[174:175], 1.0
	v_rcp_f64_e32 v[178:179], v[176:177]
	v_div_scale_f64 v[180:181], vcc, 1.0, v[174:175], 1.0
	v_fma_f64 v[182:183], -v[176:177], v[178:179], 1.0
	v_fmac_f64_e32 v[178:179], v[178:179], v[182:183]
	v_fma_f64 v[182:183], -v[176:177], v[178:179], 1.0
	v_fmac_f64_e32 v[178:179], v[178:179], v[182:183]
	v_mul_f64 v[182:183], v[180:181], v[178:179]
	v_fma_f64 v[176:177], -v[176:177], v[182:183], v[180:181]
	v_div_fmas_f64 v[176:177], v[176:177], v[178:179], v[182:183]
	v_div_fixup_f64 v[174:175], v[176:177], v[174:175], 1.0
	ds_write_b64 v186, v[174:175]
.LBB61_124:
	s_or_b64 exec, exec, s[2:3]
	s_waitcnt lgkmcnt(0)
	s_barrier
	ds_read_b64 v[174:175], v186
	v_cmp_lt_u32_e32 vcc, 24, v188
	s_and_saveexec_b64 s[2:3], vcc
	s_cbranch_execz .LBB61_126
; %bb.125:
	ds_read2_b64 v[176:179], v187 offset0:25 offset1:26
	ds_read2_b64 v[180:183], v187 offset0:27 offset1:28
	;; [unrolled: 1-line block ×3, first 2 shown]
	s_waitcnt vmcnt(6) lgkmcnt(3)
	v_mul_f64 v[100:101], v[174:175], v[100:101]
	s_waitcnt vmcnt(5) lgkmcnt(2)
	v_fma_f64 v[70:71], -v[100:101], v[176:177], v[70:71]
	s_waitcnt vmcnt(4)
	v_fma_f64 v[98:99], -v[100:101], v[178:179], v[98:99]
	s_waitcnt vmcnt(3) lgkmcnt(1)
	v_fma_f64 v[68:69], -v[100:101], v[180:181], v[68:69]
	s_waitcnt vmcnt(2)
	v_fma_f64 v[96:97], -v[100:101], v[182:183], v[96:97]
	;; [unrolled: 4-line block ×3, first 2 shown]
.LBB61_126:
	s_or_b64 exec, exec, s[2:3]
	v_cmp_eq_u32_e32 vcc, 25, v188
	s_waitcnt lgkmcnt(0)
	s_barrier
	s_and_saveexec_b64 s[2:3], vcc
	s_cbranch_execz .LBB61_129
; %bb.127:
	s_waitcnt vmcnt(4)
	v_mov_b32_e32 v176, v98
	v_mov_b32_e32 v177, v99
	s_waitcnt vmcnt(3)
	v_mov_b32_e32 v178, v68
	v_mov_b32_e32 v179, v69
	ds_write_b64 v186, v[70:71]
	ds_write2_b64 v187, v[176:177], v[178:179] offset0:26 offset1:27
	s_waitcnt vmcnt(2)
	v_mov_b32_e32 v176, v96
	v_mov_b32_e32 v177, v97
	s_waitcnt vmcnt(1)
	v_mov_b32_e32 v178, v66
	v_mov_b32_e32 v179, v67
	ds_write2_b64 v187, v[176:177], v[178:179] offset0:28 offset1:29
	s_waitcnt vmcnt(0)
	ds_write_b64 v187, v[124:125] offset:240
	ds_read_b64 v[176:177], v186
	s_waitcnt lgkmcnt(0)
	v_cmp_neq_f64_e32 vcc, 0, v[176:177]
	s_and_b64 exec, exec, vcc
	s_cbranch_execz .LBB61_129
; %bb.128:
	v_div_scale_f64 v[178:179], s[6:7], v[176:177], v[176:177], 1.0
	v_rcp_f64_e32 v[180:181], v[178:179]
	v_div_scale_f64 v[182:183], vcc, 1.0, v[176:177], 1.0
	v_fma_f64 v[184:185], -v[178:179], v[180:181], 1.0
	v_fmac_f64_e32 v[180:181], v[180:181], v[184:185]
	v_fma_f64 v[184:185], -v[178:179], v[180:181], 1.0
	v_fmac_f64_e32 v[180:181], v[180:181], v[184:185]
	v_mul_f64 v[184:185], v[182:183], v[180:181]
	v_fma_f64 v[178:179], -v[178:179], v[184:185], v[182:183]
	v_div_fmas_f64 v[178:179], v[178:179], v[180:181], v[184:185]
	v_div_fixup_f64 v[176:177], v[178:179], v[176:177], 1.0
	ds_write_b64 v186, v[176:177]
.LBB61_129:
	s_or_b64 exec, exec, s[2:3]
	s_waitcnt lgkmcnt(0)
	s_barrier
	ds_read_b64 v[176:177], v186
	v_cmp_lt_u32_e32 vcc, 25, v188
	s_and_saveexec_b64 s[2:3], vcc
	s_cbranch_execz .LBB61_131
; %bb.130:
	ds_read2_b64 v[178:181], v187 offset0:26 offset1:27
	ds_read2_b64 v[182:185], v187 offset0:28 offset1:29
	ds_read_b64 v[190:191], v187 offset:240
	s_waitcnt vmcnt(5) lgkmcnt(3)
	v_mul_f64 v[70:71], v[176:177], v[70:71]
	s_waitcnt vmcnt(4) lgkmcnt(2)
	v_fma_f64 v[98:99], -v[70:71], v[178:179], v[98:99]
	s_waitcnt vmcnt(3)
	v_fma_f64 v[68:69], -v[70:71], v[180:181], v[68:69]
	s_waitcnt vmcnt(2) lgkmcnt(1)
	v_fma_f64 v[96:97], -v[70:71], v[182:183], v[96:97]
	s_waitcnt vmcnt(1)
	v_fma_f64 v[66:67], -v[70:71], v[184:185], v[66:67]
	s_waitcnt vmcnt(0) lgkmcnt(0)
	v_fma_f64 v[124:125], -v[70:71], v[190:191], v[124:125]
.LBB61_131:
	s_or_b64 exec, exec, s[2:3]
	v_cmp_eq_u32_e32 vcc, 26, v188
	s_waitcnt lgkmcnt(0)
	s_barrier
	s_and_saveexec_b64 s[2:3], vcc
	s_cbranch_execz .LBB61_134
; %bb.132:
	s_waitcnt vmcnt(4)
	ds_write_b64 v186, v[98:99]
	s_waitcnt vmcnt(2)
	ds_write2_b64 v187, v[68:69], v[96:97] offset0:27 offset1:28
	s_waitcnt vmcnt(0)
	ds_write2_b64 v187, v[66:67], v[124:125] offset0:29 offset1:30
	ds_read_b64 v[178:179], v186
	s_waitcnt lgkmcnt(0)
	v_cmp_neq_f64_e32 vcc, 0, v[178:179]
	s_and_b64 exec, exec, vcc
	s_cbranch_execz .LBB61_134
; %bb.133:
	v_div_scale_f64 v[180:181], s[6:7], v[178:179], v[178:179], 1.0
	v_rcp_f64_e32 v[182:183], v[180:181]
	v_div_scale_f64 v[184:185], vcc, 1.0, v[178:179], 1.0
	v_fma_f64 v[190:191], -v[180:181], v[182:183], 1.0
	v_fmac_f64_e32 v[182:183], v[182:183], v[190:191]
	v_fma_f64 v[190:191], -v[180:181], v[182:183], 1.0
	v_fmac_f64_e32 v[182:183], v[182:183], v[190:191]
	v_mul_f64 v[190:191], v[184:185], v[182:183]
	v_fma_f64 v[180:181], -v[180:181], v[190:191], v[184:185]
	v_div_fmas_f64 v[180:181], v[180:181], v[182:183], v[190:191]
	v_div_fixup_f64 v[178:179], v[180:181], v[178:179], 1.0
	ds_write_b64 v186, v[178:179]
.LBB61_134:
	s_or_b64 exec, exec, s[2:3]
	s_waitcnt lgkmcnt(0)
	s_barrier
	ds_read_b64 v[178:179], v186
	v_cmp_lt_u32_e32 vcc, 26, v188
	s_and_saveexec_b64 s[2:3], vcc
	s_cbranch_execz .LBB61_136
; %bb.135:
	ds_read2_b64 v[180:183], v187 offset0:27 offset1:28
	ds_read2_b64 v[190:193], v187 offset0:29 offset1:30
	s_waitcnt vmcnt(4) lgkmcnt(2)
	v_mul_f64 v[98:99], v[178:179], v[98:99]
	s_waitcnt vmcnt(3) lgkmcnt(1)
	v_fma_f64 v[68:69], -v[98:99], v[180:181], v[68:69]
	s_waitcnt vmcnt(2)
	v_fma_f64 v[96:97], -v[98:99], v[182:183], v[96:97]
	s_waitcnt vmcnt(1) lgkmcnt(0)
	v_fma_f64 v[66:67], -v[98:99], v[190:191], v[66:67]
	s_waitcnt vmcnt(0)
	v_fma_f64 v[124:125], -v[98:99], v[192:193], v[124:125]
.LBB61_136:
	s_or_b64 exec, exec, s[2:3]
	v_cmp_eq_u32_e32 vcc, 27, v188
	s_waitcnt lgkmcnt(0)
	s_barrier
	s_and_saveexec_b64 s[2:3], vcc
	s_cbranch_execz .LBB61_139
; %bb.137:
	s_waitcnt vmcnt(2)
	v_mov_b32_e32 v180, v96
	v_mov_b32_e32 v181, v97
	s_waitcnt vmcnt(1)
	v_mov_b32_e32 v182, v66
	v_mov_b32_e32 v183, v67
	ds_write_b64 v186, v[68:69]
	ds_write2_b64 v187, v[180:181], v[182:183] offset0:28 offset1:29
	s_waitcnt vmcnt(0)
	ds_write_b64 v187, v[124:125] offset:240
	ds_read_b64 v[180:181], v186
	s_waitcnt lgkmcnt(0)
	v_cmp_neq_f64_e32 vcc, 0, v[180:181]
	s_and_b64 exec, exec, vcc
	s_cbranch_execz .LBB61_139
; %bb.138:
	v_div_scale_f64 v[182:183], s[6:7], v[180:181], v[180:181], 1.0
	v_rcp_f64_e32 v[184:185], v[182:183]
	v_div_scale_f64 v[190:191], vcc, 1.0, v[180:181], 1.0
	v_fma_f64 v[192:193], -v[182:183], v[184:185], 1.0
	v_fmac_f64_e32 v[184:185], v[184:185], v[192:193]
	v_fma_f64 v[192:193], -v[182:183], v[184:185], 1.0
	v_fmac_f64_e32 v[184:185], v[184:185], v[192:193]
	v_mul_f64 v[192:193], v[190:191], v[184:185]
	v_fma_f64 v[182:183], -v[182:183], v[192:193], v[190:191]
	v_div_fmas_f64 v[182:183], v[182:183], v[184:185], v[192:193]
	v_div_fixup_f64 v[180:181], v[182:183], v[180:181], 1.0
	ds_write_b64 v186, v[180:181]
.LBB61_139:
	s_or_b64 exec, exec, s[2:3]
	s_waitcnt lgkmcnt(0)
	s_barrier
	ds_read_b64 v[180:181], v186
	v_cmp_lt_u32_e32 vcc, 27, v188
	s_and_saveexec_b64 s[2:3], vcc
	s_cbranch_execz .LBB61_141
; %bb.140:
	ds_read2_b64 v[182:185], v187 offset0:28 offset1:29
	ds_read_b64 v[190:191], v187 offset:240
	s_waitcnt vmcnt(3) lgkmcnt(2)
	v_mul_f64 v[68:69], v[180:181], v[68:69]
	s_waitcnt vmcnt(2) lgkmcnt(1)
	v_fma_f64 v[96:97], -v[68:69], v[182:183], v[96:97]
	s_waitcnt vmcnt(1)
	v_fma_f64 v[66:67], -v[68:69], v[184:185], v[66:67]
	s_waitcnt vmcnt(0) lgkmcnt(0)
	v_fma_f64 v[124:125], -v[68:69], v[190:191], v[124:125]
.LBB61_141:
	s_or_b64 exec, exec, s[2:3]
	v_cmp_eq_u32_e32 vcc, 28, v188
	s_waitcnt lgkmcnt(0)
	s_barrier
	s_and_saveexec_b64 s[2:3], vcc
	s_cbranch_execz .LBB61_144
; %bb.142:
	s_waitcnt vmcnt(2)
	ds_write_b64 v186, v[96:97]
	s_waitcnt vmcnt(0)
	ds_write2_b64 v187, v[66:67], v[124:125] offset0:29 offset1:30
	ds_read_b64 v[182:183], v186
	s_waitcnt lgkmcnt(0)
	v_cmp_neq_f64_e32 vcc, 0, v[182:183]
	s_and_b64 exec, exec, vcc
	s_cbranch_execz .LBB61_144
; %bb.143:
	v_div_scale_f64 v[184:185], s[6:7], v[182:183], v[182:183], 1.0
	v_rcp_f64_e32 v[190:191], v[184:185]
	v_div_scale_f64 v[192:193], vcc, 1.0, v[182:183], 1.0
	v_fma_f64 v[194:195], -v[184:185], v[190:191], 1.0
	v_fmac_f64_e32 v[190:191], v[190:191], v[194:195]
	v_fma_f64 v[194:195], -v[184:185], v[190:191], 1.0
	v_fmac_f64_e32 v[190:191], v[190:191], v[194:195]
	v_mul_f64 v[194:195], v[192:193], v[190:191]
	v_fma_f64 v[184:185], -v[184:185], v[194:195], v[192:193]
	v_div_fmas_f64 v[184:185], v[184:185], v[190:191], v[194:195]
	v_div_fixup_f64 v[182:183], v[184:185], v[182:183], 1.0
	ds_write_b64 v186, v[182:183]
.LBB61_144:
	s_or_b64 exec, exec, s[2:3]
	s_waitcnt lgkmcnt(0)
	s_barrier
	ds_read_b64 v[182:183], v186
	v_cmp_lt_u32_e32 vcc, 28, v188
	s_and_saveexec_b64 s[2:3], vcc
	s_cbranch_execz .LBB61_146
; %bb.145:
	ds_read2_b64 v[190:193], v187 offset0:29 offset1:30
	s_waitcnt vmcnt(2) lgkmcnt(1)
	v_mul_f64 v[96:97], v[182:183], v[96:97]
	s_waitcnt vmcnt(1) lgkmcnt(0)
	v_fma_f64 v[66:67], -v[96:97], v[190:191], v[66:67]
	s_waitcnt vmcnt(0)
	v_fma_f64 v[124:125], -v[96:97], v[192:193], v[124:125]
.LBB61_146:
	s_or_b64 exec, exec, s[2:3]
	v_cmp_eq_u32_e32 vcc, 29, v188
	s_waitcnt lgkmcnt(0)
	s_barrier
	s_and_saveexec_b64 s[2:3], vcc
	s_cbranch_execz .LBB61_149
; %bb.147:
	s_waitcnt vmcnt(1)
	ds_write_b64 v186, v[66:67]
	s_waitcnt vmcnt(0)
	ds_write_b64 v187, v[124:125] offset:240
	ds_read_b64 v[184:185], v186
	s_waitcnt lgkmcnt(0)
	v_cmp_neq_f64_e32 vcc, 0, v[184:185]
	s_and_b64 exec, exec, vcc
	s_cbranch_execz .LBB61_149
; %bb.148:
	v_div_scale_f64 v[190:191], s[6:7], v[184:185], v[184:185], 1.0
	v_rcp_f64_e32 v[192:193], v[190:191]
	v_div_scale_f64 v[194:195], vcc, 1.0, v[184:185], 1.0
	v_fma_f64 v[196:197], -v[190:191], v[192:193], 1.0
	v_fmac_f64_e32 v[192:193], v[192:193], v[196:197]
	v_fma_f64 v[196:197], -v[190:191], v[192:193], 1.0
	v_fmac_f64_e32 v[192:193], v[192:193], v[196:197]
	v_mul_f64 v[196:197], v[194:195], v[192:193]
	v_fma_f64 v[190:191], -v[190:191], v[196:197], v[194:195]
	v_div_fmas_f64 v[190:191], v[190:191], v[192:193], v[196:197]
	v_div_fixup_f64 v[184:185], v[190:191], v[184:185], 1.0
	ds_write_b64 v186, v[184:185]
.LBB61_149:
	s_or_b64 exec, exec, s[2:3]
	s_waitcnt lgkmcnt(0)
	s_barrier
	ds_read_b64 v[184:185], v186
	v_cmp_lt_u32_e32 vcc, 29, v188
	s_and_saveexec_b64 s[2:3], vcc
	s_cbranch_execz .LBB61_151
; %bb.150:
	ds_read_b64 v[190:191], v187 offset:240
	s_waitcnt vmcnt(1) lgkmcnt(1)
	v_mul_f64 v[66:67], v[184:185], v[66:67]
	s_waitcnt vmcnt(0) lgkmcnt(0)
	v_fma_f64 v[124:125], -v[66:67], v[190:191], v[124:125]
.LBB61_151:
	s_or_b64 exec, exec, s[2:3]
	v_cmp_eq_u32_e32 vcc, 30, v188
	s_waitcnt lgkmcnt(0)
	s_barrier
	s_and_saveexec_b64 s[2:3], vcc
	s_cbranch_execz .LBB61_154
; %bb.152:
	s_waitcnt vmcnt(0)
	v_cmp_neq_f64_e32 vcc, 0, v[124:125]
	ds_write_b64 v186, v[124:125]
	s_and_b64 exec, exec, vcc
	s_cbranch_execz .LBB61_154
; %bb.153:
	v_div_scale_f64 v[190:191], s[6:7], v[124:125], v[124:125], 1.0
	v_rcp_f64_e32 v[192:193], v[190:191]
	v_div_scale_f64 v[194:195], vcc, 1.0, v[124:125], 1.0
	v_fma_f64 v[196:197], -v[190:191], v[192:193], 1.0
	v_fmac_f64_e32 v[192:193], v[192:193], v[196:197]
	v_fma_f64 v[196:197], -v[190:191], v[192:193], 1.0
	v_fmac_f64_e32 v[192:193], v[192:193], v[196:197]
	v_mul_f64 v[196:197], v[194:195], v[192:193]
	v_fma_f64 v[190:191], -v[190:191], v[196:197], v[194:195]
	v_div_fmas_f64 v[190:191], v[190:191], v[192:193], v[196:197]
	v_div_fixup_f64 v[190:191], v[190:191], v[124:125], 1.0
	ds_write_b64 v186, v[190:191]
.LBB61_154:
	s_or_b64 exec, exec, s[2:3]
	s_waitcnt lgkmcnt(0)
	s_barrier
	ds_read_b64 v[186:187], v186
	s_waitcnt lgkmcnt(0)
	s_barrier
	s_and_saveexec_b64 s[2:3], s[0:1]
	s_cbranch_execz .LBB61_157
; %bb.155:
	v_cmp_eq_f64_e32 vcc, 0, v[126:127]
	v_cmp_neq_f64_e64 s[0:1], 0, v[128:129]
	v_cndmask_b32_e64 v126, 0, 1, vcc
	s_or_b64 vcc, s[0:1], vcc
	v_cndmask_b32_e32 v126, 2, v126, vcc
	v_cmp_eq_f64_e32 vcc, 0, v[130:131]
	v_cmp_eq_u32_e64 s[0:1], 0, v126
	s_and_b64 s[0:1], vcc, s[0:1]
	v_cndmask_b32_e64 v126, v126, 3, s[0:1]
	v_cmp_eq_f64_e32 vcc, 0, v[132:133]
	v_cmp_eq_u32_e64 s[0:1], 0, v126
	s_and_b64 s[0:1], vcc, s[0:1]
	v_cndmask_b32_e64 v126, v126, 4, s[0:1]
	;; [unrolled: 4-line block ×7, first 2 shown]
	v_cmp_eq_f64_e32 vcc, 0, v[144:145]
	v_cmp_eq_u32_e64 s[0:1], 0, v126
	s_load_dwordx2 s[4:5], s[4:5], 0x28
	s_and_b64 s[0:1], vcc, s[0:1]
	v_cndmask_b32_e64 v126, v126, 10, s[0:1]
	v_cmp_eq_f64_e32 vcc, 0, v[146:147]
	v_cmp_eq_u32_e64 s[0:1], 0, v126
	s_and_b64 s[0:1], vcc, s[0:1]
	v_lshlrev_b64 v[2:3], 2, v[2:3]
	v_cndmask_b32_e64 v126, v126, 11, s[0:1]
	s_waitcnt lgkmcnt(0)
	v_mov_b32_e32 v127, s5
	v_add_co_u32_e64 v2, s[0:1], s4, v2
	v_addc_co_u32_e64 v3, s[0:1], v127, v3, s[0:1]
	global_load_dword v127, v[2:3], off
	v_cmp_eq_f64_e32 vcc, 0, v[148:149]
	v_cmp_eq_u32_e64 s[0:1], 0, v126
	s_and_b64 s[0:1], vcc, s[0:1]
	v_cndmask_b32_e64 v126, v126, 12, s[0:1]
	v_cmp_eq_f64_e32 vcc, 0, v[150:151]
	v_cmp_eq_u32_e64 s[0:1], 0, v126
	s_and_b64 s[0:1], vcc, s[0:1]
	v_cndmask_b32_e64 v126, v126, 13, s[0:1]
	;; [unrolled: 4-line block ×20, first 2 shown]
	s_waitcnt vmcnt(0)
	v_cmp_eq_u32_e32 vcc, 0, v127
	v_cmp_ne_u32_e64 s[0:1], 0, v126
	s_and_b64 s[0:1], vcc, s[0:1]
	s_and_b64 exec, exec, s[0:1]
	s_cbranch_execz .LBB61_157
; %bb.156:
	v_add_u32_e32 v126, s9, v126
	global_store_dword v[2:3], v126, off
.LBB61_157:
	s_or_b64 exec, exec, s[2:3]
	s_waitcnt vmcnt(0)
	v_mul_f64 v[2:3], v[186:187], v[124:125]
	v_cmp_lt_u32_e32 vcc, 30, v188
	v_cndmask_b32_e32 v3, v125, v3, vcc
	v_cndmask_b32_e32 v2, v124, v2, vcc
	global_store_dwordx2 v[60:61], v[64:65], off
	global_store_dwordx2 v[62:63], v[94:95], off
	;; [unrolled: 1-line block ×31, first 2 shown]
.LBB61_158:
	s_endpgm
	.section	.rodata,"a",@progbits
	.p2align	6, 0x0
	.amdhsa_kernel _ZN9rocsolver6v33100L23getf2_npvt_small_kernelILi31EdiiPKPdEEvT1_T3_lS5_lPT2_S5_S5_
		.amdhsa_group_segment_fixed_size 0
		.amdhsa_private_segment_fixed_size 0
		.amdhsa_kernarg_size 312
		.amdhsa_user_sgpr_count 6
		.amdhsa_user_sgpr_private_segment_buffer 1
		.amdhsa_user_sgpr_dispatch_ptr 0
		.amdhsa_user_sgpr_queue_ptr 0
		.amdhsa_user_sgpr_kernarg_segment_ptr 1
		.amdhsa_user_sgpr_dispatch_id 0
		.amdhsa_user_sgpr_flat_scratch_init 0
		.amdhsa_user_sgpr_kernarg_preload_length 0
		.amdhsa_user_sgpr_kernarg_preload_offset 0
		.amdhsa_user_sgpr_private_segment_size 0
		.amdhsa_uses_dynamic_stack 0
		.amdhsa_system_sgpr_private_segment_wavefront_offset 0
		.amdhsa_system_sgpr_workgroup_id_x 1
		.amdhsa_system_sgpr_workgroup_id_y 1
		.amdhsa_system_sgpr_workgroup_id_z 0
		.amdhsa_system_sgpr_workgroup_info 0
		.amdhsa_system_vgpr_workitem_id 1
		.amdhsa_next_free_vgpr 198
		.amdhsa_next_free_sgpr 16
		.amdhsa_accum_offset 200
		.amdhsa_reserve_vcc 1
		.amdhsa_reserve_flat_scratch 0
		.amdhsa_float_round_mode_32 0
		.amdhsa_float_round_mode_16_64 0
		.amdhsa_float_denorm_mode_32 3
		.amdhsa_float_denorm_mode_16_64 3
		.amdhsa_dx10_clamp 1
		.amdhsa_ieee_mode 1
		.amdhsa_fp16_overflow 0
		.amdhsa_tg_split 0
		.amdhsa_exception_fp_ieee_invalid_op 0
		.amdhsa_exception_fp_denorm_src 0
		.amdhsa_exception_fp_ieee_div_zero 0
		.amdhsa_exception_fp_ieee_overflow 0
		.amdhsa_exception_fp_ieee_underflow 0
		.amdhsa_exception_fp_ieee_inexact 0
		.amdhsa_exception_int_div_zero 0
	.end_amdhsa_kernel
	.section	.text._ZN9rocsolver6v33100L23getf2_npvt_small_kernelILi31EdiiPKPdEEvT1_T3_lS5_lPT2_S5_S5_,"axG",@progbits,_ZN9rocsolver6v33100L23getf2_npvt_small_kernelILi31EdiiPKPdEEvT1_T3_lS5_lPT2_S5_S5_,comdat
.Lfunc_end61:
	.size	_ZN9rocsolver6v33100L23getf2_npvt_small_kernelILi31EdiiPKPdEEvT1_T3_lS5_lPT2_S5_S5_, .Lfunc_end61-_ZN9rocsolver6v33100L23getf2_npvt_small_kernelILi31EdiiPKPdEEvT1_T3_lS5_lPT2_S5_S5_
                                        ; -- End function
	.section	.AMDGPU.csdata,"",@progbits
; Kernel info:
; codeLenInByte = 20452
; NumSgprs: 20
; NumVgprs: 198
; NumAgprs: 0
; TotalNumVgprs: 198
; ScratchSize: 0
; MemoryBound: 0
; FloatMode: 240
; IeeeMode: 1
; LDSByteSize: 0 bytes/workgroup (compile time only)
; SGPRBlocks: 2
; VGPRBlocks: 24
; NumSGPRsForWavesPerEU: 20
; NumVGPRsForWavesPerEU: 198
; AccumOffset: 200
; Occupancy: 2
; WaveLimiterHint : 1
; COMPUTE_PGM_RSRC2:SCRATCH_EN: 0
; COMPUTE_PGM_RSRC2:USER_SGPR: 6
; COMPUTE_PGM_RSRC2:TRAP_HANDLER: 0
; COMPUTE_PGM_RSRC2:TGID_X_EN: 1
; COMPUTE_PGM_RSRC2:TGID_Y_EN: 1
; COMPUTE_PGM_RSRC2:TGID_Z_EN: 0
; COMPUTE_PGM_RSRC2:TIDIG_COMP_CNT: 1
; COMPUTE_PGM_RSRC3_GFX90A:ACCUM_OFFSET: 49
; COMPUTE_PGM_RSRC3_GFX90A:TG_SPLIT: 0
	.section	.text._ZN9rocsolver6v33100L18getf2_small_kernelILi32EdiiPKPdEEvT1_T3_lS5_lPS5_llPT2_S5_S5_S7_l,"axG",@progbits,_ZN9rocsolver6v33100L18getf2_small_kernelILi32EdiiPKPdEEvT1_T3_lS5_lPS5_llPT2_S5_S5_S7_l,comdat
	.globl	_ZN9rocsolver6v33100L18getf2_small_kernelILi32EdiiPKPdEEvT1_T3_lS5_lPS5_llPT2_S5_S5_S7_l ; -- Begin function _ZN9rocsolver6v33100L18getf2_small_kernelILi32EdiiPKPdEEvT1_T3_lS5_lPS5_llPT2_S5_S5_S7_l
	.p2align	8
	.type	_ZN9rocsolver6v33100L18getf2_small_kernelILi32EdiiPKPdEEvT1_T3_lS5_lPS5_llPT2_S5_S5_S7_l,@function
_ZN9rocsolver6v33100L18getf2_small_kernelILi32EdiiPKPdEEvT1_T3_lS5_lPS5_llPT2_S5_S5_S7_l: ; @_ZN9rocsolver6v33100L18getf2_small_kernelILi32EdiiPKPdEEvT1_T3_lS5_lPS5_llPT2_S5_S5_S7_l
; %bb.0:
	s_load_dword s0, s[4:5], 0x6c
	s_load_dwordx2 s[12:13], s[4:5], 0x48
	v_bfe_u32 v68, v0, 10, 10
	s_waitcnt lgkmcnt(0)
	s_lshr_b32 s0, s0, 16
	s_mul_i32 s7, s7, s0
	v_add_u32_e32 v2, s7, v68
	v_cmp_gt_i32_e32 vcc, s12, v2
	s_and_saveexec_b64 s[0:1], vcc
	s_cbranch_execz .LBB62_541
; %bb.1:
	s_load_dwordx4 s[0:3], s[4:5], 0x8
	s_load_dwordx4 s[8:11], s[4:5], 0x50
	v_ashrrev_i32_e32 v3, 31, v2
	v_lshlrev_b64 v[4:5], 3, v[2:3]
	s_waitcnt lgkmcnt(0)
	v_mov_b32_e32 v1, s1
	v_add_co_u32_e32 v4, vcc, s0, v4
	v_addc_co_u32_e32 v5, vcc, v1, v5, vcc
	global_load_dwordx2 v[6:7], v[4:5], off
	s_cmp_eq_u64 s[8:9], 0
	s_cselect_b64 s[6:7], -1, 0
	s_and_b64 vcc, exec, s[6:7]
	v_pk_mov_b32 v[4:5], 0, 0
	s_cbranch_vccnz .LBB62_3
; %bb.2:
	v_mul_lo_u32 v1, v3, s10
	v_mul_lo_u32 v8, v2, s11
	v_mad_u64_u32 v[4:5], s[0:1], v2, s10, 0
	v_add3_u32 v5, v5, v8, v1
	v_lshlrev_b64 v[4:5], 2, v[4:5]
	v_mov_b32_e32 v1, s9
	v_add_co_u32_e32 v4, vcc, s8, v4
	v_addc_co_u32_e32 v5, vcc, v1, v5, vcc
.LBB62_3:
	s_load_dword s8, s[4:5], 0x18
	s_load_dword s18, s[4:5], 0x0
	s_lshl_b64 s[0:1], s[2:3], 3
	v_and_b32_e32 v76, 0x3ff, v0
	v_mov_b32_e32 v1, s1
	s_waitcnt lgkmcnt(0)
	s_add_i32 s12, s8, s8
	s_waitcnt vmcnt(0)
	v_add_co_u32_e32 v74, vcc, s0, v6
	v_add_u32_e32 v0, s12, v76
	v_addc_co_u32_e32 v75, vcc, v7, v1, vcc
	v_ashrrev_i32_e32 v1, 31, v0
	v_lshlrev_b64 v[6:7], 3, v[0:1]
	v_add_u32_e32 v0, s8, v0
	v_add_co_u32_e32 v6, vcc, v74, v6
	v_ashrrev_i32_e32 v1, 31, v0
	v_addc_co_u32_e32 v7, vcc, v75, v7, vcc
	v_lshlrev_b64 v[8:9], 3, v[0:1]
	v_add_u32_e32 v0, s8, v0
	v_add_co_u32_e32 v8, vcc, v74, v8
	v_ashrrev_i32_e32 v1, 31, v0
	v_addc_co_u32_e32 v9, vcc, v75, v9, vcc
	;; [unrolled: 5-line block ×29, first 2 shown]
	v_lshlrev_b64 v[0:1], 3, v[0:1]
	v_add_co_u32_e32 v104, vcc, v74, v0
	v_addc_co_u32_e32 v105, vcc, v75, v1, vcc
	v_lshlrev_b32_e32 v69, 3, v76
	v_add_co_u32_e32 v0, vcc, v74, v69
	s_ashr_i32 s9, s8, 31
	v_addc_co_u32_e32 v1, vcc, 0, v75, vcc
	s_lshl_b64 s[10:11], s[8:9], 3
	v_mov_b32_e32 v33, s11
	v_add_co_u32_e32 v32, vcc, s10, v0
	v_addc_co_u32_e32 v33, vcc, v1, v33, vcc
	global_load_dwordx2 v[64:65], v[0:1], off
	global_load_dwordx2 v[62:63], v[32:33], off
	;; [unrolled: 1-line block ×15, first 2 shown]
                                        ; kill: killed $vgpr8 killed $vgpr9
                                        ; kill: killed $vgpr12 killed $vgpr13
                                        ; kill: killed $vgpr16 killed $vgpr17
                                        ; kill: killed $vgpr20 killed $vgpr21
                                        ; kill: killed $vgpr24 killed $vgpr25
                                        ; kill: killed $vgpr28 killed $vgpr29
                                        ; kill: killed $vgpr0 killed $vgpr1
                                        ; kill: killed $vgpr6 killed $vgpr7
                                        ; kill: killed $vgpr32 killed $vgpr33
                                        ; kill: killed $vgpr10 killed $vgpr11
                                        ; kill: killed $vgpr14 killed $vgpr15
                                        ; kill: killed $vgpr18 killed $vgpr19
                                        ; kill: killed $vgpr22 killed $vgpr23
                                        ; kill: killed $vgpr26 killed $vgpr27
                                        ; kill: killed $vgpr30 killed $vgpr31
	global_load_dwordx2 v[36:37], v[66:67], off
	global_load_dwordx2 v[32:33], v[70:71], off
	s_nop 0
	global_load_dwordx2 v[30:31], v[72:73], off
	global_load_dwordx2 v[28:29], v[78:79], off
	;; [unrolled: 1-line block ×13, first 2 shown]
                                        ; kill: killed $vgpr78 killed $vgpr79
                                        ; kill: killed $vgpr82 killed $vgpr83
                                        ; kill: killed $vgpr86 killed $vgpr87
                                        ; kill: killed $vgpr90 killed $vgpr91
                                        ; kill: killed $vgpr94 killed $vgpr95
                                        ; kill: killed $vgpr98 killed $vgpr99
                                        ; kill: killed $vgpr66 killed $vgpr67
                                        ; kill: killed $vgpr72 killed $vgpr73
                                        ; kill: killed $vgpr80 killed $vgpr81
                                        ; kill: killed $vgpr84 killed $vgpr85
                                        ; kill: killed $vgpr88 killed $vgpr89
                                        ; kill: killed $vgpr92 killed $vgpr93
                                        ; kill: killed $vgpr96 killed $vgpr97
                                        ; kill: killed $vgpr100 killed $vgpr101
                                        ; kill: killed $vgpr70 killed $vgpr71
	global_load_dwordx2 v[6:7], v[102:103], off
	global_load_dwordx2 v[66:67], v[104:105], off
	s_max_i32 s0, s18, 32
	v_mul_lo_u32 v70, s0, v68
	v_lshl_add_u32 v72, v70, 3, 0
	v_add_u32_e32 v68, v72, v69
	s_cmp_lt_i32 s18, 2
	v_lshlrev_b32_e32 v77, 3, v70
	v_mov_b32_e32 v70, 0
	s_waitcnt vmcnt(31)
	ds_write_b64 v68, v[64:65]
	s_waitcnt lgkmcnt(0)
	s_barrier
	ds_read_b64 v[68:69], v72
	s_cbranch_scc1 .LBB62_6
; %bb.4:
	v_add3_u32 v71, v77, 0, 8
	s_mov_b32 s0, 1
	v_mov_b32_e32 v70, 0
.LBB62_5:                               ; =>This Inner Loop Header: Depth=1
	ds_read_b64 v[78:79], v71
	v_mov_b32_e32 v73, s0
	s_add_i32 s0, s0, 1
	v_add_u32_e32 v71, 8, v71
	s_cmp_eq_u32 s18, s0
	s_waitcnt lgkmcnt(0)
	v_cmp_lt_f64_e64 vcc, |v[68:69]|, |v[78:79]|
	v_cndmask_b32_e32 v69, v69, v79, vcc
	v_cndmask_b32_e32 v68, v68, v78, vcc
	;; [unrolled: 1-line block ×3, first 2 shown]
	s_cbranch_scc0 .LBB62_5
.LBB62_6:
	v_cmp_ne_u32_e32 vcc, v76, v70
                                        ; implicit-def: $vgpr73
	s_and_saveexec_b64 s[0:1], vcc
	s_xor_b64 s[0:1], exec, s[0:1]
	s_cbranch_execz .LBB62_12
; %bb.7:
	v_cmp_eq_u32_e32 vcc, 0, v76
	s_and_saveexec_b64 s[2:3], vcc
	s_cbranch_execz .LBB62_11
; %bb.8:
	v_cmp_ne_u32_e32 vcc, 0, v70
	s_xor_b64 s[14:15], s[6:7], -1
	s_and_b64 s[16:17], s[14:15], vcc
	s_and_saveexec_b64 s[14:15], s[16:17]
	s_cbranch_execz .LBB62_10
; %bb.9:
	v_ashrrev_i32_e32 v71, 31, v70
	v_lshlrev_b64 v[78:79], 2, v[70:71]
	v_add_co_u32_e32 v78, vcc, v4, v78
	v_addc_co_u32_e32 v79, vcc, v5, v79, vcc
	flat_load_dword v71, v[78:79]
	flat_load_dword v73, v[4:5]
	s_waitcnt vmcnt(0) lgkmcnt(0)
	flat_store_dword v[4:5], v71
	flat_store_dword v[78:79], v73
.LBB62_10:
	s_or_b64 exec, exec, s[14:15]
	v_mov_b32_e32 v76, v70
.LBB62_11:
	s_or_b64 exec, exec, s[2:3]
	v_mov_b32_e32 v73, v76
                                        ; implicit-def: $vgpr76
.LBB62_12:
	s_or_saveexec_b64 s[0:1], s[0:1]
	v_mov_b32_e32 v71, v73
	s_xor_b64 exec, exec, s[0:1]
	s_cbranch_execz .LBB62_14
; %bb.13:
	v_mov_b32_e32 v73, 0
	v_mov_b32_e32 v71, v76
	s_waitcnt vmcnt(0)
	ds_write2_b64 v72, v[62:63], v[60:61] offset0:1 offset1:2
	ds_write2_b64 v72, v[58:59], v[56:57] offset0:3 offset1:4
	;; [unrolled: 1-line block ×15, first 2 shown]
	ds_write_b64 v72, v[66:67] offset:248
.LBB62_14:
	s_or_b64 exec, exec, s[0:1]
	s_waitcnt lgkmcnt(0)
	v_cmp_eq_f64_e64 s[0:1], 0, v[68:69]
	v_cmp_lt_i32_e32 vcc, 0, v73
	s_barrier
	s_and_saveexec_b64 s[2:3], vcc
	s_cbranch_execz .LBB62_16
; %bb.15:
	v_div_scale_f64 v[78:79], s[14:15], v[68:69], v[68:69], 1.0
	v_rcp_f64_e32 v[80:81], v[78:79]
	v_div_scale_f64 v[82:83], vcc, 1.0, v[68:69], 1.0
	ds_read2_b64 v[86:89], v72 offset0:5 offset1:6
	v_fma_f64 v[84:85], -v[78:79], v[80:81], 1.0
	v_fmac_f64_e32 v[80:81], v[80:81], v[84:85]
	v_fma_f64 v[84:85], -v[78:79], v[80:81], 1.0
	v_fmac_f64_e32 v[80:81], v[80:81], v[84:85]
	v_mul_f64 v[84:85], v[82:83], v[80:81]
	v_fma_f64 v[78:79], -v[78:79], v[84:85], v[82:83]
	v_div_fmas_f64 v[78:79], v[78:79], v[80:81], v[84:85]
	v_div_fixup_f64 v[82:83], v[78:79], v[68:69], 1.0
	ds_read2_b64 v[78:81], v72 offset0:1 offset1:2
	v_cndmask_b32_e64 v69, v83, v69, s[0:1]
	v_cndmask_b32_e64 v68, v82, v68, s[0:1]
	ds_read2_b64 v[82:85], v72 offset0:3 offset1:4
	v_mul_f64 v[64:65], v[68:69], v[64:65]
	s_waitcnt vmcnt(0) lgkmcnt(0)
	v_fma_f64 v[62:63], -v[64:65], v[78:79], v[62:63]
	v_fma_f64 v[60:61], -v[64:65], v[80:81], v[60:61]
	ds_read2_b64 v[78:81], v72 offset0:7 offset1:8
	v_fma_f64 v[58:59], -v[64:65], v[82:83], v[58:59]
	v_fma_f64 v[56:57], -v[64:65], v[84:85], v[56:57]
	;; [unrolled: 1-line block ×3, first 2 shown]
	ds_read2_b64 v[82:85], v72 offset0:9 offset1:10
	v_fma_f64 v[52:53], -v[64:65], v[88:89], v[52:53]
	ds_read2_b64 v[86:89], v72 offset0:11 offset1:12
	s_waitcnt lgkmcnt(2)
	v_fma_f64 v[50:51], -v[64:65], v[78:79], v[50:51]
	v_fma_f64 v[48:49], -v[64:65], v[80:81], v[48:49]
	s_waitcnt lgkmcnt(1)
	v_fma_f64 v[46:47], -v[64:65], v[82:83], v[46:47]
	ds_read2_b64 v[78:81], v72 offset0:13 offset1:14
	v_fma_f64 v[44:45], -v[64:65], v[84:85], v[44:45]
	ds_read2_b64 v[82:85], v72 offset0:15 offset1:16
	s_waitcnt lgkmcnt(2)
	v_fma_f64 v[42:43], -v[64:65], v[86:87], v[42:43]
	v_fma_f64 v[40:41], -v[64:65], v[88:89], v[40:41]
	ds_read2_b64 v[86:89], v72 offset0:17 offset1:18
	s_waitcnt lgkmcnt(2)
	v_fma_f64 v[38:39], -v[64:65], v[78:79], v[38:39]
	;; [unrolled: 4-line block ×3, first 2 shown]
	v_fma_f64 v[32:33], -v[64:65], v[84:85], v[32:33]
	s_waitcnt lgkmcnt(1)
	v_fma_f64 v[30:31], -v[64:65], v[86:87], v[30:31]
	ds_read2_b64 v[82:85], v72 offset0:21 offset1:22
	v_fma_f64 v[28:29], -v[64:65], v[88:89], v[28:29]
	ds_read2_b64 v[86:89], v72 offset0:23 offset1:24
	s_waitcnt lgkmcnt(2)
	v_fma_f64 v[26:27], -v[64:65], v[78:79], v[26:27]
	v_fma_f64 v[24:25], -v[64:65], v[80:81], v[24:25]
	s_waitcnt lgkmcnt(1)
	v_fma_f64 v[22:23], -v[64:65], v[82:83], v[22:23]
	ds_read2_b64 v[78:81], v72 offset0:25 offset1:26
	v_fma_f64 v[20:21], -v[64:65], v[84:85], v[20:21]
	ds_read2_b64 v[82:85], v72 offset0:27 offset1:28
	s_waitcnt lgkmcnt(2)
	v_fma_f64 v[18:19], -v[64:65], v[86:87], v[18:19]
	v_fma_f64 v[16:17], -v[64:65], v[88:89], v[16:17]
	ds_read2_b64 v[86:89], v72 offset0:29 offset1:30
	ds_read_b64 v[68:69], v72 offset:248
	s_waitcnt lgkmcnt(3)
	v_fma_f64 v[14:15], -v[64:65], v[78:79], v[14:15]
	v_fma_f64 v[12:13], -v[64:65], v[80:81], v[12:13]
	s_waitcnt lgkmcnt(2)
	v_fma_f64 v[10:11], -v[64:65], v[82:83], v[10:11]
	v_fma_f64 v[8:9], -v[64:65], v[84:85], v[8:9]
	s_waitcnt lgkmcnt(1)
	v_fma_f64 v[0:1], -v[64:65], v[86:87], v[0:1]
	v_fma_f64 v[6:7], -v[64:65], v[88:89], v[6:7]
	s_waitcnt lgkmcnt(0)
	v_fma_f64 v[66:67], -v[64:65], v[68:69], v[66:67]
.LBB62_16:
	s_or_b64 exec, exec, s[2:3]
	v_lshl_add_u32 v68, v73, 3, v72
	s_barrier
	s_waitcnt vmcnt(0)
	ds_write_b64 v68, v[62:63]
	s_waitcnt lgkmcnt(0)
	s_barrier
	ds_read_b64 v[68:69], v72 offset:8
	s_cmp_lt_i32 s18, 3
	v_mov_b32_e32 v70, 1
	s_cbranch_scc1 .LBB62_19
; %bb.17:
	v_add3_u32 v76, v77, 0, 16
	s_mov_b32 s2, 2
	v_mov_b32_e32 v70, 1
.LBB62_18:                              ; =>This Inner Loop Header: Depth=1
	ds_read_b64 v[78:79], v76
	v_mov_b32_e32 v80, s2
	s_add_i32 s2, s2, 1
	v_add_u32_e32 v76, 8, v76
	s_cmp_lg_u32 s18, s2
	s_waitcnt lgkmcnt(0)
	v_cmp_lt_f64_e64 vcc, |v[68:69]|, |v[78:79]|
	v_cndmask_b32_e32 v69, v69, v79, vcc
	v_cndmask_b32_e32 v68, v68, v78, vcc
	;; [unrolled: 1-line block ×3, first 2 shown]
	s_cbranch_scc1 .LBB62_18
.LBB62_19:
	v_cmp_ne_u32_e32 vcc, v73, v70
	s_and_saveexec_b64 s[2:3], vcc
	s_xor_b64 s[2:3], exec, s[2:3]
	s_cbranch_execz .LBB62_25
; %bb.20:
	v_cmp_eq_u32_e32 vcc, 1, v73
	s_and_saveexec_b64 s[14:15], vcc
	s_cbranch_execz .LBB62_24
; %bb.21:
	v_cmp_ne_u32_e32 vcc, 1, v70
	s_xor_b64 s[16:17], s[6:7], -1
	s_and_b64 s[20:21], s[16:17], vcc
	s_and_saveexec_b64 s[16:17], s[20:21]
	s_cbranch_execz .LBB62_23
; %bb.22:
	v_ashrrev_i32_e32 v71, 31, v70
	v_lshlrev_b64 v[78:79], 2, v[70:71]
	v_add_co_u32_e32 v78, vcc, v4, v78
	v_addc_co_u32_e32 v79, vcc, v5, v79, vcc
	flat_load_dword v71, v[78:79]
	flat_load_dword v73, v[4:5] offset:4
	s_waitcnt vmcnt(0) lgkmcnt(0)
	flat_store_dword v[4:5], v71 offset:4
	flat_store_dword v[78:79], v73
.LBB62_23:
	s_or_b64 exec, exec, s[16:17]
	v_mov_b32_e32 v71, v70
	v_mov_b32_e32 v73, v70
.LBB62_24:
	s_or_b64 exec, exec, s[14:15]
.LBB62_25:
	s_andn2_saveexec_b64 s[2:3], s[2:3]
	s_cbranch_execz .LBB62_27
; %bb.26:
	v_mov_b32_e32 v78, v60
	v_mov_b32_e32 v79, v61
	v_mov_b32_e32 v80, v58
	v_mov_b32_e32 v81, v59
	ds_write2_b64 v72, v[78:79], v[80:81] offset0:2 offset1:3
	v_mov_b32_e32 v78, v56
	v_mov_b32_e32 v79, v57
	v_mov_b32_e32 v80, v54
	v_mov_b32_e32 v81, v55
	ds_write2_b64 v72, v[78:79], v[80:81] offset0:4 offset1:5
	;; [unrolled: 5-line block ×14, first 2 shown]
	v_mov_b32_e32 v78, v6
	v_mov_b32_e32 v79, v7
	;; [unrolled: 1-line block ×3, first 2 shown]
	ds_write2_b64 v72, v[78:79], v[66:67] offset0:30 offset1:31
.LBB62_27:
	s_or_b64 exec, exec, s[2:3]
	s_waitcnt lgkmcnt(0)
	v_cmp_neq_f64_e64 s[2:3], 0, v[68:69]
	v_cmp_lt_i32_e32 vcc, 1, v73
	s_barrier
	s_and_saveexec_b64 s[14:15], vcc
	s_cbranch_execz .LBB62_29
; %bb.28:
	v_div_scale_f64 v[78:79], s[16:17], v[68:69], v[68:69], 1.0
	v_rcp_f64_e32 v[80:81], v[78:79]
	v_div_scale_f64 v[82:83], vcc, 1.0, v[68:69], 1.0
	ds_read2_b64 v[86:89], v72 offset0:6 offset1:7
	v_fma_f64 v[84:85], -v[78:79], v[80:81], 1.0
	v_fmac_f64_e32 v[80:81], v[80:81], v[84:85]
	v_fma_f64 v[84:85], -v[78:79], v[80:81], 1.0
	v_fmac_f64_e32 v[80:81], v[80:81], v[84:85]
	v_mul_f64 v[84:85], v[82:83], v[80:81]
	v_fma_f64 v[78:79], -v[78:79], v[84:85], v[82:83]
	v_div_fmas_f64 v[78:79], v[78:79], v[80:81], v[84:85]
	v_div_fixup_f64 v[82:83], v[78:79], v[68:69], 1.0
	ds_read2_b64 v[78:81], v72 offset0:2 offset1:3
	v_cndmask_b32_e64 v69, v69, v83, s[2:3]
	v_cndmask_b32_e64 v68, v68, v82, s[2:3]
	ds_read2_b64 v[82:85], v72 offset0:4 offset1:5
	v_mul_f64 v[62:63], v[68:69], v[62:63]
	s_waitcnt lgkmcnt(0)
	v_fma_f64 v[60:61], -v[62:63], v[78:79], v[60:61]
	v_fma_f64 v[58:59], -v[62:63], v[80:81], v[58:59]
	ds_read2_b64 v[78:81], v72 offset0:8 offset1:9
	v_fma_f64 v[56:57], -v[62:63], v[82:83], v[56:57]
	v_fma_f64 v[54:55], -v[62:63], v[84:85], v[54:55]
	;; [unrolled: 1-line block ×3, first 2 shown]
	ds_read2_b64 v[82:85], v72 offset0:10 offset1:11
	v_fma_f64 v[50:51], -v[62:63], v[88:89], v[50:51]
	ds_read2_b64 v[86:89], v72 offset0:12 offset1:13
	s_waitcnt lgkmcnt(0)
	v_fma_f64 v[48:49], -v[62:63], v[78:79], v[48:49]
	v_fma_f64 v[46:47], -v[62:63], v[80:81], v[46:47]
	;; [unrolled: 1-line block ×3, first 2 shown]
	ds_read2_b64 v[78:81], v72 offset0:14 offset1:15
	v_fma_f64 v[42:43], -v[62:63], v[84:85], v[42:43]
	ds_read2_b64 v[82:85], v72 offset0:16 offset1:17
	v_fma_f64 v[40:41], -v[62:63], v[86:87], v[40:41]
	v_fma_f64 v[38:39], -v[62:63], v[88:89], v[38:39]
	ds_read2_b64 v[86:89], v72 offset0:18 offset1:19
	s_waitcnt lgkmcnt(0)
	v_fma_f64 v[34:35], -v[62:63], v[78:79], v[34:35]
	v_fma_f64 v[36:37], -v[62:63], v[80:81], v[36:37]
	ds_read2_b64 v[78:81], v72 offset0:20 offset1:21
	v_fma_f64 v[32:33], -v[62:63], v[82:83], v[32:33]
	v_fma_f64 v[30:31], -v[62:63], v[84:85], v[30:31]
	;; [unrolled: 1-line block ×3, first 2 shown]
	ds_read2_b64 v[82:85], v72 offset0:22 offset1:23
	v_fma_f64 v[26:27], -v[62:63], v[88:89], v[26:27]
	ds_read2_b64 v[86:89], v72 offset0:24 offset1:25
	s_waitcnt lgkmcnt(0)
	v_fma_f64 v[24:25], -v[62:63], v[78:79], v[24:25]
	v_fma_f64 v[22:23], -v[62:63], v[80:81], v[22:23]
	;; [unrolled: 1-line block ×4, first 2 shown]
	ds_read2_b64 v[78:81], v72 offset0:26 offset1:27
	ds_read2_b64 v[82:85], v72 offset0:28 offset1:29
	v_fma_f64 v[16:17], -v[62:63], v[86:87], v[16:17]
	v_fma_f64 v[14:15], -v[62:63], v[88:89], v[14:15]
	ds_read2_b64 v[86:89], v72 offset0:30 offset1:31
	s_waitcnt lgkmcnt(0)
	v_fma_f64 v[12:13], -v[62:63], v[78:79], v[12:13]
	v_fma_f64 v[10:11], -v[62:63], v[80:81], v[10:11]
	;; [unrolled: 1-line block ×6, first 2 shown]
.LBB62_29:
	s_or_b64 exec, exec, s[14:15]
	v_lshl_add_u32 v68, v73, 3, v72
	s_barrier
	ds_write_b64 v68, v[60:61]
	s_waitcnt lgkmcnt(0)
	s_barrier
	ds_read_b64 v[68:69], v72 offset:16
	s_mov_b32 s9, 3
	s_cmp_lt_i32 s18, 4
	v_mov_b32_e32 v70, 2
	s_cbranch_scc1 .LBB62_32
; %bb.30:
	v_add3_u32 v76, v77, 0, 24
	v_mov_b32_e32 v70, 2
.LBB62_31:                              ; =>This Inner Loop Header: Depth=1
	ds_read_b64 v[78:79], v76
	v_mov_b32_e32 v80, s9
	s_add_i32 s9, s9, 1
	v_add_u32_e32 v76, 8, v76
	s_cmp_lg_u32 s18, s9
	s_waitcnt lgkmcnt(0)
	v_cmp_lt_f64_e64 vcc, |v[68:69]|, |v[78:79]|
	v_cndmask_b32_e32 v69, v69, v79, vcc
	v_cndmask_b32_e32 v68, v68, v78, vcc
	;; [unrolled: 1-line block ×3, first 2 shown]
	s_cbranch_scc1 .LBB62_31
.LBB62_32:
	v_cndmask_b32_e64 v76, 2, 1, s[0:1]
	v_cndmask_b32_e64 v78, 0, 1, s[0:1]
	;; [unrolled: 1-line block ×3, first 2 shown]
	s_waitcnt lgkmcnt(0)
	v_cmp_eq_f64_e32 vcc, 0, v[68:69]
	s_and_saveexec_b64 s[0:1], vcc
	s_xor_b64 s[0:1], exec, s[0:1]
; %bb.33:
	v_cmp_ne_u32_e32 vcc, 0, v76
	v_cndmask_b32_e32 v76, 3, v76, vcc
; %bb.34:
	s_andn2_saveexec_b64 s[0:1], s[0:1]
; %bb.35:
	v_div_scale_f64 v[78:79], s[2:3], v[68:69], v[68:69], 1.0
	v_rcp_f64_e32 v[80:81], v[78:79]
	v_div_scale_f64 v[82:83], vcc, 1.0, v[68:69], 1.0
	v_fma_f64 v[84:85], -v[78:79], v[80:81], 1.0
	v_fmac_f64_e32 v[80:81], v[80:81], v[84:85]
	v_fma_f64 v[84:85], -v[78:79], v[80:81], 1.0
	v_fmac_f64_e32 v[80:81], v[80:81], v[84:85]
	v_mul_f64 v[84:85], v[82:83], v[80:81]
	v_fma_f64 v[78:79], -v[78:79], v[84:85], v[82:83]
	v_div_fmas_f64 v[78:79], v[78:79], v[80:81], v[84:85]
	v_div_fixup_f64 v[68:69], v[78:79], v[68:69], 1.0
; %bb.36:
	s_or_b64 exec, exec, s[0:1]
	v_cmp_ne_u32_e32 vcc, v73, v70
	s_and_saveexec_b64 s[0:1], vcc
	s_xor_b64 s[0:1], exec, s[0:1]
	s_cbranch_execz .LBB62_42
; %bb.37:
	v_cmp_eq_u32_e32 vcc, 2, v73
	s_and_saveexec_b64 s[2:3], vcc
	s_cbranch_execz .LBB62_41
; %bb.38:
	v_cmp_ne_u32_e32 vcc, 2, v70
	s_xor_b64 s[14:15], s[6:7], -1
	s_and_b64 s[16:17], s[14:15], vcc
	s_and_saveexec_b64 s[14:15], s[16:17]
	s_cbranch_execz .LBB62_40
; %bb.39:
	v_ashrrev_i32_e32 v71, 31, v70
	v_lshlrev_b64 v[78:79], 2, v[70:71]
	v_add_co_u32_e32 v78, vcc, v4, v78
	v_addc_co_u32_e32 v79, vcc, v5, v79, vcc
	flat_load_dword v71, v[78:79]
	flat_load_dword v73, v[4:5] offset:8
	s_waitcnt vmcnt(0) lgkmcnt(0)
	flat_store_dword v[4:5], v71 offset:8
	flat_store_dword v[78:79], v73
.LBB62_40:
	s_or_b64 exec, exec, s[14:15]
	v_mov_b32_e32 v71, v70
	v_mov_b32_e32 v73, v70
.LBB62_41:
	s_or_b64 exec, exec, s[2:3]
.LBB62_42:
	s_andn2_saveexec_b64 s[0:1], s[0:1]
	s_cbranch_execz .LBB62_44
; %bb.43:
	v_mov_b32_e32 v73, 2
	ds_write2_b64 v72, v[58:59], v[56:57] offset0:3 offset1:4
	ds_write2_b64 v72, v[54:55], v[52:53] offset0:5 offset1:6
	;; [unrolled: 1-line block ×14, first 2 shown]
	ds_write_b64 v72, v[66:67] offset:248
.LBB62_44:
	s_or_b64 exec, exec, s[0:1]
	v_cmp_lt_i32_e32 vcc, 2, v73
	s_waitcnt lgkmcnt(0)
	s_barrier
	s_and_saveexec_b64 s[0:1], vcc
	s_cbranch_execz .LBB62_46
; %bb.45:
	ds_read2_b64 v[78:81], v72 offset0:3 offset1:4
	ds_read2_b64 v[82:85], v72 offset0:5 offset1:6
	v_mul_f64 v[60:61], v[68:69], v[60:61]
	ds_read2_b64 v[86:89], v72 offset0:7 offset1:8
	ds_read_b64 v[68:69], v72 offset:248
	s_waitcnt lgkmcnt(0)
	v_fma_f64 v[58:59], -v[60:61], v[78:79], v[58:59]
	v_fma_f64 v[56:57], -v[60:61], v[80:81], v[56:57]
	ds_read2_b64 v[78:81], v72 offset0:9 offset1:10
	v_fma_f64 v[54:55], -v[60:61], v[82:83], v[54:55]
	v_fma_f64 v[52:53], -v[60:61], v[84:85], v[52:53]
	ds_read2_b64 v[82:85], v72 offset0:11 offset1:12
	v_fma_f64 v[50:51], -v[60:61], v[86:87], v[50:51]
	v_fma_f64 v[48:49], -v[60:61], v[88:89], v[48:49]
	ds_read2_b64 v[86:89], v72 offset0:13 offset1:14
	s_waitcnt lgkmcnt(0)
	v_fma_f64 v[46:47], -v[60:61], v[78:79], v[46:47]
	v_fma_f64 v[44:45], -v[60:61], v[80:81], v[44:45]
	;; [unrolled: 1-line block ×3, first 2 shown]
	ds_read2_b64 v[78:81], v72 offset0:15 offset1:16
	v_fma_f64 v[40:41], -v[60:61], v[84:85], v[40:41]
	ds_read2_b64 v[82:85], v72 offset0:17 offset1:18
	v_fma_f64 v[38:39], -v[60:61], v[86:87], v[38:39]
	v_fma_f64 v[34:35], -v[60:61], v[88:89], v[34:35]
	s_waitcnt lgkmcnt(0)
	v_fma_f64 v[36:37], -v[60:61], v[78:79], v[36:37]
	ds_read2_b64 v[86:89], v72 offset0:19 offset1:20
	v_fma_f64 v[32:33], -v[60:61], v[80:81], v[32:33]
	ds_read2_b64 v[78:81], v72 offset0:21 offset1:22
	v_fma_f64 v[30:31], -v[60:61], v[82:83], v[30:31]
	v_fma_f64 v[28:29], -v[60:61], v[84:85], v[28:29]
	ds_read2_b64 v[82:85], v72 offset0:23 offset1:24
	s_waitcnt lgkmcnt(0)
	v_fma_f64 v[26:27], -v[60:61], v[86:87], v[26:27]
	v_fma_f64 v[24:25], -v[60:61], v[88:89], v[24:25]
	ds_read2_b64 v[86:89], v72 offset0:25 offset1:26
	v_fma_f64 v[22:23], -v[60:61], v[78:79], v[22:23]
	v_fma_f64 v[20:21], -v[60:61], v[80:81], v[20:21]
	;; [unrolled: 1-line block ×4, first 2 shown]
	ds_read2_b64 v[78:81], v72 offset0:27 offset1:28
	ds_read2_b64 v[82:85], v72 offset0:29 offset1:30
	s_waitcnt lgkmcnt(0)
	v_fma_f64 v[14:15], -v[60:61], v[86:87], v[14:15]
	v_fma_f64 v[12:13], -v[60:61], v[88:89], v[12:13]
	v_fma_f64 v[66:67], -v[60:61], v[68:69], v[66:67]
	v_fma_f64 v[10:11], -v[60:61], v[78:79], v[10:11]
	v_fma_f64 v[8:9], -v[60:61], v[80:81], v[8:9]
	v_fma_f64 v[0:1], -v[60:61], v[82:83], v[0:1]
	v_fma_f64 v[6:7], -v[60:61], v[84:85], v[6:7]
.LBB62_46:
	s_or_b64 exec, exec, s[0:1]
	v_lshl_add_u32 v68, v73, 3, v72
	s_barrier
	ds_write_b64 v68, v[58:59]
	s_waitcnt lgkmcnt(0)
	s_barrier
	ds_read_b64 v[68:69], v72 offset:24
	s_cmp_lt_i32 s18, 5
	v_mov_b32_e32 v70, 3
	s_cbranch_scc1 .LBB62_49
; %bb.47:
	v_add3_u32 v78, v77, 0, 32
	s_mov_b32 s0, 4
	v_mov_b32_e32 v70, 3
.LBB62_48:                              ; =>This Inner Loop Header: Depth=1
	ds_read_b64 v[80:81], v78
	v_mov_b32_e32 v79, s0
	s_add_i32 s0, s0, 1
	v_add_u32_e32 v78, 8, v78
	s_cmp_lg_u32 s18, s0
	s_waitcnt lgkmcnt(0)
	v_cmp_lt_f64_e64 vcc, |v[68:69]|, |v[80:81]|
	v_cndmask_b32_e32 v69, v69, v81, vcc
	v_cndmask_b32_e32 v68, v68, v80, vcc
	;; [unrolled: 1-line block ×3, first 2 shown]
	s_cbranch_scc1 .LBB62_48
.LBB62_49:
	s_waitcnt lgkmcnt(0)
	v_cmp_eq_f64_e32 vcc, 0, v[68:69]
	s_and_saveexec_b64 s[0:1], vcc
	s_xor_b64 s[0:1], exec, s[0:1]
; %bb.50:
	v_cmp_ne_u32_e32 vcc, 0, v76
	v_cndmask_b32_e32 v76, 4, v76, vcc
; %bb.51:
	s_andn2_saveexec_b64 s[0:1], s[0:1]
; %bb.52:
	v_div_scale_f64 v[78:79], s[2:3], v[68:69], v[68:69], 1.0
	v_rcp_f64_e32 v[80:81], v[78:79]
	v_div_scale_f64 v[82:83], vcc, 1.0, v[68:69], 1.0
	v_fma_f64 v[84:85], -v[78:79], v[80:81], 1.0
	v_fmac_f64_e32 v[80:81], v[80:81], v[84:85]
	v_fma_f64 v[84:85], -v[78:79], v[80:81], 1.0
	v_fmac_f64_e32 v[80:81], v[80:81], v[84:85]
	v_mul_f64 v[84:85], v[82:83], v[80:81]
	v_fma_f64 v[78:79], -v[78:79], v[84:85], v[82:83]
	v_div_fmas_f64 v[78:79], v[78:79], v[80:81], v[84:85]
	v_div_fixup_f64 v[68:69], v[78:79], v[68:69], 1.0
; %bb.53:
	s_or_b64 exec, exec, s[0:1]
	v_cmp_ne_u32_e32 vcc, v73, v70
	s_and_saveexec_b64 s[0:1], vcc
	s_xor_b64 s[0:1], exec, s[0:1]
	s_cbranch_execz .LBB62_59
; %bb.54:
	v_cmp_eq_u32_e32 vcc, 3, v73
	s_and_saveexec_b64 s[2:3], vcc
	s_cbranch_execz .LBB62_58
; %bb.55:
	v_cmp_ne_u32_e32 vcc, 3, v70
	s_xor_b64 s[14:15], s[6:7], -1
	s_and_b64 s[16:17], s[14:15], vcc
	s_and_saveexec_b64 s[14:15], s[16:17]
	s_cbranch_execz .LBB62_57
; %bb.56:
	v_ashrrev_i32_e32 v71, 31, v70
	v_lshlrev_b64 v[78:79], 2, v[70:71]
	v_add_co_u32_e32 v78, vcc, v4, v78
	v_addc_co_u32_e32 v79, vcc, v5, v79, vcc
	flat_load_dword v71, v[78:79]
	flat_load_dword v73, v[4:5] offset:12
	s_waitcnt vmcnt(0) lgkmcnt(0)
	flat_store_dword v[4:5], v71 offset:12
	flat_store_dword v[78:79], v73
.LBB62_57:
	s_or_b64 exec, exec, s[14:15]
	v_mov_b32_e32 v71, v70
	v_mov_b32_e32 v73, v70
.LBB62_58:
	s_or_b64 exec, exec, s[2:3]
.LBB62_59:
	s_andn2_saveexec_b64 s[0:1], s[0:1]
	s_cbranch_execz .LBB62_61
; %bb.60:
	v_mov_b32_e32 v78, v56
	v_mov_b32_e32 v79, v57
	v_mov_b32_e32 v80, v54
	v_mov_b32_e32 v81, v55
	ds_write2_b64 v72, v[78:79], v[80:81] offset0:4 offset1:5
	v_mov_b32_e32 v78, v52
	v_mov_b32_e32 v79, v53
	v_mov_b32_e32 v80, v50
	v_mov_b32_e32 v81, v51
	ds_write2_b64 v72, v[78:79], v[80:81] offset0:6 offset1:7
	;; [unrolled: 5-line block ×13, first 2 shown]
	v_mov_b32_e32 v78, v6
	v_mov_b32_e32 v79, v7
	;; [unrolled: 1-line block ×3, first 2 shown]
	ds_write2_b64 v72, v[78:79], v[66:67] offset0:30 offset1:31
.LBB62_61:
	s_or_b64 exec, exec, s[0:1]
	v_cmp_lt_i32_e32 vcc, 3, v73
	s_waitcnt lgkmcnt(0)
	s_barrier
	s_and_saveexec_b64 s[0:1], vcc
	s_cbranch_execz .LBB62_63
; %bb.62:
	ds_read2_b64 v[78:81], v72 offset0:4 offset1:5
	ds_read2_b64 v[82:85], v72 offset0:6 offset1:7
	v_mul_f64 v[58:59], v[68:69], v[58:59]
	ds_read2_b64 v[86:89], v72 offset0:8 offset1:9
	s_waitcnt lgkmcnt(0)
	v_fma_f64 v[56:57], -v[58:59], v[78:79], v[56:57]
	v_fma_f64 v[54:55], -v[58:59], v[80:81], v[54:55]
	ds_read2_b64 v[78:81], v72 offset0:10 offset1:11
	v_fma_f64 v[52:53], -v[58:59], v[82:83], v[52:53]
	v_fma_f64 v[50:51], -v[58:59], v[84:85], v[50:51]
	ds_read2_b64 v[82:85], v72 offset0:12 offset1:13
	v_fma_f64 v[48:49], -v[58:59], v[86:87], v[48:49]
	v_fma_f64 v[46:47], -v[58:59], v[88:89], v[46:47]
	ds_read2_b64 v[86:89], v72 offset0:14 offset1:15
	s_waitcnt lgkmcnt(0)
	v_fma_f64 v[44:45], -v[58:59], v[78:79], v[44:45]
	v_fma_f64 v[42:43], -v[58:59], v[80:81], v[42:43]
	;; [unrolled: 1-line block ×3, first 2 shown]
	ds_read2_b64 v[78:81], v72 offset0:16 offset1:17
	v_fma_f64 v[38:39], -v[58:59], v[84:85], v[38:39]
	ds_read2_b64 v[82:85], v72 offset0:18 offset1:19
	v_fma_f64 v[34:35], -v[58:59], v[86:87], v[34:35]
	v_fma_f64 v[36:37], -v[58:59], v[88:89], v[36:37]
	s_waitcnt lgkmcnt(0)
	v_fma_f64 v[32:33], -v[58:59], v[78:79], v[32:33]
	ds_read2_b64 v[86:89], v72 offset0:20 offset1:21
	v_fma_f64 v[30:31], -v[58:59], v[80:81], v[30:31]
	ds_read2_b64 v[78:81], v72 offset0:22 offset1:23
	v_fma_f64 v[28:29], -v[58:59], v[82:83], v[28:29]
	v_fma_f64 v[26:27], -v[58:59], v[84:85], v[26:27]
	ds_read2_b64 v[82:85], v72 offset0:24 offset1:25
	s_waitcnt lgkmcnt(0)
	v_fma_f64 v[24:25], -v[58:59], v[86:87], v[24:25]
	v_fma_f64 v[22:23], -v[58:59], v[88:89], v[22:23]
	;; [unrolled: 1-line block ×4, first 2 shown]
	ds_read2_b64 v[78:81], v72 offset0:26 offset1:27
	v_fma_f64 v[16:17], -v[58:59], v[82:83], v[16:17]
	ds_read2_b64 v[86:89], v72 offset0:28 offset1:29
	v_fma_f64 v[14:15], -v[58:59], v[84:85], v[14:15]
	ds_read2_b64 v[82:85], v72 offset0:30 offset1:31
	s_waitcnt lgkmcnt(0)
	v_fma_f64 v[12:13], -v[58:59], v[78:79], v[12:13]
	v_fma_f64 v[10:11], -v[58:59], v[80:81], v[10:11]
	;; [unrolled: 1-line block ×6, first 2 shown]
.LBB62_63:
	s_or_b64 exec, exec, s[0:1]
	v_lshl_add_u32 v68, v73, 3, v72
	s_barrier
	ds_write_b64 v68, v[56:57]
	s_waitcnt lgkmcnt(0)
	s_barrier
	ds_read_b64 v[68:69], v72 offset:32
	s_cmp_lt_i32 s18, 6
	v_mov_b32_e32 v70, 4
	s_cbranch_scc1 .LBB62_66
; %bb.64:
	v_add3_u32 v78, v77, 0, 40
	s_mov_b32 s0, 5
	v_mov_b32_e32 v70, 4
.LBB62_65:                              ; =>This Inner Loop Header: Depth=1
	ds_read_b64 v[80:81], v78
	v_mov_b32_e32 v79, s0
	s_add_i32 s0, s0, 1
	v_add_u32_e32 v78, 8, v78
	s_cmp_lg_u32 s18, s0
	s_waitcnt lgkmcnt(0)
	v_cmp_lt_f64_e64 vcc, |v[68:69]|, |v[80:81]|
	v_cndmask_b32_e32 v69, v69, v81, vcc
	v_cndmask_b32_e32 v68, v68, v80, vcc
	;; [unrolled: 1-line block ×3, first 2 shown]
	s_cbranch_scc1 .LBB62_65
.LBB62_66:
	s_waitcnt lgkmcnt(0)
	v_cmp_eq_f64_e32 vcc, 0, v[68:69]
	s_and_saveexec_b64 s[0:1], vcc
	s_xor_b64 s[0:1], exec, s[0:1]
; %bb.67:
	v_cmp_ne_u32_e32 vcc, 0, v76
	v_cndmask_b32_e32 v76, 5, v76, vcc
; %bb.68:
	s_andn2_saveexec_b64 s[0:1], s[0:1]
; %bb.69:
	v_div_scale_f64 v[78:79], s[2:3], v[68:69], v[68:69], 1.0
	v_rcp_f64_e32 v[80:81], v[78:79]
	v_div_scale_f64 v[82:83], vcc, 1.0, v[68:69], 1.0
	v_fma_f64 v[84:85], -v[78:79], v[80:81], 1.0
	v_fmac_f64_e32 v[80:81], v[80:81], v[84:85]
	v_fma_f64 v[84:85], -v[78:79], v[80:81], 1.0
	v_fmac_f64_e32 v[80:81], v[80:81], v[84:85]
	v_mul_f64 v[84:85], v[82:83], v[80:81]
	v_fma_f64 v[78:79], -v[78:79], v[84:85], v[82:83]
	v_div_fmas_f64 v[78:79], v[78:79], v[80:81], v[84:85]
	v_div_fixup_f64 v[68:69], v[78:79], v[68:69], 1.0
; %bb.70:
	s_or_b64 exec, exec, s[0:1]
	v_cmp_ne_u32_e32 vcc, v73, v70
	s_and_saveexec_b64 s[0:1], vcc
	s_xor_b64 s[0:1], exec, s[0:1]
	s_cbranch_execz .LBB62_76
; %bb.71:
	v_cmp_eq_u32_e32 vcc, 4, v73
	s_and_saveexec_b64 s[2:3], vcc
	s_cbranch_execz .LBB62_75
; %bb.72:
	v_cmp_ne_u32_e32 vcc, 4, v70
	s_xor_b64 s[14:15], s[6:7], -1
	s_and_b64 s[16:17], s[14:15], vcc
	s_and_saveexec_b64 s[14:15], s[16:17]
	s_cbranch_execz .LBB62_74
; %bb.73:
	v_ashrrev_i32_e32 v71, 31, v70
	v_lshlrev_b64 v[78:79], 2, v[70:71]
	v_add_co_u32_e32 v78, vcc, v4, v78
	v_addc_co_u32_e32 v79, vcc, v5, v79, vcc
	flat_load_dword v71, v[78:79]
	flat_load_dword v73, v[4:5] offset:16
	s_waitcnt vmcnt(0) lgkmcnt(0)
	flat_store_dword v[4:5], v71 offset:16
	flat_store_dword v[78:79], v73
.LBB62_74:
	s_or_b64 exec, exec, s[14:15]
	v_mov_b32_e32 v71, v70
	v_mov_b32_e32 v73, v70
.LBB62_75:
	s_or_b64 exec, exec, s[2:3]
.LBB62_76:
	s_andn2_saveexec_b64 s[0:1], s[0:1]
	s_cbranch_execz .LBB62_78
; %bb.77:
	v_mov_b32_e32 v73, 4
	ds_write2_b64 v72, v[54:55], v[52:53] offset0:5 offset1:6
	ds_write2_b64 v72, v[50:51], v[48:49] offset0:7 offset1:8
	;; [unrolled: 1-line block ×13, first 2 shown]
	ds_write_b64 v72, v[66:67] offset:248
.LBB62_78:
	s_or_b64 exec, exec, s[0:1]
	v_cmp_lt_i32_e32 vcc, 4, v73
	s_waitcnt lgkmcnt(0)
	s_barrier
	s_and_saveexec_b64 s[0:1], vcc
	s_cbranch_execz .LBB62_80
; %bb.79:
	ds_read2_b64 v[78:81], v72 offset0:5 offset1:6
	ds_read2_b64 v[82:85], v72 offset0:7 offset1:8
	v_mul_f64 v[56:57], v[68:69], v[56:57]
	ds_read2_b64 v[86:89], v72 offset0:9 offset1:10
	ds_read_b64 v[68:69], v72 offset:248
	s_waitcnt lgkmcnt(0)
	v_fma_f64 v[54:55], -v[56:57], v[78:79], v[54:55]
	v_fma_f64 v[52:53], -v[56:57], v[80:81], v[52:53]
	ds_read2_b64 v[78:81], v72 offset0:11 offset1:12
	v_fma_f64 v[50:51], -v[56:57], v[82:83], v[50:51]
	v_fma_f64 v[48:49], -v[56:57], v[84:85], v[48:49]
	;; [unrolled: 1-line block ×3, first 2 shown]
	ds_read2_b64 v[82:85], v72 offset0:13 offset1:14
	v_fma_f64 v[44:45], -v[56:57], v[88:89], v[44:45]
	ds_read2_b64 v[86:89], v72 offset0:15 offset1:16
	s_waitcnt lgkmcnt(0)
	v_fma_f64 v[42:43], -v[56:57], v[78:79], v[42:43]
	v_fma_f64 v[40:41], -v[56:57], v[80:81], v[40:41]
	ds_read2_b64 v[78:81], v72 offset0:17 offset1:18
	v_fma_f64 v[38:39], -v[56:57], v[82:83], v[38:39]
	v_fma_f64 v[34:35], -v[56:57], v[84:85], v[34:35]
	ds_read2_b64 v[82:85], v72 offset0:19 offset1:20
	v_fma_f64 v[36:37], -v[56:57], v[86:87], v[36:37]
	v_fma_f64 v[32:33], -v[56:57], v[88:89], v[32:33]
	s_waitcnt lgkmcnt(0)
	v_fma_f64 v[30:31], -v[56:57], v[78:79], v[30:31]
	ds_read2_b64 v[86:89], v72 offset0:21 offset1:22
	v_fma_f64 v[28:29], -v[56:57], v[80:81], v[28:29]
	ds_read2_b64 v[78:81], v72 offset0:23 offset1:24
	v_fma_f64 v[26:27], -v[56:57], v[82:83], v[26:27]
	v_fma_f64 v[24:25], -v[56:57], v[84:85], v[24:25]
	s_waitcnt lgkmcnt(0)
	v_fma_f64 v[22:23], -v[56:57], v[86:87], v[22:23]
	ds_read2_b64 v[82:85], v72 offset0:25 offset1:26
	v_fma_f64 v[20:21], -v[56:57], v[88:89], v[20:21]
	v_fma_f64 v[18:19], -v[56:57], v[78:79], v[18:19]
	;; [unrolled: 1-line block ×3, first 2 shown]
	ds_read2_b64 v[78:81], v72 offset0:27 offset1:28
	ds_read2_b64 v[86:89], v72 offset0:29 offset1:30
	s_waitcnt lgkmcnt(0)
	v_fma_f64 v[14:15], -v[56:57], v[82:83], v[14:15]
	v_fma_f64 v[12:13], -v[56:57], v[84:85], v[12:13]
	;; [unrolled: 1-line block ×7, first 2 shown]
.LBB62_80:
	s_or_b64 exec, exec, s[0:1]
	v_lshl_add_u32 v68, v73, 3, v72
	s_barrier
	ds_write_b64 v68, v[54:55]
	s_waitcnt lgkmcnt(0)
	s_barrier
	ds_read_b64 v[68:69], v72 offset:40
	s_cmp_lt_i32 s18, 7
	v_mov_b32_e32 v70, 5
	s_cbranch_scc1 .LBB62_83
; %bb.81:
	v_add3_u32 v78, v77, 0, 48
	s_mov_b32 s0, 6
	v_mov_b32_e32 v70, 5
.LBB62_82:                              ; =>This Inner Loop Header: Depth=1
	ds_read_b64 v[80:81], v78
	v_mov_b32_e32 v79, s0
	s_add_i32 s0, s0, 1
	v_add_u32_e32 v78, 8, v78
	s_cmp_lg_u32 s18, s0
	s_waitcnt lgkmcnt(0)
	v_cmp_lt_f64_e64 vcc, |v[68:69]|, |v[80:81]|
	v_cndmask_b32_e32 v69, v69, v81, vcc
	v_cndmask_b32_e32 v68, v68, v80, vcc
	v_cndmask_b32_e32 v70, v70, v79, vcc
	s_cbranch_scc1 .LBB62_82
.LBB62_83:
	s_waitcnt lgkmcnt(0)
	v_cmp_eq_f64_e32 vcc, 0, v[68:69]
	s_and_saveexec_b64 s[0:1], vcc
	s_xor_b64 s[0:1], exec, s[0:1]
; %bb.84:
	v_cmp_ne_u32_e32 vcc, 0, v76
	v_cndmask_b32_e32 v76, 6, v76, vcc
; %bb.85:
	s_andn2_saveexec_b64 s[0:1], s[0:1]
; %bb.86:
	v_div_scale_f64 v[78:79], s[2:3], v[68:69], v[68:69], 1.0
	v_rcp_f64_e32 v[80:81], v[78:79]
	v_div_scale_f64 v[82:83], vcc, 1.0, v[68:69], 1.0
	v_fma_f64 v[84:85], -v[78:79], v[80:81], 1.0
	v_fmac_f64_e32 v[80:81], v[80:81], v[84:85]
	v_fma_f64 v[84:85], -v[78:79], v[80:81], 1.0
	v_fmac_f64_e32 v[80:81], v[80:81], v[84:85]
	v_mul_f64 v[84:85], v[82:83], v[80:81]
	v_fma_f64 v[78:79], -v[78:79], v[84:85], v[82:83]
	v_div_fmas_f64 v[78:79], v[78:79], v[80:81], v[84:85]
	v_div_fixup_f64 v[68:69], v[78:79], v[68:69], 1.0
; %bb.87:
	s_or_b64 exec, exec, s[0:1]
	v_cmp_ne_u32_e32 vcc, v73, v70
	s_and_saveexec_b64 s[0:1], vcc
	s_xor_b64 s[0:1], exec, s[0:1]
	s_cbranch_execz .LBB62_93
; %bb.88:
	v_cmp_eq_u32_e32 vcc, 5, v73
	s_and_saveexec_b64 s[2:3], vcc
	s_cbranch_execz .LBB62_92
; %bb.89:
	v_cmp_ne_u32_e32 vcc, 5, v70
	s_xor_b64 s[14:15], s[6:7], -1
	s_and_b64 s[16:17], s[14:15], vcc
	s_and_saveexec_b64 s[14:15], s[16:17]
	s_cbranch_execz .LBB62_91
; %bb.90:
	v_ashrrev_i32_e32 v71, 31, v70
	v_lshlrev_b64 v[78:79], 2, v[70:71]
	v_add_co_u32_e32 v78, vcc, v4, v78
	v_addc_co_u32_e32 v79, vcc, v5, v79, vcc
	flat_load_dword v71, v[78:79]
	flat_load_dword v73, v[4:5] offset:20
	s_waitcnt vmcnt(0) lgkmcnt(0)
	flat_store_dword v[4:5], v71 offset:20
	flat_store_dword v[78:79], v73
.LBB62_91:
	s_or_b64 exec, exec, s[14:15]
	v_mov_b32_e32 v71, v70
	v_mov_b32_e32 v73, v70
.LBB62_92:
	s_or_b64 exec, exec, s[2:3]
.LBB62_93:
	s_andn2_saveexec_b64 s[0:1], s[0:1]
	s_cbranch_execz .LBB62_95
; %bb.94:
	v_mov_b32_e32 v78, v52
	v_mov_b32_e32 v79, v53
	v_mov_b32_e32 v80, v50
	v_mov_b32_e32 v81, v51
	ds_write2_b64 v72, v[78:79], v[80:81] offset0:6 offset1:7
	v_mov_b32_e32 v78, v48
	v_mov_b32_e32 v79, v49
	v_mov_b32_e32 v80, v46
	v_mov_b32_e32 v81, v47
	ds_write2_b64 v72, v[78:79], v[80:81] offset0:8 offset1:9
	;; [unrolled: 5-line block ×12, first 2 shown]
	v_mov_b32_e32 v78, v6
	v_mov_b32_e32 v79, v7
	;; [unrolled: 1-line block ×3, first 2 shown]
	ds_write2_b64 v72, v[78:79], v[66:67] offset0:30 offset1:31
.LBB62_95:
	s_or_b64 exec, exec, s[0:1]
	v_cmp_lt_i32_e32 vcc, 5, v73
	s_waitcnt lgkmcnt(0)
	s_barrier
	s_and_saveexec_b64 s[0:1], vcc
	s_cbranch_execz .LBB62_97
; %bb.96:
	ds_read2_b64 v[78:81], v72 offset0:6 offset1:7
	ds_read2_b64 v[82:85], v72 offset0:8 offset1:9
	v_mul_f64 v[54:55], v[68:69], v[54:55]
	ds_read2_b64 v[86:89], v72 offset0:10 offset1:11
	s_waitcnt lgkmcnt(0)
	v_fma_f64 v[52:53], -v[54:55], v[78:79], v[52:53]
	v_fma_f64 v[50:51], -v[54:55], v[80:81], v[50:51]
	ds_read2_b64 v[78:81], v72 offset0:12 offset1:13
	v_fma_f64 v[48:49], -v[54:55], v[82:83], v[48:49]
	v_fma_f64 v[46:47], -v[54:55], v[84:85], v[46:47]
	;; [unrolled: 1-line block ×3, first 2 shown]
	ds_read2_b64 v[82:85], v72 offset0:14 offset1:15
	v_fma_f64 v[42:43], -v[54:55], v[88:89], v[42:43]
	ds_read2_b64 v[86:89], v72 offset0:16 offset1:17
	s_waitcnt lgkmcnt(0)
	v_fma_f64 v[40:41], -v[54:55], v[78:79], v[40:41]
	v_fma_f64 v[38:39], -v[54:55], v[80:81], v[38:39]
	ds_read2_b64 v[78:81], v72 offset0:18 offset1:19
	v_fma_f64 v[34:35], -v[54:55], v[82:83], v[34:35]
	v_fma_f64 v[36:37], -v[54:55], v[84:85], v[36:37]
	ds_read2_b64 v[82:85], v72 offset0:20 offset1:21
	v_fma_f64 v[32:33], -v[54:55], v[86:87], v[32:33]
	v_fma_f64 v[30:31], -v[54:55], v[88:89], v[30:31]
	s_waitcnt lgkmcnt(0)
	v_fma_f64 v[28:29], -v[54:55], v[78:79], v[28:29]
	ds_read2_b64 v[86:89], v72 offset0:22 offset1:23
	v_fma_f64 v[26:27], -v[54:55], v[80:81], v[26:27]
	ds_read2_b64 v[78:81], v72 offset0:24 offset1:25
	v_fma_f64 v[24:25], -v[54:55], v[82:83], v[24:25]
	v_fma_f64 v[22:23], -v[54:55], v[84:85], v[22:23]
	s_waitcnt lgkmcnt(0)
	v_fma_f64 v[20:21], -v[54:55], v[86:87], v[20:21]
	v_fma_f64 v[18:19], -v[54:55], v[88:89], v[18:19]
	ds_read2_b64 v[82:85], v72 offset0:26 offset1:27
	ds_read2_b64 v[86:89], v72 offset0:28 offset1:29
	v_fma_f64 v[16:17], -v[54:55], v[78:79], v[16:17]
	v_fma_f64 v[14:15], -v[54:55], v[80:81], v[14:15]
	ds_read2_b64 v[78:81], v72 offset0:30 offset1:31
	s_waitcnt lgkmcnt(0)
	v_fma_f64 v[12:13], -v[54:55], v[82:83], v[12:13]
	v_fma_f64 v[10:11], -v[54:55], v[84:85], v[10:11]
	;; [unrolled: 1-line block ×6, first 2 shown]
.LBB62_97:
	s_or_b64 exec, exec, s[0:1]
	v_lshl_add_u32 v68, v73, 3, v72
	s_barrier
	ds_write_b64 v68, v[52:53]
	s_waitcnt lgkmcnt(0)
	s_barrier
	ds_read_b64 v[68:69], v72 offset:48
	s_cmp_lt_i32 s18, 8
	v_mov_b32_e32 v70, 6
	s_cbranch_scc1 .LBB62_100
; %bb.98:
	v_add3_u32 v78, v77, 0, 56
	s_mov_b32 s0, 7
	v_mov_b32_e32 v70, 6
.LBB62_99:                              ; =>This Inner Loop Header: Depth=1
	ds_read_b64 v[80:81], v78
	v_mov_b32_e32 v79, s0
	s_add_i32 s0, s0, 1
	v_add_u32_e32 v78, 8, v78
	s_cmp_lg_u32 s18, s0
	s_waitcnt lgkmcnt(0)
	v_cmp_lt_f64_e64 vcc, |v[68:69]|, |v[80:81]|
	v_cndmask_b32_e32 v69, v69, v81, vcc
	v_cndmask_b32_e32 v68, v68, v80, vcc
	;; [unrolled: 1-line block ×3, first 2 shown]
	s_cbranch_scc1 .LBB62_99
.LBB62_100:
	s_waitcnt lgkmcnt(0)
	v_cmp_eq_f64_e32 vcc, 0, v[68:69]
	s_and_saveexec_b64 s[0:1], vcc
	s_xor_b64 s[0:1], exec, s[0:1]
; %bb.101:
	v_cmp_ne_u32_e32 vcc, 0, v76
	v_cndmask_b32_e32 v76, 7, v76, vcc
; %bb.102:
	s_andn2_saveexec_b64 s[0:1], s[0:1]
; %bb.103:
	v_div_scale_f64 v[78:79], s[2:3], v[68:69], v[68:69], 1.0
	v_rcp_f64_e32 v[80:81], v[78:79]
	v_div_scale_f64 v[82:83], vcc, 1.0, v[68:69], 1.0
	v_fma_f64 v[84:85], -v[78:79], v[80:81], 1.0
	v_fmac_f64_e32 v[80:81], v[80:81], v[84:85]
	v_fma_f64 v[84:85], -v[78:79], v[80:81], 1.0
	v_fmac_f64_e32 v[80:81], v[80:81], v[84:85]
	v_mul_f64 v[84:85], v[82:83], v[80:81]
	v_fma_f64 v[78:79], -v[78:79], v[84:85], v[82:83]
	v_div_fmas_f64 v[78:79], v[78:79], v[80:81], v[84:85]
	v_div_fixup_f64 v[68:69], v[78:79], v[68:69], 1.0
; %bb.104:
	s_or_b64 exec, exec, s[0:1]
	v_cmp_ne_u32_e32 vcc, v73, v70
	s_and_saveexec_b64 s[0:1], vcc
	s_xor_b64 s[0:1], exec, s[0:1]
	s_cbranch_execz .LBB62_110
; %bb.105:
	v_cmp_eq_u32_e32 vcc, 6, v73
	s_and_saveexec_b64 s[2:3], vcc
	s_cbranch_execz .LBB62_109
; %bb.106:
	v_cmp_ne_u32_e32 vcc, 6, v70
	s_xor_b64 s[14:15], s[6:7], -1
	s_and_b64 s[16:17], s[14:15], vcc
	s_and_saveexec_b64 s[14:15], s[16:17]
	s_cbranch_execz .LBB62_108
; %bb.107:
	v_ashrrev_i32_e32 v71, 31, v70
	v_lshlrev_b64 v[78:79], 2, v[70:71]
	v_add_co_u32_e32 v78, vcc, v4, v78
	v_addc_co_u32_e32 v79, vcc, v5, v79, vcc
	flat_load_dword v71, v[78:79]
	flat_load_dword v73, v[4:5] offset:24
	s_waitcnt vmcnt(0) lgkmcnt(0)
	flat_store_dword v[4:5], v71 offset:24
	flat_store_dword v[78:79], v73
.LBB62_108:
	s_or_b64 exec, exec, s[14:15]
	v_mov_b32_e32 v71, v70
	v_mov_b32_e32 v73, v70
.LBB62_109:
	s_or_b64 exec, exec, s[2:3]
.LBB62_110:
	s_andn2_saveexec_b64 s[0:1], s[0:1]
	s_cbranch_execz .LBB62_112
; %bb.111:
	v_mov_b32_e32 v73, 6
	ds_write2_b64 v72, v[50:51], v[48:49] offset0:7 offset1:8
	ds_write2_b64 v72, v[46:47], v[44:45] offset0:9 offset1:10
	;; [unrolled: 1-line block ×12, first 2 shown]
	ds_write_b64 v72, v[66:67] offset:248
.LBB62_112:
	s_or_b64 exec, exec, s[0:1]
	v_cmp_lt_i32_e32 vcc, 6, v73
	s_waitcnt lgkmcnt(0)
	s_barrier
	s_and_saveexec_b64 s[0:1], vcc
	s_cbranch_execz .LBB62_114
; %bb.113:
	ds_read2_b64 v[78:81], v72 offset0:7 offset1:8
	ds_read2_b64 v[82:85], v72 offset0:9 offset1:10
	;; [unrolled: 1-line block ×3, first 2 shown]
	v_mul_f64 v[52:53], v[68:69], v[52:53]
	ds_read_b64 v[68:69], v72 offset:248
	s_waitcnt lgkmcnt(0)
	v_fma_f64 v[50:51], -v[52:53], v[78:79], v[50:51]
	v_fma_f64 v[48:49], -v[52:53], v[80:81], v[48:49]
	ds_read2_b64 v[78:81], v72 offset0:13 offset1:14
	v_fma_f64 v[46:47], -v[52:53], v[82:83], v[46:47]
	v_fma_f64 v[44:45], -v[52:53], v[84:85], v[44:45]
	;; [unrolled: 1-line block ×3, first 2 shown]
	ds_read2_b64 v[82:85], v72 offset0:15 offset1:16
	v_fma_f64 v[40:41], -v[52:53], v[88:89], v[40:41]
	ds_read2_b64 v[86:89], v72 offset0:17 offset1:18
	s_waitcnt lgkmcnt(0)
	v_fma_f64 v[38:39], -v[52:53], v[78:79], v[38:39]
	v_fma_f64 v[34:35], -v[52:53], v[80:81], v[34:35]
	;; [unrolled: 1-line block ×3, first 2 shown]
	ds_read2_b64 v[78:81], v72 offset0:19 offset1:20
	v_fma_f64 v[32:33], -v[52:53], v[84:85], v[32:33]
	ds_read2_b64 v[82:85], v72 offset0:21 offset1:22
	v_fma_f64 v[30:31], -v[52:53], v[86:87], v[30:31]
	v_fma_f64 v[28:29], -v[52:53], v[88:89], v[28:29]
	ds_read2_b64 v[86:89], v72 offset0:23 offset1:24
	s_waitcnt lgkmcnt(0)
	v_fma_f64 v[26:27], -v[52:53], v[78:79], v[26:27]
	v_fma_f64 v[24:25], -v[52:53], v[80:81], v[24:25]
	ds_read2_b64 v[78:81], v72 offset0:25 offset1:26
	v_fma_f64 v[22:23], -v[52:53], v[82:83], v[22:23]
	v_fma_f64 v[20:21], -v[52:53], v[84:85], v[20:21]
	;; [unrolled: 1-line block ×4, first 2 shown]
	ds_read2_b64 v[82:85], v72 offset0:27 offset1:28
	ds_read2_b64 v[86:89], v72 offset0:29 offset1:30
	s_waitcnt lgkmcnt(0)
	v_fma_f64 v[14:15], -v[52:53], v[78:79], v[14:15]
	v_fma_f64 v[12:13], -v[52:53], v[80:81], v[12:13]
	v_fma_f64 v[66:67], -v[52:53], v[68:69], v[66:67]
	v_fma_f64 v[10:11], -v[52:53], v[82:83], v[10:11]
	v_fma_f64 v[8:9], -v[52:53], v[84:85], v[8:9]
	v_fma_f64 v[0:1], -v[52:53], v[86:87], v[0:1]
	v_fma_f64 v[6:7], -v[52:53], v[88:89], v[6:7]
.LBB62_114:
	s_or_b64 exec, exec, s[0:1]
	v_lshl_add_u32 v68, v73, 3, v72
	s_barrier
	ds_write_b64 v68, v[50:51]
	s_waitcnt lgkmcnt(0)
	s_barrier
	ds_read_b64 v[68:69], v72 offset:56
	s_cmp_lt_i32 s18, 9
	v_mov_b32_e32 v70, 7
	s_cbranch_scc1 .LBB62_117
; %bb.115:
	v_add3_u32 v77, v77, 0, 64
	s_mov_b32 s0, 8
	v_mov_b32_e32 v70, 7
.LBB62_116:                             ; =>This Inner Loop Header: Depth=1
	ds_read_b64 v[78:79], v77
	v_mov_b32_e32 v80, s0
	s_add_i32 s0, s0, 1
	v_add_u32_e32 v77, 8, v77
	s_cmp_lg_u32 s18, s0
	s_waitcnt lgkmcnt(0)
	v_cmp_lt_f64_e64 vcc, |v[68:69]|, |v[78:79]|
	v_cndmask_b32_e32 v69, v69, v79, vcc
	v_cndmask_b32_e32 v68, v68, v78, vcc
	;; [unrolled: 1-line block ×3, first 2 shown]
	s_cbranch_scc1 .LBB62_116
.LBB62_117:
	s_waitcnt lgkmcnt(0)
	v_cmp_eq_f64_e32 vcc, 0, v[68:69]
	s_and_saveexec_b64 s[0:1], vcc
	s_xor_b64 s[0:1], exec, s[0:1]
; %bb.118:
	v_cmp_ne_u32_e32 vcc, 0, v76
	v_cndmask_b32_e32 v76, 8, v76, vcc
; %bb.119:
	s_andn2_saveexec_b64 s[0:1], s[0:1]
; %bb.120:
	v_div_scale_f64 v[78:79], s[2:3], v[68:69], v[68:69], 1.0
	v_rcp_f64_e32 v[80:81], v[78:79]
	v_div_scale_f64 v[82:83], vcc, 1.0, v[68:69], 1.0
	v_fma_f64 v[84:85], -v[78:79], v[80:81], 1.0
	v_fmac_f64_e32 v[80:81], v[80:81], v[84:85]
	v_fma_f64 v[84:85], -v[78:79], v[80:81], 1.0
	v_fmac_f64_e32 v[80:81], v[80:81], v[84:85]
	v_mul_f64 v[84:85], v[82:83], v[80:81]
	v_fma_f64 v[78:79], -v[78:79], v[84:85], v[82:83]
	v_div_fmas_f64 v[78:79], v[78:79], v[80:81], v[84:85]
	v_div_fixup_f64 v[68:69], v[78:79], v[68:69], 1.0
; %bb.121:
	s_or_b64 exec, exec, s[0:1]
	v_cmp_ne_u32_e32 vcc, v73, v70
	s_and_saveexec_b64 s[0:1], vcc
	s_xor_b64 s[0:1], exec, s[0:1]
	s_cbranch_execz .LBB62_127
; %bb.122:
	v_cmp_eq_u32_e32 vcc, 7, v73
	s_and_saveexec_b64 s[2:3], vcc
	s_cbranch_execz .LBB62_126
; %bb.123:
	v_cmp_ne_u32_e32 vcc, 7, v70
	s_xor_b64 s[14:15], s[6:7], -1
	s_and_b64 s[16:17], s[14:15], vcc
	s_and_saveexec_b64 s[14:15], s[16:17]
	s_cbranch_execz .LBB62_125
; %bb.124:
	v_ashrrev_i32_e32 v71, 31, v70
	v_lshlrev_b64 v[78:79], 2, v[70:71]
	v_add_co_u32_e32 v78, vcc, v4, v78
	v_addc_co_u32_e32 v79, vcc, v5, v79, vcc
	flat_load_dword v71, v[78:79]
	flat_load_dword v73, v[4:5] offset:28
	s_waitcnt vmcnt(0) lgkmcnt(0)
	flat_store_dword v[4:5], v71 offset:28
	flat_store_dword v[78:79], v73
.LBB62_125:
	s_or_b64 exec, exec, s[14:15]
	v_mov_b32_e32 v71, v70
	v_mov_b32_e32 v73, v70
.LBB62_126:
	s_or_b64 exec, exec, s[2:3]
.LBB62_127:
	s_andn2_saveexec_b64 s[0:1], s[0:1]
	s_cbranch_execz .LBB62_129
; %bb.128:
	v_mov_b32_e32 v78, v48
	v_mov_b32_e32 v79, v49
	v_mov_b32_e32 v80, v46
	v_mov_b32_e32 v81, v47
	ds_write2_b64 v72, v[78:79], v[80:81] offset0:8 offset1:9
	v_mov_b32_e32 v78, v44
	v_mov_b32_e32 v79, v45
	v_mov_b32_e32 v80, v42
	v_mov_b32_e32 v81, v43
	ds_write2_b64 v72, v[78:79], v[80:81] offset0:10 offset1:11
	v_mov_b32_e32 v78, v40
	v_mov_b32_e32 v79, v41
	v_mov_b32_e32 v80, v38
	v_mov_b32_e32 v81, v39
	ds_write2_b64 v72, v[78:79], v[80:81] offset0:12 offset1:13
	v_mov_b32_e32 v78, v34
	v_mov_b32_e32 v79, v35
	v_mov_b32_e32 v80, v36
	v_mov_b32_e32 v81, v37
	ds_write2_b64 v72, v[78:79], v[80:81] offset0:14 offset1:15
	v_mov_b32_e32 v78, v32
	v_mov_b32_e32 v79, v33
	v_mov_b32_e32 v80, v30
	v_mov_b32_e32 v81, v31
	ds_write2_b64 v72, v[78:79], v[80:81] offset0:16 offset1:17
	v_mov_b32_e32 v78, v28
	v_mov_b32_e32 v79, v29
	v_mov_b32_e32 v80, v26
	v_mov_b32_e32 v81, v27
	ds_write2_b64 v72, v[78:79], v[80:81] offset0:18 offset1:19
	v_mov_b32_e32 v78, v24
	v_mov_b32_e32 v79, v25
	v_mov_b32_e32 v80, v22
	v_mov_b32_e32 v81, v23
	ds_write2_b64 v72, v[78:79], v[80:81] offset0:20 offset1:21
	v_mov_b32_e32 v78, v20
	v_mov_b32_e32 v79, v21
	v_mov_b32_e32 v80, v18
	v_mov_b32_e32 v81, v19
	ds_write2_b64 v72, v[78:79], v[80:81] offset0:22 offset1:23
	v_mov_b32_e32 v78, v16
	v_mov_b32_e32 v79, v17
	v_mov_b32_e32 v80, v14
	v_mov_b32_e32 v81, v15
	ds_write2_b64 v72, v[78:79], v[80:81] offset0:24 offset1:25
	v_mov_b32_e32 v78, v12
	v_mov_b32_e32 v79, v13
	v_mov_b32_e32 v80, v10
	v_mov_b32_e32 v81, v11
	ds_write2_b64 v72, v[78:79], v[80:81] offset0:26 offset1:27
	v_mov_b32_e32 v78, v8
	v_mov_b32_e32 v79, v9
	v_mov_b32_e32 v80, v0
	v_mov_b32_e32 v81, v1
	ds_write2_b64 v72, v[78:79], v[80:81] offset0:28 offset1:29
	v_mov_b32_e32 v78, v6
	v_mov_b32_e32 v79, v7
	;; [unrolled: 1-line block ×3, first 2 shown]
	ds_write2_b64 v72, v[78:79], v[66:67] offset0:30 offset1:31
.LBB62_129:
	s_or_b64 exec, exec, s[0:1]
	v_cmp_lt_i32_e32 vcc, 7, v73
	s_waitcnt lgkmcnt(0)
	s_barrier
	s_and_saveexec_b64 s[0:1], vcc
	s_cbranch_execz .LBB62_131
; %bb.130:
	ds_read2_b64 v[78:81], v72 offset0:8 offset1:9
	ds_read2_b64 v[82:85], v72 offset0:10 offset1:11
	;; [unrolled: 1-line block ×3, first 2 shown]
	v_mul_f64 v[50:51], v[68:69], v[50:51]
	s_waitcnt lgkmcnt(0)
	v_fma_f64 v[48:49], -v[50:51], v[78:79], v[48:49]
	v_fma_f64 v[46:47], -v[50:51], v[80:81], v[46:47]
	ds_read2_b64 v[78:81], v72 offset0:14 offset1:15
	v_fma_f64 v[44:45], -v[50:51], v[82:83], v[44:45]
	v_fma_f64 v[42:43], -v[50:51], v[84:85], v[42:43]
	;; [unrolled: 1-line block ×3, first 2 shown]
	ds_read2_b64 v[82:85], v72 offset0:16 offset1:17
	v_fma_f64 v[38:39], -v[50:51], v[88:89], v[38:39]
	ds_read2_b64 v[86:89], v72 offset0:18 offset1:19
	s_waitcnt lgkmcnt(0)
	v_fma_f64 v[34:35], -v[50:51], v[78:79], v[34:35]
	v_fma_f64 v[36:37], -v[50:51], v[80:81], v[36:37]
	;; [unrolled: 1-line block ×3, first 2 shown]
	ds_read2_b64 v[78:81], v72 offset0:20 offset1:21
	v_fma_f64 v[30:31], -v[50:51], v[84:85], v[30:31]
	ds_read2_b64 v[82:85], v72 offset0:22 offset1:23
	v_fma_f64 v[28:29], -v[50:51], v[86:87], v[28:29]
	v_fma_f64 v[26:27], -v[50:51], v[88:89], v[26:27]
	ds_read2_b64 v[86:89], v72 offset0:24 offset1:25
	s_waitcnt lgkmcnt(0)
	v_fma_f64 v[24:25], -v[50:51], v[78:79], v[24:25]
	v_fma_f64 v[22:23], -v[50:51], v[80:81], v[22:23]
	ds_read2_b64 v[78:81], v72 offset0:26 offset1:27
	v_fma_f64 v[20:21], -v[50:51], v[82:83], v[20:21]
	v_fma_f64 v[18:19], -v[50:51], v[84:85], v[18:19]
	;; [unrolled: 1-line block ×3, first 2 shown]
	ds_read2_b64 v[82:85], v72 offset0:28 offset1:29
	v_fma_f64 v[14:15], -v[50:51], v[88:89], v[14:15]
	ds_read2_b64 v[86:89], v72 offset0:30 offset1:31
	s_waitcnt lgkmcnt(0)
	v_fma_f64 v[12:13], -v[50:51], v[78:79], v[12:13]
	v_fma_f64 v[10:11], -v[50:51], v[80:81], v[10:11]
	;; [unrolled: 1-line block ×6, first 2 shown]
.LBB62_131:
	s_or_b64 exec, exec, s[0:1]
	v_lshl_add_u32 v68, v73, 3, v72
	s_barrier
	ds_write_b64 v68, v[48:49]
	s_waitcnt lgkmcnt(0)
	s_barrier
	ds_read_b64 v[68:69], v72 offset:64
	s_cmp_lt_i32 s18, 10
	v_mov_b32_e32 v70, 8
	s_cbranch_scc1 .LBB62_134
; %bb.132:
	v_add_u32_e32 v77, 0x48, v72
	s_mov_b32 s0, 9
	v_mov_b32_e32 v70, 8
.LBB62_133:                             ; =>This Inner Loop Header: Depth=1
	ds_read_b64 v[78:79], v77
	v_mov_b32_e32 v80, s0
	s_add_i32 s0, s0, 1
	v_add_u32_e32 v77, 8, v77
	s_cmp_lg_u32 s18, s0
	s_waitcnt lgkmcnt(0)
	v_cmp_lt_f64_e64 vcc, |v[68:69]|, |v[78:79]|
	v_cndmask_b32_e32 v69, v69, v79, vcc
	v_cndmask_b32_e32 v68, v68, v78, vcc
	;; [unrolled: 1-line block ×3, first 2 shown]
	s_cbranch_scc1 .LBB62_133
.LBB62_134:
	s_waitcnt lgkmcnt(0)
	v_cmp_eq_f64_e32 vcc, 0, v[68:69]
	s_and_saveexec_b64 s[0:1], vcc
	s_xor_b64 s[0:1], exec, s[0:1]
; %bb.135:
	v_cmp_ne_u32_e32 vcc, 0, v76
	v_cndmask_b32_e32 v76, 9, v76, vcc
; %bb.136:
	s_andn2_saveexec_b64 s[0:1], s[0:1]
; %bb.137:
	v_div_scale_f64 v[78:79], s[2:3], v[68:69], v[68:69], 1.0
	v_rcp_f64_e32 v[80:81], v[78:79]
	v_div_scale_f64 v[82:83], vcc, 1.0, v[68:69], 1.0
	v_fma_f64 v[84:85], -v[78:79], v[80:81], 1.0
	v_fmac_f64_e32 v[80:81], v[80:81], v[84:85]
	v_fma_f64 v[84:85], -v[78:79], v[80:81], 1.0
	v_fmac_f64_e32 v[80:81], v[80:81], v[84:85]
	v_mul_f64 v[84:85], v[82:83], v[80:81]
	v_fma_f64 v[78:79], -v[78:79], v[84:85], v[82:83]
	v_div_fmas_f64 v[78:79], v[78:79], v[80:81], v[84:85]
	v_div_fixup_f64 v[68:69], v[78:79], v[68:69], 1.0
; %bb.138:
	s_or_b64 exec, exec, s[0:1]
	v_cmp_ne_u32_e32 vcc, v73, v70
	s_and_saveexec_b64 s[0:1], vcc
	s_xor_b64 s[0:1], exec, s[0:1]
	s_cbranch_execz .LBB62_144
; %bb.139:
	v_cmp_eq_u32_e32 vcc, 8, v73
	s_and_saveexec_b64 s[2:3], vcc
	s_cbranch_execz .LBB62_143
; %bb.140:
	v_cmp_ne_u32_e32 vcc, 8, v70
	s_xor_b64 s[14:15], s[6:7], -1
	s_and_b64 s[16:17], s[14:15], vcc
	s_and_saveexec_b64 s[14:15], s[16:17]
	s_cbranch_execz .LBB62_142
; %bb.141:
	v_ashrrev_i32_e32 v71, 31, v70
	v_lshlrev_b64 v[78:79], 2, v[70:71]
	v_add_co_u32_e32 v78, vcc, v4, v78
	v_addc_co_u32_e32 v79, vcc, v5, v79, vcc
	flat_load_dword v71, v[78:79]
	flat_load_dword v73, v[4:5] offset:32
	s_waitcnt vmcnt(0) lgkmcnt(0)
	flat_store_dword v[4:5], v71 offset:32
	flat_store_dword v[78:79], v73
.LBB62_142:
	s_or_b64 exec, exec, s[14:15]
	v_mov_b32_e32 v71, v70
	v_mov_b32_e32 v73, v70
.LBB62_143:
	s_or_b64 exec, exec, s[2:3]
.LBB62_144:
	s_andn2_saveexec_b64 s[0:1], s[0:1]
	s_cbranch_execz .LBB62_146
; %bb.145:
	v_mov_b32_e32 v73, 8
	ds_write2_b64 v72, v[46:47], v[44:45] offset0:9 offset1:10
	ds_write2_b64 v72, v[42:43], v[40:41] offset0:11 offset1:12
	;; [unrolled: 1-line block ×11, first 2 shown]
	ds_write_b64 v72, v[66:67] offset:248
.LBB62_146:
	s_or_b64 exec, exec, s[0:1]
	v_cmp_lt_i32_e32 vcc, 8, v73
	s_waitcnt lgkmcnt(0)
	s_barrier
	s_and_saveexec_b64 s[0:1], vcc
	s_cbranch_execz .LBB62_148
; %bb.147:
	ds_read2_b64 v[78:81], v72 offset0:9 offset1:10
	ds_read2_b64 v[82:85], v72 offset0:11 offset1:12
	v_mul_f64 v[48:49], v[68:69], v[48:49]
	ds_read2_b64 v[86:89], v72 offset0:13 offset1:14
	ds_read_b64 v[68:69], v72 offset:248
	s_waitcnt lgkmcnt(0)
	v_fma_f64 v[46:47], -v[48:49], v[78:79], v[46:47]
	v_fma_f64 v[44:45], -v[48:49], v[80:81], v[44:45]
	ds_read2_b64 v[78:81], v72 offset0:15 offset1:16
	v_fma_f64 v[42:43], -v[48:49], v[82:83], v[42:43]
	v_fma_f64 v[40:41], -v[48:49], v[84:85], v[40:41]
	ds_read2_b64 v[82:85], v72 offset0:17 offset1:18
	;; [unrolled: 3-line block ×3, first 2 shown]
	s_waitcnt lgkmcnt(0)
	v_fma_f64 v[36:37], -v[48:49], v[78:79], v[36:37]
	v_fma_f64 v[32:33], -v[48:49], v[80:81], v[32:33]
	;; [unrolled: 1-line block ×3, first 2 shown]
	ds_read2_b64 v[78:81], v72 offset0:21 offset1:22
	v_fma_f64 v[28:29], -v[48:49], v[84:85], v[28:29]
	ds_read2_b64 v[82:85], v72 offset0:23 offset1:24
	v_fma_f64 v[26:27], -v[48:49], v[86:87], v[26:27]
	v_fma_f64 v[24:25], -v[48:49], v[88:89], v[24:25]
	s_waitcnt lgkmcnt(0)
	v_fma_f64 v[22:23], -v[48:49], v[78:79], v[22:23]
	ds_read2_b64 v[86:89], v72 offset0:25 offset1:26
	v_fma_f64 v[20:21], -v[48:49], v[80:81], v[20:21]
	ds_read2_b64 v[78:81], v72 offset0:27 offset1:28
	v_fma_f64 v[18:19], -v[48:49], v[82:83], v[18:19]
	v_fma_f64 v[16:17], -v[48:49], v[84:85], v[16:17]
	ds_read2_b64 v[82:85], v72 offset0:29 offset1:30
	s_waitcnt lgkmcnt(0)
	v_fma_f64 v[14:15], -v[48:49], v[86:87], v[14:15]
	v_fma_f64 v[12:13], -v[48:49], v[88:89], v[12:13]
	;; [unrolled: 1-line block ×7, first 2 shown]
.LBB62_148:
	s_or_b64 exec, exec, s[0:1]
	v_lshl_add_u32 v68, v73, 3, v72
	s_barrier
	ds_write_b64 v68, v[46:47]
	s_waitcnt lgkmcnt(0)
	s_barrier
	ds_read_b64 v[68:69], v72 offset:72
	s_cmp_lt_i32 s18, 11
	v_mov_b32_e32 v70, 9
	s_cbranch_scc1 .LBB62_151
; %bb.149:
	v_add_u32_e32 v77, 0x50, v72
	s_mov_b32 s0, 10
	v_mov_b32_e32 v70, 9
.LBB62_150:                             ; =>This Inner Loop Header: Depth=1
	ds_read_b64 v[78:79], v77
	v_mov_b32_e32 v80, s0
	s_add_i32 s0, s0, 1
	v_add_u32_e32 v77, 8, v77
	s_cmp_lg_u32 s18, s0
	s_waitcnt lgkmcnt(0)
	v_cmp_lt_f64_e64 vcc, |v[68:69]|, |v[78:79]|
	v_cndmask_b32_e32 v69, v69, v79, vcc
	v_cndmask_b32_e32 v68, v68, v78, vcc
	;; [unrolled: 1-line block ×3, first 2 shown]
	s_cbranch_scc1 .LBB62_150
.LBB62_151:
	s_waitcnt lgkmcnt(0)
	v_cmp_eq_f64_e32 vcc, 0, v[68:69]
	s_and_saveexec_b64 s[0:1], vcc
	s_xor_b64 s[0:1], exec, s[0:1]
; %bb.152:
	v_cmp_ne_u32_e32 vcc, 0, v76
	v_cndmask_b32_e32 v76, 10, v76, vcc
; %bb.153:
	s_andn2_saveexec_b64 s[0:1], s[0:1]
; %bb.154:
	v_div_scale_f64 v[78:79], s[2:3], v[68:69], v[68:69], 1.0
	v_rcp_f64_e32 v[80:81], v[78:79]
	v_div_scale_f64 v[82:83], vcc, 1.0, v[68:69], 1.0
	v_fma_f64 v[84:85], -v[78:79], v[80:81], 1.0
	v_fmac_f64_e32 v[80:81], v[80:81], v[84:85]
	v_fma_f64 v[84:85], -v[78:79], v[80:81], 1.0
	v_fmac_f64_e32 v[80:81], v[80:81], v[84:85]
	v_mul_f64 v[84:85], v[82:83], v[80:81]
	v_fma_f64 v[78:79], -v[78:79], v[84:85], v[82:83]
	v_div_fmas_f64 v[78:79], v[78:79], v[80:81], v[84:85]
	v_div_fixup_f64 v[68:69], v[78:79], v[68:69], 1.0
; %bb.155:
	s_or_b64 exec, exec, s[0:1]
	v_cmp_ne_u32_e32 vcc, v73, v70
	s_and_saveexec_b64 s[0:1], vcc
	s_xor_b64 s[0:1], exec, s[0:1]
	s_cbranch_execz .LBB62_161
; %bb.156:
	v_cmp_eq_u32_e32 vcc, 9, v73
	s_and_saveexec_b64 s[2:3], vcc
	s_cbranch_execz .LBB62_160
; %bb.157:
	v_cmp_ne_u32_e32 vcc, 9, v70
	s_xor_b64 s[14:15], s[6:7], -1
	s_and_b64 s[16:17], s[14:15], vcc
	s_and_saveexec_b64 s[14:15], s[16:17]
	s_cbranch_execz .LBB62_159
; %bb.158:
	v_ashrrev_i32_e32 v71, 31, v70
	v_lshlrev_b64 v[78:79], 2, v[70:71]
	v_add_co_u32_e32 v78, vcc, v4, v78
	v_addc_co_u32_e32 v79, vcc, v5, v79, vcc
	flat_load_dword v71, v[78:79]
	flat_load_dword v73, v[4:5] offset:36
	s_waitcnt vmcnt(0) lgkmcnt(0)
	flat_store_dword v[4:5], v71 offset:36
	flat_store_dword v[78:79], v73
.LBB62_159:
	s_or_b64 exec, exec, s[14:15]
	v_mov_b32_e32 v71, v70
	v_mov_b32_e32 v73, v70
.LBB62_160:
	s_or_b64 exec, exec, s[2:3]
.LBB62_161:
	s_andn2_saveexec_b64 s[0:1], s[0:1]
	s_cbranch_execz .LBB62_163
; %bb.162:
	v_mov_b32_e32 v78, v44
	v_mov_b32_e32 v79, v45
	v_mov_b32_e32 v80, v42
	v_mov_b32_e32 v81, v43
	ds_write2_b64 v72, v[78:79], v[80:81] offset0:10 offset1:11
	v_mov_b32_e32 v78, v40
	v_mov_b32_e32 v79, v41
	v_mov_b32_e32 v80, v38
	v_mov_b32_e32 v81, v39
	ds_write2_b64 v72, v[78:79], v[80:81] offset0:12 offset1:13
	;; [unrolled: 5-line block ×10, first 2 shown]
	v_mov_b32_e32 v78, v6
	v_mov_b32_e32 v79, v7
	;; [unrolled: 1-line block ×3, first 2 shown]
	ds_write2_b64 v72, v[78:79], v[66:67] offset0:30 offset1:31
.LBB62_163:
	s_or_b64 exec, exec, s[0:1]
	v_cmp_lt_i32_e32 vcc, 9, v73
	s_waitcnt lgkmcnt(0)
	s_barrier
	s_and_saveexec_b64 s[0:1], vcc
	s_cbranch_execz .LBB62_165
; %bb.164:
	ds_read2_b64 v[78:81], v72 offset0:10 offset1:11
	ds_read2_b64 v[82:85], v72 offset0:12 offset1:13
	v_mul_f64 v[46:47], v[68:69], v[46:47]
	ds_read2_b64 v[86:89], v72 offset0:14 offset1:15
	s_waitcnt lgkmcnt(0)
	v_fma_f64 v[44:45], -v[46:47], v[78:79], v[44:45]
	v_fma_f64 v[42:43], -v[46:47], v[80:81], v[42:43]
	ds_read2_b64 v[78:81], v72 offset0:16 offset1:17
	v_fma_f64 v[40:41], -v[46:47], v[82:83], v[40:41]
	v_fma_f64 v[38:39], -v[46:47], v[84:85], v[38:39]
	ds_read2_b64 v[82:85], v72 offset0:18 offset1:19
	v_fma_f64 v[34:35], -v[46:47], v[86:87], v[34:35]
	v_fma_f64 v[36:37], -v[46:47], v[88:89], v[36:37]
	ds_read2_b64 v[86:89], v72 offset0:20 offset1:21
	s_waitcnt lgkmcnt(0)
	v_fma_f64 v[32:33], -v[46:47], v[78:79], v[32:33]
	v_fma_f64 v[30:31], -v[46:47], v[80:81], v[30:31]
	;; [unrolled: 1-line block ×3, first 2 shown]
	ds_read2_b64 v[78:81], v72 offset0:22 offset1:23
	v_fma_f64 v[26:27], -v[46:47], v[84:85], v[26:27]
	ds_read2_b64 v[82:85], v72 offset0:24 offset1:25
	v_fma_f64 v[24:25], -v[46:47], v[86:87], v[24:25]
	v_fma_f64 v[22:23], -v[46:47], v[88:89], v[22:23]
	s_waitcnt lgkmcnt(0)
	v_fma_f64 v[20:21], -v[46:47], v[78:79], v[20:21]
	v_fma_f64 v[18:19], -v[46:47], v[80:81], v[18:19]
	ds_read2_b64 v[78:81], v72 offset0:26 offset1:27
	ds_read2_b64 v[86:89], v72 offset0:28 offset1:29
	v_fma_f64 v[16:17], -v[46:47], v[82:83], v[16:17]
	v_fma_f64 v[14:15], -v[46:47], v[84:85], v[14:15]
	ds_read2_b64 v[82:85], v72 offset0:30 offset1:31
	s_waitcnt lgkmcnt(0)
	v_fma_f64 v[12:13], -v[46:47], v[78:79], v[12:13]
	v_fma_f64 v[10:11], -v[46:47], v[80:81], v[10:11]
	;; [unrolled: 1-line block ×6, first 2 shown]
.LBB62_165:
	s_or_b64 exec, exec, s[0:1]
	v_lshl_add_u32 v68, v73, 3, v72
	s_barrier
	ds_write_b64 v68, v[44:45]
	s_waitcnt lgkmcnt(0)
	s_barrier
	ds_read_b64 v[68:69], v72 offset:80
	s_cmp_lt_i32 s18, 12
	v_mov_b32_e32 v70, 10
	s_cbranch_scc1 .LBB62_168
; %bb.166:
	v_add_u32_e32 v77, 0x58, v72
	s_mov_b32 s0, 11
	v_mov_b32_e32 v70, 10
.LBB62_167:                             ; =>This Inner Loop Header: Depth=1
	ds_read_b64 v[78:79], v77
	v_mov_b32_e32 v80, s0
	s_add_i32 s0, s0, 1
	v_add_u32_e32 v77, 8, v77
	s_cmp_lg_u32 s18, s0
	s_waitcnt lgkmcnt(0)
	v_cmp_lt_f64_e64 vcc, |v[68:69]|, |v[78:79]|
	v_cndmask_b32_e32 v69, v69, v79, vcc
	v_cndmask_b32_e32 v68, v68, v78, vcc
	v_cndmask_b32_e32 v70, v70, v80, vcc
	s_cbranch_scc1 .LBB62_167
.LBB62_168:
	s_waitcnt lgkmcnt(0)
	v_cmp_eq_f64_e32 vcc, 0, v[68:69]
	s_and_saveexec_b64 s[0:1], vcc
	s_xor_b64 s[0:1], exec, s[0:1]
; %bb.169:
	v_cmp_ne_u32_e32 vcc, 0, v76
	v_cndmask_b32_e32 v76, 11, v76, vcc
; %bb.170:
	s_andn2_saveexec_b64 s[0:1], s[0:1]
; %bb.171:
	v_div_scale_f64 v[78:79], s[2:3], v[68:69], v[68:69], 1.0
	v_rcp_f64_e32 v[80:81], v[78:79]
	v_div_scale_f64 v[82:83], vcc, 1.0, v[68:69], 1.0
	v_fma_f64 v[84:85], -v[78:79], v[80:81], 1.0
	v_fmac_f64_e32 v[80:81], v[80:81], v[84:85]
	v_fma_f64 v[84:85], -v[78:79], v[80:81], 1.0
	v_fmac_f64_e32 v[80:81], v[80:81], v[84:85]
	v_mul_f64 v[84:85], v[82:83], v[80:81]
	v_fma_f64 v[78:79], -v[78:79], v[84:85], v[82:83]
	v_div_fmas_f64 v[78:79], v[78:79], v[80:81], v[84:85]
	v_div_fixup_f64 v[68:69], v[78:79], v[68:69], 1.0
; %bb.172:
	s_or_b64 exec, exec, s[0:1]
	v_cmp_ne_u32_e32 vcc, v73, v70
	s_and_saveexec_b64 s[0:1], vcc
	s_xor_b64 s[0:1], exec, s[0:1]
	s_cbranch_execz .LBB62_178
; %bb.173:
	v_cmp_eq_u32_e32 vcc, 10, v73
	s_and_saveexec_b64 s[2:3], vcc
	s_cbranch_execz .LBB62_177
; %bb.174:
	v_cmp_ne_u32_e32 vcc, 10, v70
	s_xor_b64 s[14:15], s[6:7], -1
	s_and_b64 s[16:17], s[14:15], vcc
	s_and_saveexec_b64 s[14:15], s[16:17]
	s_cbranch_execz .LBB62_176
; %bb.175:
	v_ashrrev_i32_e32 v71, 31, v70
	v_lshlrev_b64 v[78:79], 2, v[70:71]
	v_add_co_u32_e32 v78, vcc, v4, v78
	v_addc_co_u32_e32 v79, vcc, v5, v79, vcc
	flat_load_dword v71, v[78:79]
	flat_load_dword v73, v[4:5] offset:40
	s_waitcnt vmcnt(0) lgkmcnt(0)
	flat_store_dword v[4:5], v71 offset:40
	flat_store_dword v[78:79], v73
.LBB62_176:
	s_or_b64 exec, exec, s[14:15]
	v_mov_b32_e32 v71, v70
	v_mov_b32_e32 v73, v70
.LBB62_177:
	s_or_b64 exec, exec, s[2:3]
.LBB62_178:
	s_andn2_saveexec_b64 s[0:1], s[0:1]
	s_cbranch_execz .LBB62_180
; %bb.179:
	v_mov_b32_e32 v73, 10
	ds_write2_b64 v72, v[42:43], v[40:41] offset0:11 offset1:12
	ds_write2_b64 v72, v[38:39], v[34:35] offset0:13 offset1:14
	;; [unrolled: 1-line block ×10, first 2 shown]
	ds_write_b64 v72, v[66:67] offset:248
.LBB62_180:
	s_or_b64 exec, exec, s[0:1]
	v_cmp_lt_i32_e32 vcc, 10, v73
	s_waitcnt lgkmcnt(0)
	s_barrier
	s_and_saveexec_b64 s[0:1], vcc
	s_cbranch_execz .LBB62_182
; %bb.181:
	ds_read2_b64 v[78:81], v72 offset0:11 offset1:12
	ds_read2_b64 v[82:85], v72 offset0:13 offset1:14
	v_mul_f64 v[44:45], v[68:69], v[44:45]
	ds_read2_b64 v[86:89], v72 offset0:15 offset1:16
	ds_read_b64 v[68:69], v72 offset:248
	s_waitcnt lgkmcnt(0)
	v_fma_f64 v[42:43], -v[44:45], v[78:79], v[42:43]
	v_fma_f64 v[40:41], -v[44:45], v[80:81], v[40:41]
	ds_read2_b64 v[78:81], v72 offset0:17 offset1:18
	v_fma_f64 v[38:39], -v[44:45], v[82:83], v[38:39]
	v_fma_f64 v[34:35], -v[44:45], v[84:85], v[34:35]
	;; [unrolled: 1-line block ×3, first 2 shown]
	ds_read2_b64 v[82:85], v72 offset0:19 offset1:20
	v_fma_f64 v[32:33], -v[44:45], v[88:89], v[32:33]
	ds_read2_b64 v[86:89], v72 offset0:21 offset1:22
	s_waitcnt lgkmcnt(0)
	v_fma_f64 v[30:31], -v[44:45], v[78:79], v[30:31]
	v_fma_f64 v[28:29], -v[44:45], v[80:81], v[28:29]
	ds_read2_b64 v[78:81], v72 offset0:23 offset1:24
	v_fma_f64 v[26:27], -v[44:45], v[82:83], v[26:27]
	v_fma_f64 v[24:25], -v[44:45], v[84:85], v[24:25]
	ds_read2_b64 v[82:85], v72 offset0:25 offset1:26
	v_fma_f64 v[22:23], -v[44:45], v[86:87], v[22:23]
	v_fma_f64 v[20:21], -v[44:45], v[88:89], v[20:21]
	s_waitcnt lgkmcnt(0)
	v_fma_f64 v[18:19], -v[44:45], v[78:79], v[18:19]
	v_fma_f64 v[16:17], -v[44:45], v[80:81], v[16:17]
	ds_read2_b64 v[78:81], v72 offset0:27 offset1:28
	ds_read2_b64 v[86:89], v72 offset0:29 offset1:30
	v_fma_f64 v[14:15], -v[44:45], v[82:83], v[14:15]
	v_fma_f64 v[12:13], -v[44:45], v[84:85], v[12:13]
	;; [unrolled: 1-line block ×3, first 2 shown]
	s_waitcnt lgkmcnt(0)
	v_fma_f64 v[10:11], -v[44:45], v[78:79], v[10:11]
	v_fma_f64 v[8:9], -v[44:45], v[80:81], v[8:9]
	;; [unrolled: 1-line block ×4, first 2 shown]
.LBB62_182:
	s_or_b64 exec, exec, s[0:1]
	v_lshl_add_u32 v68, v73, 3, v72
	s_barrier
	ds_write_b64 v68, v[42:43]
	s_waitcnt lgkmcnt(0)
	s_barrier
	ds_read_b64 v[68:69], v72 offset:88
	s_cmp_lt_i32 s18, 13
	v_mov_b32_e32 v70, 11
	s_cbranch_scc1 .LBB62_185
; %bb.183:
	v_add_u32_e32 v77, 0x60, v72
	s_mov_b32 s0, 12
	v_mov_b32_e32 v70, 11
.LBB62_184:                             ; =>This Inner Loop Header: Depth=1
	ds_read_b64 v[78:79], v77
	v_mov_b32_e32 v80, s0
	s_add_i32 s0, s0, 1
	v_add_u32_e32 v77, 8, v77
	s_cmp_lg_u32 s18, s0
	s_waitcnt lgkmcnt(0)
	v_cmp_lt_f64_e64 vcc, |v[68:69]|, |v[78:79]|
	v_cndmask_b32_e32 v69, v69, v79, vcc
	v_cndmask_b32_e32 v68, v68, v78, vcc
	v_cndmask_b32_e32 v70, v70, v80, vcc
	s_cbranch_scc1 .LBB62_184
.LBB62_185:
	s_waitcnt lgkmcnt(0)
	v_cmp_eq_f64_e32 vcc, 0, v[68:69]
	s_and_saveexec_b64 s[0:1], vcc
	s_xor_b64 s[0:1], exec, s[0:1]
; %bb.186:
	v_cmp_ne_u32_e32 vcc, 0, v76
	v_cndmask_b32_e32 v76, 12, v76, vcc
; %bb.187:
	s_andn2_saveexec_b64 s[0:1], s[0:1]
; %bb.188:
	v_div_scale_f64 v[78:79], s[2:3], v[68:69], v[68:69], 1.0
	v_rcp_f64_e32 v[80:81], v[78:79]
	v_div_scale_f64 v[82:83], vcc, 1.0, v[68:69], 1.0
	v_fma_f64 v[84:85], -v[78:79], v[80:81], 1.0
	v_fmac_f64_e32 v[80:81], v[80:81], v[84:85]
	v_fma_f64 v[84:85], -v[78:79], v[80:81], 1.0
	v_fmac_f64_e32 v[80:81], v[80:81], v[84:85]
	v_mul_f64 v[84:85], v[82:83], v[80:81]
	v_fma_f64 v[78:79], -v[78:79], v[84:85], v[82:83]
	v_div_fmas_f64 v[78:79], v[78:79], v[80:81], v[84:85]
	v_div_fixup_f64 v[68:69], v[78:79], v[68:69], 1.0
; %bb.189:
	s_or_b64 exec, exec, s[0:1]
	v_cmp_ne_u32_e32 vcc, v73, v70
	s_and_saveexec_b64 s[0:1], vcc
	s_xor_b64 s[0:1], exec, s[0:1]
	s_cbranch_execz .LBB62_195
; %bb.190:
	v_cmp_eq_u32_e32 vcc, 11, v73
	s_and_saveexec_b64 s[2:3], vcc
	s_cbranch_execz .LBB62_194
; %bb.191:
	v_cmp_ne_u32_e32 vcc, 11, v70
	s_xor_b64 s[14:15], s[6:7], -1
	s_and_b64 s[16:17], s[14:15], vcc
	s_and_saveexec_b64 s[14:15], s[16:17]
	s_cbranch_execz .LBB62_193
; %bb.192:
	v_ashrrev_i32_e32 v71, 31, v70
	v_lshlrev_b64 v[78:79], 2, v[70:71]
	v_add_co_u32_e32 v78, vcc, v4, v78
	v_addc_co_u32_e32 v79, vcc, v5, v79, vcc
	flat_load_dword v71, v[78:79]
	flat_load_dword v73, v[4:5] offset:44
	s_waitcnt vmcnt(0) lgkmcnt(0)
	flat_store_dword v[4:5], v71 offset:44
	flat_store_dword v[78:79], v73
.LBB62_193:
	s_or_b64 exec, exec, s[14:15]
	v_mov_b32_e32 v71, v70
	v_mov_b32_e32 v73, v70
.LBB62_194:
	s_or_b64 exec, exec, s[2:3]
.LBB62_195:
	s_andn2_saveexec_b64 s[0:1], s[0:1]
	s_cbranch_execz .LBB62_197
; %bb.196:
	v_mov_b32_e32 v78, v40
	v_mov_b32_e32 v79, v41
	v_mov_b32_e32 v80, v38
	v_mov_b32_e32 v81, v39
	ds_write2_b64 v72, v[78:79], v[80:81] offset0:12 offset1:13
	v_mov_b32_e32 v78, v34
	v_mov_b32_e32 v79, v35
	v_mov_b32_e32 v80, v36
	v_mov_b32_e32 v81, v37
	ds_write2_b64 v72, v[78:79], v[80:81] offset0:14 offset1:15
	;; [unrolled: 5-line block ×9, first 2 shown]
	v_mov_b32_e32 v78, v6
	v_mov_b32_e32 v79, v7
	;; [unrolled: 1-line block ×3, first 2 shown]
	ds_write2_b64 v72, v[78:79], v[66:67] offset0:30 offset1:31
.LBB62_197:
	s_or_b64 exec, exec, s[0:1]
	v_cmp_lt_i32_e32 vcc, 11, v73
	s_waitcnt lgkmcnt(0)
	s_barrier
	s_and_saveexec_b64 s[0:1], vcc
	s_cbranch_execz .LBB62_199
; %bb.198:
	ds_read2_b64 v[78:81], v72 offset0:12 offset1:13
	ds_read2_b64 v[82:85], v72 offset0:14 offset1:15
	v_mul_f64 v[42:43], v[68:69], v[42:43]
	ds_read2_b64 v[86:89], v72 offset0:16 offset1:17
	s_waitcnt lgkmcnt(0)
	v_fma_f64 v[40:41], -v[42:43], v[78:79], v[40:41]
	v_fma_f64 v[38:39], -v[42:43], v[80:81], v[38:39]
	ds_read2_b64 v[78:81], v72 offset0:18 offset1:19
	v_fma_f64 v[34:35], -v[42:43], v[82:83], v[34:35]
	v_fma_f64 v[36:37], -v[42:43], v[84:85], v[36:37]
	;; [unrolled: 1-line block ×3, first 2 shown]
	ds_read2_b64 v[82:85], v72 offset0:20 offset1:21
	v_fma_f64 v[30:31], -v[42:43], v[88:89], v[30:31]
	ds_read2_b64 v[86:89], v72 offset0:22 offset1:23
	s_waitcnt lgkmcnt(0)
	v_fma_f64 v[28:29], -v[42:43], v[78:79], v[28:29]
	v_fma_f64 v[26:27], -v[42:43], v[80:81], v[26:27]
	ds_read2_b64 v[78:81], v72 offset0:24 offset1:25
	v_fma_f64 v[24:25], -v[42:43], v[82:83], v[24:25]
	v_fma_f64 v[22:23], -v[42:43], v[84:85], v[22:23]
	ds_read2_b64 v[82:85], v72 offset0:26 offset1:27
	v_fma_f64 v[20:21], -v[42:43], v[86:87], v[20:21]
	v_fma_f64 v[18:19], -v[42:43], v[88:89], v[18:19]
	s_waitcnt lgkmcnt(0)
	v_fma_f64 v[16:17], -v[42:43], v[78:79], v[16:17]
	ds_read2_b64 v[86:89], v72 offset0:28 offset1:29
	v_fma_f64 v[14:15], -v[42:43], v[80:81], v[14:15]
	ds_read2_b64 v[78:81], v72 offset0:30 offset1:31
	v_fma_f64 v[12:13], -v[42:43], v[82:83], v[12:13]
	v_fma_f64 v[10:11], -v[42:43], v[84:85], v[10:11]
	s_waitcnt lgkmcnt(0)
	v_fma_f64 v[8:9], -v[42:43], v[86:87], v[8:9]
	v_fma_f64 v[0:1], -v[42:43], v[88:89], v[0:1]
	;; [unrolled: 1-line block ×4, first 2 shown]
.LBB62_199:
	s_or_b64 exec, exec, s[0:1]
	v_lshl_add_u32 v68, v73, 3, v72
	s_barrier
	ds_write_b64 v68, v[40:41]
	s_waitcnt lgkmcnt(0)
	s_barrier
	ds_read_b64 v[68:69], v72 offset:96
	s_cmp_lt_i32 s18, 14
	v_mov_b32_e32 v70, 12
	s_cbranch_scc1 .LBB62_202
; %bb.200:
	v_add_u32_e32 v77, 0x68, v72
	s_mov_b32 s0, 13
	v_mov_b32_e32 v70, 12
.LBB62_201:                             ; =>This Inner Loop Header: Depth=1
	ds_read_b64 v[78:79], v77
	v_mov_b32_e32 v80, s0
	s_add_i32 s0, s0, 1
	v_add_u32_e32 v77, 8, v77
	s_cmp_lg_u32 s18, s0
	s_waitcnt lgkmcnt(0)
	v_cmp_lt_f64_e64 vcc, |v[68:69]|, |v[78:79]|
	v_cndmask_b32_e32 v69, v69, v79, vcc
	v_cndmask_b32_e32 v68, v68, v78, vcc
	;; [unrolled: 1-line block ×3, first 2 shown]
	s_cbranch_scc1 .LBB62_201
.LBB62_202:
	s_waitcnt lgkmcnt(0)
	v_cmp_eq_f64_e32 vcc, 0, v[68:69]
	s_and_saveexec_b64 s[0:1], vcc
	s_xor_b64 s[0:1], exec, s[0:1]
; %bb.203:
	v_cmp_ne_u32_e32 vcc, 0, v76
	v_cndmask_b32_e32 v76, 13, v76, vcc
; %bb.204:
	s_andn2_saveexec_b64 s[0:1], s[0:1]
; %bb.205:
	v_div_scale_f64 v[78:79], s[2:3], v[68:69], v[68:69], 1.0
	v_rcp_f64_e32 v[80:81], v[78:79]
	v_div_scale_f64 v[82:83], vcc, 1.0, v[68:69], 1.0
	v_fma_f64 v[84:85], -v[78:79], v[80:81], 1.0
	v_fmac_f64_e32 v[80:81], v[80:81], v[84:85]
	v_fma_f64 v[84:85], -v[78:79], v[80:81], 1.0
	v_fmac_f64_e32 v[80:81], v[80:81], v[84:85]
	v_mul_f64 v[84:85], v[82:83], v[80:81]
	v_fma_f64 v[78:79], -v[78:79], v[84:85], v[82:83]
	v_div_fmas_f64 v[78:79], v[78:79], v[80:81], v[84:85]
	v_div_fixup_f64 v[68:69], v[78:79], v[68:69], 1.0
; %bb.206:
	s_or_b64 exec, exec, s[0:1]
	v_cmp_ne_u32_e32 vcc, v73, v70
	s_and_saveexec_b64 s[0:1], vcc
	s_xor_b64 s[0:1], exec, s[0:1]
	s_cbranch_execz .LBB62_212
; %bb.207:
	v_cmp_eq_u32_e32 vcc, 12, v73
	s_and_saveexec_b64 s[2:3], vcc
	s_cbranch_execz .LBB62_211
; %bb.208:
	v_cmp_ne_u32_e32 vcc, 12, v70
	s_xor_b64 s[14:15], s[6:7], -1
	s_and_b64 s[16:17], s[14:15], vcc
	s_and_saveexec_b64 s[14:15], s[16:17]
	s_cbranch_execz .LBB62_210
; %bb.209:
	v_ashrrev_i32_e32 v71, 31, v70
	v_lshlrev_b64 v[78:79], 2, v[70:71]
	v_add_co_u32_e32 v78, vcc, v4, v78
	v_addc_co_u32_e32 v79, vcc, v5, v79, vcc
	flat_load_dword v71, v[78:79]
	flat_load_dword v73, v[4:5] offset:48
	s_waitcnt vmcnt(0) lgkmcnt(0)
	flat_store_dword v[4:5], v71 offset:48
	flat_store_dword v[78:79], v73
.LBB62_210:
	s_or_b64 exec, exec, s[14:15]
	v_mov_b32_e32 v71, v70
	v_mov_b32_e32 v73, v70
.LBB62_211:
	s_or_b64 exec, exec, s[2:3]
.LBB62_212:
	s_andn2_saveexec_b64 s[0:1], s[0:1]
	s_cbranch_execz .LBB62_214
; %bb.213:
	v_mov_b32_e32 v73, 12
	ds_write2_b64 v72, v[38:39], v[34:35] offset0:13 offset1:14
	ds_write2_b64 v72, v[36:37], v[32:33] offset0:15 offset1:16
	;; [unrolled: 1-line block ×9, first 2 shown]
	ds_write_b64 v72, v[66:67] offset:248
.LBB62_214:
	s_or_b64 exec, exec, s[0:1]
	v_cmp_lt_i32_e32 vcc, 12, v73
	s_waitcnt lgkmcnt(0)
	s_barrier
	s_and_saveexec_b64 s[0:1], vcc
	s_cbranch_execz .LBB62_216
; %bb.215:
	ds_read2_b64 v[78:81], v72 offset0:13 offset1:14
	ds_read2_b64 v[82:85], v72 offset0:15 offset1:16
	;; [unrolled: 1-line block ×3, first 2 shown]
	v_mul_f64 v[40:41], v[68:69], v[40:41]
	ds_read_b64 v[68:69], v72 offset:248
	s_waitcnt lgkmcnt(0)
	v_fma_f64 v[38:39], -v[40:41], v[78:79], v[38:39]
	v_fma_f64 v[34:35], -v[40:41], v[80:81], v[34:35]
	ds_read2_b64 v[78:81], v72 offset0:19 offset1:20
	v_fma_f64 v[36:37], -v[40:41], v[82:83], v[36:37]
	v_fma_f64 v[32:33], -v[40:41], v[84:85], v[32:33]
	;; [unrolled: 1-line block ×3, first 2 shown]
	ds_read2_b64 v[82:85], v72 offset0:21 offset1:22
	v_fma_f64 v[28:29], -v[40:41], v[88:89], v[28:29]
	ds_read2_b64 v[86:89], v72 offset0:23 offset1:24
	s_waitcnt lgkmcnt(0)
	v_fma_f64 v[26:27], -v[40:41], v[78:79], v[26:27]
	v_fma_f64 v[24:25], -v[40:41], v[80:81], v[24:25]
	;; [unrolled: 1-line block ×3, first 2 shown]
	ds_read2_b64 v[78:81], v72 offset0:25 offset1:26
	v_fma_f64 v[20:21], -v[40:41], v[84:85], v[20:21]
	ds_read2_b64 v[82:85], v72 offset0:27 offset1:28
	v_fma_f64 v[18:19], -v[40:41], v[86:87], v[18:19]
	v_fma_f64 v[16:17], -v[40:41], v[88:89], v[16:17]
	ds_read2_b64 v[86:89], v72 offset0:29 offset1:30
	s_waitcnt lgkmcnt(0)
	v_fma_f64 v[14:15], -v[40:41], v[78:79], v[14:15]
	v_fma_f64 v[12:13], -v[40:41], v[80:81], v[12:13]
	;; [unrolled: 1-line block ×7, first 2 shown]
.LBB62_216:
	s_or_b64 exec, exec, s[0:1]
	v_lshl_add_u32 v68, v73, 3, v72
	s_barrier
	ds_write_b64 v68, v[38:39]
	s_waitcnt lgkmcnt(0)
	s_barrier
	ds_read_b64 v[68:69], v72 offset:104
	s_cmp_lt_i32 s18, 15
	v_mov_b32_e32 v70, 13
	s_cbranch_scc1 .LBB62_219
; %bb.217:
	v_add_u32_e32 v77, 0x70, v72
	s_mov_b32 s0, 14
	v_mov_b32_e32 v70, 13
.LBB62_218:                             ; =>This Inner Loop Header: Depth=1
	ds_read_b64 v[78:79], v77
	v_mov_b32_e32 v80, s0
	s_add_i32 s0, s0, 1
	v_add_u32_e32 v77, 8, v77
	s_cmp_lg_u32 s18, s0
	s_waitcnt lgkmcnt(0)
	v_cmp_lt_f64_e64 vcc, |v[68:69]|, |v[78:79]|
	v_cndmask_b32_e32 v69, v69, v79, vcc
	v_cndmask_b32_e32 v68, v68, v78, vcc
	;; [unrolled: 1-line block ×3, first 2 shown]
	s_cbranch_scc1 .LBB62_218
.LBB62_219:
	s_waitcnt lgkmcnt(0)
	v_cmp_eq_f64_e32 vcc, 0, v[68:69]
	s_and_saveexec_b64 s[0:1], vcc
	s_xor_b64 s[0:1], exec, s[0:1]
; %bb.220:
	v_cmp_ne_u32_e32 vcc, 0, v76
	v_cndmask_b32_e32 v76, 14, v76, vcc
; %bb.221:
	s_andn2_saveexec_b64 s[0:1], s[0:1]
; %bb.222:
	v_div_scale_f64 v[78:79], s[2:3], v[68:69], v[68:69], 1.0
	v_rcp_f64_e32 v[80:81], v[78:79]
	v_div_scale_f64 v[82:83], vcc, 1.0, v[68:69], 1.0
	v_fma_f64 v[84:85], -v[78:79], v[80:81], 1.0
	v_fmac_f64_e32 v[80:81], v[80:81], v[84:85]
	v_fma_f64 v[84:85], -v[78:79], v[80:81], 1.0
	v_fmac_f64_e32 v[80:81], v[80:81], v[84:85]
	v_mul_f64 v[84:85], v[82:83], v[80:81]
	v_fma_f64 v[78:79], -v[78:79], v[84:85], v[82:83]
	v_div_fmas_f64 v[78:79], v[78:79], v[80:81], v[84:85]
	v_div_fixup_f64 v[68:69], v[78:79], v[68:69], 1.0
; %bb.223:
	s_or_b64 exec, exec, s[0:1]
	v_cmp_ne_u32_e32 vcc, v73, v70
	s_and_saveexec_b64 s[0:1], vcc
	s_xor_b64 s[0:1], exec, s[0:1]
	s_cbranch_execz .LBB62_229
; %bb.224:
	v_cmp_eq_u32_e32 vcc, 13, v73
	s_and_saveexec_b64 s[2:3], vcc
	s_cbranch_execz .LBB62_228
; %bb.225:
	v_cmp_ne_u32_e32 vcc, 13, v70
	s_xor_b64 s[14:15], s[6:7], -1
	s_and_b64 s[16:17], s[14:15], vcc
	s_and_saveexec_b64 s[14:15], s[16:17]
	s_cbranch_execz .LBB62_227
; %bb.226:
	v_ashrrev_i32_e32 v71, 31, v70
	v_lshlrev_b64 v[78:79], 2, v[70:71]
	v_add_co_u32_e32 v78, vcc, v4, v78
	v_addc_co_u32_e32 v79, vcc, v5, v79, vcc
	flat_load_dword v71, v[78:79]
	flat_load_dword v73, v[4:5] offset:52
	s_waitcnt vmcnt(0) lgkmcnt(0)
	flat_store_dword v[4:5], v71 offset:52
	flat_store_dword v[78:79], v73
.LBB62_227:
	s_or_b64 exec, exec, s[14:15]
	v_mov_b32_e32 v71, v70
	v_mov_b32_e32 v73, v70
.LBB62_228:
	s_or_b64 exec, exec, s[2:3]
.LBB62_229:
	s_andn2_saveexec_b64 s[0:1], s[0:1]
	s_cbranch_execz .LBB62_231
; %bb.230:
	v_mov_b32_e32 v78, v34
	v_mov_b32_e32 v79, v35
	v_mov_b32_e32 v80, v36
	v_mov_b32_e32 v81, v37
	ds_write2_b64 v72, v[78:79], v[80:81] offset0:14 offset1:15
	v_mov_b32_e32 v78, v32
	v_mov_b32_e32 v79, v33
	v_mov_b32_e32 v80, v30
	v_mov_b32_e32 v81, v31
	ds_write2_b64 v72, v[78:79], v[80:81] offset0:16 offset1:17
	;; [unrolled: 5-line block ×8, first 2 shown]
	v_mov_b32_e32 v78, v6
	v_mov_b32_e32 v79, v7
	v_mov_b32_e32 v73, 13
	ds_write2_b64 v72, v[78:79], v[66:67] offset0:30 offset1:31
.LBB62_231:
	s_or_b64 exec, exec, s[0:1]
	v_cmp_lt_i32_e32 vcc, 13, v73
	s_waitcnt lgkmcnt(0)
	s_barrier
	s_and_saveexec_b64 s[0:1], vcc
	s_cbranch_execz .LBB62_233
; %bb.232:
	ds_read2_b64 v[78:81], v72 offset0:14 offset1:15
	ds_read2_b64 v[82:85], v72 offset0:16 offset1:17
	;; [unrolled: 1-line block ×3, first 2 shown]
	v_mul_f64 v[38:39], v[68:69], v[38:39]
	s_waitcnt lgkmcnt(0)
	v_fma_f64 v[34:35], -v[38:39], v[78:79], v[34:35]
	v_fma_f64 v[36:37], -v[38:39], v[80:81], v[36:37]
	ds_read2_b64 v[78:81], v72 offset0:20 offset1:21
	v_fma_f64 v[32:33], -v[38:39], v[82:83], v[32:33]
	v_fma_f64 v[30:31], -v[38:39], v[84:85], v[30:31]
	;; [unrolled: 1-line block ×3, first 2 shown]
	ds_read2_b64 v[82:85], v72 offset0:22 offset1:23
	v_fma_f64 v[26:27], -v[38:39], v[88:89], v[26:27]
	ds_read2_b64 v[86:89], v72 offset0:24 offset1:25
	s_waitcnt lgkmcnt(0)
	v_fma_f64 v[24:25], -v[38:39], v[78:79], v[24:25]
	v_fma_f64 v[22:23], -v[38:39], v[80:81], v[22:23]
	;; [unrolled: 1-line block ×4, first 2 shown]
	ds_read2_b64 v[78:81], v72 offset0:26 offset1:27
	ds_read2_b64 v[82:85], v72 offset0:28 offset1:29
	v_fma_f64 v[16:17], -v[38:39], v[86:87], v[16:17]
	v_fma_f64 v[14:15], -v[38:39], v[88:89], v[14:15]
	ds_read2_b64 v[86:89], v72 offset0:30 offset1:31
	s_waitcnt lgkmcnt(0)
	v_fma_f64 v[12:13], -v[38:39], v[78:79], v[12:13]
	v_fma_f64 v[10:11], -v[38:39], v[80:81], v[10:11]
	;; [unrolled: 1-line block ×6, first 2 shown]
.LBB62_233:
	s_or_b64 exec, exec, s[0:1]
	v_lshl_add_u32 v68, v73, 3, v72
	s_barrier
	ds_write_b64 v68, v[34:35]
	s_waitcnt lgkmcnt(0)
	s_barrier
	ds_read_b64 v[68:69], v72 offset:112
	s_cmp_lt_i32 s18, 16
	v_mov_b32_e32 v70, 14
	s_cbranch_scc1 .LBB62_236
; %bb.234:
	v_add_u32_e32 v77, 0x78, v72
	s_mov_b32 s0, 15
	v_mov_b32_e32 v70, 14
.LBB62_235:                             ; =>This Inner Loop Header: Depth=1
	ds_read_b64 v[78:79], v77
	v_mov_b32_e32 v80, s0
	s_add_i32 s0, s0, 1
	v_add_u32_e32 v77, 8, v77
	s_cmp_lg_u32 s18, s0
	s_waitcnt lgkmcnt(0)
	v_cmp_lt_f64_e64 vcc, |v[68:69]|, |v[78:79]|
	v_cndmask_b32_e32 v69, v69, v79, vcc
	v_cndmask_b32_e32 v68, v68, v78, vcc
	;; [unrolled: 1-line block ×3, first 2 shown]
	s_cbranch_scc1 .LBB62_235
.LBB62_236:
	s_waitcnt lgkmcnt(0)
	v_cmp_eq_f64_e32 vcc, 0, v[68:69]
	s_and_saveexec_b64 s[0:1], vcc
	s_xor_b64 s[0:1], exec, s[0:1]
; %bb.237:
	v_cmp_ne_u32_e32 vcc, 0, v76
	v_cndmask_b32_e32 v76, 15, v76, vcc
; %bb.238:
	s_andn2_saveexec_b64 s[0:1], s[0:1]
; %bb.239:
	v_div_scale_f64 v[78:79], s[2:3], v[68:69], v[68:69], 1.0
	v_rcp_f64_e32 v[80:81], v[78:79]
	v_div_scale_f64 v[82:83], vcc, 1.0, v[68:69], 1.0
	v_fma_f64 v[84:85], -v[78:79], v[80:81], 1.0
	v_fmac_f64_e32 v[80:81], v[80:81], v[84:85]
	v_fma_f64 v[84:85], -v[78:79], v[80:81], 1.0
	v_fmac_f64_e32 v[80:81], v[80:81], v[84:85]
	v_mul_f64 v[84:85], v[82:83], v[80:81]
	v_fma_f64 v[78:79], -v[78:79], v[84:85], v[82:83]
	v_div_fmas_f64 v[78:79], v[78:79], v[80:81], v[84:85]
	v_div_fixup_f64 v[68:69], v[78:79], v[68:69], 1.0
; %bb.240:
	s_or_b64 exec, exec, s[0:1]
	v_cmp_ne_u32_e32 vcc, v73, v70
	s_and_saveexec_b64 s[0:1], vcc
	s_xor_b64 s[0:1], exec, s[0:1]
	s_cbranch_execz .LBB62_246
; %bb.241:
	v_cmp_eq_u32_e32 vcc, 14, v73
	s_and_saveexec_b64 s[2:3], vcc
	s_cbranch_execz .LBB62_245
; %bb.242:
	v_cmp_ne_u32_e32 vcc, 14, v70
	s_xor_b64 s[14:15], s[6:7], -1
	s_and_b64 s[16:17], s[14:15], vcc
	s_and_saveexec_b64 s[14:15], s[16:17]
	s_cbranch_execz .LBB62_244
; %bb.243:
	v_ashrrev_i32_e32 v71, 31, v70
	v_lshlrev_b64 v[78:79], 2, v[70:71]
	v_add_co_u32_e32 v78, vcc, v4, v78
	v_addc_co_u32_e32 v79, vcc, v5, v79, vcc
	flat_load_dword v71, v[78:79]
	flat_load_dword v73, v[4:5] offset:56
	s_waitcnt vmcnt(0) lgkmcnt(0)
	flat_store_dword v[4:5], v71 offset:56
	flat_store_dword v[78:79], v73
.LBB62_244:
	s_or_b64 exec, exec, s[14:15]
	v_mov_b32_e32 v71, v70
	v_mov_b32_e32 v73, v70
.LBB62_245:
	s_or_b64 exec, exec, s[2:3]
.LBB62_246:
	s_andn2_saveexec_b64 s[0:1], s[0:1]
	s_cbranch_execz .LBB62_248
; %bb.247:
	v_mov_b32_e32 v73, 14
	ds_write2_b64 v72, v[36:37], v[32:33] offset0:15 offset1:16
	ds_write2_b64 v72, v[30:31], v[28:29] offset0:17 offset1:18
	;; [unrolled: 1-line block ×8, first 2 shown]
	ds_write_b64 v72, v[66:67] offset:248
.LBB62_248:
	s_or_b64 exec, exec, s[0:1]
	v_cmp_lt_i32_e32 vcc, 14, v73
	s_waitcnt lgkmcnt(0)
	s_barrier
	s_and_saveexec_b64 s[0:1], vcc
	s_cbranch_execz .LBB62_250
; %bb.249:
	ds_read2_b64 v[78:81], v72 offset0:15 offset1:16
	ds_read2_b64 v[82:85], v72 offset0:17 offset1:18
	v_mul_f64 v[34:35], v[68:69], v[34:35]
	ds_read2_b64 v[86:89], v72 offset0:19 offset1:20
	ds_read_b64 v[68:69], v72 offset:248
	s_waitcnt lgkmcnt(0)
	v_fma_f64 v[36:37], -v[34:35], v[78:79], v[36:37]
	v_fma_f64 v[32:33], -v[34:35], v[80:81], v[32:33]
	ds_read2_b64 v[78:81], v72 offset0:21 offset1:22
	v_fma_f64 v[30:31], -v[34:35], v[82:83], v[30:31]
	v_fma_f64 v[28:29], -v[34:35], v[84:85], v[28:29]
	ds_read2_b64 v[82:85], v72 offset0:23 offset1:24
	;; [unrolled: 3-line block ×3, first 2 shown]
	s_waitcnt lgkmcnt(0)
	v_fma_f64 v[22:23], -v[34:35], v[78:79], v[22:23]
	v_fma_f64 v[20:21], -v[34:35], v[80:81], v[20:21]
	v_fma_f64 v[18:19], -v[34:35], v[82:83], v[18:19]
	v_fma_f64 v[16:17], -v[34:35], v[84:85], v[16:17]
	ds_read2_b64 v[78:81], v72 offset0:27 offset1:28
	ds_read2_b64 v[82:85], v72 offset0:29 offset1:30
	v_fma_f64 v[14:15], -v[34:35], v[86:87], v[14:15]
	v_fma_f64 v[12:13], -v[34:35], v[88:89], v[12:13]
	;; [unrolled: 1-line block ×3, first 2 shown]
	s_waitcnt lgkmcnt(0)
	v_fma_f64 v[10:11], -v[34:35], v[78:79], v[10:11]
	v_fma_f64 v[8:9], -v[34:35], v[80:81], v[8:9]
	;; [unrolled: 1-line block ×4, first 2 shown]
.LBB62_250:
	s_or_b64 exec, exec, s[0:1]
	v_lshl_add_u32 v68, v73, 3, v72
	s_barrier
	ds_write_b64 v68, v[36:37]
	s_waitcnt lgkmcnt(0)
	s_barrier
	ds_read_b64 v[68:69], v72 offset:120
	s_cmp_lt_i32 s18, 17
	v_mov_b32_e32 v70, 15
	s_cbranch_scc1 .LBB62_253
; %bb.251:
	v_add_u32_e32 v77, 0x80, v72
	s_mov_b32 s0, 16
	v_mov_b32_e32 v70, 15
.LBB62_252:                             ; =>This Inner Loop Header: Depth=1
	ds_read_b64 v[78:79], v77
	v_mov_b32_e32 v80, s0
	s_add_i32 s0, s0, 1
	v_add_u32_e32 v77, 8, v77
	s_cmp_lg_u32 s18, s0
	s_waitcnt lgkmcnt(0)
	v_cmp_lt_f64_e64 vcc, |v[68:69]|, |v[78:79]|
	v_cndmask_b32_e32 v69, v69, v79, vcc
	v_cndmask_b32_e32 v68, v68, v78, vcc
	;; [unrolled: 1-line block ×3, first 2 shown]
	s_cbranch_scc1 .LBB62_252
.LBB62_253:
	s_waitcnt lgkmcnt(0)
	v_cmp_eq_f64_e32 vcc, 0, v[68:69]
	s_and_saveexec_b64 s[0:1], vcc
	s_xor_b64 s[0:1], exec, s[0:1]
; %bb.254:
	v_cmp_ne_u32_e32 vcc, 0, v76
	v_cndmask_b32_e32 v76, 16, v76, vcc
; %bb.255:
	s_andn2_saveexec_b64 s[0:1], s[0:1]
; %bb.256:
	v_div_scale_f64 v[78:79], s[2:3], v[68:69], v[68:69], 1.0
	v_rcp_f64_e32 v[80:81], v[78:79]
	v_div_scale_f64 v[82:83], vcc, 1.0, v[68:69], 1.0
	v_fma_f64 v[84:85], -v[78:79], v[80:81], 1.0
	v_fmac_f64_e32 v[80:81], v[80:81], v[84:85]
	v_fma_f64 v[84:85], -v[78:79], v[80:81], 1.0
	v_fmac_f64_e32 v[80:81], v[80:81], v[84:85]
	v_mul_f64 v[84:85], v[82:83], v[80:81]
	v_fma_f64 v[78:79], -v[78:79], v[84:85], v[82:83]
	v_div_fmas_f64 v[78:79], v[78:79], v[80:81], v[84:85]
	v_div_fixup_f64 v[68:69], v[78:79], v[68:69], 1.0
; %bb.257:
	s_or_b64 exec, exec, s[0:1]
	v_cmp_ne_u32_e32 vcc, v73, v70
	s_and_saveexec_b64 s[0:1], vcc
	s_xor_b64 s[0:1], exec, s[0:1]
	s_cbranch_execz .LBB62_263
; %bb.258:
	v_cmp_eq_u32_e32 vcc, 15, v73
	s_and_saveexec_b64 s[2:3], vcc
	s_cbranch_execz .LBB62_262
; %bb.259:
	v_cmp_ne_u32_e32 vcc, 15, v70
	s_xor_b64 s[14:15], s[6:7], -1
	s_and_b64 s[16:17], s[14:15], vcc
	s_and_saveexec_b64 s[14:15], s[16:17]
	s_cbranch_execz .LBB62_261
; %bb.260:
	v_ashrrev_i32_e32 v71, 31, v70
	v_lshlrev_b64 v[78:79], 2, v[70:71]
	v_add_co_u32_e32 v78, vcc, v4, v78
	v_addc_co_u32_e32 v79, vcc, v5, v79, vcc
	flat_load_dword v71, v[78:79]
	flat_load_dword v73, v[4:5] offset:60
	s_waitcnt vmcnt(0) lgkmcnt(0)
	flat_store_dword v[4:5], v71 offset:60
	flat_store_dword v[78:79], v73
.LBB62_261:
	s_or_b64 exec, exec, s[14:15]
	v_mov_b32_e32 v71, v70
	v_mov_b32_e32 v73, v70
.LBB62_262:
	s_or_b64 exec, exec, s[2:3]
.LBB62_263:
	s_andn2_saveexec_b64 s[0:1], s[0:1]
	s_cbranch_execz .LBB62_265
; %bb.264:
	v_mov_b32_e32 v78, v32
	v_mov_b32_e32 v79, v33
	v_mov_b32_e32 v80, v30
	v_mov_b32_e32 v81, v31
	ds_write2_b64 v72, v[78:79], v[80:81] offset0:16 offset1:17
	v_mov_b32_e32 v78, v28
	v_mov_b32_e32 v79, v29
	v_mov_b32_e32 v80, v26
	v_mov_b32_e32 v81, v27
	ds_write2_b64 v72, v[78:79], v[80:81] offset0:18 offset1:19
	;; [unrolled: 5-line block ×7, first 2 shown]
	v_mov_b32_e32 v78, v6
	v_mov_b32_e32 v79, v7
	;; [unrolled: 1-line block ×3, first 2 shown]
	ds_write2_b64 v72, v[78:79], v[66:67] offset0:30 offset1:31
.LBB62_265:
	s_or_b64 exec, exec, s[0:1]
	v_cmp_lt_i32_e32 vcc, 15, v73
	s_waitcnt lgkmcnt(0)
	s_barrier
	s_and_saveexec_b64 s[0:1], vcc
	s_cbranch_execz .LBB62_267
; %bb.266:
	ds_read2_b64 v[78:81], v72 offset0:16 offset1:17
	ds_read2_b64 v[82:85], v72 offset0:18 offset1:19
	v_mul_f64 v[36:37], v[68:69], v[36:37]
	ds_read2_b64 v[86:89], v72 offset0:20 offset1:21
	s_waitcnt lgkmcnt(0)
	v_fma_f64 v[32:33], -v[36:37], v[78:79], v[32:33]
	v_fma_f64 v[30:31], -v[36:37], v[80:81], v[30:31]
	ds_read2_b64 v[78:81], v72 offset0:22 offset1:23
	v_fma_f64 v[28:29], -v[36:37], v[82:83], v[28:29]
	v_fma_f64 v[26:27], -v[36:37], v[84:85], v[26:27]
	ds_read2_b64 v[82:85], v72 offset0:24 offset1:25
	v_fma_f64 v[24:25], -v[36:37], v[86:87], v[24:25]
	v_fma_f64 v[22:23], -v[36:37], v[88:89], v[22:23]
	s_waitcnt lgkmcnt(0)
	v_fma_f64 v[20:21], -v[36:37], v[78:79], v[20:21]
	v_fma_f64 v[18:19], -v[36:37], v[80:81], v[18:19]
	ds_read2_b64 v[78:81], v72 offset0:26 offset1:27
	v_fma_f64 v[16:17], -v[36:37], v[82:83], v[16:17]
	ds_read2_b64 v[86:89], v72 offset0:28 offset1:29
	;; [unrolled: 2-line block ×3, first 2 shown]
	s_waitcnt lgkmcnt(0)
	v_fma_f64 v[12:13], -v[36:37], v[78:79], v[12:13]
	v_fma_f64 v[10:11], -v[36:37], v[80:81], v[10:11]
	;; [unrolled: 1-line block ×6, first 2 shown]
.LBB62_267:
	s_or_b64 exec, exec, s[0:1]
	v_lshl_add_u32 v68, v73, 3, v72
	s_barrier
	ds_write_b64 v68, v[32:33]
	s_waitcnt lgkmcnt(0)
	s_barrier
	ds_read_b64 v[68:69], v72 offset:128
	s_cmp_lt_i32 s18, 18
	v_mov_b32_e32 v70, 16
	s_cbranch_scc1 .LBB62_270
; %bb.268:
	v_add_u32_e32 v77, 0x88, v72
	s_mov_b32 s0, 17
	v_mov_b32_e32 v70, 16
.LBB62_269:                             ; =>This Inner Loop Header: Depth=1
	ds_read_b64 v[78:79], v77
	v_mov_b32_e32 v80, s0
	s_add_i32 s0, s0, 1
	v_add_u32_e32 v77, 8, v77
	s_cmp_lg_u32 s18, s0
	s_waitcnt lgkmcnt(0)
	v_cmp_lt_f64_e64 vcc, |v[68:69]|, |v[78:79]|
	v_cndmask_b32_e32 v69, v69, v79, vcc
	v_cndmask_b32_e32 v68, v68, v78, vcc
	v_cndmask_b32_e32 v70, v70, v80, vcc
	s_cbranch_scc1 .LBB62_269
.LBB62_270:
	s_waitcnt lgkmcnt(0)
	v_cmp_eq_f64_e32 vcc, 0, v[68:69]
	s_and_saveexec_b64 s[0:1], vcc
	s_xor_b64 s[0:1], exec, s[0:1]
; %bb.271:
	v_cmp_ne_u32_e32 vcc, 0, v76
	v_cndmask_b32_e32 v76, 17, v76, vcc
; %bb.272:
	s_andn2_saveexec_b64 s[0:1], s[0:1]
; %bb.273:
	v_div_scale_f64 v[78:79], s[2:3], v[68:69], v[68:69], 1.0
	v_rcp_f64_e32 v[80:81], v[78:79]
	v_div_scale_f64 v[82:83], vcc, 1.0, v[68:69], 1.0
	v_fma_f64 v[84:85], -v[78:79], v[80:81], 1.0
	v_fmac_f64_e32 v[80:81], v[80:81], v[84:85]
	v_fma_f64 v[84:85], -v[78:79], v[80:81], 1.0
	v_fmac_f64_e32 v[80:81], v[80:81], v[84:85]
	v_mul_f64 v[84:85], v[82:83], v[80:81]
	v_fma_f64 v[78:79], -v[78:79], v[84:85], v[82:83]
	v_div_fmas_f64 v[78:79], v[78:79], v[80:81], v[84:85]
	v_div_fixup_f64 v[68:69], v[78:79], v[68:69], 1.0
; %bb.274:
	s_or_b64 exec, exec, s[0:1]
	v_cmp_ne_u32_e32 vcc, v73, v70
	s_and_saveexec_b64 s[0:1], vcc
	s_xor_b64 s[0:1], exec, s[0:1]
	s_cbranch_execz .LBB62_280
; %bb.275:
	v_cmp_eq_u32_e32 vcc, 16, v73
	s_and_saveexec_b64 s[2:3], vcc
	s_cbranch_execz .LBB62_279
; %bb.276:
	v_cmp_ne_u32_e32 vcc, 16, v70
	s_xor_b64 s[14:15], s[6:7], -1
	s_and_b64 s[16:17], s[14:15], vcc
	s_and_saveexec_b64 s[14:15], s[16:17]
	s_cbranch_execz .LBB62_278
; %bb.277:
	v_ashrrev_i32_e32 v71, 31, v70
	v_lshlrev_b64 v[78:79], 2, v[70:71]
	v_add_co_u32_e32 v78, vcc, v4, v78
	v_addc_co_u32_e32 v79, vcc, v5, v79, vcc
	flat_load_dword v71, v[78:79]
	flat_load_dword v73, v[4:5] offset:64
	s_waitcnt vmcnt(0) lgkmcnt(0)
	flat_store_dword v[4:5], v71 offset:64
	flat_store_dword v[78:79], v73
.LBB62_278:
	s_or_b64 exec, exec, s[14:15]
	v_mov_b32_e32 v71, v70
	v_mov_b32_e32 v73, v70
.LBB62_279:
	s_or_b64 exec, exec, s[2:3]
.LBB62_280:
	s_andn2_saveexec_b64 s[0:1], s[0:1]
	s_cbranch_execz .LBB62_282
; %bb.281:
	v_mov_b32_e32 v73, 16
	ds_write2_b64 v72, v[30:31], v[28:29] offset0:17 offset1:18
	ds_write2_b64 v72, v[26:27], v[24:25] offset0:19 offset1:20
	;; [unrolled: 1-line block ×7, first 2 shown]
	ds_write_b64 v72, v[66:67] offset:248
.LBB62_282:
	s_or_b64 exec, exec, s[0:1]
	v_cmp_lt_i32_e32 vcc, 16, v73
	s_waitcnt lgkmcnt(0)
	s_barrier
	s_and_saveexec_b64 s[0:1], vcc
	s_cbranch_execz .LBB62_284
; %bb.283:
	ds_read2_b64 v[78:81], v72 offset0:17 offset1:18
	ds_read2_b64 v[82:85], v72 offset0:19 offset1:20
	v_mul_f64 v[32:33], v[68:69], v[32:33]
	ds_read2_b64 v[86:89], v72 offset0:21 offset1:22
	ds_read_b64 v[68:69], v72 offset:248
	s_waitcnt lgkmcnt(0)
	v_fma_f64 v[30:31], -v[32:33], v[78:79], v[30:31]
	v_fma_f64 v[28:29], -v[32:33], v[80:81], v[28:29]
	ds_read2_b64 v[78:81], v72 offset0:23 offset1:24
	v_fma_f64 v[26:27], -v[32:33], v[82:83], v[26:27]
	v_fma_f64 v[24:25], -v[32:33], v[84:85], v[24:25]
	;; [unrolled: 1-line block ×3, first 2 shown]
	ds_read2_b64 v[82:85], v72 offset0:25 offset1:26
	v_fma_f64 v[20:21], -v[32:33], v[88:89], v[20:21]
	s_waitcnt lgkmcnt(0)
	v_fma_f64 v[18:19], -v[32:33], v[78:79], v[18:19]
	v_fma_f64 v[16:17], -v[32:33], v[80:81], v[16:17]
	ds_read2_b64 v[78:81], v72 offset0:27 offset1:28
	ds_read2_b64 v[86:89], v72 offset0:29 offset1:30
	v_fma_f64 v[14:15], -v[32:33], v[82:83], v[14:15]
	v_fma_f64 v[12:13], -v[32:33], v[84:85], v[12:13]
	;; [unrolled: 1-line block ×3, first 2 shown]
	s_waitcnt lgkmcnt(0)
	v_fma_f64 v[10:11], -v[32:33], v[78:79], v[10:11]
	v_fma_f64 v[8:9], -v[32:33], v[80:81], v[8:9]
	;; [unrolled: 1-line block ×4, first 2 shown]
.LBB62_284:
	s_or_b64 exec, exec, s[0:1]
	v_lshl_add_u32 v68, v73, 3, v72
	s_barrier
	ds_write_b64 v68, v[30:31]
	s_waitcnt lgkmcnt(0)
	s_barrier
	ds_read_b64 v[68:69], v72 offset:136
	s_cmp_lt_i32 s18, 19
	v_mov_b32_e32 v70, 17
	s_cbranch_scc1 .LBB62_287
; %bb.285:
	v_add_u32_e32 v77, 0x90, v72
	s_mov_b32 s0, 18
	v_mov_b32_e32 v70, 17
.LBB62_286:                             ; =>This Inner Loop Header: Depth=1
	ds_read_b64 v[78:79], v77
	v_mov_b32_e32 v80, s0
	s_add_i32 s0, s0, 1
	v_add_u32_e32 v77, 8, v77
	s_cmp_lg_u32 s18, s0
	s_waitcnt lgkmcnt(0)
	v_cmp_lt_f64_e64 vcc, |v[68:69]|, |v[78:79]|
	v_cndmask_b32_e32 v69, v69, v79, vcc
	v_cndmask_b32_e32 v68, v68, v78, vcc
	;; [unrolled: 1-line block ×3, first 2 shown]
	s_cbranch_scc1 .LBB62_286
.LBB62_287:
	s_waitcnt lgkmcnt(0)
	v_cmp_eq_f64_e32 vcc, 0, v[68:69]
	s_and_saveexec_b64 s[0:1], vcc
	s_xor_b64 s[0:1], exec, s[0:1]
; %bb.288:
	v_cmp_ne_u32_e32 vcc, 0, v76
	v_cndmask_b32_e32 v76, 18, v76, vcc
; %bb.289:
	s_andn2_saveexec_b64 s[0:1], s[0:1]
; %bb.290:
	v_div_scale_f64 v[78:79], s[2:3], v[68:69], v[68:69], 1.0
	v_rcp_f64_e32 v[80:81], v[78:79]
	v_div_scale_f64 v[82:83], vcc, 1.0, v[68:69], 1.0
	v_fma_f64 v[84:85], -v[78:79], v[80:81], 1.0
	v_fmac_f64_e32 v[80:81], v[80:81], v[84:85]
	v_fma_f64 v[84:85], -v[78:79], v[80:81], 1.0
	v_fmac_f64_e32 v[80:81], v[80:81], v[84:85]
	v_mul_f64 v[84:85], v[82:83], v[80:81]
	v_fma_f64 v[78:79], -v[78:79], v[84:85], v[82:83]
	v_div_fmas_f64 v[78:79], v[78:79], v[80:81], v[84:85]
	v_div_fixup_f64 v[68:69], v[78:79], v[68:69], 1.0
; %bb.291:
	s_or_b64 exec, exec, s[0:1]
	v_cmp_ne_u32_e32 vcc, v73, v70
	s_and_saveexec_b64 s[0:1], vcc
	s_xor_b64 s[0:1], exec, s[0:1]
	s_cbranch_execz .LBB62_297
; %bb.292:
	v_cmp_eq_u32_e32 vcc, 17, v73
	s_and_saveexec_b64 s[2:3], vcc
	s_cbranch_execz .LBB62_296
; %bb.293:
	v_cmp_ne_u32_e32 vcc, 17, v70
	s_xor_b64 s[14:15], s[6:7], -1
	s_and_b64 s[16:17], s[14:15], vcc
	s_and_saveexec_b64 s[14:15], s[16:17]
	s_cbranch_execz .LBB62_295
; %bb.294:
	v_ashrrev_i32_e32 v71, 31, v70
	v_lshlrev_b64 v[78:79], 2, v[70:71]
	v_add_co_u32_e32 v78, vcc, v4, v78
	v_addc_co_u32_e32 v79, vcc, v5, v79, vcc
	flat_load_dword v71, v[78:79]
	flat_load_dword v73, v[4:5] offset:68
	s_waitcnt vmcnt(0) lgkmcnt(0)
	flat_store_dword v[4:5], v71 offset:68
	flat_store_dword v[78:79], v73
.LBB62_295:
	s_or_b64 exec, exec, s[14:15]
	v_mov_b32_e32 v71, v70
	v_mov_b32_e32 v73, v70
.LBB62_296:
	s_or_b64 exec, exec, s[2:3]
.LBB62_297:
	s_andn2_saveexec_b64 s[0:1], s[0:1]
	s_cbranch_execz .LBB62_299
; %bb.298:
	v_mov_b32_e32 v78, v28
	v_mov_b32_e32 v79, v29
	v_mov_b32_e32 v80, v26
	v_mov_b32_e32 v81, v27
	ds_write2_b64 v72, v[78:79], v[80:81] offset0:18 offset1:19
	v_mov_b32_e32 v78, v24
	v_mov_b32_e32 v79, v25
	v_mov_b32_e32 v80, v22
	v_mov_b32_e32 v81, v23
	ds_write2_b64 v72, v[78:79], v[80:81] offset0:20 offset1:21
	;; [unrolled: 5-line block ×6, first 2 shown]
	v_mov_b32_e32 v78, v6
	v_mov_b32_e32 v79, v7
	;; [unrolled: 1-line block ×3, first 2 shown]
	ds_write2_b64 v72, v[78:79], v[66:67] offset0:30 offset1:31
.LBB62_299:
	s_or_b64 exec, exec, s[0:1]
	v_cmp_lt_i32_e32 vcc, 17, v73
	s_waitcnt lgkmcnt(0)
	s_barrier
	s_and_saveexec_b64 s[0:1], vcc
	s_cbranch_execz .LBB62_301
; %bb.300:
	ds_read2_b64 v[78:81], v72 offset0:18 offset1:19
	ds_read2_b64 v[82:85], v72 offset0:20 offset1:21
	v_mul_f64 v[30:31], v[68:69], v[30:31]
	ds_read2_b64 v[86:89], v72 offset0:22 offset1:23
	s_waitcnt lgkmcnt(0)
	v_fma_f64 v[28:29], -v[30:31], v[78:79], v[28:29]
	v_fma_f64 v[26:27], -v[30:31], v[80:81], v[26:27]
	ds_read2_b64 v[78:81], v72 offset0:24 offset1:25
	v_fma_f64 v[24:25], -v[30:31], v[82:83], v[24:25]
	v_fma_f64 v[22:23], -v[30:31], v[84:85], v[22:23]
	;; [unrolled: 1-line block ×4, first 2 shown]
	ds_read2_b64 v[82:85], v72 offset0:26 offset1:27
	ds_read2_b64 v[86:89], v72 offset0:28 offset1:29
	s_waitcnt lgkmcnt(0)
	v_fma_f64 v[16:17], -v[30:31], v[78:79], v[16:17]
	v_fma_f64 v[14:15], -v[30:31], v[80:81], v[14:15]
	ds_read2_b64 v[78:81], v72 offset0:30 offset1:31
	v_fma_f64 v[12:13], -v[30:31], v[82:83], v[12:13]
	v_fma_f64 v[10:11], -v[30:31], v[84:85], v[10:11]
	;; [unrolled: 1-line block ×4, first 2 shown]
	s_waitcnt lgkmcnt(0)
	v_fma_f64 v[6:7], -v[30:31], v[78:79], v[6:7]
	v_fma_f64 v[66:67], -v[30:31], v[80:81], v[66:67]
.LBB62_301:
	s_or_b64 exec, exec, s[0:1]
	v_lshl_add_u32 v68, v73, 3, v72
	s_barrier
	ds_write_b64 v68, v[28:29]
	s_waitcnt lgkmcnt(0)
	s_barrier
	ds_read_b64 v[68:69], v72 offset:144
	s_cmp_lt_i32 s18, 20
	v_mov_b32_e32 v70, 18
	s_cbranch_scc1 .LBB62_304
; %bb.302:
	v_add_u32_e32 v77, 0x98, v72
	s_mov_b32 s0, 19
	v_mov_b32_e32 v70, 18
.LBB62_303:                             ; =>This Inner Loop Header: Depth=1
	ds_read_b64 v[78:79], v77
	v_mov_b32_e32 v80, s0
	s_add_i32 s0, s0, 1
	v_add_u32_e32 v77, 8, v77
	s_cmp_lg_u32 s18, s0
	s_waitcnt lgkmcnt(0)
	v_cmp_lt_f64_e64 vcc, |v[68:69]|, |v[78:79]|
	v_cndmask_b32_e32 v69, v69, v79, vcc
	v_cndmask_b32_e32 v68, v68, v78, vcc
	;; [unrolled: 1-line block ×3, first 2 shown]
	s_cbranch_scc1 .LBB62_303
.LBB62_304:
	s_waitcnt lgkmcnt(0)
	v_cmp_eq_f64_e32 vcc, 0, v[68:69]
	s_and_saveexec_b64 s[0:1], vcc
	s_xor_b64 s[0:1], exec, s[0:1]
; %bb.305:
	v_cmp_ne_u32_e32 vcc, 0, v76
	v_cndmask_b32_e32 v76, 19, v76, vcc
; %bb.306:
	s_andn2_saveexec_b64 s[0:1], s[0:1]
; %bb.307:
	v_div_scale_f64 v[78:79], s[2:3], v[68:69], v[68:69], 1.0
	v_rcp_f64_e32 v[80:81], v[78:79]
	v_div_scale_f64 v[82:83], vcc, 1.0, v[68:69], 1.0
	v_fma_f64 v[84:85], -v[78:79], v[80:81], 1.0
	v_fmac_f64_e32 v[80:81], v[80:81], v[84:85]
	v_fma_f64 v[84:85], -v[78:79], v[80:81], 1.0
	v_fmac_f64_e32 v[80:81], v[80:81], v[84:85]
	v_mul_f64 v[84:85], v[82:83], v[80:81]
	v_fma_f64 v[78:79], -v[78:79], v[84:85], v[82:83]
	v_div_fmas_f64 v[78:79], v[78:79], v[80:81], v[84:85]
	v_div_fixup_f64 v[68:69], v[78:79], v[68:69], 1.0
; %bb.308:
	s_or_b64 exec, exec, s[0:1]
	v_cmp_ne_u32_e32 vcc, v73, v70
	s_and_saveexec_b64 s[0:1], vcc
	s_xor_b64 s[0:1], exec, s[0:1]
	s_cbranch_execz .LBB62_314
; %bb.309:
	v_cmp_eq_u32_e32 vcc, 18, v73
	s_and_saveexec_b64 s[2:3], vcc
	s_cbranch_execz .LBB62_313
; %bb.310:
	v_cmp_ne_u32_e32 vcc, 18, v70
	s_xor_b64 s[14:15], s[6:7], -1
	s_and_b64 s[16:17], s[14:15], vcc
	s_and_saveexec_b64 s[14:15], s[16:17]
	s_cbranch_execz .LBB62_312
; %bb.311:
	v_ashrrev_i32_e32 v71, 31, v70
	v_lshlrev_b64 v[78:79], 2, v[70:71]
	v_add_co_u32_e32 v78, vcc, v4, v78
	v_addc_co_u32_e32 v79, vcc, v5, v79, vcc
	flat_load_dword v71, v[78:79]
	flat_load_dword v73, v[4:5] offset:72
	s_waitcnt vmcnt(0) lgkmcnt(0)
	flat_store_dword v[4:5], v71 offset:72
	flat_store_dword v[78:79], v73
.LBB62_312:
	s_or_b64 exec, exec, s[14:15]
	v_mov_b32_e32 v71, v70
	v_mov_b32_e32 v73, v70
.LBB62_313:
	s_or_b64 exec, exec, s[2:3]
.LBB62_314:
	s_andn2_saveexec_b64 s[0:1], s[0:1]
	s_cbranch_execz .LBB62_316
; %bb.315:
	v_mov_b32_e32 v73, 18
	ds_write2_b64 v72, v[26:27], v[24:25] offset0:19 offset1:20
	ds_write2_b64 v72, v[22:23], v[20:21] offset0:21 offset1:22
	;; [unrolled: 1-line block ×6, first 2 shown]
	ds_write_b64 v72, v[66:67] offset:248
.LBB62_316:
	s_or_b64 exec, exec, s[0:1]
	v_cmp_lt_i32_e32 vcc, 18, v73
	s_waitcnt lgkmcnt(0)
	s_barrier
	s_and_saveexec_b64 s[0:1], vcc
	s_cbranch_execz .LBB62_318
; %bb.317:
	ds_read2_b64 v[78:81], v72 offset0:19 offset1:20
	ds_read2_b64 v[82:85], v72 offset0:21 offset1:22
	;; [unrolled: 1-line block ×3, first 2 shown]
	v_mul_f64 v[28:29], v[68:69], v[28:29]
	ds_read_b64 v[68:69], v72 offset:248
	s_waitcnt lgkmcnt(0)
	v_fma_f64 v[26:27], -v[28:29], v[78:79], v[26:27]
	v_fma_f64 v[24:25], -v[28:29], v[80:81], v[24:25]
	ds_read2_b64 v[78:81], v72 offset0:25 offset1:26
	v_fma_f64 v[22:23], -v[28:29], v[82:83], v[22:23]
	v_fma_f64 v[20:21], -v[28:29], v[84:85], v[20:21]
	;; [unrolled: 1-line block ×4, first 2 shown]
	ds_read2_b64 v[82:85], v72 offset0:27 offset1:28
	ds_read2_b64 v[86:89], v72 offset0:29 offset1:30
	s_waitcnt lgkmcnt(0)
	v_fma_f64 v[14:15], -v[28:29], v[78:79], v[14:15]
	v_fma_f64 v[12:13], -v[28:29], v[80:81], v[12:13]
	;; [unrolled: 1-line block ×7, first 2 shown]
.LBB62_318:
	s_or_b64 exec, exec, s[0:1]
	v_lshl_add_u32 v68, v73, 3, v72
	s_barrier
	ds_write_b64 v68, v[26:27]
	s_waitcnt lgkmcnt(0)
	s_barrier
	ds_read_b64 v[68:69], v72 offset:152
	s_cmp_lt_i32 s18, 21
	v_mov_b32_e32 v70, 19
	s_cbranch_scc1 .LBB62_321
; %bb.319:
	v_add_u32_e32 v77, 0xa0, v72
	s_mov_b32 s0, 20
	v_mov_b32_e32 v70, 19
.LBB62_320:                             ; =>This Inner Loop Header: Depth=1
	ds_read_b64 v[78:79], v77
	v_mov_b32_e32 v80, s0
	s_add_i32 s0, s0, 1
	v_add_u32_e32 v77, 8, v77
	s_cmp_lg_u32 s18, s0
	s_waitcnt lgkmcnt(0)
	v_cmp_lt_f64_e64 vcc, |v[68:69]|, |v[78:79]|
	v_cndmask_b32_e32 v69, v69, v79, vcc
	v_cndmask_b32_e32 v68, v68, v78, vcc
	;; [unrolled: 1-line block ×3, first 2 shown]
	s_cbranch_scc1 .LBB62_320
.LBB62_321:
	s_waitcnt lgkmcnt(0)
	v_cmp_eq_f64_e32 vcc, 0, v[68:69]
	s_and_saveexec_b64 s[0:1], vcc
	s_xor_b64 s[0:1], exec, s[0:1]
; %bb.322:
	v_cmp_ne_u32_e32 vcc, 0, v76
	v_cndmask_b32_e32 v76, 20, v76, vcc
; %bb.323:
	s_andn2_saveexec_b64 s[0:1], s[0:1]
; %bb.324:
	v_div_scale_f64 v[78:79], s[2:3], v[68:69], v[68:69], 1.0
	v_rcp_f64_e32 v[80:81], v[78:79]
	v_div_scale_f64 v[82:83], vcc, 1.0, v[68:69], 1.0
	v_fma_f64 v[84:85], -v[78:79], v[80:81], 1.0
	v_fmac_f64_e32 v[80:81], v[80:81], v[84:85]
	v_fma_f64 v[84:85], -v[78:79], v[80:81], 1.0
	v_fmac_f64_e32 v[80:81], v[80:81], v[84:85]
	v_mul_f64 v[84:85], v[82:83], v[80:81]
	v_fma_f64 v[78:79], -v[78:79], v[84:85], v[82:83]
	v_div_fmas_f64 v[78:79], v[78:79], v[80:81], v[84:85]
	v_div_fixup_f64 v[68:69], v[78:79], v[68:69], 1.0
; %bb.325:
	s_or_b64 exec, exec, s[0:1]
	v_cmp_ne_u32_e32 vcc, v73, v70
	s_and_saveexec_b64 s[0:1], vcc
	s_xor_b64 s[0:1], exec, s[0:1]
	s_cbranch_execz .LBB62_331
; %bb.326:
	v_cmp_eq_u32_e32 vcc, 19, v73
	s_and_saveexec_b64 s[2:3], vcc
	s_cbranch_execz .LBB62_330
; %bb.327:
	v_cmp_ne_u32_e32 vcc, 19, v70
	s_xor_b64 s[14:15], s[6:7], -1
	s_and_b64 s[16:17], s[14:15], vcc
	s_and_saveexec_b64 s[14:15], s[16:17]
	s_cbranch_execz .LBB62_329
; %bb.328:
	v_ashrrev_i32_e32 v71, 31, v70
	v_lshlrev_b64 v[78:79], 2, v[70:71]
	v_add_co_u32_e32 v78, vcc, v4, v78
	v_addc_co_u32_e32 v79, vcc, v5, v79, vcc
	flat_load_dword v71, v[78:79]
	flat_load_dword v73, v[4:5] offset:76
	s_waitcnt vmcnt(0) lgkmcnt(0)
	flat_store_dword v[4:5], v71 offset:76
	flat_store_dword v[78:79], v73
.LBB62_329:
	s_or_b64 exec, exec, s[14:15]
	v_mov_b32_e32 v71, v70
	v_mov_b32_e32 v73, v70
.LBB62_330:
	s_or_b64 exec, exec, s[2:3]
.LBB62_331:
	s_andn2_saveexec_b64 s[0:1], s[0:1]
	s_cbranch_execz .LBB62_333
; %bb.332:
	v_mov_b32_e32 v78, v24
	v_mov_b32_e32 v79, v25
	v_mov_b32_e32 v80, v22
	v_mov_b32_e32 v81, v23
	ds_write2_b64 v72, v[78:79], v[80:81] offset0:20 offset1:21
	v_mov_b32_e32 v78, v20
	v_mov_b32_e32 v79, v21
	v_mov_b32_e32 v80, v18
	v_mov_b32_e32 v81, v19
	ds_write2_b64 v72, v[78:79], v[80:81] offset0:22 offset1:23
	;; [unrolled: 5-line block ×5, first 2 shown]
	v_mov_b32_e32 v78, v6
	v_mov_b32_e32 v79, v7
	;; [unrolled: 1-line block ×3, first 2 shown]
	ds_write2_b64 v72, v[78:79], v[66:67] offset0:30 offset1:31
.LBB62_333:
	s_or_b64 exec, exec, s[0:1]
	v_cmp_lt_i32_e32 vcc, 19, v73
	s_waitcnt lgkmcnt(0)
	s_barrier
	s_and_saveexec_b64 s[0:1], vcc
	s_cbranch_execz .LBB62_335
; %bb.334:
	ds_read2_b64 v[78:81], v72 offset0:20 offset1:21
	ds_read2_b64 v[82:85], v72 offset0:22 offset1:23
	;; [unrolled: 1-line block ×3, first 2 shown]
	v_mul_f64 v[26:27], v[68:69], v[26:27]
	s_waitcnt lgkmcnt(0)
	v_fma_f64 v[24:25], -v[26:27], v[78:79], v[24:25]
	v_fma_f64 v[22:23], -v[26:27], v[80:81], v[22:23]
	ds_read2_b64 v[78:81], v72 offset0:26 offset1:27
	v_fma_f64 v[20:21], -v[26:27], v[82:83], v[20:21]
	v_fma_f64 v[18:19], -v[26:27], v[84:85], v[18:19]
	;; [unrolled: 1-line block ×3, first 2 shown]
	ds_read2_b64 v[82:85], v72 offset0:28 offset1:29
	v_fma_f64 v[14:15], -v[26:27], v[88:89], v[14:15]
	ds_read2_b64 v[86:89], v72 offset0:30 offset1:31
	s_waitcnt lgkmcnt(0)
	v_fma_f64 v[12:13], -v[26:27], v[78:79], v[12:13]
	v_fma_f64 v[10:11], -v[26:27], v[80:81], v[10:11]
	;; [unrolled: 1-line block ×6, first 2 shown]
.LBB62_335:
	s_or_b64 exec, exec, s[0:1]
	v_lshl_add_u32 v68, v73, 3, v72
	s_barrier
	ds_write_b64 v68, v[24:25]
	s_waitcnt lgkmcnt(0)
	s_barrier
	ds_read_b64 v[68:69], v72 offset:160
	s_cmp_lt_i32 s18, 22
	v_mov_b32_e32 v70, 20
	s_cbranch_scc1 .LBB62_338
; %bb.336:
	v_add_u32_e32 v77, 0xa8, v72
	s_mov_b32 s0, 21
	v_mov_b32_e32 v70, 20
.LBB62_337:                             ; =>This Inner Loop Header: Depth=1
	ds_read_b64 v[78:79], v77
	v_mov_b32_e32 v80, s0
	s_add_i32 s0, s0, 1
	v_add_u32_e32 v77, 8, v77
	s_cmp_lg_u32 s18, s0
	s_waitcnt lgkmcnt(0)
	v_cmp_lt_f64_e64 vcc, |v[68:69]|, |v[78:79]|
	v_cndmask_b32_e32 v69, v69, v79, vcc
	v_cndmask_b32_e32 v68, v68, v78, vcc
	;; [unrolled: 1-line block ×3, first 2 shown]
	s_cbranch_scc1 .LBB62_337
.LBB62_338:
	s_waitcnt lgkmcnt(0)
	v_cmp_eq_f64_e32 vcc, 0, v[68:69]
	s_and_saveexec_b64 s[0:1], vcc
	s_xor_b64 s[0:1], exec, s[0:1]
; %bb.339:
	v_cmp_ne_u32_e32 vcc, 0, v76
	v_cndmask_b32_e32 v76, 21, v76, vcc
; %bb.340:
	s_andn2_saveexec_b64 s[0:1], s[0:1]
; %bb.341:
	v_div_scale_f64 v[78:79], s[2:3], v[68:69], v[68:69], 1.0
	v_rcp_f64_e32 v[80:81], v[78:79]
	v_div_scale_f64 v[82:83], vcc, 1.0, v[68:69], 1.0
	v_fma_f64 v[84:85], -v[78:79], v[80:81], 1.0
	v_fmac_f64_e32 v[80:81], v[80:81], v[84:85]
	v_fma_f64 v[84:85], -v[78:79], v[80:81], 1.0
	v_fmac_f64_e32 v[80:81], v[80:81], v[84:85]
	v_mul_f64 v[84:85], v[82:83], v[80:81]
	v_fma_f64 v[78:79], -v[78:79], v[84:85], v[82:83]
	v_div_fmas_f64 v[78:79], v[78:79], v[80:81], v[84:85]
	v_div_fixup_f64 v[68:69], v[78:79], v[68:69], 1.0
; %bb.342:
	s_or_b64 exec, exec, s[0:1]
	v_cmp_ne_u32_e32 vcc, v73, v70
	s_and_saveexec_b64 s[0:1], vcc
	s_xor_b64 s[0:1], exec, s[0:1]
	s_cbranch_execz .LBB62_348
; %bb.343:
	v_cmp_eq_u32_e32 vcc, 20, v73
	s_and_saveexec_b64 s[2:3], vcc
	s_cbranch_execz .LBB62_347
; %bb.344:
	v_cmp_ne_u32_e32 vcc, 20, v70
	s_xor_b64 s[14:15], s[6:7], -1
	s_and_b64 s[16:17], s[14:15], vcc
	s_and_saveexec_b64 s[14:15], s[16:17]
	s_cbranch_execz .LBB62_346
; %bb.345:
	v_ashrrev_i32_e32 v71, 31, v70
	v_lshlrev_b64 v[78:79], 2, v[70:71]
	v_add_co_u32_e32 v78, vcc, v4, v78
	v_addc_co_u32_e32 v79, vcc, v5, v79, vcc
	flat_load_dword v71, v[78:79]
	flat_load_dword v73, v[4:5] offset:80
	s_waitcnt vmcnt(0) lgkmcnt(0)
	flat_store_dword v[4:5], v71 offset:80
	flat_store_dword v[78:79], v73
.LBB62_346:
	s_or_b64 exec, exec, s[14:15]
	v_mov_b32_e32 v71, v70
	v_mov_b32_e32 v73, v70
.LBB62_347:
	s_or_b64 exec, exec, s[2:3]
.LBB62_348:
	s_andn2_saveexec_b64 s[0:1], s[0:1]
	s_cbranch_execz .LBB62_350
; %bb.349:
	v_mov_b32_e32 v73, 20
	ds_write2_b64 v72, v[22:23], v[20:21] offset0:21 offset1:22
	ds_write2_b64 v72, v[18:19], v[16:17] offset0:23 offset1:24
	;; [unrolled: 1-line block ×5, first 2 shown]
	ds_write_b64 v72, v[66:67] offset:248
.LBB62_350:
	s_or_b64 exec, exec, s[0:1]
	v_cmp_lt_i32_e32 vcc, 20, v73
	s_waitcnt lgkmcnt(0)
	s_barrier
	s_and_saveexec_b64 s[0:1], vcc
	s_cbranch_execz .LBB62_352
; %bb.351:
	ds_read2_b64 v[78:81], v72 offset0:21 offset1:22
	ds_read2_b64 v[82:85], v72 offset0:23 offset1:24
	v_mul_f64 v[24:25], v[68:69], v[24:25]
	ds_read2_b64 v[86:89], v72 offset0:25 offset1:26
	ds_read_b64 v[68:69], v72 offset:248
	s_waitcnt lgkmcnt(0)
	v_fma_f64 v[22:23], -v[24:25], v[78:79], v[22:23]
	v_fma_f64 v[20:21], -v[24:25], v[80:81], v[20:21]
	ds_read2_b64 v[78:81], v72 offset0:27 offset1:28
	v_fma_f64 v[18:19], -v[24:25], v[82:83], v[18:19]
	v_fma_f64 v[16:17], -v[24:25], v[84:85], v[16:17]
	ds_read2_b64 v[82:85], v72 offset0:29 offset1:30
	v_fma_f64 v[14:15], -v[24:25], v[86:87], v[14:15]
	v_fma_f64 v[12:13], -v[24:25], v[88:89], v[12:13]
	s_waitcnt lgkmcnt(0)
	v_fma_f64 v[10:11], -v[24:25], v[78:79], v[10:11]
	v_fma_f64 v[8:9], -v[24:25], v[80:81], v[8:9]
	;; [unrolled: 1-line block ×5, first 2 shown]
.LBB62_352:
	s_or_b64 exec, exec, s[0:1]
	v_lshl_add_u32 v68, v73, 3, v72
	s_barrier
	ds_write_b64 v68, v[22:23]
	s_waitcnt lgkmcnt(0)
	s_barrier
	ds_read_b64 v[68:69], v72 offset:168
	s_cmp_lt_i32 s18, 23
	v_mov_b32_e32 v70, 21
	s_cbranch_scc1 .LBB62_355
; %bb.353:
	v_add_u32_e32 v77, 0xb0, v72
	s_mov_b32 s0, 22
	v_mov_b32_e32 v70, 21
.LBB62_354:                             ; =>This Inner Loop Header: Depth=1
	ds_read_b64 v[78:79], v77
	v_mov_b32_e32 v80, s0
	s_add_i32 s0, s0, 1
	v_add_u32_e32 v77, 8, v77
	s_cmp_lg_u32 s18, s0
	s_waitcnt lgkmcnt(0)
	v_cmp_lt_f64_e64 vcc, |v[68:69]|, |v[78:79]|
	v_cndmask_b32_e32 v69, v69, v79, vcc
	v_cndmask_b32_e32 v68, v68, v78, vcc
	;; [unrolled: 1-line block ×3, first 2 shown]
	s_cbranch_scc1 .LBB62_354
.LBB62_355:
	s_waitcnt lgkmcnt(0)
	v_cmp_eq_f64_e32 vcc, 0, v[68:69]
	s_and_saveexec_b64 s[0:1], vcc
	s_xor_b64 s[0:1], exec, s[0:1]
; %bb.356:
	v_cmp_ne_u32_e32 vcc, 0, v76
	v_cndmask_b32_e32 v76, 22, v76, vcc
; %bb.357:
	s_andn2_saveexec_b64 s[0:1], s[0:1]
; %bb.358:
	v_div_scale_f64 v[78:79], s[2:3], v[68:69], v[68:69], 1.0
	v_rcp_f64_e32 v[80:81], v[78:79]
	v_div_scale_f64 v[82:83], vcc, 1.0, v[68:69], 1.0
	v_fma_f64 v[84:85], -v[78:79], v[80:81], 1.0
	v_fmac_f64_e32 v[80:81], v[80:81], v[84:85]
	v_fma_f64 v[84:85], -v[78:79], v[80:81], 1.0
	v_fmac_f64_e32 v[80:81], v[80:81], v[84:85]
	v_mul_f64 v[84:85], v[82:83], v[80:81]
	v_fma_f64 v[78:79], -v[78:79], v[84:85], v[82:83]
	v_div_fmas_f64 v[78:79], v[78:79], v[80:81], v[84:85]
	v_div_fixup_f64 v[68:69], v[78:79], v[68:69], 1.0
; %bb.359:
	s_or_b64 exec, exec, s[0:1]
	v_cmp_ne_u32_e32 vcc, v73, v70
	s_and_saveexec_b64 s[0:1], vcc
	s_xor_b64 s[0:1], exec, s[0:1]
	s_cbranch_execz .LBB62_365
; %bb.360:
	v_cmp_eq_u32_e32 vcc, 21, v73
	s_and_saveexec_b64 s[2:3], vcc
	s_cbranch_execz .LBB62_364
; %bb.361:
	v_cmp_ne_u32_e32 vcc, 21, v70
	s_xor_b64 s[14:15], s[6:7], -1
	s_and_b64 s[16:17], s[14:15], vcc
	s_and_saveexec_b64 s[14:15], s[16:17]
	s_cbranch_execz .LBB62_363
; %bb.362:
	v_ashrrev_i32_e32 v71, 31, v70
	v_lshlrev_b64 v[78:79], 2, v[70:71]
	v_add_co_u32_e32 v78, vcc, v4, v78
	v_addc_co_u32_e32 v79, vcc, v5, v79, vcc
	flat_load_dword v71, v[78:79]
	flat_load_dword v73, v[4:5] offset:84
	s_waitcnt vmcnt(0) lgkmcnt(0)
	flat_store_dword v[4:5], v71 offset:84
	flat_store_dword v[78:79], v73
.LBB62_363:
	s_or_b64 exec, exec, s[14:15]
	v_mov_b32_e32 v71, v70
	v_mov_b32_e32 v73, v70
.LBB62_364:
	s_or_b64 exec, exec, s[2:3]
.LBB62_365:
	s_andn2_saveexec_b64 s[0:1], s[0:1]
	s_cbranch_execz .LBB62_367
; %bb.366:
	v_mov_b32_e32 v78, v20
	v_mov_b32_e32 v79, v21
	v_mov_b32_e32 v80, v18
	v_mov_b32_e32 v81, v19
	ds_write2_b64 v72, v[78:79], v[80:81] offset0:22 offset1:23
	v_mov_b32_e32 v78, v16
	v_mov_b32_e32 v79, v17
	v_mov_b32_e32 v80, v14
	v_mov_b32_e32 v81, v15
	ds_write2_b64 v72, v[78:79], v[80:81] offset0:24 offset1:25
	;; [unrolled: 5-line block ×4, first 2 shown]
	v_mov_b32_e32 v78, v6
	v_mov_b32_e32 v79, v7
	;; [unrolled: 1-line block ×3, first 2 shown]
	ds_write2_b64 v72, v[78:79], v[66:67] offset0:30 offset1:31
.LBB62_367:
	s_or_b64 exec, exec, s[0:1]
	v_cmp_lt_i32_e32 vcc, 21, v73
	s_waitcnt lgkmcnt(0)
	s_barrier
	s_and_saveexec_b64 s[0:1], vcc
	s_cbranch_execz .LBB62_369
; %bb.368:
	ds_read2_b64 v[78:81], v72 offset0:22 offset1:23
	ds_read2_b64 v[82:85], v72 offset0:24 offset1:25
	v_mul_f64 v[22:23], v[68:69], v[22:23]
	ds_read2_b64 v[86:89], v72 offset0:28 offset1:29
	s_waitcnt lgkmcnt(0)
	v_fma_f64 v[20:21], -v[22:23], v[78:79], v[20:21]
	v_fma_f64 v[18:19], -v[22:23], v[80:81], v[18:19]
	ds_read2_b64 v[78:81], v72 offset0:26 offset1:27
	v_fma_f64 v[16:17], -v[22:23], v[82:83], v[16:17]
	v_fma_f64 v[14:15], -v[22:23], v[84:85], v[14:15]
	ds_read2_b64 v[82:85], v72 offset0:30 offset1:31
	v_fma_f64 v[8:9], -v[22:23], v[86:87], v[8:9]
	s_waitcnt lgkmcnt(0)
	v_fma_f64 v[12:13], -v[22:23], v[78:79], v[12:13]
	v_fma_f64 v[10:11], -v[22:23], v[80:81], v[10:11]
	;; [unrolled: 1-line block ×5, first 2 shown]
.LBB62_369:
	s_or_b64 exec, exec, s[0:1]
	v_lshl_add_u32 v68, v73, 3, v72
	s_barrier
	ds_write_b64 v68, v[20:21]
	s_waitcnt lgkmcnt(0)
	s_barrier
	ds_read_b64 v[68:69], v72 offset:176
	s_cmp_lt_i32 s18, 24
	v_mov_b32_e32 v70, 22
	s_cbranch_scc1 .LBB62_372
; %bb.370:
	v_add_u32_e32 v77, 0xb8, v72
	s_mov_b32 s0, 23
	v_mov_b32_e32 v70, 22
.LBB62_371:                             ; =>This Inner Loop Header: Depth=1
	ds_read_b64 v[78:79], v77
	v_mov_b32_e32 v80, s0
	s_add_i32 s0, s0, 1
	v_add_u32_e32 v77, 8, v77
	s_cmp_lg_u32 s18, s0
	s_waitcnt lgkmcnt(0)
	v_cmp_lt_f64_e64 vcc, |v[68:69]|, |v[78:79]|
	v_cndmask_b32_e32 v69, v69, v79, vcc
	v_cndmask_b32_e32 v68, v68, v78, vcc
	;; [unrolled: 1-line block ×3, first 2 shown]
	s_cbranch_scc1 .LBB62_371
.LBB62_372:
	s_waitcnt lgkmcnt(0)
	v_cmp_eq_f64_e32 vcc, 0, v[68:69]
	s_and_saveexec_b64 s[0:1], vcc
	s_xor_b64 s[0:1], exec, s[0:1]
; %bb.373:
	v_cmp_ne_u32_e32 vcc, 0, v76
	v_cndmask_b32_e32 v76, 23, v76, vcc
; %bb.374:
	s_andn2_saveexec_b64 s[0:1], s[0:1]
; %bb.375:
	v_div_scale_f64 v[78:79], s[2:3], v[68:69], v[68:69], 1.0
	v_rcp_f64_e32 v[80:81], v[78:79]
	v_div_scale_f64 v[82:83], vcc, 1.0, v[68:69], 1.0
	v_fma_f64 v[84:85], -v[78:79], v[80:81], 1.0
	v_fmac_f64_e32 v[80:81], v[80:81], v[84:85]
	v_fma_f64 v[84:85], -v[78:79], v[80:81], 1.0
	v_fmac_f64_e32 v[80:81], v[80:81], v[84:85]
	v_mul_f64 v[84:85], v[82:83], v[80:81]
	v_fma_f64 v[78:79], -v[78:79], v[84:85], v[82:83]
	v_div_fmas_f64 v[78:79], v[78:79], v[80:81], v[84:85]
	v_div_fixup_f64 v[68:69], v[78:79], v[68:69], 1.0
; %bb.376:
	s_or_b64 exec, exec, s[0:1]
	v_cmp_ne_u32_e32 vcc, v73, v70
	s_and_saveexec_b64 s[0:1], vcc
	s_xor_b64 s[0:1], exec, s[0:1]
	s_cbranch_execz .LBB62_382
; %bb.377:
	v_cmp_eq_u32_e32 vcc, 22, v73
	s_and_saveexec_b64 s[2:3], vcc
	s_cbranch_execz .LBB62_381
; %bb.378:
	v_cmp_ne_u32_e32 vcc, 22, v70
	s_xor_b64 s[14:15], s[6:7], -1
	s_and_b64 s[16:17], s[14:15], vcc
	s_and_saveexec_b64 s[14:15], s[16:17]
	s_cbranch_execz .LBB62_380
; %bb.379:
	v_ashrrev_i32_e32 v71, 31, v70
	v_lshlrev_b64 v[78:79], 2, v[70:71]
	v_add_co_u32_e32 v78, vcc, v4, v78
	v_addc_co_u32_e32 v79, vcc, v5, v79, vcc
	flat_load_dword v71, v[78:79]
	flat_load_dword v73, v[4:5] offset:88
	s_waitcnt vmcnt(0) lgkmcnt(0)
	flat_store_dword v[4:5], v71 offset:88
	flat_store_dword v[78:79], v73
.LBB62_380:
	s_or_b64 exec, exec, s[14:15]
	v_mov_b32_e32 v71, v70
	v_mov_b32_e32 v73, v70
.LBB62_381:
	s_or_b64 exec, exec, s[2:3]
.LBB62_382:
	s_andn2_saveexec_b64 s[0:1], s[0:1]
	s_cbranch_execz .LBB62_384
; %bb.383:
	v_mov_b32_e32 v73, 22
	ds_write2_b64 v72, v[18:19], v[16:17] offset0:23 offset1:24
	ds_write2_b64 v72, v[14:15], v[12:13] offset0:25 offset1:26
	;; [unrolled: 1-line block ×4, first 2 shown]
	ds_write_b64 v72, v[66:67] offset:248
.LBB62_384:
	s_or_b64 exec, exec, s[0:1]
	v_cmp_lt_i32_e32 vcc, 22, v73
	s_waitcnt lgkmcnt(0)
	s_barrier
	s_and_saveexec_b64 s[0:1], vcc
	s_cbranch_execz .LBB62_386
; %bb.385:
	ds_read2_b64 v[78:81], v72 offset0:23 offset1:24
	ds_read2_b64 v[82:85], v72 offset0:25 offset1:26
	v_mul_f64 v[20:21], v[68:69], v[20:21]
	ds_read_b64 v[68:69], v72 offset:248
	ds_read2_b64 v[86:89], v72 offset0:29 offset1:30
	s_waitcnt lgkmcnt(0)
	v_fma_f64 v[18:19], -v[20:21], v[78:79], v[18:19]
	v_fma_f64 v[16:17], -v[20:21], v[80:81], v[16:17]
	ds_read2_b64 v[78:81], v72 offset0:27 offset1:28
	v_fma_f64 v[14:15], -v[20:21], v[82:83], v[14:15]
	v_fma_f64 v[12:13], -v[20:21], v[84:85], v[12:13]
	v_fma_f64 v[0:1], -v[20:21], v[86:87], v[0:1]
	v_fma_f64 v[6:7], -v[20:21], v[88:89], v[6:7]
	s_waitcnt lgkmcnt(0)
	v_fma_f64 v[10:11], -v[20:21], v[78:79], v[10:11]
	v_fma_f64 v[8:9], -v[20:21], v[80:81], v[8:9]
	;; [unrolled: 1-line block ×3, first 2 shown]
.LBB62_386:
	s_or_b64 exec, exec, s[0:1]
	v_lshl_add_u32 v68, v73, 3, v72
	s_barrier
	ds_write_b64 v68, v[18:19]
	s_waitcnt lgkmcnt(0)
	s_barrier
	ds_read_b64 v[68:69], v72 offset:184
	s_cmp_lt_i32 s18, 25
	v_mov_b32_e32 v70, 23
	s_cbranch_scc1 .LBB62_389
; %bb.387:
	v_add_u32_e32 v77, 0xc0, v72
	s_mov_b32 s0, 24
	v_mov_b32_e32 v70, 23
.LBB62_388:                             ; =>This Inner Loop Header: Depth=1
	ds_read_b64 v[78:79], v77
	v_mov_b32_e32 v80, s0
	s_add_i32 s0, s0, 1
	v_add_u32_e32 v77, 8, v77
	s_cmp_lg_u32 s18, s0
	s_waitcnt lgkmcnt(0)
	v_cmp_lt_f64_e64 vcc, |v[68:69]|, |v[78:79]|
	v_cndmask_b32_e32 v69, v69, v79, vcc
	v_cndmask_b32_e32 v68, v68, v78, vcc
	;; [unrolled: 1-line block ×3, first 2 shown]
	s_cbranch_scc1 .LBB62_388
.LBB62_389:
	s_waitcnt lgkmcnt(0)
	v_cmp_eq_f64_e32 vcc, 0, v[68:69]
	s_and_saveexec_b64 s[0:1], vcc
	s_xor_b64 s[0:1], exec, s[0:1]
; %bb.390:
	v_cmp_ne_u32_e32 vcc, 0, v76
	v_cndmask_b32_e32 v76, 24, v76, vcc
; %bb.391:
	s_andn2_saveexec_b64 s[0:1], s[0:1]
; %bb.392:
	v_div_scale_f64 v[78:79], s[2:3], v[68:69], v[68:69], 1.0
	v_rcp_f64_e32 v[80:81], v[78:79]
	v_div_scale_f64 v[82:83], vcc, 1.0, v[68:69], 1.0
	v_fma_f64 v[84:85], -v[78:79], v[80:81], 1.0
	v_fmac_f64_e32 v[80:81], v[80:81], v[84:85]
	v_fma_f64 v[84:85], -v[78:79], v[80:81], 1.0
	v_fmac_f64_e32 v[80:81], v[80:81], v[84:85]
	v_mul_f64 v[84:85], v[82:83], v[80:81]
	v_fma_f64 v[78:79], -v[78:79], v[84:85], v[82:83]
	v_div_fmas_f64 v[78:79], v[78:79], v[80:81], v[84:85]
	v_div_fixup_f64 v[68:69], v[78:79], v[68:69], 1.0
; %bb.393:
	s_or_b64 exec, exec, s[0:1]
	v_cmp_ne_u32_e32 vcc, v73, v70
	s_and_saveexec_b64 s[0:1], vcc
	s_xor_b64 s[0:1], exec, s[0:1]
	s_cbranch_execz .LBB62_399
; %bb.394:
	v_cmp_eq_u32_e32 vcc, 23, v73
	s_and_saveexec_b64 s[2:3], vcc
	s_cbranch_execz .LBB62_398
; %bb.395:
	v_cmp_ne_u32_e32 vcc, 23, v70
	s_xor_b64 s[14:15], s[6:7], -1
	s_and_b64 s[16:17], s[14:15], vcc
	s_and_saveexec_b64 s[14:15], s[16:17]
	s_cbranch_execz .LBB62_397
; %bb.396:
	v_ashrrev_i32_e32 v71, 31, v70
	v_lshlrev_b64 v[78:79], 2, v[70:71]
	v_add_co_u32_e32 v78, vcc, v4, v78
	v_addc_co_u32_e32 v79, vcc, v5, v79, vcc
	flat_load_dword v71, v[78:79]
	flat_load_dword v73, v[4:5] offset:92
	s_waitcnt vmcnt(0) lgkmcnt(0)
	flat_store_dword v[4:5], v71 offset:92
	flat_store_dword v[78:79], v73
.LBB62_397:
	s_or_b64 exec, exec, s[14:15]
	v_mov_b32_e32 v71, v70
	v_mov_b32_e32 v73, v70
.LBB62_398:
	s_or_b64 exec, exec, s[2:3]
.LBB62_399:
	s_andn2_saveexec_b64 s[0:1], s[0:1]
	s_cbranch_execz .LBB62_401
; %bb.400:
	v_mov_b32_e32 v78, v16
	v_mov_b32_e32 v79, v17
	v_mov_b32_e32 v80, v14
	v_mov_b32_e32 v81, v15
	ds_write2_b64 v72, v[78:79], v[80:81] offset0:24 offset1:25
	v_mov_b32_e32 v78, v12
	v_mov_b32_e32 v79, v13
	v_mov_b32_e32 v80, v10
	v_mov_b32_e32 v81, v11
	ds_write2_b64 v72, v[78:79], v[80:81] offset0:26 offset1:27
	v_mov_b32_e32 v78, v8
	v_mov_b32_e32 v79, v9
	v_mov_b32_e32 v80, v0
	v_mov_b32_e32 v81, v1
	ds_write2_b64 v72, v[78:79], v[80:81] offset0:28 offset1:29
	v_mov_b32_e32 v78, v6
	v_mov_b32_e32 v79, v7
	;; [unrolled: 1-line block ×3, first 2 shown]
	ds_write2_b64 v72, v[78:79], v[66:67] offset0:30 offset1:31
.LBB62_401:
	s_or_b64 exec, exec, s[0:1]
	v_cmp_lt_i32_e32 vcc, 23, v73
	s_waitcnt lgkmcnt(0)
	s_barrier
	s_and_saveexec_b64 s[0:1], vcc
	s_cbranch_execz .LBB62_403
; %bb.402:
	ds_read2_b64 v[78:81], v72 offset0:24 offset1:25
	ds_read2_b64 v[82:85], v72 offset0:26 offset1:27
	v_mul_f64 v[18:19], v[68:69], v[18:19]
	ds_read2_b64 v[86:89], v72 offset0:28 offset1:29
	s_waitcnt lgkmcnt(0)
	v_fma_f64 v[16:17], -v[18:19], v[78:79], v[16:17]
	v_fma_f64 v[14:15], -v[18:19], v[80:81], v[14:15]
	ds_read2_b64 v[78:81], v72 offset0:30 offset1:31
	v_fma_f64 v[12:13], -v[18:19], v[82:83], v[12:13]
	v_fma_f64 v[10:11], -v[18:19], v[84:85], v[10:11]
	;; [unrolled: 1-line block ×4, first 2 shown]
	s_waitcnt lgkmcnt(0)
	v_fma_f64 v[6:7], -v[18:19], v[78:79], v[6:7]
	v_fma_f64 v[66:67], -v[18:19], v[80:81], v[66:67]
.LBB62_403:
	s_or_b64 exec, exec, s[0:1]
	v_lshl_add_u32 v68, v73, 3, v72
	s_barrier
	ds_write_b64 v68, v[16:17]
	s_waitcnt lgkmcnt(0)
	s_barrier
	ds_read_b64 v[68:69], v72 offset:192
	s_cmp_lt_i32 s18, 26
	v_mov_b32_e32 v70, 24
	s_cbranch_scc1 .LBB62_406
; %bb.404:
	v_add_u32_e32 v77, 0xc8, v72
	s_mov_b32 s0, 25
	v_mov_b32_e32 v70, 24
.LBB62_405:                             ; =>This Inner Loop Header: Depth=1
	ds_read_b64 v[78:79], v77
	v_mov_b32_e32 v80, s0
	s_add_i32 s0, s0, 1
	v_add_u32_e32 v77, 8, v77
	s_cmp_lg_u32 s18, s0
	s_waitcnt lgkmcnt(0)
	v_cmp_lt_f64_e64 vcc, |v[68:69]|, |v[78:79]|
	v_cndmask_b32_e32 v69, v69, v79, vcc
	v_cndmask_b32_e32 v68, v68, v78, vcc
	;; [unrolled: 1-line block ×3, first 2 shown]
	s_cbranch_scc1 .LBB62_405
.LBB62_406:
	s_waitcnt lgkmcnt(0)
	v_cmp_eq_f64_e32 vcc, 0, v[68:69]
	s_and_saveexec_b64 s[0:1], vcc
	s_xor_b64 s[0:1], exec, s[0:1]
; %bb.407:
	v_cmp_ne_u32_e32 vcc, 0, v76
	v_cndmask_b32_e32 v76, 25, v76, vcc
; %bb.408:
	s_andn2_saveexec_b64 s[0:1], s[0:1]
; %bb.409:
	v_div_scale_f64 v[78:79], s[2:3], v[68:69], v[68:69], 1.0
	v_rcp_f64_e32 v[80:81], v[78:79]
	v_div_scale_f64 v[82:83], vcc, 1.0, v[68:69], 1.0
	v_fma_f64 v[84:85], -v[78:79], v[80:81], 1.0
	v_fmac_f64_e32 v[80:81], v[80:81], v[84:85]
	v_fma_f64 v[84:85], -v[78:79], v[80:81], 1.0
	v_fmac_f64_e32 v[80:81], v[80:81], v[84:85]
	v_mul_f64 v[84:85], v[82:83], v[80:81]
	v_fma_f64 v[78:79], -v[78:79], v[84:85], v[82:83]
	v_div_fmas_f64 v[78:79], v[78:79], v[80:81], v[84:85]
	v_div_fixup_f64 v[68:69], v[78:79], v[68:69], 1.0
; %bb.410:
	s_or_b64 exec, exec, s[0:1]
	v_cmp_ne_u32_e32 vcc, v73, v70
	s_and_saveexec_b64 s[0:1], vcc
	s_xor_b64 s[0:1], exec, s[0:1]
	s_cbranch_execz .LBB62_416
; %bb.411:
	v_cmp_eq_u32_e32 vcc, 24, v73
	s_and_saveexec_b64 s[2:3], vcc
	s_cbranch_execz .LBB62_415
; %bb.412:
	v_cmp_ne_u32_e32 vcc, 24, v70
	s_xor_b64 s[14:15], s[6:7], -1
	s_and_b64 s[16:17], s[14:15], vcc
	s_and_saveexec_b64 s[14:15], s[16:17]
	s_cbranch_execz .LBB62_414
; %bb.413:
	v_ashrrev_i32_e32 v71, 31, v70
	v_lshlrev_b64 v[78:79], 2, v[70:71]
	v_add_co_u32_e32 v78, vcc, v4, v78
	v_addc_co_u32_e32 v79, vcc, v5, v79, vcc
	flat_load_dword v71, v[78:79]
	flat_load_dword v73, v[4:5] offset:96
	s_waitcnt vmcnt(0) lgkmcnt(0)
	flat_store_dword v[4:5], v71 offset:96
	flat_store_dword v[78:79], v73
.LBB62_414:
	s_or_b64 exec, exec, s[14:15]
	v_mov_b32_e32 v71, v70
	v_mov_b32_e32 v73, v70
.LBB62_415:
	s_or_b64 exec, exec, s[2:3]
.LBB62_416:
	s_andn2_saveexec_b64 s[0:1], s[0:1]
	s_cbranch_execz .LBB62_418
; %bb.417:
	v_mov_b32_e32 v73, 24
	ds_write2_b64 v72, v[14:15], v[12:13] offset0:25 offset1:26
	ds_write2_b64 v72, v[10:11], v[8:9] offset0:27 offset1:28
	;; [unrolled: 1-line block ×3, first 2 shown]
	ds_write_b64 v72, v[66:67] offset:248
.LBB62_418:
	s_or_b64 exec, exec, s[0:1]
	v_cmp_lt_i32_e32 vcc, 24, v73
	s_waitcnt lgkmcnt(0)
	s_barrier
	s_and_saveexec_b64 s[0:1], vcc
	s_cbranch_execz .LBB62_420
; %bb.419:
	ds_read2_b64 v[78:81], v72 offset0:25 offset1:26
	ds_read2_b64 v[82:85], v72 offset0:27 offset1:28
	v_mul_f64 v[16:17], v[68:69], v[16:17]
	ds_read2_b64 v[86:89], v72 offset0:29 offset1:30
	ds_read_b64 v[68:69], v72 offset:248
	s_waitcnt lgkmcnt(0)
	v_fma_f64 v[14:15], -v[16:17], v[78:79], v[14:15]
	v_fma_f64 v[12:13], -v[16:17], v[80:81], v[12:13]
	;; [unrolled: 1-line block ×7, first 2 shown]
.LBB62_420:
	s_or_b64 exec, exec, s[0:1]
	v_lshl_add_u32 v68, v73, 3, v72
	s_barrier
	ds_write_b64 v68, v[14:15]
	s_waitcnt lgkmcnt(0)
	s_barrier
	ds_read_b64 v[68:69], v72 offset:200
	s_cmp_lt_i32 s18, 27
	v_mov_b32_e32 v70, 25
	s_cbranch_scc1 .LBB62_423
; %bb.421:
	v_add_u32_e32 v77, 0xd0, v72
	s_mov_b32 s0, 26
	v_mov_b32_e32 v70, 25
.LBB62_422:                             ; =>This Inner Loop Header: Depth=1
	ds_read_b64 v[78:79], v77
	v_mov_b32_e32 v80, s0
	s_add_i32 s0, s0, 1
	v_add_u32_e32 v77, 8, v77
	s_cmp_lg_u32 s18, s0
	s_waitcnt lgkmcnt(0)
	v_cmp_lt_f64_e64 vcc, |v[68:69]|, |v[78:79]|
	v_cndmask_b32_e32 v69, v69, v79, vcc
	v_cndmask_b32_e32 v68, v68, v78, vcc
	;; [unrolled: 1-line block ×3, first 2 shown]
	s_cbranch_scc1 .LBB62_422
.LBB62_423:
	s_waitcnt lgkmcnt(0)
	v_cmp_eq_f64_e32 vcc, 0, v[68:69]
	s_and_saveexec_b64 s[0:1], vcc
	s_xor_b64 s[0:1], exec, s[0:1]
; %bb.424:
	v_cmp_ne_u32_e32 vcc, 0, v76
	v_cndmask_b32_e32 v76, 26, v76, vcc
; %bb.425:
	s_andn2_saveexec_b64 s[0:1], s[0:1]
; %bb.426:
	v_div_scale_f64 v[78:79], s[2:3], v[68:69], v[68:69], 1.0
	v_rcp_f64_e32 v[80:81], v[78:79]
	v_div_scale_f64 v[82:83], vcc, 1.0, v[68:69], 1.0
	v_fma_f64 v[84:85], -v[78:79], v[80:81], 1.0
	v_fmac_f64_e32 v[80:81], v[80:81], v[84:85]
	v_fma_f64 v[84:85], -v[78:79], v[80:81], 1.0
	v_fmac_f64_e32 v[80:81], v[80:81], v[84:85]
	v_mul_f64 v[84:85], v[82:83], v[80:81]
	v_fma_f64 v[78:79], -v[78:79], v[84:85], v[82:83]
	v_div_fmas_f64 v[78:79], v[78:79], v[80:81], v[84:85]
	v_div_fixup_f64 v[68:69], v[78:79], v[68:69], 1.0
; %bb.427:
	s_or_b64 exec, exec, s[0:1]
	v_cmp_ne_u32_e32 vcc, v73, v70
	s_and_saveexec_b64 s[0:1], vcc
	s_xor_b64 s[0:1], exec, s[0:1]
	s_cbranch_execz .LBB62_433
; %bb.428:
	v_cmp_eq_u32_e32 vcc, 25, v73
	s_and_saveexec_b64 s[2:3], vcc
	s_cbranch_execz .LBB62_432
; %bb.429:
	v_cmp_ne_u32_e32 vcc, 25, v70
	s_xor_b64 s[14:15], s[6:7], -1
	s_and_b64 s[16:17], s[14:15], vcc
	s_and_saveexec_b64 s[14:15], s[16:17]
	s_cbranch_execz .LBB62_431
; %bb.430:
	v_ashrrev_i32_e32 v71, 31, v70
	v_lshlrev_b64 v[78:79], 2, v[70:71]
	v_add_co_u32_e32 v78, vcc, v4, v78
	v_addc_co_u32_e32 v79, vcc, v5, v79, vcc
	flat_load_dword v71, v[78:79]
	flat_load_dword v73, v[4:5] offset:100
	s_waitcnt vmcnt(0) lgkmcnt(0)
	flat_store_dword v[4:5], v71 offset:100
	flat_store_dword v[78:79], v73
.LBB62_431:
	s_or_b64 exec, exec, s[14:15]
	v_mov_b32_e32 v71, v70
	v_mov_b32_e32 v73, v70
.LBB62_432:
	s_or_b64 exec, exec, s[2:3]
.LBB62_433:
	s_andn2_saveexec_b64 s[0:1], s[0:1]
	s_cbranch_execz .LBB62_435
; %bb.434:
	v_mov_b32_e32 v78, v12
	v_mov_b32_e32 v79, v13
	;; [unrolled: 1-line block ×4, first 2 shown]
	ds_write2_b64 v72, v[78:79], v[80:81] offset0:26 offset1:27
	v_mov_b32_e32 v78, v8
	v_mov_b32_e32 v79, v9
	;; [unrolled: 1-line block ×4, first 2 shown]
	ds_write2_b64 v72, v[78:79], v[80:81] offset0:28 offset1:29
	v_mov_b32_e32 v78, v6
	v_mov_b32_e32 v79, v7
	;; [unrolled: 1-line block ×3, first 2 shown]
	ds_write2_b64 v72, v[78:79], v[66:67] offset0:30 offset1:31
.LBB62_435:
	s_or_b64 exec, exec, s[0:1]
	v_cmp_lt_i32_e32 vcc, 25, v73
	s_waitcnt lgkmcnt(0)
	s_barrier
	s_and_saveexec_b64 s[0:1], vcc
	s_cbranch_execz .LBB62_437
; %bb.436:
	ds_read2_b64 v[78:81], v72 offset0:26 offset1:27
	ds_read2_b64 v[82:85], v72 offset0:28 offset1:29
	ds_read2_b64 v[86:89], v72 offset0:30 offset1:31
	v_mul_f64 v[14:15], v[68:69], v[14:15]
	s_waitcnt lgkmcnt(0)
	v_fma_f64 v[12:13], -v[14:15], v[78:79], v[12:13]
	v_fma_f64 v[10:11], -v[14:15], v[80:81], v[10:11]
	;; [unrolled: 1-line block ×6, first 2 shown]
.LBB62_437:
	s_or_b64 exec, exec, s[0:1]
	v_lshl_add_u32 v68, v73, 3, v72
	s_barrier
	ds_write_b64 v68, v[12:13]
	s_waitcnt lgkmcnt(0)
	s_barrier
	ds_read_b64 v[68:69], v72 offset:208
	s_cmp_lt_i32 s18, 28
	v_mov_b32_e32 v70, 26
	s_cbranch_scc1 .LBB62_440
; %bb.438:
	v_add_u32_e32 v77, 0xd8, v72
	s_mov_b32 s0, 27
	v_mov_b32_e32 v70, 26
.LBB62_439:                             ; =>This Inner Loop Header: Depth=1
	ds_read_b64 v[78:79], v77
	v_mov_b32_e32 v80, s0
	s_add_i32 s0, s0, 1
	v_add_u32_e32 v77, 8, v77
	s_cmp_lg_u32 s18, s0
	s_waitcnt lgkmcnt(0)
	v_cmp_lt_f64_e64 vcc, |v[68:69]|, |v[78:79]|
	v_cndmask_b32_e32 v69, v69, v79, vcc
	v_cndmask_b32_e32 v68, v68, v78, vcc
	;; [unrolled: 1-line block ×3, first 2 shown]
	s_cbranch_scc1 .LBB62_439
.LBB62_440:
	s_waitcnt lgkmcnt(0)
	v_cmp_eq_f64_e32 vcc, 0, v[68:69]
	s_and_saveexec_b64 s[0:1], vcc
	s_xor_b64 s[0:1], exec, s[0:1]
; %bb.441:
	v_cmp_ne_u32_e32 vcc, 0, v76
	v_cndmask_b32_e32 v76, 27, v76, vcc
; %bb.442:
	s_andn2_saveexec_b64 s[0:1], s[0:1]
; %bb.443:
	v_div_scale_f64 v[78:79], s[2:3], v[68:69], v[68:69], 1.0
	v_rcp_f64_e32 v[80:81], v[78:79]
	v_div_scale_f64 v[82:83], vcc, 1.0, v[68:69], 1.0
	v_fma_f64 v[84:85], -v[78:79], v[80:81], 1.0
	v_fmac_f64_e32 v[80:81], v[80:81], v[84:85]
	v_fma_f64 v[84:85], -v[78:79], v[80:81], 1.0
	v_fmac_f64_e32 v[80:81], v[80:81], v[84:85]
	v_mul_f64 v[84:85], v[82:83], v[80:81]
	v_fma_f64 v[78:79], -v[78:79], v[84:85], v[82:83]
	v_div_fmas_f64 v[78:79], v[78:79], v[80:81], v[84:85]
	v_div_fixup_f64 v[68:69], v[78:79], v[68:69], 1.0
; %bb.444:
	s_or_b64 exec, exec, s[0:1]
	v_cmp_ne_u32_e32 vcc, v73, v70
	s_and_saveexec_b64 s[0:1], vcc
	s_xor_b64 s[0:1], exec, s[0:1]
	s_cbranch_execz .LBB62_450
; %bb.445:
	v_cmp_eq_u32_e32 vcc, 26, v73
	s_and_saveexec_b64 s[2:3], vcc
	s_cbranch_execz .LBB62_449
; %bb.446:
	v_cmp_ne_u32_e32 vcc, 26, v70
	s_xor_b64 s[14:15], s[6:7], -1
	s_and_b64 s[16:17], s[14:15], vcc
	s_and_saveexec_b64 s[14:15], s[16:17]
	s_cbranch_execz .LBB62_448
; %bb.447:
	v_ashrrev_i32_e32 v71, 31, v70
	v_lshlrev_b64 v[78:79], 2, v[70:71]
	v_add_co_u32_e32 v78, vcc, v4, v78
	v_addc_co_u32_e32 v79, vcc, v5, v79, vcc
	flat_load_dword v71, v[78:79]
	flat_load_dword v73, v[4:5] offset:104
	s_waitcnt vmcnt(0) lgkmcnt(0)
	flat_store_dword v[4:5], v71 offset:104
	flat_store_dword v[78:79], v73
.LBB62_448:
	s_or_b64 exec, exec, s[14:15]
	v_mov_b32_e32 v71, v70
	v_mov_b32_e32 v73, v70
.LBB62_449:
	s_or_b64 exec, exec, s[2:3]
.LBB62_450:
	s_andn2_saveexec_b64 s[0:1], s[0:1]
	s_cbranch_execz .LBB62_452
; %bb.451:
	v_mov_b32_e32 v73, 26
	ds_write2_b64 v72, v[10:11], v[8:9] offset0:27 offset1:28
	ds_write2_b64 v72, v[0:1], v[6:7] offset0:29 offset1:30
	ds_write_b64 v72, v[66:67] offset:248
.LBB62_452:
	s_or_b64 exec, exec, s[0:1]
	v_cmp_lt_i32_e32 vcc, 26, v73
	s_waitcnt lgkmcnt(0)
	s_barrier
	s_and_saveexec_b64 s[0:1], vcc
	s_cbranch_execz .LBB62_454
; %bb.453:
	ds_read2_b64 v[78:81], v72 offset0:27 offset1:28
	ds_read2_b64 v[82:85], v72 offset0:29 offset1:30
	v_mul_f64 v[12:13], v[68:69], v[12:13]
	ds_read_b64 v[68:69], v72 offset:248
	s_waitcnt lgkmcnt(0)
	v_fma_f64 v[10:11], -v[12:13], v[78:79], v[10:11]
	v_fma_f64 v[8:9], -v[12:13], v[80:81], v[8:9]
	;; [unrolled: 1-line block ×5, first 2 shown]
.LBB62_454:
	s_or_b64 exec, exec, s[0:1]
	v_lshl_add_u32 v68, v73, 3, v72
	s_barrier
	ds_write_b64 v68, v[10:11]
	s_waitcnt lgkmcnt(0)
	s_barrier
	ds_read_b64 v[68:69], v72 offset:216
	s_cmp_lt_i32 s18, 29
	v_mov_b32_e32 v70, 27
	s_cbranch_scc1 .LBB62_457
; %bb.455:
	v_add_u32_e32 v77, 0xe0, v72
	s_mov_b32 s0, 28
	v_mov_b32_e32 v70, 27
.LBB62_456:                             ; =>This Inner Loop Header: Depth=1
	ds_read_b64 v[78:79], v77
	v_mov_b32_e32 v80, s0
	s_add_i32 s0, s0, 1
	v_add_u32_e32 v77, 8, v77
	s_cmp_lg_u32 s18, s0
	s_waitcnt lgkmcnt(0)
	v_cmp_lt_f64_e64 vcc, |v[68:69]|, |v[78:79]|
	v_cndmask_b32_e32 v69, v69, v79, vcc
	v_cndmask_b32_e32 v68, v68, v78, vcc
	;; [unrolled: 1-line block ×3, first 2 shown]
	s_cbranch_scc1 .LBB62_456
.LBB62_457:
	s_waitcnt lgkmcnt(0)
	v_cmp_eq_f64_e32 vcc, 0, v[68:69]
	s_and_saveexec_b64 s[0:1], vcc
	s_xor_b64 s[0:1], exec, s[0:1]
; %bb.458:
	v_cmp_ne_u32_e32 vcc, 0, v76
	v_cndmask_b32_e32 v76, 28, v76, vcc
; %bb.459:
	s_andn2_saveexec_b64 s[0:1], s[0:1]
; %bb.460:
	v_div_scale_f64 v[78:79], s[2:3], v[68:69], v[68:69], 1.0
	v_rcp_f64_e32 v[80:81], v[78:79]
	v_div_scale_f64 v[82:83], vcc, 1.0, v[68:69], 1.0
	v_fma_f64 v[84:85], -v[78:79], v[80:81], 1.0
	v_fmac_f64_e32 v[80:81], v[80:81], v[84:85]
	v_fma_f64 v[84:85], -v[78:79], v[80:81], 1.0
	v_fmac_f64_e32 v[80:81], v[80:81], v[84:85]
	v_mul_f64 v[84:85], v[82:83], v[80:81]
	v_fma_f64 v[78:79], -v[78:79], v[84:85], v[82:83]
	v_div_fmas_f64 v[78:79], v[78:79], v[80:81], v[84:85]
	v_div_fixup_f64 v[68:69], v[78:79], v[68:69], 1.0
; %bb.461:
	s_or_b64 exec, exec, s[0:1]
	v_cmp_ne_u32_e32 vcc, v73, v70
	s_and_saveexec_b64 s[0:1], vcc
	s_xor_b64 s[0:1], exec, s[0:1]
	s_cbranch_execz .LBB62_467
; %bb.462:
	v_cmp_eq_u32_e32 vcc, 27, v73
	s_and_saveexec_b64 s[2:3], vcc
	s_cbranch_execz .LBB62_466
; %bb.463:
	v_cmp_ne_u32_e32 vcc, 27, v70
	s_xor_b64 s[14:15], s[6:7], -1
	s_and_b64 s[16:17], s[14:15], vcc
	s_and_saveexec_b64 s[14:15], s[16:17]
	s_cbranch_execz .LBB62_465
; %bb.464:
	v_ashrrev_i32_e32 v71, 31, v70
	v_lshlrev_b64 v[78:79], 2, v[70:71]
	v_add_co_u32_e32 v78, vcc, v4, v78
	v_addc_co_u32_e32 v79, vcc, v5, v79, vcc
	flat_load_dword v71, v[78:79]
	flat_load_dword v73, v[4:5] offset:108
	s_waitcnt vmcnt(0) lgkmcnt(0)
	flat_store_dword v[4:5], v71 offset:108
	flat_store_dword v[78:79], v73
.LBB62_465:
	s_or_b64 exec, exec, s[14:15]
	v_mov_b32_e32 v71, v70
	v_mov_b32_e32 v73, v70
.LBB62_466:
	s_or_b64 exec, exec, s[2:3]
.LBB62_467:
	s_andn2_saveexec_b64 s[0:1], s[0:1]
	s_cbranch_execz .LBB62_469
; %bb.468:
	v_mov_b32_e32 v78, v8
	v_mov_b32_e32 v79, v9
	v_mov_b32_e32 v80, v0
	v_mov_b32_e32 v81, v1
	ds_write2_b64 v72, v[78:79], v[80:81] offset0:28 offset1:29
	v_mov_b32_e32 v78, v6
	v_mov_b32_e32 v79, v7
	;; [unrolled: 1-line block ×3, first 2 shown]
	ds_write2_b64 v72, v[78:79], v[66:67] offset0:30 offset1:31
.LBB62_469:
	s_or_b64 exec, exec, s[0:1]
	v_cmp_lt_i32_e32 vcc, 27, v73
	s_waitcnt lgkmcnt(0)
	s_barrier
	s_and_saveexec_b64 s[0:1], vcc
	s_cbranch_execz .LBB62_471
; %bb.470:
	ds_read2_b64 v[78:81], v72 offset0:28 offset1:29
	ds_read2_b64 v[82:85], v72 offset0:30 offset1:31
	v_mul_f64 v[10:11], v[68:69], v[10:11]
	s_waitcnt lgkmcnt(0)
	v_fma_f64 v[8:9], -v[10:11], v[78:79], v[8:9]
	v_fma_f64 v[0:1], -v[10:11], v[80:81], v[0:1]
	;; [unrolled: 1-line block ×4, first 2 shown]
.LBB62_471:
	s_or_b64 exec, exec, s[0:1]
	v_lshl_add_u32 v68, v73, 3, v72
	s_barrier
	ds_write_b64 v68, v[8:9]
	s_waitcnt lgkmcnt(0)
	s_barrier
	ds_read_b64 v[68:69], v72 offset:224
	s_cmp_lt_i32 s18, 30
	v_mov_b32_e32 v70, 28
	s_cbranch_scc1 .LBB62_474
; %bb.472:
	v_add_u32_e32 v77, 0xe8, v72
	s_mov_b32 s0, 29
	v_mov_b32_e32 v70, 28
.LBB62_473:                             ; =>This Inner Loop Header: Depth=1
	ds_read_b64 v[78:79], v77
	v_mov_b32_e32 v80, s0
	s_add_i32 s0, s0, 1
	v_add_u32_e32 v77, 8, v77
	s_cmp_lg_u32 s18, s0
	s_waitcnt lgkmcnt(0)
	v_cmp_lt_f64_e64 vcc, |v[68:69]|, |v[78:79]|
	v_cndmask_b32_e32 v69, v69, v79, vcc
	v_cndmask_b32_e32 v68, v68, v78, vcc
	;; [unrolled: 1-line block ×3, first 2 shown]
	s_cbranch_scc1 .LBB62_473
.LBB62_474:
	s_waitcnt lgkmcnt(0)
	v_cmp_eq_f64_e32 vcc, 0, v[68:69]
	s_and_saveexec_b64 s[0:1], vcc
	s_xor_b64 s[0:1], exec, s[0:1]
; %bb.475:
	v_cmp_ne_u32_e32 vcc, 0, v76
	v_cndmask_b32_e32 v76, 29, v76, vcc
; %bb.476:
	s_andn2_saveexec_b64 s[0:1], s[0:1]
; %bb.477:
	v_div_scale_f64 v[78:79], s[2:3], v[68:69], v[68:69], 1.0
	v_rcp_f64_e32 v[80:81], v[78:79]
	v_div_scale_f64 v[82:83], vcc, 1.0, v[68:69], 1.0
	v_fma_f64 v[84:85], -v[78:79], v[80:81], 1.0
	v_fmac_f64_e32 v[80:81], v[80:81], v[84:85]
	v_fma_f64 v[84:85], -v[78:79], v[80:81], 1.0
	v_fmac_f64_e32 v[80:81], v[80:81], v[84:85]
	v_mul_f64 v[84:85], v[82:83], v[80:81]
	v_fma_f64 v[78:79], -v[78:79], v[84:85], v[82:83]
	v_div_fmas_f64 v[78:79], v[78:79], v[80:81], v[84:85]
	v_div_fixup_f64 v[68:69], v[78:79], v[68:69], 1.0
; %bb.478:
	s_or_b64 exec, exec, s[0:1]
	v_cmp_ne_u32_e32 vcc, v73, v70
	s_and_saveexec_b64 s[0:1], vcc
	s_xor_b64 s[0:1], exec, s[0:1]
	s_cbranch_execz .LBB62_484
; %bb.479:
	v_cmp_eq_u32_e32 vcc, 28, v73
	s_and_saveexec_b64 s[2:3], vcc
	s_cbranch_execz .LBB62_483
; %bb.480:
	v_cmp_ne_u32_e32 vcc, 28, v70
	s_xor_b64 s[14:15], s[6:7], -1
	s_and_b64 s[16:17], s[14:15], vcc
	s_and_saveexec_b64 s[14:15], s[16:17]
	s_cbranch_execz .LBB62_482
; %bb.481:
	v_ashrrev_i32_e32 v71, 31, v70
	v_lshlrev_b64 v[78:79], 2, v[70:71]
	v_add_co_u32_e32 v78, vcc, v4, v78
	v_addc_co_u32_e32 v79, vcc, v5, v79, vcc
	flat_load_dword v71, v[78:79]
	flat_load_dword v73, v[4:5] offset:112
	s_waitcnt vmcnt(0) lgkmcnt(0)
	flat_store_dword v[4:5], v71 offset:112
	flat_store_dword v[78:79], v73
.LBB62_482:
	s_or_b64 exec, exec, s[14:15]
	v_mov_b32_e32 v71, v70
	v_mov_b32_e32 v73, v70
.LBB62_483:
	s_or_b64 exec, exec, s[2:3]
.LBB62_484:
	s_andn2_saveexec_b64 s[0:1], s[0:1]
	s_cbranch_execz .LBB62_486
; %bb.485:
	v_mov_b32_e32 v73, 28
	ds_write2_b64 v72, v[0:1], v[6:7] offset0:29 offset1:30
	ds_write_b64 v72, v[66:67] offset:248
.LBB62_486:
	s_or_b64 exec, exec, s[0:1]
	v_cmp_lt_i32_e32 vcc, 28, v73
	s_waitcnt lgkmcnt(0)
	s_barrier
	s_and_saveexec_b64 s[0:1], vcc
	s_cbranch_execz .LBB62_488
; %bb.487:
	ds_read2_b64 v[78:81], v72 offset0:29 offset1:30
	ds_read_b64 v[82:83], v72 offset:248
	v_mul_f64 v[8:9], v[68:69], v[8:9]
	s_waitcnt lgkmcnt(0)
	v_fma_f64 v[0:1], -v[8:9], v[78:79], v[0:1]
	v_fma_f64 v[6:7], -v[8:9], v[80:81], v[6:7]
	;; [unrolled: 1-line block ×3, first 2 shown]
.LBB62_488:
	s_or_b64 exec, exec, s[0:1]
	v_lshl_add_u32 v68, v73, 3, v72
	s_barrier
	ds_write_b64 v68, v[0:1]
	s_waitcnt lgkmcnt(0)
	s_barrier
	ds_read_b64 v[68:69], v72 offset:232
	s_cmp_lt_i32 s18, 31
	v_mov_b32_e32 v70, 29
	s_cbranch_scc1 .LBB62_491
; %bb.489:
	v_add_u32_e32 v77, 0xf0, v72
	s_mov_b32 s0, 30
	v_mov_b32_e32 v70, 29
.LBB62_490:                             ; =>This Inner Loop Header: Depth=1
	ds_read_b64 v[78:79], v77
	v_mov_b32_e32 v80, s0
	s_add_i32 s0, s0, 1
	v_add_u32_e32 v77, 8, v77
	s_cmp_lg_u32 s18, s0
	s_waitcnt lgkmcnt(0)
	v_cmp_lt_f64_e64 vcc, |v[68:69]|, |v[78:79]|
	v_cndmask_b32_e32 v69, v69, v79, vcc
	v_cndmask_b32_e32 v68, v68, v78, vcc
	;; [unrolled: 1-line block ×3, first 2 shown]
	s_cbranch_scc1 .LBB62_490
.LBB62_491:
	s_waitcnt lgkmcnt(0)
	v_cmp_eq_f64_e32 vcc, 0, v[68:69]
	s_and_saveexec_b64 s[0:1], vcc
	s_xor_b64 s[0:1], exec, s[0:1]
; %bb.492:
	v_cmp_ne_u32_e32 vcc, 0, v76
	v_cndmask_b32_e32 v76, 30, v76, vcc
; %bb.493:
	s_andn2_saveexec_b64 s[0:1], s[0:1]
; %bb.494:
	v_div_scale_f64 v[78:79], s[2:3], v[68:69], v[68:69], 1.0
	v_rcp_f64_e32 v[80:81], v[78:79]
	v_div_scale_f64 v[82:83], vcc, 1.0, v[68:69], 1.0
	v_fma_f64 v[84:85], -v[78:79], v[80:81], 1.0
	v_fmac_f64_e32 v[80:81], v[80:81], v[84:85]
	v_fma_f64 v[84:85], -v[78:79], v[80:81], 1.0
	v_fmac_f64_e32 v[80:81], v[80:81], v[84:85]
	v_mul_f64 v[84:85], v[82:83], v[80:81]
	v_fma_f64 v[78:79], -v[78:79], v[84:85], v[82:83]
	v_div_fmas_f64 v[78:79], v[78:79], v[80:81], v[84:85]
	v_div_fixup_f64 v[68:69], v[78:79], v[68:69], 1.0
; %bb.495:
	s_or_b64 exec, exec, s[0:1]
	v_cmp_ne_u32_e32 vcc, v73, v70
	s_and_saveexec_b64 s[0:1], vcc
	s_xor_b64 s[0:1], exec, s[0:1]
	s_cbranch_execz .LBB62_501
; %bb.496:
	v_cmp_eq_u32_e32 vcc, 29, v73
	s_and_saveexec_b64 s[2:3], vcc
	s_cbranch_execz .LBB62_500
; %bb.497:
	v_cmp_ne_u32_e32 vcc, 29, v70
	s_xor_b64 s[14:15], s[6:7], -1
	s_and_b64 s[16:17], s[14:15], vcc
	s_and_saveexec_b64 s[14:15], s[16:17]
	s_cbranch_execz .LBB62_499
; %bb.498:
	v_ashrrev_i32_e32 v71, 31, v70
	v_lshlrev_b64 v[78:79], 2, v[70:71]
	v_add_co_u32_e32 v78, vcc, v4, v78
	v_addc_co_u32_e32 v79, vcc, v5, v79, vcc
	flat_load_dword v71, v[78:79]
	flat_load_dword v73, v[4:5] offset:116
	s_waitcnt vmcnt(0) lgkmcnt(0)
	flat_store_dword v[4:5], v71 offset:116
	flat_store_dword v[78:79], v73
.LBB62_499:
	s_or_b64 exec, exec, s[14:15]
	v_mov_b32_e32 v71, v70
	v_mov_b32_e32 v73, v70
.LBB62_500:
	s_or_b64 exec, exec, s[2:3]
.LBB62_501:
	s_andn2_saveexec_b64 s[0:1], s[0:1]
	s_cbranch_execz .LBB62_503
; %bb.502:
	v_mov_b32_e32 v78, v6
	v_mov_b32_e32 v79, v7
	;; [unrolled: 1-line block ×3, first 2 shown]
	ds_write2_b64 v72, v[78:79], v[66:67] offset0:30 offset1:31
.LBB62_503:
	s_or_b64 exec, exec, s[0:1]
	v_cmp_lt_i32_e32 vcc, 29, v73
	s_waitcnt lgkmcnt(0)
	s_barrier
	s_and_saveexec_b64 s[0:1], vcc
	s_cbranch_execz .LBB62_505
; %bb.504:
	ds_read2_b64 v[78:81], v72 offset0:30 offset1:31
	v_mul_f64 v[0:1], v[68:69], v[0:1]
	s_waitcnt lgkmcnt(0)
	v_fma_f64 v[6:7], -v[0:1], v[78:79], v[6:7]
	v_fma_f64 v[66:67], -v[0:1], v[80:81], v[66:67]
.LBB62_505:
	s_or_b64 exec, exec, s[0:1]
	v_lshl_add_u32 v68, v73, 3, v72
	s_barrier
	ds_write_b64 v68, v[6:7]
	s_waitcnt lgkmcnt(0)
	s_barrier
	ds_read_b64 v[68:69], v72 offset:240
	s_cmp_lt_i32 s18, 32
	v_mov_b32_e32 v70, 30
	s_cbranch_scc1 .LBB62_508
; %bb.506:
	v_add_u32_e32 v77, 0xf8, v72
	s_mov_b32 s0, 31
	v_mov_b32_e32 v70, 30
.LBB62_507:                             ; =>This Inner Loop Header: Depth=1
	ds_read_b64 v[78:79], v77
	v_mov_b32_e32 v80, s0
	s_add_i32 s0, s0, 1
	v_add_u32_e32 v77, 8, v77
	s_cmp_lg_u32 s18, s0
	s_waitcnt lgkmcnt(0)
	v_cmp_lt_f64_e64 vcc, |v[68:69]|, |v[78:79]|
	v_cndmask_b32_e32 v69, v69, v79, vcc
	v_cndmask_b32_e32 v68, v68, v78, vcc
	;; [unrolled: 1-line block ×3, first 2 shown]
	s_cbranch_scc1 .LBB62_507
.LBB62_508:
	s_waitcnt lgkmcnt(0)
	v_cmp_eq_f64_e32 vcc, 0, v[68:69]
	s_and_saveexec_b64 s[0:1], vcc
	s_xor_b64 s[0:1], exec, s[0:1]
; %bb.509:
	v_cmp_ne_u32_e32 vcc, 0, v76
	v_cndmask_b32_e32 v76, 31, v76, vcc
; %bb.510:
	s_andn2_saveexec_b64 s[0:1], s[0:1]
; %bb.511:
	v_div_scale_f64 v[78:79], s[2:3], v[68:69], v[68:69], 1.0
	v_rcp_f64_e32 v[80:81], v[78:79]
	v_div_scale_f64 v[82:83], vcc, 1.0, v[68:69], 1.0
	v_fma_f64 v[84:85], -v[78:79], v[80:81], 1.0
	v_fmac_f64_e32 v[80:81], v[80:81], v[84:85]
	v_fma_f64 v[84:85], -v[78:79], v[80:81], 1.0
	v_fmac_f64_e32 v[80:81], v[80:81], v[84:85]
	v_mul_f64 v[84:85], v[82:83], v[80:81]
	v_fma_f64 v[78:79], -v[78:79], v[84:85], v[82:83]
	v_div_fmas_f64 v[78:79], v[78:79], v[80:81], v[84:85]
	v_div_fixup_f64 v[68:69], v[78:79], v[68:69], 1.0
; %bb.512:
	s_or_b64 exec, exec, s[0:1]
	v_cmp_ne_u32_e32 vcc, v73, v70
	s_and_saveexec_b64 s[0:1], vcc
	s_xor_b64 s[0:1], exec, s[0:1]
	s_cbranch_execz .LBB62_518
; %bb.513:
	v_cmp_eq_u32_e32 vcc, 30, v73
	s_and_saveexec_b64 s[2:3], vcc
	s_cbranch_execz .LBB62_517
; %bb.514:
	v_cmp_ne_u32_e32 vcc, 30, v70
	s_xor_b64 s[14:15], s[6:7], -1
	s_and_b64 s[16:17], s[14:15], vcc
	s_and_saveexec_b64 s[14:15], s[16:17]
	s_cbranch_execz .LBB62_516
; %bb.515:
	v_ashrrev_i32_e32 v71, 31, v70
	v_lshlrev_b64 v[78:79], 2, v[70:71]
	v_add_co_u32_e32 v78, vcc, v4, v78
	v_addc_co_u32_e32 v79, vcc, v5, v79, vcc
	flat_load_dword v71, v[78:79]
	flat_load_dword v73, v[4:5] offset:120
	s_waitcnt vmcnt(0) lgkmcnt(0)
	flat_store_dword v[4:5], v71 offset:120
	flat_store_dword v[78:79], v73
.LBB62_516:
	s_or_b64 exec, exec, s[14:15]
	v_mov_b32_e32 v71, v70
	v_mov_b32_e32 v73, v70
.LBB62_517:
	s_or_b64 exec, exec, s[2:3]
.LBB62_518:
	s_andn2_saveexec_b64 s[0:1], s[0:1]
	s_cbranch_execz .LBB62_520
; %bb.519:
	v_mov_b32_e32 v73, 30
	ds_write_b64 v72, v[66:67] offset:248
.LBB62_520:
	s_or_b64 exec, exec, s[0:1]
	v_cmp_lt_i32_e32 vcc, 30, v73
	s_waitcnt lgkmcnt(0)
	s_barrier
	s_and_saveexec_b64 s[0:1], vcc
	s_cbranch_execz .LBB62_522
; %bb.521:
	ds_read_b64 v[78:79], v72 offset:248
	v_mul_f64 v[6:7], v[68:69], v[6:7]
	s_waitcnt lgkmcnt(0)
	v_fma_f64 v[66:67], -v[6:7], v[78:79], v[66:67]
.LBB62_522:
	s_or_b64 exec, exec, s[0:1]
	v_lshl_add_u32 v68, v73, 3, v72
	s_barrier
	ds_write_b64 v68, v[66:67]
	s_waitcnt lgkmcnt(0)
	s_barrier
	ds_read_b64 v[68:69], v72 offset:248
	s_cmp_lt_i32 s18, 33
	v_mov_b32_e32 v70, 31
	s_cbranch_scc1 .LBB62_525
; %bb.523:
	v_add_u32_e32 v72, 0x100, v72
	s_mov_b32 s0, 32
	v_mov_b32_e32 v70, 31
.LBB62_524:                             ; =>This Inner Loop Header: Depth=1
	ds_read_b64 v[78:79], v72
	v_mov_b32_e32 v77, s0
	s_add_i32 s0, s0, 1
	v_add_u32_e32 v72, 8, v72
	s_cmp_lg_u32 s18, s0
	s_waitcnt lgkmcnt(0)
	v_cmp_lt_f64_e64 vcc, |v[68:69]|, |v[78:79]|
	v_cndmask_b32_e32 v69, v69, v79, vcc
	v_cndmask_b32_e32 v68, v68, v78, vcc
	;; [unrolled: 1-line block ×3, first 2 shown]
	s_cbranch_scc1 .LBB62_524
.LBB62_525:
	s_waitcnt lgkmcnt(0)
	v_cmp_eq_f64_e32 vcc, 0, v[68:69]
	s_and_saveexec_b64 s[0:1], vcc
	s_xor_b64 s[0:1], exec, s[0:1]
; %bb.526:
	v_cmp_ne_u32_e32 vcc, 0, v76
	v_cndmask_b32_e32 v76, 32, v76, vcc
; %bb.527:
	s_andn2_saveexec_b64 s[0:1], s[0:1]
; %bb.528:
	v_div_scale_f64 v[78:79], s[2:3], v[68:69], v[68:69], 1.0
	v_rcp_f64_e32 v[80:81], v[78:79]
	v_div_scale_f64 v[82:83], vcc, 1.0, v[68:69], 1.0
	v_fma_f64 v[84:85], -v[78:79], v[80:81], 1.0
	v_fmac_f64_e32 v[80:81], v[80:81], v[84:85]
	v_fma_f64 v[84:85], -v[78:79], v[80:81], 1.0
	v_fmac_f64_e32 v[80:81], v[80:81], v[84:85]
	v_mul_f64 v[84:85], v[82:83], v[80:81]
	v_fma_f64 v[78:79], -v[78:79], v[84:85], v[82:83]
	v_div_fmas_f64 v[78:79], v[78:79], v[80:81], v[84:85]
	v_div_fixup_f64 v[68:69], v[78:79], v[68:69], 1.0
; %bb.529:
	s_or_b64 exec, exec, s[0:1]
	v_cmp_ne_u32_e32 vcc, v73, v70
	v_mov_b32_e32 v72, 31
	s_and_saveexec_b64 s[0:1], vcc
	s_cbranch_execz .LBB62_535
; %bb.530:
	v_cmp_eq_u32_e32 vcc, 31, v73
	s_and_saveexec_b64 s[2:3], vcc
	s_cbranch_execz .LBB62_534
; %bb.531:
	v_cmp_ne_u32_e32 vcc, 31, v70
	s_xor_b64 s[6:7], s[6:7], -1
	s_and_b64 s[14:15], s[6:7], vcc
	s_and_saveexec_b64 s[6:7], s[14:15]
	s_cbranch_execz .LBB62_533
; %bb.532:
	v_ashrrev_i32_e32 v71, 31, v70
	v_lshlrev_b64 v[72:73], 2, v[70:71]
	v_add_co_u32_e32 v72, vcc, v4, v72
	v_addc_co_u32_e32 v73, vcc, v5, v73, vcc
	flat_load_dword v71, v[72:73]
	flat_load_dword v77, v[4:5] offset:124
	s_waitcnt vmcnt(0) lgkmcnt(0)
	flat_store_dword v[4:5], v71 offset:124
	flat_store_dword v[72:73], v77
.LBB62_533:
	s_or_b64 exec, exec, s[6:7]
	v_mov_b32_e32 v71, v70
	v_mov_b32_e32 v73, v70
.LBB62_534:
	s_or_b64 exec, exec, s[2:3]
	v_mov_b32_e32 v72, v73
.LBB62_535:
	s_or_b64 exec, exec, s[0:1]
	s_load_dwordx8 s[0:7], s[4:5], 0x28
	v_cmp_gt_i32_e32 vcc, 32, v72
	v_ashrrev_i32_e32 v73, 31, v72
	s_waitcnt lgkmcnt(0)
	s_barrier
	s_barrier
	s_and_saveexec_b64 s[14:15], vcc
	s_cbranch_execz .LBB62_537
; %bb.536:
	v_mul_lo_u32 v70, v3, s4
	v_mul_lo_u32 v77, v2, s5
	v_mad_u64_u32 v[4:5], s[4:5], v2, s4, 0
	s_lshl_b64 s[2:3], s[2:3], 2
	v_add3_u32 v5, v5, v77, v70
	s_add_u32 s0, s2, s0
	v_lshlrev_b64 v[4:5], 2, v[4:5]
	s_addc_u32 s1, s3, s1
	v_mov_b32_e32 v70, s1
	v_add_co_u32_e32 v77, vcc, s0, v4
	v_addc_co_u32_e32 v70, vcc, v70, v5, vcc
	v_lshlrev_b64 v[4:5], 2, v[72:73]
	v_add_co_u32_e32 v4, vcc, v77, v4
	v_addc_co_u32_e32 v5, vcc, v70, v5, vcc
	v_add3_u32 v70, v71, s13, 1
	global_store_dword v[4:5], v70, off
.LBB62_537:
	s_or_b64 exec, exec, s[14:15]
	v_cmp_eq_u32_e32 vcc, 0, v72
	s_and_saveexec_b64 s[2:3], vcc
	s_cbranch_execz .LBB62_540
; %bb.538:
	v_lshlrev_b64 v[2:3], 2, v[2:3]
	v_mov_b32_e32 v4, s7
	v_add_co_u32_e32 v2, vcc, s6, v2
	v_addc_co_u32_e32 v3, vcc, v4, v3, vcc
	global_load_dword v4, v[2:3], off
	v_cmp_lt_i32_e64 s[0:1], 0, v76
	s_waitcnt vmcnt(0)
	v_cmp_eq_u32_e32 vcc, 0, v4
	s_and_b64 s[0:1], vcc, s[0:1]
	s_and_b64 exec, exec, s[0:1]
	s_cbranch_execz .LBB62_540
; %bb.539:
	v_add_u32_e32 v4, s13, v76
	global_store_dword v[2:3], v4, off
.LBB62_540:
	s_or_b64 exec, exec, s[2:3]
	v_mul_f64 v[2:3], v[68:69], v[66:67]
	v_cmp_lt_i32_e32 vcc, 31, v72
	v_lshlrev_b64 v[4:5], 3, v[72:73]
	v_cndmask_b32_e32 v3, v67, v3, vcc
	v_cndmask_b32_e32 v2, v66, v2, vcc
	v_add_co_u32_e32 v4, vcc, v74, v4
	v_addc_co_u32_e32 v5, vcc, v75, v5, vcc
	global_store_dwordx2 v[4:5], v[64:65], off
	v_mov_b32_e32 v64, s11
	v_add_co_u32_e32 v4, vcc, s10, v4
	v_addc_co_u32_e32 v5, vcc, v5, v64, vcc
	global_store_dwordx2 v[4:5], v[62:63], off
	v_add_u32_e32 v4, s12, v72
	v_ashrrev_i32_e32 v5, 31, v4
	v_lshlrev_b64 v[62:63], 3, v[4:5]
	v_add_co_u32_e32 v62, vcc, v74, v62
	v_add_u32_e32 v4, s8, v4
	v_addc_co_u32_e32 v63, vcc, v75, v63, vcc
	v_ashrrev_i32_e32 v5, 31, v4
	global_store_dwordx2 v[62:63], v[60:61], off
	v_lshlrev_b64 v[60:61], 3, v[4:5]
	v_add_co_u32_e32 v60, vcc, v74, v60
	v_add_u32_e32 v4, s8, v4
	v_addc_co_u32_e32 v61, vcc, v75, v61, vcc
	v_ashrrev_i32_e32 v5, 31, v4
	global_store_dwordx2 v[60:61], v[58:59], off
	;; [unrolled: 6-line block ×27, first 2 shown]
	v_lshlrev_b64 v[8:9], 3, v[4:5]
	v_add_co_u32_e32 v8, vcc, v74, v8
	v_addc_co_u32_e32 v9, vcc, v75, v9, vcc
	global_store_dwordx2 v[8:9], v[0:1], off
	v_add_u32_e32 v0, s8, v4
	v_ashrrev_i32_e32 v1, 31, v0
	v_lshlrev_b64 v[4:5], 3, v[0:1]
	v_add_u32_e32 v0, s8, v0
	v_add_co_u32_e32 v4, vcc, v74, v4
	v_ashrrev_i32_e32 v1, 31, v0
	v_addc_co_u32_e32 v5, vcc, v75, v5, vcc
	v_lshlrev_b64 v[0:1], 3, v[0:1]
	v_add_co_u32_e32 v0, vcc, v74, v0
	v_addc_co_u32_e32 v1, vcc, v75, v1, vcc
	global_store_dwordx2 v[4:5], v[6:7], off
	global_store_dwordx2 v[0:1], v[2:3], off
.LBB62_541:
	s_endpgm
	.section	.rodata,"a",@progbits
	.p2align	6, 0x0
	.amdhsa_kernel _ZN9rocsolver6v33100L18getf2_small_kernelILi32EdiiPKPdEEvT1_T3_lS5_lPS5_llPT2_S5_S5_S7_l
		.amdhsa_group_segment_fixed_size 0
		.amdhsa_private_segment_fixed_size 0
		.amdhsa_kernarg_size 352
		.amdhsa_user_sgpr_count 6
		.amdhsa_user_sgpr_private_segment_buffer 1
		.amdhsa_user_sgpr_dispatch_ptr 0
		.amdhsa_user_sgpr_queue_ptr 0
		.amdhsa_user_sgpr_kernarg_segment_ptr 1
		.amdhsa_user_sgpr_dispatch_id 0
		.amdhsa_user_sgpr_flat_scratch_init 0
		.amdhsa_user_sgpr_kernarg_preload_length 0
		.amdhsa_user_sgpr_kernarg_preload_offset 0
		.amdhsa_user_sgpr_private_segment_size 0
		.amdhsa_uses_dynamic_stack 0
		.amdhsa_system_sgpr_private_segment_wavefront_offset 0
		.amdhsa_system_sgpr_workgroup_id_x 1
		.amdhsa_system_sgpr_workgroup_id_y 1
		.amdhsa_system_sgpr_workgroup_id_z 0
		.amdhsa_system_sgpr_workgroup_info 0
		.amdhsa_system_vgpr_workitem_id 1
		.amdhsa_next_free_vgpr 106
		.amdhsa_next_free_sgpr 22
		.amdhsa_accum_offset 108
		.amdhsa_reserve_vcc 1
		.amdhsa_reserve_flat_scratch 0
		.amdhsa_float_round_mode_32 0
		.amdhsa_float_round_mode_16_64 0
		.amdhsa_float_denorm_mode_32 3
		.amdhsa_float_denorm_mode_16_64 3
		.amdhsa_dx10_clamp 1
		.amdhsa_ieee_mode 1
		.amdhsa_fp16_overflow 0
		.amdhsa_tg_split 0
		.amdhsa_exception_fp_ieee_invalid_op 0
		.amdhsa_exception_fp_denorm_src 0
		.amdhsa_exception_fp_ieee_div_zero 0
		.amdhsa_exception_fp_ieee_overflow 0
		.amdhsa_exception_fp_ieee_underflow 0
		.amdhsa_exception_fp_ieee_inexact 0
		.amdhsa_exception_int_div_zero 0
	.end_amdhsa_kernel
	.section	.text._ZN9rocsolver6v33100L18getf2_small_kernelILi32EdiiPKPdEEvT1_T3_lS5_lPS5_llPT2_S5_S5_S7_l,"axG",@progbits,_ZN9rocsolver6v33100L18getf2_small_kernelILi32EdiiPKPdEEvT1_T3_lS5_lPS5_llPT2_S5_S5_S7_l,comdat
.Lfunc_end62:
	.size	_ZN9rocsolver6v33100L18getf2_small_kernelILi32EdiiPKPdEEvT1_T3_lS5_lPS5_llPT2_S5_S5_S7_l, .Lfunc_end62-_ZN9rocsolver6v33100L18getf2_small_kernelILi32EdiiPKPdEEvT1_T3_lS5_lPS5_llPT2_S5_S5_S7_l
                                        ; -- End function
	.section	.AMDGPU.csdata,"",@progbits
; Kernel info:
; codeLenInByte = 25308
; NumSgprs: 26
; NumVgprs: 106
; NumAgprs: 0
; TotalNumVgprs: 106
; ScratchSize: 0
; MemoryBound: 0
; FloatMode: 240
; IeeeMode: 1
; LDSByteSize: 0 bytes/workgroup (compile time only)
; SGPRBlocks: 3
; VGPRBlocks: 13
; NumSGPRsForWavesPerEU: 26
; NumVGPRsForWavesPerEU: 106
; AccumOffset: 108
; Occupancy: 4
; WaveLimiterHint : 1
; COMPUTE_PGM_RSRC2:SCRATCH_EN: 0
; COMPUTE_PGM_RSRC2:USER_SGPR: 6
; COMPUTE_PGM_RSRC2:TRAP_HANDLER: 0
; COMPUTE_PGM_RSRC2:TGID_X_EN: 1
; COMPUTE_PGM_RSRC2:TGID_Y_EN: 1
; COMPUTE_PGM_RSRC2:TGID_Z_EN: 0
; COMPUTE_PGM_RSRC2:TIDIG_COMP_CNT: 1
; COMPUTE_PGM_RSRC3_GFX90A:ACCUM_OFFSET: 26
; COMPUTE_PGM_RSRC3_GFX90A:TG_SPLIT: 0
	.section	.text._ZN9rocsolver6v33100L23getf2_npvt_small_kernelILi32EdiiPKPdEEvT1_T3_lS5_lPT2_S5_S5_,"axG",@progbits,_ZN9rocsolver6v33100L23getf2_npvt_small_kernelILi32EdiiPKPdEEvT1_T3_lS5_lPT2_S5_S5_,comdat
	.globl	_ZN9rocsolver6v33100L23getf2_npvt_small_kernelILi32EdiiPKPdEEvT1_T3_lS5_lPT2_S5_S5_ ; -- Begin function _ZN9rocsolver6v33100L23getf2_npvt_small_kernelILi32EdiiPKPdEEvT1_T3_lS5_lPT2_S5_S5_
	.p2align	8
	.type	_ZN9rocsolver6v33100L23getf2_npvt_small_kernelILi32EdiiPKPdEEvT1_T3_lS5_lPT2_S5_S5_,@function
_ZN9rocsolver6v33100L23getf2_npvt_small_kernelILi32EdiiPKPdEEvT1_T3_lS5_lPT2_S5_S5_: ; @_ZN9rocsolver6v33100L23getf2_npvt_small_kernelILi32EdiiPKPdEEvT1_T3_lS5_lPT2_S5_S5_
; %bb.0:
	s_load_dword s0, s[4:5], 0x44
	s_load_dwordx2 s[8:9], s[4:5], 0x30
	v_bfe_u32 v130, v0, 10, 10
	s_waitcnt lgkmcnt(0)
	s_lshr_b32 s6, s0, 16
	s_mul_i32 s7, s7, s6
	v_add_u32_e32 v2, s7, v130
	v_cmp_gt_i32_e32 vcc, s8, v2
	s_and_saveexec_b64 s[0:1], vcc
	s_cbranch_execz .LBB63_163
; %bb.1:
	s_load_dwordx4 s[12:15], s[4:5], 0x8
	s_load_dword s0, s[4:5], 0x18
	v_ashrrev_i32_e32 v3, 31, v2
	v_lshlrev_b64 v[4:5], 3, v[2:3]
	v_and_b32_e32 v194, 0x3ff, v0
	s_waitcnt lgkmcnt(0)
	v_mov_b32_e32 v1, s13
	v_add_co_u32_e32 v4, vcc, s12, v4
	v_addc_co_u32_e32 v5, vcc, v1, v5, vcc
	global_load_dwordx2 v[4:5], v[4:5], off
	s_add_i32 s1, s0, s0
	s_lshl_b64 s[2:3], s[14:15], 3
	v_add_u32_e32 v0, s1, v194
	v_mov_b32_e32 v25, s3
	v_ashrrev_i32_e32 v1, 31, v0
	v_add_u32_e32 v6, s0, v0
	v_lshlrev_b64 v[0:1], 3, v[0:1]
	v_ashrrev_i32_e32 v7, 31, v6
	v_add_u32_e32 v8, s0, v6
	v_lshlrev_b64 v[6:7], 3, v[6:7]
	;; [unrolled: 3-line block ×10, first 2 shown]
	v_add_u32_e32 v26, s0, v24
	v_ashrrev_i32_e32 v27, 31, v26
	v_add_u32_e32 v28, s0, v26
	v_ashrrev_i32_e32 v29, 31, v28
	;; [unrolled: 2-line block ×18, first 2 shown]
	v_lshlrev_b32_e32 v64, 3, v194
	s_ashr_i32 s1, s0, 31
	v_lshl_add_u32 v193, v130, 8, 0
	s_waitcnt vmcnt(0)
	v_add_co_u32_e32 v62, vcc, s2, v4
	v_addc_co_u32_e32 v63, vcc, v5, v25, vcc
	v_add_co_u32_e32 v0, vcc, v62, v0
	v_addc_co_u32_e32 v1, vcc, v63, v1, vcc
	;; [unrolled: 2-line block ×10, first 2 shown]
	v_add_co_u32_e32 v20, vcc, v62, v22
	v_ashrrev_i32_e32 v25, 31, v24
	v_addc_co_u32_e32 v21, vcc, v63, v23, vcc
	v_lshlrev_b64 v[22:23], 3, v[24:25]
	v_add_co_u32_e32 v22, vcc, v62, v22
	v_addc_co_u32_e32 v23, vcc, v63, v23, vcc
	v_lshlrev_b64 v[24:25], 3, v[26:27]
	v_add_co_u32_e32 v24, vcc, v62, v24
	;; [unrolled: 3-line block ×18, first 2 shown]
	v_addc_co_u32_e32 v57, vcc, v63, v57, vcc
	v_lshlrev_b64 v[58:59], 3, v[60:61]
	v_add_u32_e32 v60, s0, v60
	v_add_co_u32_e32 v58, vcc, v62, v58
	v_ashrrev_i32_e32 v61, 31, v60
	v_addc_co_u32_e32 v59, vcc, v63, v59, vcc
	v_lshlrev_b64 v[60:61], 3, v[60:61]
	v_add_co_u32_e32 v60, vcc, v62, v60
	v_addc_co_u32_e32 v61, vcc, v63, v61, vcc
	v_add_co_u32_e32 v62, vcc, v62, v64
	v_addc_co_u32_e32 v63, vcc, 0, v63, vcc
	s_lshl_b64 s[0:1], s[0:1], 3
	v_mov_b32_e32 v65, s1
	v_add_co_u32_e32 v64, vcc, s0, v62
	v_addc_co_u32_e32 v65, vcc, v63, v65, vcc
	global_load_dwordx2 v[66:67], v[62:63], off
	global_load_dwordx2 v[96:97], v[64:65], off
	;; [unrolled: 1-line block ×32, first 2 shown]
	s_lshl_b32 s0, s6, 8
	s_add_i32 s0, s0, 0
	v_lshl_add_u32 v192, v130, 3, s0
	v_cmp_ne_u32_e64 s[2:3], 0, v194
	v_cmp_eq_u32_e64 s[0:1], 0, v194
	s_and_saveexec_b64 s[6:7], s[0:1]
	s_cbranch_execz .LBB63_4
; %bb.2:
	s_waitcnt vmcnt(31)
	ds_write_b64 v192, v[66:67]
	s_waitcnt vmcnt(29)
	ds_write2_b64 v193, v[96:97], v[126:127] offset0:1 offset1:2
	s_waitcnt vmcnt(27)
	ds_write2_b64 v193, v[94:95], v[124:125] offset0:3 offset1:4
	;; [unrolled: 2-line block ×15, first 2 shown]
	s_waitcnt vmcnt(0)
	ds_write_b64 v193, v[128:129] offset:248
	ds_read_b64 v[130:131], v192
	s_waitcnt lgkmcnt(0)
	v_cmp_neq_f64_e32 vcc, 0, v[130:131]
	s_and_b64 exec, exec, vcc
	s_cbranch_execz .LBB63_4
; %bb.3:
	v_div_scale_f64 v[132:133], s[10:11], v[130:131], v[130:131], 1.0
	v_rcp_f64_e32 v[134:135], v[132:133]
	v_div_scale_f64 v[136:137], vcc, 1.0, v[130:131], 1.0
	v_fma_f64 v[138:139], -v[132:133], v[134:135], 1.0
	v_fmac_f64_e32 v[134:135], v[134:135], v[138:139]
	v_fma_f64 v[138:139], -v[132:133], v[134:135], 1.0
	v_fmac_f64_e32 v[134:135], v[134:135], v[138:139]
	v_mul_f64 v[138:139], v[136:137], v[134:135]
	v_fma_f64 v[132:133], -v[132:133], v[138:139], v[136:137]
	v_div_fmas_f64 v[132:133], v[132:133], v[134:135], v[138:139]
	v_div_fixup_f64 v[130:131], v[132:133], v[130:131], 1.0
	ds_write_b64 v192, v[130:131]
.LBB63_4:
	s_or_b64 exec, exec, s[6:7]
	s_waitcnt lgkmcnt(0)
	s_barrier
	ds_read_b64 v[130:131], v192
	s_and_saveexec_b64 s[6:7], s[2:3]
	s_cbranch_execz .LBB63_6
; %bb.5:
	ds_read2_b64 v[132:135], v193 offset0:1 offset1:2
	ds_read2_b64 v[136:139], v193 offset0:3 offset1:4
	s_waitcnt vmcnt(31) lgkmcnt(2)
	v_mul_f64 v[66:67], v[130:131], v[66:67]
	ds_read2_b64 v[140:143], v193 offset0:5 offset1:6
	s_waitcnt vmcnt(30) lgkmcnt(2)
	v_fma_f64 v[96:97], -v[66:67], v[132:133], v[96:97]
	s_waitcnt vmcnt(29)
	v_fma_f64 v[126:127], -v[66:67], v[134:135], v[126:127]
	ds_read2_b64 v[132:135], v193 offset0:7 offset1:8
	s_waitcnt vmcnt(28) lgkmcnt(2)
	v_fma_f64 v[94:95], -v[66:67], v[136:137], v[94:95]
	s_waitcnt vmcnt(27)
	v_fma_f64 v[124:125], -v[66:67], v[138:139], v[124:125]
	s_waitcnt vmcnt(26) lgkmcnt(1)
	v_fma_f64 v[92:93], -v[66:67], v[140:141], v[92:93]
	ds_read2_b64 v[136:139], v193 offset0:9 offset1:10
	s_waitcnt vmcnt(25)
	v_fma_f64 v[122:123], -v[66:67], v[142:143], v[122:123]
	ds_read2_b64 v[140:143], v193 offset0:11 offset1:12
	s_waitcnt vmcnt(24) lgkmcnt(2)
	v_fma_f64 v[90:91], -v[66:67], v[132:133], v[90:91]
	s_waitcnt vmcnt(23)
	v_fma_f64 v[120:121], -v[66:67], v[134:135], v[120:121]
	ds_read2_b64 v[132:135], v193 offset0:13 offset1:14
	s_waitcnt vmcnt(22) lgkmcnt(2)
	v_fma_f64 v[88:89], -v[66:67], v[136:137], v[88:89]
	s_waitcnt vmcnt(21)
	v_fma_f64 v[118:119], -v[66:67], v[138:139], v[118:119]
	ds_read2_b64 v[136:139], v193 offset0:15 offset1:16
	s_waitcnt vmcnt(20) lgkmcnt(2)
	v_fma_f64 v[86:87], -v[66:67], v[140:141], v[86:87]
	s_waitcnt vmcnt(19)
	v_fma_f64 v[116:117], -v[66:67], v[142:143], v[116:117]
	s_waitcnt vmcnt(18) lgkmcnt(1)
	v_fma_f64 v[84:85], -v[66:67], v[132:133], v[84:85]
	ds_read2_b64 v[140:143], v193 offset0:17 offset1:18
	s_waitcnt vmcnt(17)
	v_fma_f64 v[114:115], -v[66:67], v[134:135], v[114:115]
	ds_read2_b64 v[132:135], v193 offset0:19 offset1:20
	s_waitcnt vmcnt(16) lgkmcnt(2)
	v_fma_f64 v[82:83], -v[66:67], v[136:137], v[82:83]
	s_waitcnt vmcnt(15)
	v_fma_f64 v[112:113], -v[66:67], v[138:139], v[112:113]
	s_waitcnt vmcnt(14) lgkmcnt(1)
	v_fma_f64 v[80:81], -v[66:67], v[140:141], v[80:81]
	ds_read2_b64 v[136:139], v193 offset0:21 offset1:22
	s_waitcnt vmcnt(13)
	v_fma_f64 v[110:111], -v[66:67], v[142:143], v[110:111]
	ds_read2_b64 v[140:143], v193 offset0:23 offset1:24
	s_waitcnt vmcnt(12) lgkmcnt(2)
	v_fma_f64 v[78:79], -v[66:67], v[132:133], v[78:79]
	s_waitcnt vmcnt(11)
	v_fma_f64 v[108:109], -v[66:67], v[134:135], v[108:109]
	ds_read2_b64 v[132:135], v193 offset0:25 offset1:26
	s_waitcnt vmcnt(10) lgkmcnt(2)
	v_fma_f64 v[76:77], -v[66:67], v[136:137], v[76:77]
	;; [unrolled: 5-line block ×3, first 2 shown]
	s_waitcnt vmcnt(7)
	v_fma_f64 v[104:105], -v[66:67], v[142:143], v[104:105]
	s_waitcnt vmcnt(6) lgkmcnt(1)
	v_fma_f64 v[72:73], -v[66:67], v[132:133], v[72:73]
	ds_read2_b64 v[140:143], v193 offset0:29 offset1:30
	ds_read_b64 v[132:133], v193 offset:248
	s_waitcnt vmcnt(5)
	v_fma_f64 v[102:103], -v[66:67], v[134:135], v[102:103]
	s_waitcnt vmcnt(4) lgkmcnt(2)
	v_fma_f64 v[70:71], -v[66:67], v[136:137], v[70:71]
	s_waitcnt vmcnt(3)
	v_fma_f64 v[100:101], -v[66:67], v[138:139], v[100:101]
	s_waitcnt vmcnt(2) lgkmcnt(1)
	v_fma_f64 v[68:69], -v[66:67], v[140:141], v[68:69]
	;; [unrolled: 4-line block ×3, first 2 shown]
.LBB63_6:
	s_or_b64 exec, exec, s[6:7]
	v_cmp_eq_u32_e32 vcc, 1, v194
	s_waitcnt lgkmcnt(0)
	s_barrier
	s_and_saveexec_b64 s[2:3], vcc
	s_cbranch_execz .LBB63_9
; %bb.7:
	s_waitcnt vmcnt(29)
	v_mov_b32_e32 v132, v126
	v_mov_b32_e32 v133, v127
	s_waitcnt vmcnt(28)
	v_mov_b32_e32 v134, v94
	v_mov_b32_e32 v135, v95
	ds_write_b64 v192, v[96:97]
	ds_write2_b64 v193, v[132:133], v[134:135] offset0:2 offset1:3
	s_waitcnt vmcnt(27)
	v_mov_b32_e32 v132, v124
	v_mov_b32_e32 v133, v125
	s_waitcnt vmcnt(26)
	v_mov_b32_e32 v134, v92
	v_mov_b32_e32 v135, v93
	ds_write2_b64 v193, v[132:133], v[134:135] offset0:4 offset1:5
	s_waitcnt vmcnt(25)
	v_mov_b32_e32 v132, v122
	v_mov_b32_e32 v133, v123
	s_waitcnt vmcnt(24)
	v_mov_b32_e32 v134, v90
	v_mov_b32_e32 v135, v91
	;; [unrolled: 7-line block ×13, first 2 shown]
	ds_write2_b64 v193, v[132:133], v[134:135] offset0:28 offset1:29
	s_waitcnt vmcnt(1)
	v_mov_b32_e32 v132, v98
	v_mov_b32_e32 v133, v99
	s_waitcnt vmcnt(0)
	ds_write2_b64 v193, v[132:133], v[128:129] offset0:30 offset1:31
	ds_read_b64 v[132:133], v192
	s_waitcnt lgkmcnt(0)
	v_cmp_neq_f64_e32 vcc, 0, v[132:133]
	s_and_b64 exec, exec, vcc
	s_cbranch_execz .LBB63_9
; %bb.8:
	v_div_scale_f64 v[134:135], s[6:7], v[132:133], v[132:133], 1.0
	v_rcp_f64_e32 v[136:137], v[134:135]
	v_div_scale_f64 v[138:139], vcc, 1.0, v[132:133], 1.0
	v_fma_f64 v[140:141], -v[134:135], v[136:137], 1.0
	v_fmac_f64_e32 v[136:137], v[136:137], v[140:141]
	v_fma_f64 v[140:141], -v[134:135], v[136:137], 1.0
	v_fmac_f64_e32 v[136:137], v[136:137], v[140:141]
	v_mul_f64 v[140:141], v[138:139], v[136:137]
	v_fma_f64 v[134:135], -v[134:135], v[140:141], v[138:139]
	v_div_fmas_f64 v[134:135], v[134:135], v[136:137], v[140:141]
	v_div_fixup_f64 v[132:133], v[134:135], v[132:133], 1.0
	ds_write_b64 v192, v[132:133]
.LBB63_9:
	s_or_b64 exec, exec, s[2:3]
	s_waitcnt lgkmcnt(0)
	s_barrier
	ds_read_b64 v[132:133], v192
	v_cmp_lt_u32_e32 vcc, 1, v194
	s_and_saveexec_b64 s[2:3], vcc
	s_cbranch_execz .LBB63_11
; %bb.10:
	ds_read2_b64 v[134:137], v193 offset0:2 offset1:3
	ds_read2_b64 v[138:141], v193 offset0:4 offset1:5
	ds_read2_b64 v[142:145], v193 offset0:6 offset1:7
	s_waitcnt vmcnt(30) lgkmcnt(3)
	v_mul_f64 v[96:97], v[132:133], v[96:97]
	s_waitcnt vmcnt(29) lgkmcnt(2)
	v_fma_f64 v[126:127], -v[96:97], v[134:135], v[126:127]
	s_waitcnt vmcnt(28)
	v_fma_f64 v[94:95], -v[96:97], v[136:137], v[94:95]
	ds_read2_b64 v[134:137], v193 offset0:8 offset1:9
	s_waitcnt vmcnt(27) lgkmcnt(2)
	v_fma_f64 v[124:125], -v[96:97], v[138:139], v[124:125]
	s_waitcnt vmcnt(26)
	v_fma_f64 v[92:93], -v[96:97], v[140:141], v[92:93]
	s_waitcnt vmcnt(25) lgkmcnt(1)
	v_fma_f64 v[122:123], -v[96:97], v[142:143], v[122:123]
	ds_read2_b64 v[138:141], v193 offset0:10 offset1:11
	s_waitcnt vmcnt(24)
	v_fma_f64 v[90:91], -v[96:97], v[144:145], v[90:91]
	ds_read2_b64 v[142:145], v193 offset0:12 offset1:13
	s_waitcnt vmcnt(23) lgkmcnt(2)
	v_fma_f64 v[120:121], -v[96:97], v[134:135], v[120:121]
	s_waitcnt vmcnt(22)
	v_fma_f64 v[88:89], -v[96:97], v[136:137], v[88:89]
	s_waitcnt vmcnt(21) lgkmcnt(1)
	v_fma_f64 v[118:119], -v[96:97], v[138:139], v[118:119]
	ds_read2_b64 v[134:137], v193 offset0:14 offset1:15
	s_waitcnt vmcnt(20)
	v_fma_f64 v[86:87], -v[96:97], v[140:141], v[86:87]
	ds_read2_b64 v[138:141], v193 offset0:16 offset1:17
	s_waitcnt vmcnt(19) lgkmcnt(2)
	v_fma_f64 v[116:117], -v[96:97], v[142:143], v[116:117]
	s_waitcnt vmcnt(18)
	v_fma_f64 v[84:85], -v[96:97], v[144:145], v[84:85]
	ds_read2_b64 v[142:145], v193 offset0:18 offset1:19
	s_waitcnt vmcnt(17) lgkmcnt(2)
	v_fma_f64 v[114:115], -v[96:97], v[134:135], v[114:115]
	;; [unrolled: 5-line block ×3, first 2 shown]
	s_waitcnt vmcnt(14)
	v_fma_f64 v[80:81], -v[96:97], v[140:141], v[80:81]
	s_waitcnt vmcnt(13) lgkmcnt(1)
	v_fma_f64 v[110:111], -v[96:97], v[142:143], v[110:111]
	ds_read2_b64 v[138:141], v193 offset0:22 offset1:23
	s_waitcnt vmcnt(12)
	v_fma_f64 v[78:79], -v[96:97], v[144:145], v[78:79]
	ds_read2_b64 v[142:145], v193 offset0:24 offset1:25
	s_waitcnt vmcnt(11) lgkmcnt(2)
	v_fma_f64 v[108:109], -v[96:97], v[134:135], v[108:109]
	s_waitcnt vmcnt(10)
	v_fma_f64 v[76:77], -v[96:97], v[136:137], v[76:77]
	s_waitcnt vmcnt(9) lgkmcnt(1)
	v_fma_f64 v[106:107], -v[96:97], v[138:139], v[106:107]
	s_waitcnt vmcnt(8)
	v_fma_f64 v[74:75], -v[96:97], v[140:141], v[74:75]
	ds_read2_b64 v[134:137], v193 offset0:26 offset1:27
	ds_read2_b64 v[138:141], v193 offset0:28 offset1:29
	s_waitcnt vmcnt(7) lgkmcnt(2)
	v_fma_f64 v[104:105], -v[96:97], v[142:143], v[104:105]
	s_waitcnt vmcnt(6)
	v_fma_f64 v[72:73], -v[96:97], v[144:145], v[72:73]
	ds_read2_b64 v[142:145], v193 offset0:30 offset1:31
	s_waitcnt vmcnt(5) lgkmcnt(2)
	v_fma_f64 v[102:103], -v[96:97], v[134:135], v[102:103]
	s_waitcnt vmcnt(4)
	v_fma_f64 v[70:71], -v[96:97], v[136:137], v[70:71]
	s_waitcnt vmcnt(3) lgkmcnt(1)
	v_fma_f64 v[100:101], -v[96:97], v[138:139], v[100:101]
	s_waitcnt vmcnt(2)
	v_fma_f64 v[68:69], -v[96:97], v[140:141], v[68:69]
	;; [unrolled: 4-line block ×3, first 2 shown]
.LBB63_11:
	s_or_b64 exec, exec, s[2:3]
	v_cmp_eq_u32_e32 vcc, 2, v194
	s_waitcnt lgkmcnt(0)
	s_barrier
	s_and_saveexec_b64 s[2:3], vcc
	s_cbranch_execz .LBB63_14
; %bb.12:
	s_waitcnt vmcnt(29)
	ds_write_b64 v192, v[126:127]
	s_waitcnt vmcnt(27)
	ds_write2_b64 v193, v[94:95], v[124:125] offset0:3 offset1:4
	s_waitcnt vmcnt(25)
	ds_write2_b64 v193, v[92:93], v[122:123] offset0:5 offset1:6
	;; [unrolled: 2-line block ×14, first 2 shown]
	s_waitcnt vmcnt(0)
	ds_write_b64 v193, v[128:129] offset:248
	ds_read_b64 v[134:135], v192
	s_waitcnt lgkmcnt(0)
	v_cmp_neq_f64_e32 vcc, 0, v[134:135]
	s_and_b64 exec, exec, vcc
	s_cbranch_execz .LBB63_14
; %bb.13:
	v_div_scale_f64 v[136:137], s[6:7], v[134:135], v[134:135], 1.0
	v_rcp_f64_e32 v[138:139], v[136:137]
	v_div_scale_f64 v[140:141], vcc, 1.0, v[134:135], 1.0
	v_fma_f64 v[142:143], -v[136:137], v[138:139], 1.0
	v_fmac_f64_e32 v[138:139], v[138:139], v[142:143]
	v_fma_f64 v[142:143], -v[136:137], v[138:139], 1.0
	v_fmac_f64_e32 v[138:139], v[138:139], v[142:143]
	v_mul_f64 v[142:143], v[140:141], v[138:139]
	v_fma_f64 v[136:137], -v[136:137], v[142:143], v[140:141]
	v_div_fmas_f64 v[136:137], v[136:137], v[138:139], v[142:143]
	v_div_fixup_f64 v[134:135], v[136:137], v[134:135], 1.0
	ds_write_b64 v192, v[134:135]
.LBB63_14:
	s_or_b64 exec, exec, s[2:3]
	s_waitcnt lgkmcnt(0)
	s_barrier
	ds_read_b64 v[134:135], v192
	v_cmp_lt_u32_e32 vcc, 2, v194
	s_and_saveexec_b64 s[2:3], vcc
	s_cbranch_execz .LBB63_16
; %bb.15:
	ds_read2_b64 v[136:139], v193 offset0:3 offset1:4
	ds_read2_b64 v[140:143], v193 offset0:5 offset1:6
	;; [unrolled: 1-line block ×3, first 2 shown]
	s_waitcnt vmcnt(29) lgkmcnt(3)
	v_mul_f64 v[126:127], v[134:135], v[126:127]
	s_waitcnt vmcnt(28) lgkmcnt(2)
	v_fma_f64 v[94:95], -v[126:127], v[136:137], v[94:95]
	s_waitcnt vmcnt(27)
	v_fma_f64 v[124:125], -v[126:127], v[138:139], v[124:125]
	ds_read2_b64 v[136:139], v193 offset0:9 offset1:10
	s_waitcnt vmcnt(26) lgkmcnt(2)
	v_fma_f64 v[92:93], -v[126:127], v[140:141], v[92:93]
	s_waitcnt vmcnt(25)
	v_fma_f64 v[122:123], -v[126:127], v[142:143], v[122:123]
	s_waitcnt vmcnt(24) lgkmcnt(1)
	v_fma_f64 v[90:91], -v[126:127], v[144:145], v[90:91]
	ds_read2_b64 v[140:143], v193 offset0:11 offset1:12
	s_waitcnt vmcnt(23)
	v_fma_f64 v[120:121], -v[126:127], v[146:147], v[120:121]
	ds_read2_b64 v[144:147], v193 offset0:13 offset1:14
	s_waitcnt vmcnt(22) lgkmcnt(2)
	v_fma_f64 v[88:89], -v[126:127], v[136:137], v[88:89]
	s_waitcnt vmcnt(21)
	v_fma_f64 v[118:119], -v[126:127], v[138:139], v[118:119]
	s_waitcnt vmcnt(20) lgkmcnt(1)
	v_fma_f64 v[86:87], -v[126:127], v[140:141], v[86:87]
	ds_read2_b64 v[136:139], v193 offset0:15 offset1:16
	s_waitcnt vmcnt(19)
	v_fma_f64 v[116:117], -v[126:127], v[142:143], v[116:117]
	ds_read2_b64 v[140:143], v193 offset0:17 offset1:18
	s_waitcnt vmcnt(18) lgkmcnt(2)
	v_fma_f64 v[84:85], -v[126:127], v[144:145], v[84:85]
	s_waitcnt vmcnt(17)
	v_fma_f64 v[114:115], -v[126:127], v[146:147], v[114:115]
	ds_read2_b64 v[144:147], v193 offset0:19 offset1:20
	s_waitcnt vmcnt(16) lgkmcnt(2)
	v_fma_f64 v[82:83], -v[126:127], v[136:137], v[82:83]
	;; [unrolled: 5-line block ×3, first 2 shown]
	s_waitcnt vmcnt(13)
	v_fma_f64 v[110:111], -v[126:127], v[142:143], v[110:111]
	s_waitcnt vmcnt(12) lgkmcnt(1)
	v_fma_f64 v[78:79], -v[126:127], v[144:145], v[78:79]
	ds_read2_b64 v[140:143], v193 offset0:23 offset1:24
	s_waitcnt vmcnt(11)
	v_fma_f64 v[108:109], -v[126:127], v[146:147], v[108:109]
	ds_read2_b64 v[144:147], v193 offset0:25 offset1:26
	s_waitcnt vmcnt(10) lgkmcnt(2)
	v_fma_f64 v[76:77], -v[126:127], v[136:137], v[76:77]
	s_waitcnt vmcnt(9)
	v_fma_f64 v[106:107], -v[126:127], v[138:139], v[106:107]
	s_waitcnt vmcnt(8) lgkmcnt(1)
	v_fma_f64 v[74:75], -v[126:127], v[140:141], v[74:75]
	s_waitcnt vmcnt(7)
	v_fma_f64 v[104:105], -v[126:127], v[142:143], v[104:105]
	ds_read2_b64 v[136:139], v193 offset0:27 offset1:28
	ds_read2_b64 v[140:143], v193 offset0:29 offset1:30
	s_waitcnt vmcnt(6) lgkmcnt(2)
	v_fma_f64 v[72:73], -v[126:127], v[144:145], v[72:73]
	ds_read_b64 v[144:145], v193 offset:248
	s_waitcnt vmcnt(5)
	v_fma_f64 v[102:103], -v[126:127], v[146:147], v[102:103]
	s_waitcnt vmcnt(4) lgkmcnt(2)
	v_fma_f64 v[70:71], -v[126:127], v[136:137], v[70:71]
	s_waitcnt vmcnt(3)
	v_fma_f64 v[100:101], -v[126:127], v[138:139], v[100:101]
	s_waitcnt vmcnt(2) lgkmcnt(1)
	v_fma_f64 v[68:69], -v[126:127], v[140:141], v[68:69]
	s_waitcnt vmcnt(1)
	v_fma_f64 v[98:99], -v[126:127], v[142:143], v[98:99]
	s_waitcnt vmcnt(0) lgkmcnt(0)
	v_fma_f64 v[128:129], -v[126:127], v[144:145], v[128:129]
.LBB63_16:
	s_or_b64 exec, exec, s[2:3]
	v_cmp_eq_u32_e32 vcc, 3, v194
	s_waitcnt lgkmcnt(0)
	s_barrier
	s_and_saveexec_b64 s[2:3], vcc
	s_cbranch_execz .LBB63_19
; %bb.17:
	s_waitcnt vmcnt(27)
	v_mov_b32_e32 v136, v124
	v_mov_b32_e32 v137, v125
	s_waitcnt vmcnt(26)
	v_mov_b32_e32 v138, v92
	v_mov_b32_e32 v139, v93
	ds_write_b64 v192, v[94:95]
	ds_write2_b64 v193, v[136:137], v[138:139] offset0:4 offset1:5
	s_waitcnt vmcnt(25)
	v_mov_b32_e32 v136, v122
	v_mov_b32_e32 v137, v123
	s_waitcnt vmcnt(24)
	v_mov_b32_e32 v138, v90
	v_mov_b32_e32 v139, v91
	ds_write2_b64 v193, v[136:137], v[138:139] offset0:6 offset1:7
	s_waitcnt vmcnt(23)
	v_mov_b32_e32 v136, v120
	v_mov_b32_e32 v137, v121
	s_waitcnt vmcnt(22)
	v_mov_b32_e32 v138, v88
	v_mov_b32_e32 v139, v89
	;; [unrolled: 7-line block ×12, first 2 shown]
	ds_write2_b64 v193, v[136:137], v[138:139] offset0:28 offset1:29
	s_waitcnt vmcnt(1)
	v_mov_b32_e32 v136, v98
	v_mov_b32_e32 v137, v99
	s_waitcnt vmcnt(0)
	ds_write2_b64 v193, v[136:137], v[128:129] offset0:30 offset1:31
	ds_read_b64 v[136:137], v192
	s_waitcnt lgkmcnt(0)
	v_cmp_neq_f64_e32 vcc, 0, v[136:137]
	s_and_b64 exec, exec, vcc
	s_cbranch_execz .LBB63_19
; %bb.18:
	v_div_scale_f64 v[138:139], s[6:7], v[136:137], v[136:137], 1.0
	v_rcp_f64_e32 v[140:141], v[138:139]
	v_div_scale_f64 v[142:143], vcc, 1.0, v[136:137], 1.0
	v_fma_f64 v[144:145], -v[138:139], v[140:141], 1.0
	v_fmac_f64_e32 v[140:141], v[140:141], v[144:145]
	v_fma_f64 v[144:145], -v[138:139], v[140:141], 1.0
	v_fmac_f64_e32 v[140:141], v[140:141], v[144:145]
	v_mul_f64 v[144:145], v[142:143], v[140:141]
	v_fma_f64 v[138:139], -v[138:139], v[144:145], v[142:143]
	v_div_fmas_f64 v[138:139], v[138:139], v[140:141], v[144:145]
	v_div_fixup_f64 v[136:137], v[138:139], v[136:137], 1.0
	ds_write_b64 v192, v[136:137]
.LBB63_19:
	s_or_b64 exec, exec, s[2:3]
	s_waitcnt lgkmcnt(0)
	s_barrier
	ds_read_b64 v[136:137], v192
	v_cmp_lt_u32_e32 vcc, 3, v194
	s_and_saveexec_b64 s[2:3], vcc
	s_cbranch_execz .LBB63_21
; %bb.20:
	ds_read2_b64 v[138:141], v193 offset0:4 offset1:5
	ds_read2_b64 v[142:145], v193 offset0:6 offset1:7
	s_waitcnt vmcnt(28) lgkmcnt(2)
	v_mul_f64 v[94:95], v[136:137], v[94:95]
	ds_read2_b64 v[146:149], v193 offset0:8 offset1:9
	s_waitcnt vmcnt(27) lgkmcnt(2)
	v_fma_f64 v[124:125], -v[94:95], v[138:139], v[124:125]
	s_waitcnt vmcnt(26)
	v_fma_f64 v[92:93], -v[94:95], v[140:141], v[92:93]
	ds_read2_b64 v[138:141], v193 offset0:10 offset1:11
	s_waitcnt vmcnt(25) lgkmcnt(2)
	v_fma_f64 v[122:123], -v[94:95], v[142:143], v[122:123]
	s_waitcnt vmcnt(24)
	v_fma_f64 v[90:91], -v[94:95], v[144:145], v[90:91]
	;; [unrolled: 5-line block ×4, first 2 shown]
	s_waitcnt vmcnt(19) lgkmcnt(1)
	v_fma_f64 v[116:117], -v[94:95], v[142:143], v[116:117]
	ds_read2_b64 v[138:141], v193 offset0:16 offset1:17
	s_waitcnt vmcnt(18)
	v_fma_f64 v[84:85], -v[94:95], v[144:145], v[84:85]
	ds_read2_b64 v[142:145], v193 offset0:18 offset1:19
	s_waitcnt vmcnt(17) lgkmcnt(2)
	v_fma_f64 v[114:115], -v[94:95], v[146:147], v[114:115]
	s_waitcnt vmcnt(16)
	v_fma_f64 v[82:83], -v[94:95], v[148:149], v[82:83]
	s_waitcnt vmcnt(15) lgkmcnt(1)
	v_fma_f64 v[112:113], -v[94:95], v[138:139], v[112:113]
	ds_read2_b64 v[146:149], v193 offset0:20 offset1:21
	s_waitcnt vmcnt(14)
	v_fma_f64 v[80:81], -v[94:95], v[140:141], v[80:81]
	ds_read2_b64 v[138:141], v193 offset0:22 offset1:23
	s_waitcnt vmcnt(13) lgkmcnt(2)
	v_fma_f64 v[110:111], -v[94:95], v[142:143], v[110:111]
	s_waitcnt vmcnt(12)
	v_fma_f64 v[78:79], -v[94:95], v[144:145], v[78:79]
	ds_read2_b64 v[142:145], v193 offset0:24 offset1:25
	s_waitcnt vmcnt(11) lgkmcnt(2)
	v_fma_f64 v[108:109], -v[94:95], v[146:147], v[108:109]
	s_waitcnt vmcnt(10)
	v_fma_f64 v[76:77], -v[94:95], v[148:149], v[76:77]
	s_waitcnt vmcnt(9) lgkmcnt(1)
	v_fma_f64 v[106:107], -v[94:95], v[138:139], v[106:107]
	s_waitcnt vmcnt(8)
	v_fma_f64 v[74:75], -v[94:95], v[140:141], v[74:75]
	ds_read2_b64 v[138:141], v193 offset0:26 offset1:27
	s_waitcnt vmcnt(7) lgkmcnt(1)
	v_fma_f64 v[104:105], -v[94:95], v[142:143], v[104:105]
	ds_read2_b64 v[146:149], v193 offset0:28 offset1:29
	s_waitcnt vmcnt(6)
	v_fma_f64 v[72:73], -v[94:95], v[144:145], v[72:73]
	ds_read2_b64 v[142:145], v193 offset0:30 offset1:31
	s_waitcnt vmcnt(5) lgkmcnt(2)
	v_fma_f64 v[102:103], -v[94:95], v[138:139], v[102:103]
	s_waitcnt vmcnt(4)
	v_fma_f64 v[70:71], -v[94:95], v[140:141], v[70:71]
	s_waitcnt vmcnt(3) lgkmcnt(1)
	v_fma_f64 v[100:101], -v[94:95], v[146:147], v[100:101]
	s_waitcnt vmcnt(2)
	v_fma_f64 v[68:69], -v[94:95], v[148:149], v[68:69]
	;; [unrolled: 4-line block ×3, first 2 shown]
.LBB63_21:
	s_or_b64 exec, exec, s[2:3]
	v_cmp_eq_u32_e32 vcc, 4, v194
	s_waitcnt lgkmcnt(0)
	s_barrier
	s_and_saveexec_b64 s[2:3], vcc
	s_cbranch_execz .LBB63_24
; %bb.22:
	s_waitcnt vmcnt(27)
	ds_write_b64 v192, v[124:125]
	s_waitcnt vmcnt(25)
	ds_write2_b64 v193, v[92:93], v[122:123] offset0:5 offset1:6
	s_waitcnt vmcnt(23)
	ds_write2_b64 v193, v[90:91], v[120:121] offset0:7 offset1:8
	;; [unrolled: 2-line block ×13, first 2 shown]
	s_waitcnt vmcnt(0)
	ds_write_b64 v193, v[128:129] offset:248
	ds_read_b64 v[138:139], v192
	s_waitcnt lgkmcnt(0)
	v_cmp_neq_f64_e32 vcc, 0, v[138:139]
	s_and_b64 exec, exec, vcc
	s_cbranch_execz .LBB63_24
; %bb.23:
	v_div_scale_f64 v[140:141], s[6:7], v[138:139], v[138:139], 1.0
	v_rcp_f64_e32 v[142:143], v[140:141]
	v_div_scale_f64 v[144:145], vcc, 1.0, v[138:139], 1.0
	v_fma_f64 v[146:147], -v[140:141], v[142:143], 1.0
	v_fmac_f64_e32 v[142:143], v[142:143], v[146:147]
	v_fma_f64 v[146:147], -v[140:141], v[142:143], 1.0
	v_fmac_f64_e32 v[142:143], v[142:143], v[146:147]
	v_mul_f64 v[146:147], v[144:145], v[142:143]
	v_fma_f64 v[140:141], -v[140:141], v[146:147], v[144:145]
	v_div_fmas_f64 v[140:141], v[140:141], v[142:143], v[146:147]
	v_div_fixup_f64 v[138:139], v[140:141], v[138:139], 1.0
	ds_write_b64 v192, v[138:139]
.LBB63_24:
	s_or_b64 exec, exec, s[2:3]
	s_waitcnt lgkmcnt(0)
	s_barrier
	ds_read_b64 v[138:139], v192
	v_cmp_lt_u32_e32 vcc, 4, v194
	s_and_saveexec_b64 s[2:3], vcc
	s_cbranch_execz .LBB63_26
; %bb.25:
	ds_read2_b64 v[140:143], v193 offset0:5 offset1:6
	ds_read2_b64 v[144:147], v193 offset0:7 offset1:8
	s_waitcnt vmcnt(27) lgkmcnt(2)
	v_mul_f64 v[124:125], v[138:139], v[124:125]
	ds_read2_b64 v[148:151], v193 offset0:9 offset1:10
	s_waitcnt vmcnt(26) lgkmcnt(2)
	v_fma_f64 v[92:93], -v[124:125], v[140:141], v[92:93]
	s_waitcnt vmcnt(25)
	v_fma_f64 v[122:123], -v[124:125], v[142:143], v[122:123]
	ds_read2_b64 v[140:143], v193 offset0:11 offset1:12
	s_waitcnt vmcnt(24) lgkmcnt(2)
	v_fma_f64 v[90:91], -v[124:125], v[144:145], v[90:91]
	s_waitcnt vmcnt(23)
	v_fma_f64 v[120:121], -v[124:125], v[146:147], v[120:121]
	;; [unrolled: 5-line block ×4, first 2 shown]
	s_waitcnt vmcnt(18) lgkmcnt(1)
	v_fma_f64 v[84:85], -v[124:125], v[144:145], v[84:85]
	ds_read2_b64 v[140:143], v193 offset0:17 offset1:18
	s_waitcnt vmcnt(17)
	v_fma_f64 v[114:115], -v[124:125], v[146:147], v[114:115]
	ds_read2_b64 v[144:147], v193 offset0:19 offset1:20
	s_waitcnt vmcnt(16) lgkmcnt(2)
	v_fma_f64 v[82:83], -v[124:125], v[148:149], v[82:83]
	s_waitcnt vmcnt(15)
	v_fma_f64 v[112:113], -v[124:125], v[150:151], v[112:113]
	s_waitcnt vmcnt(14) lgkmcnt(1)
	v_fma_f64 v[80:81], -v[124:125], v[140:141], v[80:81]
	ds_read2_b64 v[148:151], v193 offset0:21 offset1:22
	s_waitcnt vmcnt(13)
	v_fma_f64 v[110:111], -v[124:125], v[142:143], v[110:111]
	ds_read2_b64 v[140:143], v193 offset0:23 offset1:24
	s_waitcnt vmcnt(12) lgkmcnt(2)
	v_fma_f64 v[78:79], -v[124:125], v[144:145], v[78:79]
	s_waitcnt vmcnt(11)
	v_fma_f64 v[108:109], -v[124:125], v[146:147], v[108:109]
	ds_read2_b64 v[144:147], v193 offset0:25 offset1:26
	s_waitcnt vmcnt(10) lgkmcnt(2)
	v_fma_f64 v[76:77], -v[124:125], v[148:149], v[76:77]
	s_waitcnt vmcnt(9)
	v_fma_f64 v[106:107], -v[124:125], v[150:151], v[106:107]
	s_waitcnt vmcnt(8) lgkmcnt(1)
	v_fma_f64 v[74:75], -v[124:125], v[140:141], v[74:75]
	s_waitcnt vmcnt(7)
	v_fma_f64 v[104:105], -v[124:125], v[142:143], v[104:105]
	ds_read2_b64 v[140:143], v193 offset0:27 offset1:28
	s_waitcnt vmcnt(6) lgkmcnt(1)
	v_fma_f64 v[72:73], -v[124:125], v[144:145], v[72:73]
	ds_read2_b64 v[148:151], v193 offset0:29 offset1:30
	ds_read_b64 v[144:145], v193 offset:248
	s_waitcnt vmcnt(5)
	v_fma_f64 v[102:103], -v[124:125], v[146:147], v[102:103]
	s_waitcnt vmcnt(4) lgkmcnt(2)
	v_fma_f64 v[70:71], -v[124:125], v[140:141], v[70:71]
	s_waitcnt vmcnt(3)
	v_fma_f64 v[100:101], -v[124:125], v[142:143], v[100:101]
	s_waitcnt vmcnt(2) lgkmcnt(1)
	v_fma_f64 v[68:69], -v[124:125], v[148:149], v[68:69]
	;; [unrolled: 4-line block ×3, first 2 shown]
.LBB63_26:
	s_or_b64 exec, exec, s[2:3]
	v_cmp_eq_u32_e32 vcc, 5, v194
	s_waitcnt lgkmcnt(0)
	s_barrier
	s_and_saveexec_b64 s[2:3], vcc
	s_cbranch_execz .LBB63_29
; %bb.27:
	s_waitcnt vmcnt(25)
	v_mov_b32_e32 v140, v122
	v_mov_b32_e32 v141, v123
	s_waitcnt vmcnt(24)
	v_mov_b32_e32 v142, v90
	v_mov_b32_e32 v143, v91
	ds_write_b64 v192, v[92:93]
	ds_write2_b64 v193, v[140:141], v[142:143] offset0:6 offset1:7
	s_waitcnt vmcnt(23)
	v_mov_b32_e32 v140, v120
	v_mov_b32_e32 v141, v121
	s_waitcnt vmcnt(22)
	v_mov_b32_e32 v142, v88
	v_mov_b32_e32 v143, v89
	ds_write2_b64 v193, v[140:141], v[142:143] offset0:8 offset1:9
	s_waitcnt vmcnt(21)
	v_mov_b32_e32 v140, v118
	v_mov_b32_e32 v141, v119
	s_waitcnt vmcnt(20)
	v_mov_b32_e32 v142, v86
	v_mov_b32_e32 v143, v87
	;; [unrolled: 7-line block ×11, first 2 shown]
	ds_write2_b64 v193, v[140:141], v[142:143] offset0:28 offset1:29
	s_waitcnt vmcnt(1)
	v_mov_b32_e32 v140, v98
	v_mov_b32_e32 v141, v99
	s_waitcnt vmcnt(0)
	ds_write2_b64 v193, v[140:141], v[128:129] offset0:30 offset1:31
	ds_read_b64 v[140:141], v192
	s_waitcnt lgkmcnt(0)
	v_cmp_neq_f64_e32 vcc, 0, v[140:141]
	s_and_b64 exec, exec, vcc
	s_cbranch_execz .LBB63_29
; %bb.28:
	v_div_scale_f64 v[142:143], s[6:7], v[140:141], v[140:141], 1.0
	v_rcp_f64_e32 v[144:145], v[142:143]
	v_div_scale_f64 v[146:147], vcc, 1.0, v[140:141], 1.0
	v_fma_f64 v[148:149], -v[142:143], v[144:145], 1.0
	v_fmac_f64_e32 v[144:145], v[144:145], v[148:149]
	v_fma_f64 v[148:149], -v[142:143], v[144:145], 1.0
	v_fmac_f64_e32 v[144:145], v[144:145], v[148:149]
	v_mul_f64 v[148:149], v[146:147], v[144:145]
	v_fma_f64 v[142:143], -v[142:143], v[148:149], v[146:147]
	v_div_fmas_f64 v[142:143], v[142:143], v[144:145], v[148:149]
	v_div_fixup_f64 v[140:141], v[142:143], v[140:141], 1.0
	ds_write_b64 v192, v[140:141]
.LBB63_29:
	s_or_b64 exec, exec, s[2:3]
	s_waitcnt lgkmcnt(0)
	s_barrier
	ds_read_b64 v[140:141], v192
	v_cmp_lt_u32_e32 vcc, 5, v194
	s_and_saveexec_b64 s[2:3], vcc
	s_cbranch_execz .LBB63_31
; %bb.30:
	ds_read2_b64 v[142:145], v193 offset0:6 offset1:7
	ds_read2_b64 v[146:149], v193 offset0:8 offset1:9
	s_waitcnt vmcnt(26) lgkmcnt(2)
	v_mul_f64 v[92:93], v[140:141], v[92:93]
	ds_read2_b64 v[150:153], v193 offset0:10 offset1:11
	s_waitcnt vmcnt(25) lgkmcnt(2)
	v_fma_f64 v[122:123], -v[92:93], v[142:143], v[122:123]
	s_waitcnt vmcnt(24)
	v_fma_f64 v[90:91], -v[92:93], v[144:145], v[90:91]
	ds_read2_b64 v[142:145], v193 offset0:12 offset1:13
	s_waitcnt vmcnt(23) lgkmcnt(2)
	v_fma_f64 v[120:121], -v[92:93], v[146:147], v[120:121]
	s_waitcnt vmcnt(22)
	v_fma_f64 v[88:89], -v[92:93], v[148:149], v[88:89]
	s_waitcnt vmcnt(21) lgkmcnt(1)
	v_fma_f64 v[118:119], -v[92:93], v[150:151], v[118:119]
	ds_read2_b64 v[146:149], v193 offset0:14 offset1:15
	s_waitcnt vmcnt(20)
	v_fma_f64 v[86:87], -v[92:93], v[152:153], v[86:87]
	ds_read2_b64 v[150:153], v193 offset0:16 offset1:17
	s_waitcnt vmcnt(19) lgkmcnt(2)
	v_fma_f64 v[116:117], -v[92:93], v[142:143], v[116:117]
	s_waitcnt vmcnt(18)
	v_fma_f64 v[84:85], -v[92:93], v[144:145], v[84:85]
	ds_read2_b64 v[142:145], v193 offset0:18 offset1:19
	s_waitcnt vmcnt(17) lgkmcnt(2)
	v_fma_f64 v[114:115], -v[92:93], v[146:147], v[114:115]
	;; [unrolled: 5-line block ×3, first 2 shown]
	s_waitcnt vmcnt(14)
	v_fma_f64 v[80:81], -v[92:93], v[152:153], v[80:81]
	s_waitcnt vmcnt(13) lgkmcnt(1)
	v_fma_f64 v[110:111], -v[92:93], v[142:143], v[110:111]
	ds_read2_b64 v[150:153], v193 offset0:22 offset1:23
	s_waitcnt vmcnt(12)
	v_fma_f64 v[78:79], -v[92:93], v[144:145], v[78:79]
	ds_read2_b64 v[142:145], v193 offset0:24 offset1:25
	s_waitcnt vmcnt(11) lgkmcnt(2)
	v_fma_f64 v[108:109], -v[92:93], v[146:147], v[108:109]
	s_waitcnt vmcnt(10)
	v_fma_f64 v[76:77], -v[92:93], v[148:149], v[76:77]
	s_waitcnt vmcnt(9) lgkmcnt(1)
	v_fma_f64 v[106:107], -v[92:93], v[150:151], v[106:107]
	s_waitcnt vmcnt(8)
	v_fma_f64 v[74:75], -v[92:93], v[152:153], v[74:75]
	ds_read2_b64 v[146:149], v193 offset0:26 offset1:27
	ds_read2_b64 v[150:153], v193 offset0:28 offset1:29
	s_waitcnt vmcnt(7) lgkmcnt(2)
	v_fma_f64 v[104:105], -v[92:93], v[142:143], v[104:105]
	s_waitcnt vmcnt(6)
	v_fma_f64 v[72:73], -v[92:93], v[144:145], v[72:73]
	ds_read2_b64 v[142:145], v193 offset0:30 offset1:31
	s_waitcnt vmcnt(5) lgkmcnt(2)
	v_fma_f64 v[102:103], -v[92:93], v[146:147], v[102:103]
	s_waitcnt vmcnt(4)
	v_fma_f64 v[70:71], -v[92:93], v[148:149], v[70:71]
	s_waitcnt vmcnt(3) lgkmcnt(1)
	v_fma_f64 v[100:101], -v[92:93], v[150:151], v[100:101]
	s_waitcnt vmcnt(2)
	v_fma_f64 v[68:69], -v[92:93], v[152:153], v[68:69]
	;; [unrolled: 4-line block ×3, first 2 shown]
.LBB63_31:
	s_or_b64 exec, exec, s[2:3]
	v_cmp_eq_u32_e32 vcc, 6, v194
	s_waitcnt lgkmcnt(0)
	s_barrier
	s_and_saveexec_b64 s[2:3], vcc
	s_cbranch_execz .LBB63_34
; %bb.32:
	s_waitcnt vmcnt(25)
	ds_write_b64 v192, v[122:123]
	s_waitcnt vmcnt(23)
	ds_write2_b64 v193, v[90:91], v[120:121] offset0:7 offset1:8
	s_waitcnt vmcnt(21)
	ds_write2_b64 v193, v[88:89], v[118:119] offset0:9 offset1:10
	;; [unrolled: 2-line block ×12, first 2 shown]
	s_waitcnt vmcnt(0)
	ds_write_b64 v193, v[128:129] offset:248
	ds_read_b64 v[142:143], v192
	s_waitcnt lgkmcnt(0)
	v_cmp_neq_f64_e32 vcc, 0, v[142:143]
	s_and_b64 exec, exec, vcc
	s_cbranch_execz .LBB63_34
; %bb.33:
	v_div_scale_f64 v[144:145], s[6:7], v[142:143], v[142:143], 1.0
	v_rcp_f64_e32 v[146:147], v[144:145]
	v_div_scale_f64 v[148:149], vcc, 1.0, v[142:143], 1.0
	v_fma_f64 v[150:151], -v[144:145], v[146:147], 1.0
	v_fmac_f64_e32 v[146:147], v[146:147], v[150:151]
	v_fma_f64 v[150:151], -v[144:145], v[146:147], 1.0
	v_fmac_f64_e32 v[146:147], v[146:147], v[150:151]
	v_mul_f64 v[150:151], v[148:149], v[146:147]
	v_fma_f64 v[144:145], -v[144:145], v[150:151], v[148:149]
	v_div_fmas_f64 v[144:145], v[144:145], v[146:147], v[150:151]
	v_div_fixup_f64 v[142:143], v[144:145], v[142:143], 1.0
	ds_write_b64 v192, v[142:143]
.LBB63_34:
	s_or_b64 exec, exec, s[2:3]
	s_waitcnt lgkmcnt(0)
	s_barrier
	ds_read_b64 v[142:143], v192
	v_cmp_lt_u32_e32 vcc, 6, v194
	s_and_saveexec_b64 s[2:3], vcc
	s_cbranch_execz .LBB63_36
; %bb.35:
	ds_read2_b64 v[144:147], v193 offset0:7 offset1:8
	ds_read2_b64 v[148:151], v193 offset0:9 offset1:10
	s_waitcnt vmcnt(25) lgkmcnt(2)
	v_mul_f64 v[122:123], v[142:143], v[122:123]
	ds_read2_b64 v[152:155], v193 offset0:11 offset1:12
	s_waitcnt vmcnt(24) lgkmcnt(2)
	v_fma_f64 v[90:91], -v[122:123], v[144:145], v[90:91]
	s_waitcnt vmcnt(23)
	v_fma_f64 v[120:121], -v[122:123], v[146:147], v[120:121]
	ds_read2_b64 v[144:147], v193 offset0:13 offset1:14
	s_waitcnt vmcnt(22) lgkmcnt(2)
	v_fma_f64 v[88:89], -v[122:123], v[148:149], v[88:89]
	s_waitcnt vmcnt(21)
	v_fma_f64 v[118:119], -v[122:123], v[150:151], v[118:119]
	s_waitcnt vmcnt(20) lgkmcnt(1)
	v_fma_f64 v[86:87], -v[122:123], v[152:153], v[86:87]
	ds_read2_b64 v[148:151], v193 offset0:15 offset1:16
	s_waitcnt vmcnt(19)
	v_fma_f64 v[116:117], -v[122:123], v[154:155], v[116:117]
	ds_read2_b64 v[152:155], v193 offset0:17 offset1:18
	s_waitcnt vmcnt(18) lgkmcnt(2)
	v_fma_f64 v[84:85], -v[122:123], v[144:145], v[84:85]
	s_waitcnt vmcnt(17)
	v_fma_f64 v[114:115], -v[122:123], v[146:147], v[114:115]
	ds_read2_b64 v[144:147], v193 offset0:19 offset1:20
	s_waitcnt vmcnt(16) lgkmcnt(2)
	v_fma_f64 v[82:83], -v[122:123], v[148:149], v[82:83]
	;; [unrolled: 5-line block ×3, first 2 shown]
	s_waitcnt vmcnt(13)
	v_fma_f64 v[110:111], -v[122:123], v[154:155], v[110:111]
	s_waitcnt vmcnt(12) lgkmcnt(1)
	v_fma_f64 v[78:79], -v[122:123], v[144:145], v[78:79]
	ds_read2_b64 v[152:155], v193 offset0:23 offset1:24
	s_waitcnt vmcnt(11)
	v_fma_f64 v[108:109], -v[122:123], v[146:147], v[108:109]
	ds_read2_b64 v[144:147], v193 offset0:25 offset1:26
	s_waitcnt vmcnt(10) lgkmcnt(2)
	v_fma_f64 v[76:77], -v[122:123], v[148:149], v[76:77]
	s_waitcnt vmcnt(9)
	v_fma_f64 v[106:107], -v[122:123], v[150:151], v[106:107]
	s_waitcnt vmcnt(8) lgkmcnt(1)
	v_fma_f64 v[74:75], -v[122:123], v[152:153], v[74:75]
	s_waitcnt vmcnt(7)
	v_fma_f64 v[104:105], -v[122:123], v[154:155], v[104:105]
	ds_read2_b64 v[148:151], v193 offset0:27 offset1:28
	ds_read2_b64 v[152:155], v193 offset0:29 offset1:30
	s_waitcnt vmcnt(6) lgkmcnt(2)
	v_fma_f64 v[72:73], -v[122:123], v[144:145], v[72:73]
	ds_read_b64 v[144:145], v193 offset:248
	s_waitcnt vmcnt(5)
	v_fma_f64 v[102:103], -v[122:123], v[146:147], v[102:103]
	s_waitcnt vmcnt(4) lgkmcnt(2)
	v_fma_f64 v[70:71], -v[122:123], v[148:149], v[70:71]
	s_waitcnt vmcnt(3)
	v_fma_f64 v[100:101], -v[122:123], v[150:151], v[100:101]
	s_waitcnt vmcnt(2) lgkmcnt(1)
	v_fma_f64 v[68:69], -v[122:123], v[152:153], v[68:69]
	;; [unrolled: 4-line block ×3, first 2 shown]
.LBB63_36:
	s_or_b64 exec, exec, s[2:3]
	v_cmp_eq_u32_e32 vcc, 7, v194
	s_waitcnt lgkmcnt(0)
	s_barrier
	s_and_saveexec_b64 s[2:3], vcc
	s_cbranch_execz .LBB63_39
; %bb.37:
	s_waitcnt vmcnt(23)
	v_mov_b32_e32 v144, v120
	v_mov_b32_e32 v145, v121
	s_waitcnt vmcnt(22)
	v_mov_b32_e32 v146, v88
	v_mov_b32_e32 v147, v89
	ds_write_b64 v192, v[90:91]
	ds_write2_b64 v193, v[144:145], v[146:147] offset0:8 offset1:9
	s_waitcnt vmcnt(21)
	v_mov_b32_e32 v144, v118
	v_mov_b32_e32 v145, v119
	s_waitcnt vmcnt(20)
	v_mov_b32_e32 v146, v86
	v_mov_b32_e32 v147, v87
	ds_write2_b64 v193, v[144:145], v[146:147] offset0:10 offset1:11
	s_waitcnt vmcnt(19)
	v_mov_b32_e32 v144, v116
	v_mov_b32_e32 v145, v117
	s_waitcnt vmcnt(18)
	v_mov_b32_e32 v146, v84
	v_mov_b32_e32 v147, v85
	;; [unrolled: 7-line block ×10, first 2 shown]
	ds_write2_b64 v193, v[144:145], v[146:147] offset0:28 offset1:29
	s_waitcnt vmcnt(1)
	v_mov_b32_e32 v144, v98
	v_mov_b32_e32 v145, v99
	s_waitcnt vmcnt(0)
	ds_write2_b64 v193, v[144:145], v[128:129] offset0:30 offset1:31
	ds_read_b64 v[144:145], v192
	s_waitcnt lgkmcnt(0)
	v_cmp_neq_f64_e32 vcc, 0, v[144:145]
	s_and_b64 exec, exec, vcc
	s_cbranch_execz .LBB63_39
; %bb.38:
	v_div_scale_f64 v[146:147], s[6:7], v[144:145], v[144:145], 1.0
	v_rcp_f64_e32 v[148:149], v[146:147]
	v_div_scale_f64 v[150:151], vcc, 1.0, v[144:145], 1.0
	v_fma_f64 v[152:153], -v[146:147], v[148:149], 1.0
	v_fmac_f64_e32 v[148:149], v[148:149], v[152:153]
	v_fma_f64 v[152:153], -v[146:147], v[148:149], 1.0
	v_fmac_f64_e32 v[148:149], v[148:149], v[152:153]
	v_mul_f64 v[152:153], v[150:151], v[148:149]
	v_fma_f64 v[146:147], -v[146:147], v[152:153], v[150:151]
	v_div_fmas_f64 v[146:147], v[146:147], v[148:149], v[152:153]
	v_div_fixup_f64 v[144:145], v[146:147], v[144:145], 1.0
	ds_write_b64 v192, v[144:145]
.LBB63_39:
	s_or_b64 exec, exec, s[2:3]
	s_waitcnt lgkmcnt(0)
	s_barrier
	ds_read_b64 v[144:145], v192
	v_cmp_lt_u32_e32 vcc, 7, v194
	s_and_saveexec_b64 s[2:3], vcc
	s_cbranch_execz .LBB63_41
; %bb.40:
	ds_read2_b64 v[146:149], v193 offset0:8 offset1:9
	ds_read2_b64 v[150:153], v193 offset0:10 offset1:11
	;; [unrolled: 1-line block ×3, first 2 shown]
	s_waitcnt vmcnt(24) lgkmcnt(3)
	v_mul_f64 v[90:91], v[144:145], v[90:91]
	s_waitcnt vmcnt(23) lgkmcnt(2)
	v_fma_f64 v[120:121], -v[90:91], v[146:147], v[120:121]
	s_waitcnt vmcnt(22)
	v_fma_f64 v[88:89], -v[90:91], v[148:149], v[88:89]
	ds_read2_b64 v[146:149], v193 offset0:14 offset1:15
	s_waitcnt vmcnt(21) lgkmcnt(2)
	v_fma_f64 v[118:119], -v[90:91], v[150:151], v[118:119]
	s_waitcnt vmcnt(20)
	v_fma_f64 v[86:87], -v[90:91], v[152:153], v[86:87]
	s_waitcnt vmcnt(19) lgkmcnt(1)
	v_fma_f64 v[116:117], -v[90:91], v[154:155], v[116:117]
	ds_read2_b64 v[150:153], v193 offset0:16 offset1:17
	s_waitcnt vmcnt(18)
	v_fma_f64 v[84:85], -v[90:91], v[156:157], v[84:85]
	ds_read2_b64 v[154:157], v193 offset0:18 offset1:19
	s_waitcnt vmcnt(17) lgkmcnt(2)
	v_fma_f64 v[114:115], -v[90:91], v[146:147], v[114:115]
	s_waitcnt vmcnt(16)
	v_fma_f64 v[82:83], -v[90:91], v[148:149], v[82:83]
	s_waitcnt vmcnt(15) lgkmcnt(1)
	v_fma_f64 v[112:113], -v[90:91], v[150:151], v[112:113]
	ds_read2_b64 v[146:149], v193 offset0:20 offset1:21
	s_waitcnt vmcnt(14)
	v_fma_f64 v[80:81], -v[90:91], v[152:153], v[80:81]
	ds_read2_b64 v[150:153], v193 offset0:22 offset1:23
	s_waitcnt vmcnt(13) lgkmcnt(2)
	v_fma_f64 v[110:111], -v[90:91], v[154:155], v[110:111]
	s_waitcnt vmcnt(12)
	v_fma_f64 v[78:79], -v[90:91], v[156:157], v[78:79]
	ds_read2_b64 v[154:157], v193 offset0:24 offset1:25
	s_waitcnt vmcnt(11) lgkmcnt(2)
	v_fma_f64 v[108:109], -v[90:91], v[146:147], v[108:109]
	;; [unrolled: 5-line block ×3, first 2 shown]
	s_waitcnt vmcnt(8)
	v_fma_f64 v[74:75], -v[90:91], v[152:153], v[74:75]
	s_waitcnt vmcnt(7) lgkmcnt(1)
	v_fma_f64 v[104:105], -v[90:91], v[154:155], v[104:105]
	ds_read2_b64 v[150:153], v193 offset0:28 offset1:29
	s_waitcnt vmcnt(6)
	v_fma_f64 v[72:73], -v[90:91], v[156:157], v[72:73]
	ds_read2_b64 v[154:157], v193 offset0:30 offset1:31
	s_waitcnt vmcnt(5) lgkmcnt(2)
	v_fma_f64 v[102:103], -v[90:91], v[146:147], v[102:103]
	s_waitcnt vmcnt(4)
	v_fma_f64 v[70:71], -v[90:91], v[148:149], v[70:71]
	s_waitcnt vmcnt(3) lgkmcnt(1)
	v_fma_f64 v[100:101], -v[90:91], v[150:151], v[100:101]
	s_waitcnt vmcnt(2)
	v_fma_f64 v[68:69], -v[90:91], v[152:153], v[68:69]
	;; [unrolled: 4-line block ×3, first 2 shown]
.LBB63_41:
	s_or_b64 exec, exec, s[2:3]
	v_cmp_eq_u32_e32 vcc, 8, v194
	s_waitcnt lgkmcnt(0)
	s_barrier
	s_and_saveexec_b64 s[2:3], vcc
	s_cbranch_execz .LBB63_44
; %bb.42:
	s_waitcnt vmcnt(23)
	ds_write_b64 v192, v[120:121]
	s_waitcnt vmcnt(21)
	ds_write2_b64 v193, v[88:89], v[118:119] offset0:9 offset1:10
	s_waitcnt vmcnt(19)
	ds_write2_b64 v193, v[86:87], v[116:117] offset0:11 offset1:12
	;; [unrolled: 2-line block ×11, first 2 shown]
	s_waitcnt vmcnt(0)
	ds_write_b64 v193, v[128:129] offset:248
	ds_read_b64 v[146:147], v192
	s_waitcnt lgkmcnt(0)
	v_cmp_neq_f64_e32 vcc, 0, v[146:147]
	s_and_b64 exec, exec, vcc
	s_cbranch_execz .LBB63_44
; %bb.43:
	v_div_scale_f64 v[148:149], s[6:7], v[146:147], v[146:147], 1.0
	v_rcp_f64_e32 v[150:151], v[148:149]
	v_div_scale_f64 v[152:153], vcc, 1.0, v[146:147], 1.0
	v_fma_f64 v[154:155], -v[148:149], v[150:151], 1.0
	v_fmac_f64_e32 v[150:151], v[150:151], v[154:155]
	v_fma_f64 v[154:155], -v[148:149], v[150:151], 1.0
	v_fmac_f64_e32 v[150:151], v[150:151], v[154:155]
	v_mul_f64 v[154:155], v[152:153], v[150:151]
	v_fma_f64 v[148:149], -v[148:149], v[154:155], v[152:153]
	v_div_fmas_f64 v[148:149], v[148:149], v[150:151], v[154:155]
	v_div_fixup_f64 v[146:147], v[148:149], v[146:147], 1.0
	ds_write_b64 v192, v[146:147]
.LBB63_44:
	s_or_b64 exec, exec, s[2:3]
	s_waitcnt lgkmcnt(0)
	s_barrier
	ds_read_b64 v[146:147], v192
	v_cmp_lt_u32_e32 vcc, 8, v194
	s_and_saveexec_b64 s[2:3], vcc
	s_cbranch_execz .LBB63_46
; %bb.45:
	ds_read2_b64 v[148:151], v193 offset0:9 offset1:10
	ds_read2_b64 v[152:155], v193 offset0:11 offset1:12
	;; [unrolled: 1-line block ×3, first 2 shown]
	s_waitcnt vmcnt(23) lgkmcnt(3)
	v_mul_f64 v[120:121], v[146:147], v[120:121]
	s_waitcnt vmcnt(22) lgkmcnt(2)
	v_fma_f64 v[88:89], -v[120:121], v[148:149], v[88:89]
	s_waitcnt vmcnt(21)
	v_fma_f64 v[118:119], -v[120:121], v[150:151], v[118:119]
	ds_read2_b64 v[148:151], v193 offset0:15 offset1:16
	s_waitcnt vmcnt(20) lgkmcnt(2)
	v_fma_f64 v[86:87], -v[120:121], v[152:153], v[86:87]
	s_waitcnt vmcnt(19)
	v_fma_f64 v[116:117], -v[120:121], v[154:155], v[116:117]
	s_waitcnt vmcnt(18) lgkmcnt(1)
	v_fma_f64 v[84:85], -v[120:121], v[156:157], v[84:85]
	ds_read2_b64 v[152:155], v193 offset0:17 offset1:18
	s_waitcnt vmcnt(17)
	v_fma_f64 v[114:115], -v[120:121], v[158:159], v[114:115]
	ds_read2_b64 v[156:159], v193 offset0:19 offset1:20
	s_waitcnt vmcnt(16) lgkmcnt(2)
	v_fma_f64 v[82:83], -v[120:121], v[148:149], v[82:83]
	s_waitcnt vmcnt(15)
	v_fma_f64 v[112:113], -v[120:121], v[150:151], v[112:113]
	s_waitcnt vmcnt(14) lgkmcnt(1)
	v_fma_f64 v[80:81], -v[120:121], v[152:153], v[80:81]
	ds_read2_b64 v[148:151], v193 offset0:21 offset1:22
	s_waitcnt vmcnt(13)
	v_fma_f64 v[110:111], -v[120:121], v[154:155], v[110:111]
	ds_read2_b64 v[152:155], v193 offset0:23 offset1:24
	s_waitcnt vmcnt(12) lgkmcnt(2)
	v_fma_f64 v[78:79], -v[120:121], v[156:157], v[78:79]
	s_waitcnt vmcnt(11)
	v_fma_f64 v[108:109], -v[120:121], v[158:159], v[108:109]
	ds_read2_b64 v[156:159], v193 offset0:25 offset1:26
	s_waitcnt vmcnt(10) lgkmcnt(2)
	v_fma_f64 v[76:77], -v[120:121], v[148:149], v[76:77]
	;; [unrolled: 5-line block ×3, first 2 shown]
	s_waitcnt vmcnt(7)
	v_fma_f64 v[104:105], -v[120:121], v[154:155], v[104:105]
	s_waitcnt vmcnt(6) lgkmcnt(1)
	v_fma_f64 v[72:73], -v[120:121], v[156:157], v[72:73]
	ds_read2_b64 v[152:155], v193 offset0:29 offset1:30
	ds_read_b64 v[156:157], v193 offset:248
	s_waitcnt vmcnt(5)
	v_fma_f64 v[102:103], -v[120:121], v[158:159], v[102:103]
	s_waitcnt vmcnt(4) lgkmcnt(2)
	v_fma_f64 v[70:71], -v[120:121], v[148:149], v[70:71]
	s_waitcnt vmcnt(3)
	v_fma_f64 v[100:101], -v[120:121], v[150:151], v[100:101]
	s_waitcnt vmcnt(2) lgkmcnt(1)
	v_fma_f64 v[68:69], -v[120:121], v[152:153], v[68:69]
	s_waitcnt vmcnt(1)
	v_fma_f64 v[98:99], -v[120:121], v[154:155], v[98:99]
	s_waitcnt vmcnt(0) lgkmcnt(0)
	v_fma_f64 v[128:129], -v[120:121], v[156:157], v[128:129]
.LBB63_46:
	s_or_b64 exec, exec, s[2:3]
	v_cmp_eq_u32_e32 vcc, 9, v194
	s_waitcnt lgkmcnt(0)
	s_barrier
	s_and_saveexec_b64 s[2:3], vcc
	s_cbranch_execz .LBB63_49
; %bb.47:
	s_waitcnt vmcnt(21)
	v_mov_b32_e32 v148, v118
	v_mov_b32_e32 v149, v119
	s_waitcnt vmcnt(20)
	v_mov_b32_e32 v150, v86
	v_mov_b32_e32 v151, v87
	ds_write_b64 v192, v[88:89]
	ds_write2_b64 v193, v[148:149], v[150:151] offset0:10 offset1:11
	s_waitcnt vmcnt(19)
	v_mov_b32_e32 v148, v116
	v_mov_b32_e32 v149, v117
	s_waitcnt vmcnt(18)
	v_mov_b32_e32 v150, v84
	v_mov_b32_e32 v151, v85
	ds_write2_b64 v193, v[148:149], v[150:151] offset0:12 offset1:13
	s_waitcnt vmcnt(17)
	v_mov_b32_e32 v148, v114
	v_mov_b32_e32 v149, v115
	s_waitcnt vmcnt(16)
	v_mov_b32_e32 v150, v82
	v_mov_b32_e32 v151, v83
	;; [unrolled: 7-line block ×9, first 2 shown]
	ds_write2_b64 v193, v[148:149], v[150:151] offset0:28 offset1:29
	s_waitcnt vmcnt(1)
	v_mov_b32_e32 v148, v98
	v_mov_b32_e32 v149, v99
	s_waitcnt vmcnt(0)
	ds_write2_b64 v193, v[148:149], v[128:129] offset0:30 offset1:31
	ds_read_b64 v[148:149], v192
	s_waitcnt lgkmcnt(0)
	v_cmp_neq_f64_e32 vcc, 0, v[148:149]
	s_and_b64 exec, exec, vcc
	s_cbranch_execz .LBB63_49
; %bb.48:
	v_div_scale_f64 v[150:151], s[6:7], v[148:149], v[148:149], 1.0
	v_rcp_f64_e32 v[152:153], v[150:151]
	v_div_scale_f64 v[154:155], vcc, 1.0, v[148:149], 1.0
	v_fma_f64 v[156:157], -v[150:151], v[152:153], 1.0
	v_fmac_f64_e32 v[152:153], v[152:153], v[156:157]
	v_fma_f64 v[156:157], -v[150:151], v[152:153], 1.0
	v_fmac_f64_e32 v[152:153], v[152:153], v[156:157]
	v_mul_f64 v[156:157], v[154:155], v[152:153]
	v_fma_f64 v[150:151], -v[150:151], v[156:157], v[154:155]
	v_div_fmas_f64 v[150:151], v[150:151], v[152:153], v[156:157]
	v_div_fixup_f64 v[148:149], v[150:151], v[148:149], 1.0
	ds_write_b64 v192, v[148:149]
.LBB63_49:
	s_or_b64 exec, exec, s[2:3]
	s_waitcnt lgkmcnt(0)
	s_barrier
	ds_read_b64 v[148:149], v192
	v_cmp_lt_u32_e32 vcc, 9, v194
	s_and_saveexec_b64 s[2:3], vcc
	s_cbranch_execz .LBB63_51
; %bb.50:
	ds_read2_b64 v[150:153], v193 offset0:10 offset1:11
	ds_read2_b64 v[154:157], v193 offset0:12 offset1:13
	s_waitcnt vmcnt(22) lgkmcnt(2)
	v_mul_f64 v[88:89], v[148:149], v[88:89]
	ds_read2_b64 v[158:161], v193 offset0:14 offset1:15
	s_waitcnt vmcnt(21) lgkmcnt(2)
	v_fma_f64 v[118:119], -v[88:89], v[150:151], v[118:119]
	s_waitcnt vmcnt(20)
	v_fma_f64 v[86:87], -v[88:89], v[152:153], v[86:87]
	ds_read2_b64 v[150:153], v193 offset0:16 offset1:17
	s_waitcnt vmcnt(19) lgkmcnt(2)
	v_fma_f64 v[116:117], -v[88:89], v[154:155], v[116:117]
	s_waitcnt vmcnt(18)
	v_fma_f64 v[84:85], -v[88:89], v[156:157], v[84:85]
	;; [unrolled: 5-line block ×4, first 2 shown]
	s_waitcnt vmcnt(13) lgkmcnt(1)
	v_fma_f64 v[110:111], -v[88:89], v[154:155], v[110:111]
	ds_read2_b64 v[150:153], v193 offset0:22 offset1:23
	s_waitcnt vmcnt(12)
	v_fma_f64 v[78:79], -v[88:89], v[156:157], v[78:79]
	ds_read2_b64 v[154:157], v193 offset0:24 offset1:25
	s_waitcnt vmcnt(11) lgkmcnt(2)
	v_fma_f64 v[108:109], -v[88:89], v[158:159], v[108:109]
	s_waitcnt vmcnt(10)
	v_fma_f64 v[76:77], -v[88:89], v[160:161], v[76:77]
	s_waitcnt vmcnt(9) lgkmcnt(1)
	v_fma_f64 v[106:107], -v[88:89], v[150:151], v[106:107]
	s_waitcnt vmcnt(8)
	v_fma_f64 v[74:75], -v[88:89], v[152:153], v[74:75]
	ds_read2_b64 v[150:153], v193 offset0:26 offset1:27
	ds_read2_b64 v[158:161], v193 offset0:28 offset1:29
	s_waitcnt vmcnt(7) lgkmcnt(2)
	v_fma_f64 v[104:105], -v[88:89], v[154:155], v[104:105]
	s_waitcnt vmcnt(6)
	v_fma_f64 v[72:73], -v[88:89], v[156:157], v[72:73]
	ds_read2_b64 v[154:157], v193 offset0:30 offset1:31
	s_waitcnt vmcnt(5) lgkmcnt(2)
	v_fma_f64 v[102:103], -v[88:89], v[150:151], v[102:103]
	s_waitcnt vmcnt(4)
	v_fma_f64 v[70:71], -v[88:89], v[152:153], v[70:71]
	s_waitcnt vmcnt(3) lgkmcnt(1)
	v_fma_f64 v[100:101], -v[88:89], v[158:159], v[100:101]
	s_waitcnt vmcnt(2)
	v_fma_f64 v[68:69], -v[88:89], v[160:161], v[68:69]
	;; [unrolled: 4-line block ×3, first 2 shown]
.LBB63_51:
	s_or_b64 exec, exec, s[2:3]
	v_cmp_eq_u32_e32 vcc, 10, v194
	s_waitcnt lgkmcnt(0)
	s_barrier
	s_and_saveexec_b64 s[2:3], vcc
	s_cbranch_execz .LBB63_54
; %bb.52:
	s_waitcnt vmcnt(21)
	ds_write_b64 v192, v[118:119]
	s_waitcnt vmcnt(19)
	ds_write2_b64 v193, v[86:87], v[116:117] offset0:11 offset1:12
	s_waitcnt vmcnt(17)
	ds_write2_b64 v193, v[84:85], v[114:115] offset0:13 offset1:14
	;; [unrolled: 2-line block ×10, first 2 shown]
	s_waitcnt vmcnt(0)
	ds_write_b64 v193, v[128:129] offset:248
	ds_read_b64 v[150:151], v192
	s_waitcnt lgkmcnt(0)
	v_cmp_neq_f64_e32 vcc, 0, v[150:151]
	s_and_b64 exec, exec, vcc
	s_cbranch_execz .LBB63_54
; %bb.53:
	v_div_scale_f64 v[152:153], s[6:7], v[150:151], v[150:151], 1.0
	v_rcp_f64_e32 v[154:155], v[152:153]
	v_div_scale_f64 v[156:157], vcc, 1.0, v[150:151], 1.0
	v_fma_f64 v[158:159], -v[152:153], v[154:155], 1.0
	v_fmac_f64_e32 v[154:155], v[154:155], v[158:159]
	v_fma_f64 v[158:159], -v[152:153], v[154:155], 1.0
	v_fmac_f64_e32 v[154:155], v[154:155], v[158:159]
	v_mul_f64 v[158:159], v[156:157], v[154:155]
	v_fma_f64 v[152:153], -v[152:153], v[158:159], v[156:157]
	v_div_fmas_f64 v[152:153], v[152:153], v[154:155], v[158:159]
	v_div_fixup_f64 v[150:151], v[152:153], v[150:151], 1.0
	ds_write_b64 v192, v[150:151]
.LBB63_54:
	s_or_b64 exec, exec, s[2:3]
	s_waitcnt lgkmcnt(0)
	s_barrier
	ds_read_b64 v[150:151], v192
	v_cmp_lt_u32_e32 vcc, 10, v194
	s_and_saveexec_b64 s[2:3], vcc
	s_cbranch_execz .LBB63_56
; %bb.55:
	ds_read2_b64 v[152:155], v193 offset0:11 offset1:12
	ds_read2_b64 v[156:159], v193 offset0:13 offset1:14
	s_waitcnt vmcnt(21) lgkmcnt(2)
	v_mul_f64 v[118:119], v[150:151], v[118:119]
	ds_read2_b64 v[160:163], v193 offset0:15 offset1:16
	s_waitcnt vmcnt(20) lgkmcnt(2)
	v_fma_f64 v[86:87], -v[118:119], v[152:153], v[86:87]
	s_waitcnt vmcnt(19)
	v_fma_f64 v[116:117], -v[118:119], v[154:155], v[116:117]
	ds_read2_b64 v[152:155], v193 offset0:17 offset1:18
	s_waitcnt vmcnt(18) lgkmcnt(2)
	v_fma_f64 v[84:85], -v[118:119], v[156:157], v[84:85]
	s_waitcnt vmcnt(17)
	v_fma_f64 v[114:115], -v[118:119], v[158:159], v[114:115]
	ds_read2_b64 v[156:159], v193 offset0:19 offset1:20
	s_waitcnt vmcnt(16) lgkmcnt(2)
	v_fma_f64 v[82:83], -v[118:119], v[160:161], v[82:83]
	s_waitcnt vmcnt(15)
	v_fma_f64 v[112:113], -v[118:119], v[162:163], v[112:113]
	ds_read2_b64 v[160:163], v193 offset0:21 offset1:22
	s_waitcnt vmcnt(14) lgkmcnt(2)
	v_fma_f64 v[80:81], -v[118:119], v[152:153], v[80:81]
	s_waitcnt vmcnt(13)
	v_fma_f64 v[110:111], -v[118:119], v[154:155], v[110:111]
	s_waitcnt vmcnt(12) lgkmcnt(1)
	v_fma_f64 v[78:79], -v[118:119], v[156:157], v[78:79]
	ds_read2_b64 v[152:155], v193 offset0:23 offset1:24
	s_waitcnt vmcnt(11)
	v_fma_f64 v[108:109], -v[118:119], v[158:159], v[108:109]
	ds_read2_b64 v[156:159], v193 offset0:25 offset1:26
	s_waitcnt vmcnt(10) lgkmcnt(2)
	v_fma_f64 v[76:77], -v[118:119], v[160:161], v[76:77]
	s_waitcnt vmcnt(9)
	v_fma_f64 v[106:107], -v[118:119], v[162:163], v[106:107]
	s_waitcnt vmcnt(8) lgkmcnt(1)
	v_fma_f64 v[74:75], -v[118:119], v[152:153], v[74:75]
	s_waitcnt vmcnt(7)
	v_fma_f64 v[104:105], -v[118:119], v[154:155], v[104:105]
	ds_read2_b64 v[152:155], v193 offset0:27 offset1:28
	ds_read2_b64 v[160:163], v193 offset0:29 offset1:30
	s_waitcnt vmcnt(6) lgkmcnt(2)
	v_fma_f64 v[72:73], -v[118:119], v[156:157], v[72:73]
	ds_read_b64 v[156:157], v193 offset:248
	s_waitcnt vmcnt(5)
	v_fma_f64 v[102:103], -v[118:119], v[158:159], v[102:103]
	s_waitcnt vmcnt(4) lgkmcnt(2)
	v_fma_f64 v[70:71], -v[118:119], v[152:153], v[70:71]
	s_waitcnt vmcnt(3)
	v_fma_f64 v[100:101], -v[118:119], v[154:155], v[100:101]
	s_waitcnt vmcnt(2) lgkmcnt(1)
	v_fma_f64 v[68:69], -v[118:119], v[160:161], v[68:69]
	;; [unrolled: 4-line block ×3, first 2 shown]
.LBB63_56:
	s_or_b64 exec, exec, s[2:3]
	v_cmp_eq_u32_e32 vcc, 11, v194
	s_waitcnt lgkmcnt(0)
	s_barrier
	s_and_saveexec_b64 s[2:3], vcc
	s_cbranch_execz .LBB63_59
; %bb.57:
	s_waitcnt vmcnt(19)
	v_mov_b32_e32 v152, v116
	v_mov_b32_e32 v153, v117
	s_waitcnt vmcnt(18)
	v_mov_b32_e32 v154, v84
	v_mov_b32_e32 v155, v85
	ds_write_b64 v192, v[86:87]
	ds_write2_b64 v193, v[152:153], v[154:155] offset0:12 offset1:13
	s_waitcnt vmcnt(17)
	v_mov_b32_e32 v152, v114
	v_mov_b32_e32 v153, v115
	s_waitcnt vmcnt(16)
	v_mov_b32_e32 v154, v82
	v_mov_b32_e32 v155, v83
	ds_write2_b64 v193, v[152:153], v[154:155] offset0:14 offset1:15
	s_waitcnt vmcnt(15)
	v_mov_b32_e32 v152, v112
	v_mov_b32_e32 v153, v113
	s_waitcnt vmcnt(14)
	v_mov_b32_e32 v154, v80
	v_mov_b32_e32 v155, v81
	;; [unrolled: 7-line block ×8, first 2 shown]
	ds_write2_b64 v193, v[152:153], v[154:155] offset0:28 offset1:29
	s_waitcnt vmcnt(1)
	v_mov_b32_e32 v152, v98
	v_mov_b32_e32 v153, v99
	s_waitcnt vmcnt(0)
	ds_write2_b64 v193, v[152:153], v[128:129] offset0:30 offset1:31
	ds_read_b64 v[152:153], v192
	s_waitcnt lgkmcnt(0)
	v_cmp_neq_f64_e32 vcc, 0, v[152:153]
	s_and_b64 exec, exec, vcc
	s_cbranch_execz .LBB63_59
; %bb.58:
	v_div_scale_f64 v[154:155], s[6:7], v[152:153], v[152:153], 1.0
	v_rcp_f64_e32 v[156:157], v[154:155]
	v_div_scale_f64 v[158:159], vcc, 1.0, v[152:153], 1.0
	v_fma_f64 v[160:161], -v[154:155], v[156:157], 1.0
	v_fmac_f64_e32 v[156:157], v[156:157], v[160:161]
	v_fma_f64 v[160:161], -v[154:155], v[156:157], 1.0
	v_fmac_f64_e32 v[156:157], v[156:157], v[160:161]
	v_mul_f64 v[160:161], v[158:159], v[156:157]
	v_fma_f64 v[154:155], -v[154:155], v[160:161], v[158:159]
	v_div_fmas_f64 v[154:155], v[154:155], v[156:157], v[160:161]
	v_div_fixup_f64 v[152:153], v[154:155], v[152:153], 1.0
	ds_write_b64 v192, v[152:153]
.LBB63_59:
	s_or_b64 exec, exec, s[2:3]
	s_waitcnt lgkmcnt(0)
	s_barrier
	ds_read_b64 v[152:153], v192
	v_cmp_lt_u32_e32 vcc, 11, v194
	s_and_saveexec_b64 s[2:3], vcc
	s_cbranch_execz .LBB63_61
; %bb.60:
	ds_read2_b64 v[154:157], v193 offset0:12 offset1:13
	s_waitcnt vmcnt(20) lgkmcnt(1)
	v_mul_f64 v[86:87], v[152:153], v[86:87]
	s_waitcnt vmcnt(19) lgkmcnt(0)
	v_fma_f64 v[116:117], -v[86:87], v[154:155], v[116:117]
	s_waitcnt vmcnt(18)
	v_fma_f64 v[84:85], -v[86:87], v[156:157], v[84:85]
	ds_read2_b64 v[154:157], v193 offset0:14 offset1:15
	s_waitcnt vmcnt(17) lgkmcnt(0)
	v_fma_f64 v[114:115], -v[86:87], v[154:155], v[114:115]
	s_waitcnt vmcnt(16)
	v_fma_f64 v[82:83], -v[86:87], v[156:157], v[82:83]
	ds_read2_b64 v[154:157], v193 offset0:16 offset1:17
	;; [unrolled: 5-line block ×9, first 2 shown]
	s_waitcnt vmcnt(1) lgkmcnt(0)
	v_fma_f64 v[98:99], -v[86:87], v[154:155], v[98:99]
	s_waitcnt vmcnt(0)
	v_fma_f64 v[128:129], -v[86:87], v[156:157], v[128:129]
.LBB63_61:
	s_or_b64 exec, exec, s[2:3]
	v_cmp_eq_u32_e32 vcc, 12, v194
	s_waitcnt lgkmcnt(0)
	s_barrier
	s_and_saveexec_b64 s[2:3], vcc
	s_cbranch_execz .LBB63_64
; %bb.62:
	s_waitcnt vmcnt(19)
	ds_write_b64 v192, v[116:117]
	s_waitcnt vmcnt(17)
	ds_write2_b64 v193, v[84:85], v[114:115] offset0:13 offset1:14
	s_waitcnt vmcnt(15)
	ds_write2_b64 v193, v[82:83], v[112:113] offset0:15 offset1:16
	;; [unrolled: 2-line block ×9, first 2 shown]
	s_waitcnt vmcnt(0)
	ds_write_b64 v193, v[128:129] offset:248
	ds_read_b64 v[154:155], v192
	s_waitcnt lgkmcnt(0)
	v_cmp_neq_f64_e32 vcc, 0, v[154:155]
	s_and_b64 exec, exec, vcc
	s_cbranch_execz .LBB63_64
; %bb.63:
	v_div_scale_f64 v[156:157], s[6:7], v[154:155], v[154:155], 1.0
	v_rcp_f64_e32 v[158:159], v[156:157]
	v_div_scale_f64 v[160:161], vcc, 1.0, v[154:155], 1.0
	v_fma_f64 v[162:163], -v[156:157], v[158:159], 1.0
	v_fmac_f64_e32 v[158:159], v[158:159], v[162:163]
	v_fma_f64 v[162:163], -v[156:157], v[158:159], 1.0
	v_fmac_f64_e32 v[158:159], v[158:159], v[162:163]
	v_mul_f64 v[162:163], v[160:161], v[158:159]
	v_fma_f64 v[156:157], -v[156:157], v[162:163], v[160:161]
	v_div_fmas_f64 v[156:157], v[156:157], v[158:159], v[162:163]
	v_div_fixup_f64 v[154:155], v[156:157], v[154:155], 1.0
	ds_write_b64 v192, v[154:155]
.LBB63_64:
	s_or_b64 exec, exec, s[2:3]
	s_waitcnt lgkmcnt(0)
	s_barrier
	ds_read_b64 v[154:155], v192
	v_cmp_lt_u32_e32 vcc, 12, v194
	s_and_saveexec_b64 s[2:3], vcc
	s_cbranch_execz .LBB63_66
; %bb.65:
	ds_read2_b64 v[156:159], v193 offset0:13 offset1:14
	ds_read2_b64 v[160:163], v193 offset0:15 offset1:16
	s_waitcnt vmcnt(19) lgkmcnt(2)
	v_mul_f64 v[116:117], v[154:155], v[116:117]
	ds_read2_b64 v[164:167], v193 offset0:17 offset1:18
	s_waitcnt vmcnt(18) lgkmcnt(2)
	v_fma_f64 v[84:85], -v[116:117], v[156:157], v[84:85]
	s_waitcnt vmcnt(17)
	v_fma_f64 v[114:115], -v[116:117], v[158:159], v[114:115]
	ds_read2_b64 v[156:159], v193 offset0:19 offset1:20
	s_waitcnt vmcnt(16) lgkmcnt(2)
	v_fma_f64 v[82:83], -v[116:117], v[160:161], v[82:83]
	s_waitcnt vmcnt(15)
	v_fma_f64 v[112:113], -v[116:117], v[162:163], v[112:113]
	s_waitcnt vmcnt(14) lgkmcnt(1)
	v_fma_f64 v[80:81], -v[116:117], v[164:165], v[80:81]
	ds_read2_b64 v[160:163], v193 offset0:21 offset1:22
	s_waitcnt vmcnt(13)
	v_fma_f64 v[110:111], -v[116:117], v[166:167], v[110:111]
	ds_read2_b64 v[164:167], v193 offset0:23 offset1:24
	s_waitcnt vmcnt(12) lgkmcnt(2)
	v_fma_f64 v[78:79], -v[116:117], v[156:157], v[78:79]
	s_waitcnt vmcnt(11)
	v_fma_f64 v[108:109], -v[116:117], v[158:159], v[108:109]
	ds_read2_b64 v[156:159], v193 offset0:25 offset1:26
	s_waitcnt vmcnt(10) lgkmcnt(2)
	v_fma_f64 v[76:77], -v[116:117], v[160:161], v[76:77]
	;; [unrolled: 5-line block ×3, first 2 shown]
	s_waitcnt vmcnt(7)
	v_fma_f64 v[104:105], -v[116:117], v[166:167], v[104:105]
	s_waitcnt vmcnt(6) lgkmcnt(1)
	v_fma_f64 v[72:73], -v[116:117], v[156:157], v[72:73]
	ds_read2_b64 v[164:167], v193 offset0:29 offset1:30
	ds_read_b64 v[156:157], v193 offset:248
	s_waitcnt vmcnt(5)
	v_fma_f64 v[102:103], -v[116:117], v[158:159], v[102:103]
	s_waitcnt vmcnt(4) lgkmcnt(2)
	v_fma_f64 v[70:71], -v[116:117], v[160:161], v[70:71]
	s_waitcnt vmcnt(3)
	v_fma_f64 v[100:101], -v[116:117], v[162:163], v[100:101]
	s_waitcnt vmcnt(2) lgkmcnt(1)
	v_fma_f64 v[68:69], -v[116:117], v[164:165], v[68:69]
	s_waitcnt vmcnt(1)
	v_fma_f64 v[98:99], -v[116:117], v[166:167], v[98:99]
	s_waitcnt vmcnt(0) lgkmcnt(0)
	v_fma_f64 v[128:129], -v[116:117], v[156:157], v[128:129]
.LBB63_66:
	s_or_b64 exec, exec, s[2:3]
	v_cmp_eq_u32_e32 vcc, 13, v194
	s_waitcnt lgkmcnt(0)
	s_barrier
	s_and_saveexec_b64 s[2:3], vcc
	s_cbranch_execz .LBB63_69
; %bb.67:
	s_waitcnt vmcnt(17)
	v_mov_b32_e32 v156, v114
	v_mov_b32_e32 v157, v115
	s_waitcnt vmcnt(16)
	v_mov_b32_e32 v158, v82
	v_mov_b32_e32 v159, v83
	ds_write_b64 v192, v[84:85]
	ds_write2_b64 v193, v[156:157], v[158:159] offset0:14 offset1:15
	s_waitcnt vmcnt(15)
	v_mov_b32_e32 v156, v112
	v_mov_b32_e32 v157, v113
	s_waitcnt vmcnt(14)
	v_mov_b32_e32 v158, v80
	v_mov_b32_e32 v159, v81
	ds_write2_b64 v193, v[156:157], v[158:159] offset0:16 offset1:17
	s_waitcnt vmcnt(13)
	v_mov_b32_e32 v156, v110
	v_mov_b32_e32 v157, v111
	s_waitcnt vmcnt(12)
	v_mov_b32_e32 v158, v78
	v_mov_b32_e32 v159, v79
	;; [unrolled: 7-line block ×7, first 2 shown]
	ds_write2_b64 v193, v[156:157], v[158:159] offset0:28 offset1:29
	s_waitcnt vmcnt(1)
	v_mov_b32_e32 v156, v98
	v_mov_b32_e32 v157, v99
	s_waitcnt vmcnt(0)
	ds_write2_b64 v193, v[156:157], v[128:129] offset0:30 offset1:31
	ds_read_b64 v[156:157], v192
	s_waitcnt lgkmcnt(0)
	v_cmp_neq_f64_e32 vcc, 0, v[156:157]
	s_and_b64 exec, exec, vcc
	s_cbranch_execz .LBB63_69
; %bb.68:
	v_div_scale_f64 v[158:159], s[6:7], v[156:157], v[156:157], 1.0
	v_rcp_f64_e32 v[160:161], v[158:159]
	v_div_scale_f64 v[162:163], vcc, 1.0, v[156:157], 1.0
	v_fma_f64 v[164:165], -v[158:159], v[160:161], 1.0
	v_fmac_f64_e32 v[160:161], v[160:161], v[164:165]
	v_fma_f64 v[164:165], -v[158:159], v[160:161], 1.0
	v_fmac_f64_e32 v[160:161], v[160:161], v[164:165]
	v_mul_f64 v[164:165], v[162:163], v[160:161]
	v_fma_f64 v[158:159], -v[158:159], v[164:165], v[162:163]
	v_div_fmas_f64 v[158:159], v[158:159], v[160:161], v[164:165]
	v_div_fixup_f64 v[156:157], v[158:159], v[156:157], 1.0
	ds_write_b64 v192, v[156:157]
.LBB63_69:
	s_or_b64 exec, exec, s[2:3]
	s_waitcnt lgkmcnt(0)
	s_barrier
	ds_read_b64 v[156:157], v192
	v_cmp_lt_u32_e32 vcc, 13, v194
	s_and_saveexec_b64 s[2:3], vcc
	s_cbranch_execz .LBB63_71
; %bb.70:
	ds_read2_b64 v[158:161], v193 offset0:14 offset1:15
	ds_read2_b64 v[162:165], v193 offset0:16 offset1:17
	ds_read2_b64 v[166:169], v193 offset0:18 offset1:19
	s_waitcnt vmcnt(18) lgkmcnt(3)
	v_mul_f64 v[84:85], v[156:157], v[84:85]
	s_waitcnt vmcnt(17) lgkmcnt(2)
	v_fma_f64 v[114:115], -v[84:85], v[158:159], v[114:115]
	s_waitcnt vmcnt(16)
	v_fma_f64 v[82:83], -v[84:85], v[160:161], v[82:83]
	ds_read2_b64 v[158:161], v193 offset0:20 offset1:21
	s_waitcnt vmcnt(15) lgkmcnt(2)
	v_fma_f64 v[112:113], -v[84:85], v[162:163], v[112:113]
	s_waitcnt vmcnt(14)
	v_fma_f64 v[80:81], -v[84:85], v[164:165], v[80:81]
	s_waitcnt vmcnt(13) lgkmcnt(1)
	v_fma_f64 v[110:111], -v[84:85], v[166:167], v[110:111]
	ds_read2_b64 v[162:165], v193 offset0:22 offset1:23
	s_waitcnt vmcnt(12)
	v_fma_f64 v[78:79], -v[84:85], v[168:169], v[78:79]
	ds_read2_b64 v[166:169], v193 offset0:24 offset1:25
	s_waitcnt vmcnt(11) lgkmcnt(2)
	v_fma_f64 v[108:109], -v[84:85], v[158:159], v[108:109]
	s_waitcnt vmcnt(10)
	v_fma_f64 v[76:77], -v[84:85], v[160:161], v[76:77]
	s_waitcnt vmcnt(9) lgkmcnt(1)
	v_fma_f64 v[106:107], -v[84:85], v[162:163], v[106:107]
	s_waitcnt vmcnt(8)
	v_fma_f64 v[74:75], -v[84:85], v[164:165], v[74:75]
	ds_read2_b64 v[158:161], v193 offset0:26 offset1:27
	ds_read2_b64 v[162:165], v193 offset0:28 offset1:29
	s_waitcnt vmcnt(7) lgkmcnt(2)
	v_fma_f64 v[104:105], -v[84:85], v[166:167], v[104:105]
	s_waitcnt vmcnt(6)
	v_fma_f64 v[72:73], -v[84:85], v[168:169], v[72:73]
	ds_read2_b64 v[166:169], v193 offset0:30 offset1:31
	s_waitcnt vmcnt(5) lgkmcnt(2)
	v_fma_f64 v[102:103], -v[84:85], v[158:159], v[102:103]
	s_waitcnt vmcnt(4)
	v_fma_f64 v[70:71], -v[84:85], v[160:161], v[70:71]
	s_waitcnt vmcnt(3) lgkmcnt(1)
	v_fma_f64 v[100:101], -v[84:85], v[162:163], v[100:101]
	s_waitcnt vmcnt(2)
	v_fma_f64 v[68:69], -v[84:85], v[164:165], v[68:69]
	;; [unrolled: 4-line block ×3, first 2 shown]
.LBB63_71:
	s_or_b64 exec, exec, s[2:3]
	v_cmp_eq_u32_e32 vcc, 14, v194
	s_waitcnt lgkmcnt(0)
	s_barrier
	s_and_saveexec_b64 s[2:3], vcc
	s_cbranch_execz .LBB63_74
; %bb.72:
	s_waitcnt vmcnt(17)
	ds_write_b64 v192, v[114:115]
	s_waitcnt vmcnt(15)
	ds_write2_b64 v193, v[82:83], v[112:113] offset0:15 offset1:16
	s_waitcnt vmcnt(13)
	ds_write2_b64 v193, v[80:81], v[110:111] offset0:17 offset1:18
	;; [unrolled: 2-line block ×8, first 2 shown]
	s_waitcnt vmcnt(0)
	ds_write_b64 v193, v[128:129] offset:248
	ds_read_b64 v[158:159], v192
	s_waitcnt lgkmcnt(0)
	v_cmp_neq_f64_e32 vcc, 0, v[158:159]
	s_and_b64 exec, exec, vcc
	s_cbranch_execz .LBB63_74
; %bb.73:
	v_div_scale_f64 v[160:161], s[6:7], v[158:159], v[158:159], 1.0
	v_rcp_f64_e32 v[162:163], v[160:161]
	v_div_scale_f64 v[164:165], vcc, 1.0, v[158:159], 1.0
	v_fma_f64 v[166:167], -v[160:161], v[162:163], 1.0
	v_fmac_f64_e32 v[162:163], v[162:163], v[166:167]
	v_fma_f64 v[166:167], -v[160:161], v[162:163], 1.0
	v_fmac_f64_e32 v[162:163], v[162:163], v[166:167]
	v_mul_f64 v[166:167], v[164:165], v[162:163]
	v_fma_f64 v[160:161], -v[160:161], v[166:167], v[164:165]
	v_div_fmas_f64 v[160:161], v[160:161], v[162:163], v[166:167]
	v_div_fixup_f64 v[158:159], v[160:161], v[158:159], 1.0
	ds_write_b64 v192, v[158:159]
.LBB63_74:
	s_or_b64 exec, exec, s[2:3]
	s_waitcnt lgkmcnt(0)
	s_barrier
	ds_read_b64 v[158:159], v192
	v_cmp_lt_u32_e32 vcc, 14, v194
	s_and_saveexec_b64 s[2:3], vcc
	s_cbranch_execz .LBB63_76
; %bb.75:
	ds_read2_b64 v[160:163], v193 offset0:15 offset1:16
	ds_read2_b64 v[164:167], v193 offset0:17 offset1:18
	;; [unrolled: 1-line block ×3, first 2 shown]
	s_waitcnt vmcnt(17) lgkmcnt(3)
	v_mul_f64 v[114:115], v[158:159], v[114:115]
	s_waitcnt vmcnt(16) lgkmcnt(2)
	v_fma_f64 v[82:83], -v[114:115], v[160:161], v[82:83]
	s_waitcnt vmcnt(15)
	v_fma_f64 v[112:113], -v[114:115], v[162:163], v[112:113]
	ds_read2_b64 v[160:163], v193 offset0:21 offset1:22
	s_waitcnt vmcnt(14) lgkmcnt(2)
	v_fma_f64 v[80:81], -v[114:115], v[164:165], v[80:81]
	s_waitcnt vmcnt(13)
	v_fma_f64 v[110:111], -v[114:115], v[166:167], v[110:111]
	s_waitcnt vmcnt(12) lgkmcnt(1)
	v_fma_f64 v[78:79], -v[114:115], v[168:169], v[78:79]
	ds_read2_b64 v[164:167], v193 offset0:23 offset1:24
	s_waitcnt vmcnt(11)
	v_fma_f64 v[108:109], -v[114:115], v[170:171], v[108:109]
	ds_read2_b64 v[168:171], v193 offset0:25 offset1:26
	s_waitcnt vmcnt(10) lgkmcnt(2)
	v_fma_f64 v[76:77], -v[114:115], v[160:161], v[76:77]
	s_waitcnt vmcnt(9)
	v_fma_f64 v[106:107], -v[114:115], v[162:163], v[106:107]
	s_waitcnt vmcnt(8) lgkmcnt(1)
	v_fma_f64 v[74:75], -v[114:115], v[164:165], v[74:75]
	s_waitcnt vmcnt(7)
	v_fma_f64 v[104:105], -v[114:115], v[166:167], v[104:105]
	ds_read2_b64 v[160:163], v193 offset0:27 offset1:28
	ds_read2_b64 v[164:167], v193 offset0:29 offset1:30
	s_waitcnt vmcnt(6) lgkmcnt(2)
	v_fma_f64 v[72:73], -v[114:115], v[168:169], v[72:73]
	ds_read_b64 v[168:169], v193 offset:248
	s_waitcnt vmcnt(5)
	v_fma_f64 v[102:103], -v[114:115], v[170:171], v[102:103]
	s_waitcnt vmcnt(4) lgkmcnt(2)
	v_fma_f64 v[70:71], -v[114:115], v[160:161], v[70:71]
	s_waitcnt vmcnt(3)
	v_fma_f64 v[100:101], -v[114:115], v[162:163], v[100:101]
	s_waitcnt vmcnt(2) lgkmcnt(1)
	v_fma_f64 v[68:69], -v[114:115], v[164:165], v[68:69]
	;; [unrolled: 4-line block ×3, first 2 shown]
.LBB63_76:
	s_or_b64 exec, exec, s[2:3]
	v_cmp_eq_u32_e32 vcc, 15, v194
	s_waitcnt lgkmcnt(0)
	s_barrier
	s_and_saveexec_b64 s[2:3], vcc
	s_cbranch_execz .LBB63_79
; %bb.77:
	s_waitcnt vmcnt(15)
	v_mov_b32_e32 v160, v112
	v_mov_b32_e32 v161, v113
	s_waitcnt vmcnt(14)
	v_mov_b32_e32 v162, v80
	v_mov_b32_e32 v163, v81
	ds_write_b64 v192, v[82:83]
	ds_write2_b64 v193, v[160:161], v[162:163] offset0:16 offset1:17
	s_waitcnt vmcnt(13)
	v_mov_b32_e32 v160, v110
	v_mov_b32_e32 v161, v111
	s_waitcnt vmcnt(12)
	v_mov_b32_e32 v162, v78
	v_mov_b32_e32 v163, v79
	ds_write2_b64 v193, v[160:161], v[162:163] offset0:18 offset1:19
	s_waitcnt vmcnt(11)
	v_mov_b32_e32 v160, v108
	v_mov_b32_e32 v161, v109
	s_waitcnt vmcnt(10)
	v_mov_b32_e32 v162, v76
	v_mov_b32_e32 v163, v77
	;; [unrolled: 7-line block ×6, first 2 shown]
	ds_write2_b64 v193, v[160:161], v[162:163] offset0:28 offset1:29
	s_waitcnt vmcnt(1)
	v_mov_b32_e32 v160, v98
	v_mov_b32_e32 v161, v99
	s_waitcnt vmcnt(0)
	ds_write2_b64 v193, v[160:161], v[128:129] offset0:30 offset1:31
	ds_read_b64 v[160:161], v192
	s_waitcnt lgkmcnt(0)
	v_cmp_neq_f64_e32 vcc, 0, v[160:161]
	s_and_b64 exec, exec, vcc
	s_cbranch_execz .LBB63_79
; %bb.78:
	v_div_scale_f64 v[162:163], s[6:7], v[160:161], v[160:161], 1.0
	v_rcp_f64_e32 v[164:165], v[162:163]
	v_div_scale_f64 v[166:167], vcc, 1.0, v[160:161], 1.0
	v_fma_f64 v[168:169], -v[162:163], v[164:165], 1.0
	v_fmac_f64_e32 v[164:165], v[164:165], v[168:169]
	v_fma_f64 v[168:169], -v[162:163], v[164:165], 1.0
	v_fmac_f64_e32 v[164:165], v[164:165], v[168:169]
	v_mul_f64 v[168:169], v[166:167], v[164:165]
	v_fma_f64 v[162:163], -v[162:163], v[168:169], v[166:167]
	v_div_fmas_f64 v[162:163], v[162:163], v[164:165], v[168:169]
	v_div_fixup_f64 v[160:161], v[162:163], v[160:161], 1.0
	ds_write_b64 v192, v[160:161]
.LBB63_79:
	s_or_b64 exec, exec, s[2:3]
	s_waitcnt lgkmcnt(0)
	s_barrier
	ds_read_b64 v[160:161], v192
	v_cmp_lt_u32_e32 vcc, 15, v194
	s_and_saveexec_b64 s[2:3], vcc
	s_cbranch_execz .LBB63_81
; %bb.80:
	ds_read2_b64 v[162:165], v193 offset0:16 offset1:17
	ds_read2_b64 v[166:169], v193 offset0:18 offset1:19
	s_waitcnt vmcnt(16) lgkmcnt(2)
	v_mul_f64 v[82:83], v[160:161], v[82:83]
	ds_read2_b64 v[170:173], v193 offset0:20 offset1:21
	s_waitcnt vmcnt(15) lgkmcnt(2)
	v_fma_f64 v[112:113], -v[82:83], v[162:163], v[112:113]
	s_waitcnt vmcnt(14)
	v_fma_f64 v[80:81], -v[82:83], v[164:165], v[80:81]
	ds_read2_b64 v[162:165], v193 offset0:22 offset1:23
	s_waitcnt vmcnt(13) lgkmcnt(2)
	v_fma_f64 v[110:111], -v[82:83], v[166:167], v[110:111]
	s_waitcnt vmcnt(12)
	v_fma_f64 v[78:79], -v[82:83], v[168:169], v[78:79]
	;; [unrolled: 5-line block ×3, first 2 shown]
	s_waitcnt vmcnt(9) lgkmcnt(1)
	v_fma_f64 v[106:107], -v[82:83], v[162:163], v[106:107]
	s_waitcnt vmcnt(8)
	v_fma_f64 v[74:75], -v[82:83], v[164:165], v[74:75]
	ds_read2_b64 v[162:165], v193 offset0:26 offset1:27
	s_waitcnt vmcnt(7) lgkmcnt(1)
	v_fma_f64 v[104:105], -v[82:83], v[166:167], v[104:105]
	ds_read2_b64 v[170:173], v193 offset0:28 offset1:29
	s_waitcnt vmcnt(6)
	v_fma_f64 v[72:73], -v[82:83], v[168:169], v[72:73]
	ds_read2_b64 v[166:169], v193 offset0:30 offset1:31
	s_waitcnt vmcnt(5) lgkmcnt(2)
	v_fma_f64 v[102:103], -v[82:83], v[162:163], v[102:103]
	s_waitcnt vmcnt(4)
	v_fma_f64 v[70:71], -v[82:83], v[164:165], v[70:71]
	s_waitcnt vmcnt(3) lgkmcnt(1)
	v_fma_f64 v[100:101], -v[82:83], v[170:171], v[100:101]
	s_waitcnt vmcnt(2)
	v_fma_f64 v[68:69], -v[82:83], v[172:173], v[68:69]
	;; [unrolled: 4-line block ×3, first 2 shown]
.LBB63_81:
	s_or_b64 exec, exec, s[2:3]
	v_cmp_eq_u32_e32 vcc, 16, v194
	s_waitcnt lgkmcnt(0)
	s_barrier
	s_and_saveexec_b64 s[2:3], vcc
	s_cbranch_execz .LBB63_84
; %bb.82:
	s_waitcnt vmcnt(15)
	ds_write_b64 v192, v[112:113]
	s_waitcnt vmcnt(13)
	ds_write2_b64 v193, v[80:81], v[110:111] offset0:17 offset1:18
	s_waitcnt vmcnt(11)
	ds_write2_b64 v193, v[78:79], v[108:109] offset0:19 offset1:20
	;; [unrolled: 2-line block ×7, first 2 shown]
	s_waitcnt vmcnt(0)
	ds_write_b64 v193, v[128:129] offset:248
	ds_read_b64 v[162:163], v192
	s_waitcnt lgkmcnt(0)
	v_cmp_neq_f64_e32 vcc, 0, v[162:163]
	s_and_b64 exec, exec, vcc
	s_cbranch_execz .LBB63_84
; %bb.83:
	v_div_scale_f64 v[164:165], s[6:7], v[162:163], v[162:163], 1.0
	v_rcp_f64_e32 v[166:167], v[164:165]
	v_div_scale_f64 v[168:169], vcc, 1.0, v[162:163], 1.0
	v_fma_f64 v[170:171], -v[164:165], v[166:167], 1.0
	v_fmac_f64_e32 v[166:167], v[166:167], v[170:171]
	v_fma_f64 v[170:171], -v[164:165], v[166:167], 1.0
	v_fmac_f64_e32 v[166:167], v[166:167], v[170:171]
	v_mul_f64 v[170:171], v[168:169], v[166:167]
	v_fma_f64 v[164:165], -v[164:165], v[170:171], v[168:169]
	v_div_fmas_f64 v[164:165], v[164:165], v[166:167], v[170:171]
	v_div_fixup_f64 v[162:163], v[164:165], v[162:163], 1.0
	ds_write_b64 v192, v[162:163]
.LBB63_84:
	s_or_b64 exec, exec, s[2:3]
	s_waitcnt lgkmcnt(0)
	s_barrier
	ds_read_b64 v[162:163], v192
	v_cmp_lt_u32_e32 vcc, 16, v194
	s_and_saveexec_b64 s[2:3], vcc
	s_cbranch_execz .LBB63_86
; %bb.85:
	ds_read2_b64 v[164:167], v193 offset0:17 offset1:18
	ds_read2_b64 v[168:171], v193 offset0:19 offset1:20
	s_waitcnt vmcnt(15) lgkmcnt(2)
	v_mul_f64 v[112:113], v[162:163], v[112:113]
	ds_read2_b64 v[172:175], v193 offset0:21 offset1:22
	s_waitcnt vmcnt(14) lgkmcnt(2)
	v_fma_f64 v[80:81], -v[112:113], v[164:165], v[80:81]
	s_waitcnt vmcnt(13)
	v_fma_f64 v[110:111], -v[112:113], v[166:167], v[110:111]
	ds_read2_b64 v[164:167], v193 offset0:23 offset1:24
	s_waitcnt vmcnt(12) lgkmcnt(2)
	v_fma_f64 v[78:79], -v[112:113], v[168:169], v[78:79]
	s_waitcnt vmcnt(11)
	v_fma_f64 v[108:109], -v[112:113], v[170:171], v[108:109]
	;; [unrolled: 5-line block ×3, first 2 shown]
	s_waitcnt vmcnt(8) lgkmcnt(1)
	v_fma_f64 v[74:75], -v[112:113], v[164:165], v[74:75]
	s_waitcnt vmcnt(7)
	v_fma_f64 v[104:105], -v[112:113], v[166:167], v[104:105]
	ds_read2_b64 v[164:167], v193 offset0:27 offset1:28
	s_waitcnt vmcnt(6) lgkmcnt(1)
	v_fma_f64 v[72:73], -v[112:113], v[168:169], v[72:73]
	ds_read2_b64 v[172:175], v193 offset0:29 offset1:30
	ds_read_b64 v[168:169], v193 offset:248
	s_waitcnt vmcnt(5)
	v_fma_f64 v[102:103], -v[112:113], v[170:171], v[102:103]
	s_waitcnt vmcnt(4) lgkmcnt(2)
	v_fma_f64 v[70:71], -v[112:113], v[164:165], v[70:71]
	s_waitcnt vmcnt(3)
	v_fma_f64 v[100:101], -v[112:113], v[166:167], v[100:101]
	s_waitcnt vmcnt(2) lgkmcnt(1)
	v_fma_f64 v[68:69], -v[112:113], v[172:173], v[68:69]
	;; [unrolled: 4-line block ×3, first 2 shown]
.LBB63_86:
	s_or_b64 exec, exec, s[2:3]
	v_cmp_eq_u32_e32 vcc, 17, v194
	s_waitcnt lgkmcnt(0)
	s_barrier
	s_and_saveexec_b64 s[2:3], vcc
	s_cbranch_execz .LBB63_89
; %bb.87:
	s_waitcnt vmcnt(13)
	v_mov_b32_e32 v164, v110
	v_mov_b32_e32 v165, v111
	s_waitcnt vmcnt(12)
	v_mov_b32_e32 v166, v78
	v_mov_b32_e32 v167, v79
	ds_write_b64 v192, v[80:81]
	ds_write2_b64 v193, v[164:165], v[166:167] offset0:18 offset1:19
	s_waitcnt vmcnt(11)
	v_mov_b32_e32 v164, v108
	v_mov_b32_e32 v165, v109
	s_waitcnt vmcnt(10)
	v_mov_b32_e32 v166, v76
	v_mov_b32_e32 v167, v77
	ds_write2_b64 v193, v[164:165], v[166:167] offset0:20 offset1:21
	s_waitcnt vmcnt(9)
	v_mov_b32_e32 v164, v106
	v_mov_b32_e32 v165, v107
	s_waitcnt vmcnt(8)
	v_mov_b32_e32 v166, v74
	v_mov_b32_e32 v167, v75
	;; [unrolled: 7-line block ×5, first 2 shown]
	ds_write2_b64 v193, v[164:165], v[166:167] offset0:28 offset1:29
	s_waitcnt vmcnt(1)
	v_mov_b32_e32 v164, v98
	v_mov_b32_e32 v165, v99
	s_waitcnt vmcnt(0)
	ds_write2_b64 v193, v[164:165], v[128:129] offset0:30 offset1:31
	ds_read_b64 v[164:165], v192
	s_waitcnt lgkmcnt(0)
	v_cmp_neq_f64_e32 vcc, 0, v[164:165]
	s_and_b64 exec, exec, vcc
	s_cbranch_execz .LBB63_89
; %bb.88:
	v_div_scale_f64 v[166:167], s[6:7], v[164:165], v[164:165], 1.0
	v_rcp_f64_e32 v[168:169], v[166:167]
	v_div_scale_f64 v[170:171], vcc, 1.0, v[164:165], 1.0
	v_fma_f64 v[172:173], -v[166:167], v[168:169], 1.0
	v_fmac_f64_e32 v[168:169], v[168:169], v[172:173]
	v_fma_f64 v[172:173], -v[166:167], v[168:169], 1.0
	v_fmac_f64_e32 v[168:169], v[168:169], v[172:173]
	v_mul_f64 v[172:173], v[170:171], v[168:169]
	v_fma_f64 v[166:167], -v[166:167], v[172:173], v[170:171]
	v_div_fmas_f64 v[166:167], v[166:167], v[168:169], v[172:173]
	v_div_fixup_f64 v[164:165], v[166:167], v[164:165], 1.0
	ds_write_b64 v192, v[164:165]
.LBB63_89:
	s_or_b64 exec, exec, s[2:3]
	s_waitcnt lgkmcnt(0)
	s_barrier
	ds_read_b64 v[164:165], v192
	v_cmp_lt_u32_e32 vcc, 17, v194
	s_and_saveexec_b64 s[2:3], vcc
	s_cbranch_execz .LBB63_91
; %bb.90:
	ds_read2_b64 v[166:169], v193 offset0:18 offset1:19
	ds_read2_b64 v[170:173], v193 offset0:20 offset1:21
	s_waitcnt vmcnt(14) lgkmcnt(2)
	v_mul_f64 v[80:81], v[164:165], v[80:81]
	ds_read2_b64 v[174:177], v193 offset0:22 offset1:23
	s_waitcnt vmcnt(13) lgkmcnt(2)
	v_fma_f64 v[110:111], -v[80:81], v[166:167], v[110:111]
	s_waitcnt vmcnt(12)
	v_fma_f64 v[78:79], -v[80:81], v[168:169], v[78:79]
	ds_read2_b64 v[166:169], v193 offset0:24 offset1:25
	s_waitcnt vmcnt(11) lgkmcnt(2)
	v_fma_f64 v[108:109], -v[80:81], v[170:171], v[108:109]
	s_waitcnt vmcnt(10)
	v_fma_f64 v[76:77], -v[80:81], v[172:173], v[76:77]
	s_waitcnt vmcnt(9) lgkmcnt(1)
	v_fma_f64 v[106:107], -v[80:81], v[174:175], v[106:107]
	s_waitcnt vmcnt(8)
	v_fma_f64 v[74:75], -v[80:81], v[176:177], v[74:75]
	ds_read2_b64 v[170:173], v193 offset0:26 offset1:27
	ds_read2_b64 v[174:177], v193 offset0:28 offset1:29
	s_waitcnt vmcnt(7) lgkmcnt(2)
	v_fma_f64 v[104:105], -v[80:81], v[166:167], v[104:105]
	s_waitcnt vmcnt(6)
	v_fma_f64 v[72:73], -v[80:81], v[168:169], v[72:73]
	ds_read2_b64 v[166:169], v193 offset0:30 offset1:31
	s_waitcnt vmcnt(5) lgkmcnt(2)
	v_fma_f64 v[102:103], -v[80:81], v[170:171], v[102:103]
	s_waitcnt vmcnt(4)
	v_fma_f64 v[70:71], -v[80:81], v[172:173], v[70:71]
	s_waitcnt vmcnt(3) lgkmcnt(1)
	v_fma_f64 v[100:101], -v[80:81], v[174:175], v[100:101]
	s_waitcnt vmcnt(2)
	v_fma_f64 v[68:69], -v[80:81], v[176:177], v[68:69]
	;; [unrolled: 4-line block ×3, first 2 shown]
.LBB63_91:
	s_or_b64 exec, exec, s[2:3]
	v_cmp_eq_u32_e32 vcc, 18, v194
	s_waitcnt lgkmcnt(0)
	s_barrier
	s_and_saveexec_b64 s[2:3], vcc
	s_cbranch_execz .LBB63_94
; %bb.92:
	s_waitcnt vmcnt(13)
	ds_write_b64 v192, v[110:111]
	s_waitcnt vmcnt(11)
	ds_write2_b64 v193, v[78:79], v[108:109] offset0:19 offset1:20
	s_waitcnt vmcnt(9)
	ds_write2_b64 v193, v[76:77], v[106:107] offset0:21 offset1:22
	s_waitcnt vmcnt(7)
	ds_write2_b64 v193, v[74:75], v[104:105] offset0:23 offset1:24
	s_waitcnt vmcnt(5)
	ds_write2_b64 v193, v[72:73], v[102:103] offset0:25 offset1:26
	s_waitcnt vmcnt(3)
	ds_write2_b64 v193, v[70:71], v[100:101] offset0:27 offset1:28
	s_waitcnt vmcnt(1)
	ds_write2_b64 v193, v[68:69], v[98:99] offset0:29 offset1:30
	s_waitcnt vmcnt(0)
	ds_write_b64 v193, v[128:129] offset:248
	ds_read_b64 v[166:167], v192
	s_waitcnt lgkmcnt(0)
	v_cmp_neq_f64_e32 vcc, 0, v[166:167]
	s_and_b64 exec, exec, vcc
	s_cbranch_execz .LBB63_94
; %bb.93:
	v_div_scale_f64 v[168:169], s[6:7], v[166:167], v[166:167], 1.0
	v_rcp_f64_e32 v[170:171], v[168:169]
	v_div_scale_f64 v[172:173], vcc, 1.0, v[166:167], 1.0
	v_fma_f64 v[174:175], -v[168:169], v[170:171], 1.0
	v_fmac_f64_e32 v[170:171], v[170:171], v[174:175]
	v_fma_f64 v[174:175], -v[168:169], v[170:171], 1.0
	v_fmac_f64_e32 v[170:171], v[170:171], v[174:175]
	v_mul_f64 v[174:175], v[172:173], v[170:171]
	v_fma_f64 v[168:169], -v[168:169], v[174:175], v[172:173]
	v_div_fmas_f64 v[168:169], v[168:169], v[170:171], v[174:175]
	v_div_fixup_f64 v[166:167], v[168:169], v[166:167], 1.0
	ds_write_b64 v192, v[166:167]
.LBB63_94:
	s_or_b64 exec, exec, s[2:3]
	s_waitcnt lgkmcnt(0)
	s_barrier
	ds_read_b64 v[166:167], v192
	v_cmp_lt_u32_e32 vcc, 18, v194
	s_and_saveexec_b64 s[2:3], vcc
	s_cbranch_execz .LBB63_96
; %bb.95:
	ds_read2_b64 v[168:171], v193 offset0:19 offset1:20
	ds_read2_b64 v[172:175], v193 offset0:21 offset1:22
	s_waitcnt vmcnt(13) lgkmcnt(2)
	v_mul_f64 v[110:111], v[166:167], v[110:111]
	ds_read2_b64 v[176:179], v193 offset0:23 offset1:24
	s_waitcnt vmcnt(12) lgkmcnt(2)
	v_fma_f64 v[78:79], -v[110:111], v[168:169], v[78:79]
	s_waitcnt vmcnt(11)
	v_fma_f64 v[108:109], -v[110:111], v[170:171], v[108:109]
	ds_read2_b64 v[168:171], v193 offset0:25 offset1:26
	s_waitcnt vmcnt(10) lgkmcnt(2)
	v_fma_f64 v[76:77], -v[110:111], v[172:173], v[76:77]
	s_waitcnt vmcnt(9)
	v_fma_f64 v[106:107], -v[110:111], v[174:175], v[106:107]
	s_waitcnt vmcnt(8) lgkmcnt(1)
	v_fma_f64 v[74:75], -v[110:111], v[176:177], v[74:75]
	s_waitcnt vmcnt(7)
	v_fma_f64 v[104:105], -v[110:111], v[178:179], v[104:105]
	ds_read2_b64 v[172:175], v193 offset0:27 offset1:28
	ds_read2_b64 v[176:179], v193 offset0:29 offset1:30
	s_waitcnt vmcnt(6) lgkmcnt(2)
	v_fma_f64 v[72:73], -v[110:111], v[168:169], v[72:73]
	ds_read_b64 v[168:169], v193 offset:248
	s_waitcnt vmcnt(5)
	v_fma_f64 v[102:103], -v[110:111], v[170:171], v[102:103]
	s_waitcnt vmcnt(4) lgkmcnt(2)
	v_fma_f64 v[70:71], -v[110:111], v[172:173], v[70:71]
	s_waitcnt vmcnt(3)
	v_fma_f64 v[100:101], -v[110:111], v[174:175], v[100:101]
	s_waitcnt vmcnt(2) lgkmcnt(1)
	v_fma_f64 v[68:69], -v[110:111], v[176:177], v[68:69]
	;; [unrolled: 4-line block ×3, first 2 shown]
.LBB63_96:
	s_or_b64 exec, exec, s[2:3]
	v_cmp_eq_u32_e32 vcc, 19, v194
	s_waitcnt lgkmcnt(0)
	s_barrier
	s_and_saveexec_b64 s[2:3], vcc
	s_cbranch_execz .LBB63_99
; %bb.97:
	s_waitcnt vmcnt(11)
	v_mov_b32_e32 v168, v108
	v_mov_b32_e32 v169, v109
	s_waitcnt vmcnt(10)
	v_mov_b32_e32 v170, v76
	v_mov_b32_e32 v171, v77
	ds_write_b64 v192, v[78:79]
	ds_write2_b64 v193, v[168:169], v[170:171] offset0:20 offset1:21
	s_waitcnt vmcnt(9)
	v_mov_b32_e32 v168, v106
	v_mov_b32_e32 v169, v107
	s_waitcnt vmcnt(8)
	v_mov_b32_e32 v170, v74
	v_mov_b32_e32 v171, v75
	ds_write2_b64 v193, v[168:169], v[170:171] offset0:22 offset1:23
	s_waitcnt vmcnt(7)
	v_mov_b32_e32 v168, v104
	v_mov_b32_e32 v169, v105
	s_waitcnt vmcnt(6)
	v_mov_b32_e32 v170, v72
	v_mov_b32_e32 v171, v73
	;; [unrolled: 7-line block ×4, first 2 shown]
	ds_write2_b64 v193, v[168:169], v[170:171] offset0:28 offset1:29
	s_waitcnt vmcnt(1)
	v_mov_b32_e32 v168, v98
	v_mov_b32_e32 v169, v99
	s_waitcnt vmcnt(0)
	ds_write2_b64 v193, v[168:169], v[128:129] offset0:30 offset1:31
	ds_read_b64 v[168:169], v192
	s_waitcnt lgkmcnt(0)
	v_cmp_neq_f64_e32 vcc, 0, v[168:169]
	s_and_b64 exec, exec, vcc
	s_cbranch_execz .LBB63_99
; %bb.98:
	v_div_scale_f64 v[170:171], s[6:7], v[168:169], v[168:169], 1.0
	v_rcp_f64_e32 v[172:173], v[170:171]
	v_div_scale_f64 v[174:175], vcc, 1.0, v[168:169], 1.0
	v_fma_f64 v[176:177], -v[170:171], v[172:173], 1.0
	v_fmac_f64_e32 v[172:173], v[172:173], v[176:177]
	v_fma_f64 v[176:177], -v[170:171], v[172:173], 1.0
	v_fmac_f64_e32 v[172:173], v[172:173], v[176:177]
	v_mul_f64 v[176:177], v[174:175], v[172:173]
	v_fma_f64 v[170:171], -v[170:171], v[176:177], v[174:175]
	v_div_fmas_f64 v[170:171], v[170:171], v[172:173], v[176:177]
	v_div_fixup_f64 v[168:169], v[170:171], v[168:169], 1.0
	ds_write_b64 v192, v[168:169]
.LBB63_99:
	s_or_b64 exec, exec, s[2:3]
	s_waitcnt lgkmcnt(0)
	s_barrier
	ds_read_b64 v[168:169], v192
	v_cmp_lt_u32_e32 vcc, 19, v194
	s_and_saveexec_b64 s[2:3], vcc
	s_cbranch_execz .LBB63_101
; %bb.100:
	ds_read2_b64 v[170:173], v193 offset0:20 offset1:21
	ds_read2_b64 v[174:177], v193 offset0:22 offset1:23
	ds_read2_b64 v[178:181], v193 offset0:24 offset1:25
	s_waitcnt vmcnt(12) lgkmcnt(3)
	v_mul_f64 v[78:79], v[168:169], v[78:79]
	s_waitcnt vmcnt(11) lgkmcnt(2)
	v_fma_f64 v[108:109], -v[78:79], v[170:171], v[108:109]
	s_waitcnt vmcnt(10)
	v_fma_f64 v[76:77], -v[78:79], v[172:173], v[76:77]
	ds_read2_b64 v[170:173], v193 offset0:26 offset1:27
	s_waitcnt vmcnt(9) lgkmcnt(2)
	v_fma_f64 v[106:107], -v[78:79], v[174:175], v[106:107]
	s_waitcnt vmcnt(8)
	v_fma_f64 v[74:75], -v[78:79], v[176:177], v[74:75]
	s_waitcnt vmcnt(7) lgkmcnt(1)
	v_fma_f64 v[104:105], -v[78:79], v[178:179], v[104:105]
	ds_read2_b64 v[174:177], v193 offset0:28 offset1:29
	s_waitcnt vmcnt(6)
	v_fma_f64 v[72:73], -v[78:79], v[180:181], v[72:73]
	ds_read2_b64 v[178:181], v193 offset0:30 offset1:31
	s_waitcnt vmcnt(5) lgkmcnt(2)
	v_fma_f64 v[102:103], -v[78:79], v[170:171], v[102:103]
	s_waitcnt vmcnt(4)
	v_fma_f64 v[70:71], -v[78:79], v[172:173], v[70:71]
	s_waitcnt vmcnt(3) lgkmcnt(1)
	v_fma_f64 v[100:101], -v[78:79], v[174:175], v[100:101]
	s_waitcnt vmcnt(2)
	v_fma_f64 v[68:69], -v[78:79], v[176:177], v[68:69]
	;; [unrolled: 4-line block ×3, first 2 shown]
.LBB63_101:
	s_or_b64 exec, exec, s[2:3]
	v_cmp_eq_u32_e32 vcc, 20, v194
	s_waitcnt lgkmcnt(0)
	s_barrier
	s_and_saveexec_b64 s[2:3], vcc
	s_cbranch_execz .LBB63_104
; %bb.102:
	s_waitcnt vmcnt(11)
	ds_write_b64 v192, v[108:109]
	s_waitcnt vmcnt(9)
	ds_write2_b64 v193, v[76:77], v[106:107] offset0:21 offset1:22
	s_waitcnt vmcnt(7)
	ds_write2_b64 v193, v[74:75], v[104:105] offset0:23 offset1:24
	;; [unrolled: 2-line block ×5, first 2 shown]
	s_waitcnt vmcnt(0)
	ds_write_b64 v193, v[128:129] offset:248
	ds_read_b64 v[170:171], v192
	s_waitcnt lgkmcnt(0)
	v_cmp_neq_f64_e32 vcc, 0, v[170:171]
	s_and_b64 exec, exec, vcc
	s_cbranch_execz .LBB63_104
; %bb.103:
	v_div_scale_f64 v[172:173], s[6:7], v[170:171], v[170:171], 1.0
	v_rcp_f64_e32 v[174:175], v[172:173]
	v_div_scale_f64 v[176:177], vcc, 1.0, v[170:171], 1.0
	v_fma_f64 v[178:179], -v[172:173], v[174:175], 1.0
	v_fmac_f64_e32 v[174:175], v[174:175], v[178:179]
	v_fma_f64 v[178:179], -v[172:173], v[174:175], 1.0
	v_fmac_f64_e32 v[174:175], v[174:175], v[178:179]
	v_mul_f64 v[178:179], v[176:177], v[174:175]
	v_fma_f64 v[172:173], -v[172:173], v[178:179], v[176:177]
	v_div_fmas_f64 v[172:173], v[172:173], v[174:175], v[178:179]
	v_div_fixup_f64 v[170:171], v[172:173], v[170:171], 1.0
	ds_write_b64 v192, v[170:171]
.LBB63_104:
	s_or_b64 exec, exec, s[2:3]
	s_waitcnt lgkmcnt(0)
	s_barrier
	ds_read_b64 v[170:171], v192
	v_cmp_lt_u32_e32 vcc, 20, v194
	s_and_saveexec_b64 s[2:3], vcc
	s_cbranch_execz .LBB63_106
; %bb.105:
	ds_read2_b64 v[172:175], v193 offset0:21 offset1:22
	ds_read2_b64 v[176:179], v193 offset0:23 offset1:24
	;; [unrolled: 1-line block ×3, first 2 shown]
	s_waitcnt vmcnt(11) lgkmcnt(3)
	v_mul_f64 v[108:109], v[170:171], v[108:109]
	s_waitcnt vmcnt(10) lgkmcnt(2)
	v_fma_f64 v[76:77], -v[108:109], v[172:173], v[76:77]
	s_waitcnt vmcnt(9)
	v_fma_f64 v[106:107], -v[108:109], v[174:175], v[106:107]
	ds_read2_b64 v[172:175], v193 offset0:27 offset1:28
	s_waitcnt vmcnt(8) lgkmcnt(2)
	v_fma_f64 v[74:75], -v[108:109], v[176:177], v[74:75]
	s_waitcnt vmcnt(7)
	v_fma_f64 v[104:105], -v[108:109], v[178:179], v[104:105]
	s_waitcnt vmcnt(6) lgkmcnt(1)
	v_fma_f64 v[72:73], -v[108:109], v[180:181], v[72:73]
	ds_read2_b64 v[176:179], v193 offset0:29 offset1:30
	ds_read_b64 v[180:181], v193 offset:248
	s_waitcnt vmcnt(5)
	v_fma_f64 v[102:103], -v[108:109], v[182:183], v[102:103]
	s_waitcnt vmcnt(4) lgkmcnt(2)
	v_fma_f64 v[70:71], -v[108:109], v[172:173], v[70:71]
	s_waitcnt vmcnt(3)
	v_fma_f64 v[100:101], -v[108:109], v[174:175], v[100:101]
	s_waitcnt vmcnt(2) lgkmcnt(1)
	v_fma_f64 v[68:69], -v[108:109], v[176:177], v[68:69]
	;; [unrolled: 4-line block ×3, first 2 shown]
.LBB63_106:
	s_or_b64 exec, exec, s[2:3]
	v_cmp_eq_u32_e32 vcc, 21, v194
	s_waitcnt lgkmcnt(0)
	s_barrier
	s_and_saveexec_b64 s[2:3], vcc
	s_cbranch_execz .LBB63_109
; %bb.107:
	s_waitcnt vmcnt(9)
	v_mov_b32_e32 v172, v106
	v_mov_b32_e32 v173, v107
	s_waitcnt vmcnt(8)
	v_mov_b32_e32 v174, v74
	v_mov_b32_e32 v175, v75
	ds_write_b64 v192, v[76:77]
	ds_write2_b64 v193, v[172:173], v[174:175] offset0:22 offset1:23
	s_waitcnt vmcnt(7)
	v_mov_b32_e32 v172, v104
	v_mov_b32_e32 v173, v105
	s_waitcnt vmcnt(6)
	v_mov_b32_e32 v174, v72
	v_mov_b32_e32 v175, v73
	ds_write2_b64 v193, v[172:173], v[174:175] offset0:24 offset1:25
	s_waitcnt vmcnt(5)
	v_mov_b32_e32 v172, v102
	v_mov_b32_e32 v173, v103
	s_waitcnt vmcnt(4)
	v_mov_b32_e32 v174, v70
	v_mov_b32_e32 v175, v71
	;; [unrolled: 7-line block ×3, first 2 shown]
	ds_write2_b64 v193, v[172:173], v[174:175] offset0:28 offset1:29
	s_waitcnt vmcnt(1)
	v_mov_b32_e32 v172, v98
	v_mov_b32_e32 v173, v99
	s_waitcnt vmcnt(0)
	ds_write2_b64 v193, v[172:173], v[128:129] offset0:30 offset1:31
	ds_read_b64 v[172:173], v192
	s_waitcnt lgkmcnt(0)
	v_cmp_neq_f64_e32 vcc, 0, v[172:173]
	s_and_b64 exec, exec, vcc
	s_cbranch_execz .LBB63_109
; %bb.108:
	v_div_scale_f64 v[174:175], s[6:7], v[172:173], v[172:173], 1.0
	v_rcp_f64_e32 v[176:177], v[174:175]
	v_div_scale_f64 v[178:179], vcc, 1.0, v[172:173], 1.0
	v_fma_f64 v[180:181], -v[174:175], v[176:177], 1.0
	v_fmac_f64_e32 v[176:177], v[176:177], v[180:181]
	v_fma_f64 v[180:181], -v[174:175], v[176:177], 1.0
	v_fmac_f64_e32 v[176:177], v[176:177], v[180:181]
	v_mul_f64 v[180:181], v[178:179], v[176:177]
	v_fma_f64 v[174:175], -v[174:175], v[180:181], v[178:179]
	v_div_fmas_f64 v[174:175], v[174:175], v[176:177], v[180:181]
	v_div_fixup_f64 v[172:173], v[174:175], v[172:173], 1.0
	ds_write_b64 v192, v[172:173]
.LBB63_109:
	s_or_b64 exec, exec, s[2:3]
	s_waitcnt lgkmcnt(0)
	s_barrier
	ds_read_b64 v[172:173], v192
	v_cmp_lt_u32_e32 vcc, 21, v194
	s_and_saveexec_b64 s[2:3], vcc
	s_cbranch_execz .LBB63_111
; %bb.110:
	ds_read2_b64 v[174:177], v193 offset0:22 offset1:23
	ds_read2_b64 v[178:181], v193 offset0:24 offset1:25
	s_waitcnt vmcnt(10) lgkmcnt(2)
	v_mul_f64 v[76:77], v[172:173], v[76:77]
	ds_read2_b64 v[182:185], v193 offset0:28 offset1:29
	s_waitcnt vmcnt(9) lgkmcnt(2)
	v_fma_f64 v[106:107], -v[76:77], v[174:175], v[106:107]
	s_waitcnt vmcnt(8)
	v_fma_f64 v[74:75], -v[76:77], v[176:177], v[74:75]
	ds_read2_b64 v[174:177], v193 offset0:26 offset1:27
	s_waitcnt vmcnt(7) lgkmcnt(2)
	v_fma_f64 v[104:105], -v[76:77], v[178:179], v[104:105]
	s_waitcnt vmcnt(6)
	v_fma_f64 v[72:73], -v[76:77], v[180:181], v[72:73]
	ds_read2_b64 v[178:181], v193 offset0:30 offset1:31
	s_waitcnt vmcnt(3) lgkmcnt(2)
	v_fma_f64 v[100:101], -v[76:77], v[182:183], v[100:101]
	s_waitcnt lgkmcnt(1)
	v_fma_f64 v[102:103], -v[76:77], v[174:175], v[102:103]
	v_fma_f64 v[70:71], -v[76:77], v[176:177], v[70:71]
	s_waitcnt vmcnt(2)
	v_fma_f64 v[68:69], -v[76:77], v[184:185], v[68:69]
	s_waitcnt vmcnt(1) lgkmcnt(0)
	v_fma_f64 v[98:99], -v[76:77], v[178:179], v[98:99]
	s_waitcnt vmcnt(0)
	v_fma_f64 v[128:129], -v[76:77], v[180:181], v[128:129]
.LBB63_111:
	s_or_b64 exec, exec, s[2:3]
	v_cmp_eq_u32_e32 vcc, 22, v194
	s_waitcnt lgkmcnt(0)
	s_barrier
	s_and_saveexec_b64 s[2:3], vcc
	s_cbranch_execz .LBB63_114
; %bb.112:
	s_waitcnt vmcnt(9)
	ds_write_b64 v192, v[106:107]
	s_waitcnt vmcnt(7)
	ds_write2_b64 v193, v[74:75], v[104:105] offset0:23 offset1:24
	s_waitcnt vmcnt(5)
	ds_write2_b64 v193, v[72:73], v[102:103] offset0:25 offset1:26
	;; [unrolled: 2-line block ×4, first 2 shown]
	s_waitcnt vmcnt(0)
	ds_write_b64 v193, v[128:129] offset:248
	ds_read_b64 v[174:175], v192
	s_waitcnt lgkmcnt(0)
	v_cmp_neq_f64_e32 vcc, 0, v[174:175]
	s_and_b64 exec, exec, vcc
	s_cbranch_execz .LBB63_114
; %bb.113:
	v_div_scale_f64 v[176:177], s[6:7], v[174:175], v[174:175], 1.0
	v_rcp_f64_e32 v[178:179], v[176:177]
	v_div_scale_f64 v[180:181], vcc, 1.0, v[174:175], 1.0
	v_fma_f64 v[182:183], -v[176:177], v[178:179], 1.0
	v_fmac_f64_e32 v[178:179], v[178:179], v[182:183]
	v_fma_f64 v[182:183], -v[176:177], v[178:179], 1.0
	v_fmac_f64_e32 v[178:179], v[178:179], v[182:183]
	v_mul_f64 v[182:183], v[180:181], v[178:179]
	v_fma_f64 v[176:177], -v[176:177], v[182:183], v[180:181]
	v_div_fmas_f64 v[176:177], v[176:177], v[178:179], v[182:183]
	v_div_fixup_f64 v[174:175], v[176:177], v[174:175], 1.0
	ds_write_b64 v192, v[174:175]
.LBB63_114:
	s_or_b64 exec, exec, s[2:3]
	s_waitcnt lgkmcnt(0)
	s_barrier
	ds_read_b64 v[174:175], v192
	v_cmp_lt_u32_e32 vcc, 22, v194
	s_and_saveexec_b64 s[2:3], vcc
	s_cbranch_execz .LBB63_116
; %bb.115:
	ds_read2_b64 v[176:179], v193 offset0:23 offset1:24
	ds_read2_b64 v[180:183], v193 offset0:25 offset1:26
	s_waitcnt vmcnt(9) lgkmcnt(2)
	v_mul_f64 v[106:107], v[174:175], v[106:107]
	ds_read2_b64 v[184:187], v193 offset0:29 offset1:30
	s_waitcnt vmcnt(8) lgkmcnt(2)
	v_fma_f64 v[74:75], -v[106:107], v[176:177], v[74:75]
	s_waitcnt vmcnt(7)
	v_fma_f64 v[104:105], -v[106:107], v[178:179], v[104:105]
	ds_read2_b64 v[176:179], v193 offset0:27 offset1:28
	s_waitcnt vmcnt(6) lgkmcnt(2)
	v_fma_f64 v[72:73], -v[106:107], v[180:181], v[72:73]
	ds_read_b64 v[180:181], v193 offset:248
	s_waitcnt vmcnt(5)
	v_fma_f64 v[102:103], -v[106:107], v[182:183], v[102:103]
	s_waitcnt vmcnt(2) lgkmcnt(2)
	v_fma_f64 v[68:69], -v[106:107], v[184:185], v[68:69]
	s_waitcnt lgkmcnt(1)
	v_fma_f64 v[70:71], -v[106:107], v[176:177], v[70:71]
	v_fma_f64 v[100:101], -v[106:107], v[178:179], v[100:101]
	s_waitcnt vmcnt(1)
	v_fma_f64 v[98:99], -v[106:107], v[186:187], v[98:99]
	s_waitcnt vmcnt(0) lgkmcnt(0)
	v_fma_f64 v[128:129], -v[106:107], v[180:181], v[128:129]
.LBB63_116:
	s_or_b64 exec, exec, s[2:3]
	v_cmp_eq_u32_e32 vcc, 23, v194
	s_waitcnt lgkmcnt(0)
	s_barrier
	s_and_saveexec_b64 s[2:3], vcc
	s_cbranch_execz .LBB63_119
; %bb.117:
	s_waitcnt vmcnt(7)
	v_mov_b32_e32 v176, v104
	v_mov_b32_e32 v177, v105
	s_waitcnt vmcnt(6)
	v_mov_b32_e32 v178, v72
	v_mov_b32_e32 v179, v73
	ds_write_b64 v192, v[74:75]
	ds_write2_b64 v193, v[176:177], v[178:179] offset0:24 offset1:25
	s_waitcnt vmcnt(5)
	v_mov_b32_e32 v176, v102
	v_mov_b32_e32 v177, v103
	s_waitcnt vmcnt(4)
	v_mov_b32_e32 v178, v70
	v_mov_b32_e32 v179, v71
	ds_write2_b64 v193, v[176:177], v[178:179] offset0:26 offset1:27
	s_waitcnt vmcnt(3)
	v_mov_b32_e32 v176, v100
	v_mov_b32_e32 v177, v101
	s_waitcnt vmcnt(2)
	v_mov_b32_e32 v178, v68
	v_mov_b32_e32 v179, v69
	ds_write2_b64 v193, v[176:177], v[178:179] offset0:28 offset1:29
	s_waitcnt vmcnt(1)
	v_mov_b32_e32 v176, v98
	v_mov_b32_e32 v177, v99
	s_waitcnt vmcnt(0)
	ds_write2_b64 v193, v[176:177], v[128:129] offset0:30 offset1:31
	ds_read_b64 v[176:177], v192
	s_waitcnt lgkmcnt(0)
	v_cmp_neq_f64_e32 vcc, 0, v[176:177]
	s_and_b64 exec, exec, vcc
	s_cbranch_execz .LBB63_119
; %bb.118:
	v_div_scale_f64 v[178:179], s[6:7], v[176:177], v[176:177], 1.0
	v_rcp_f64_e32 v[180:181], v[178:179]
	v_div_scale_f64 v[182:183], vcc, 1.0, v[176:177], 1.0
	v_fma_f64 v[184:185], -v[178:179], v[180:181], 1.0
	v_fmac_f64_e32 v[180:181], v[180:181], v[184:185]
	v_fma_f64 v[184:185], -v[178:179], v[180:181], 1.0
	v_fmac_f64_e32 v[180:181], v[180:181], v[184:185]
	v_mul_f64 v[184:185], v[182:183], v[180:181]
	v_fma_f64 v[178:179], -v[178:179], v[184:185], v[182:183]
	v_div_fmas_f64 v[178:179], v[178:179], v[180:181], v[184:185]
	v_div_fixup_f64 v[176:177], v[178:179], v[176:177], 1.0
	ds_write_b64 v192, v[176:177]
.LBB63_119:
	s_or_b64 exec, exec, s[2:3]
	s_waitcnt lgkmcnt(0)
	s_barrier
	ds_read_b64 v[176:177], v192
	v_cmp_lt_u32_e32 vcc, 23, v194
	s_and_saveexec_b64 s[2:3], vcc
	s_cbranch_execz .LBB63_121
; %bb.120:
	ds_read2_b64 v[178:181], v193 offset0:24 offset1:25
	ds_read2_b64 v[182:185], v193 offset0:26 offset1:27
	s_waitcnt vmcnt(8) lgkmcnt(2)
	v_mul_f64 v[74:75], v[176:177], v[74:75]
	ds_read2_b64 v[186:189], v193 offset0:28 offset1:29
	s_waitcnt vmcnt(7) lgkmcnt(2)
	v_fma_f64 v[104:105], -v[74:75], v[178:179], v[104:105]
	s_waitcnt vmcnt(6)
	v_fma_f64 v[72:73], -v[74:75], v[180:181], v[72:73]
	ds_read2_b64 v[178:181], v193 offset0:30 offset1:31
	s_waitcnt vmcnt(5) lgkmcnt(2)
	v_fma_f64 v[102:103], -v[74:75], v[182:183], v[102:103]
	s_waitcnt vmcnt(4)
	v_fma_f64 v[70:71], -v[74:75], v[184:185], v[70:71]
	s_waitcnt vmcnt(3) lgkmcnt(1)
	v_fma_f64 v[100:101], -v[74:75], v[186:187], v[100:101]
	s_waitcnt vmcnt(2)
	v_fma_f64 v[68:69], -v[74:75], v[188:189], v[68:69]
	;; [unrolled: 4-line block ×3, first 2 shown]
.LBB63_121:
	s_or_b64 exec, exec, s[2:3]
	v_cmp_eq_u32_e32 vcc, 24, v194
	s_waitcnt lgkmcnt(0)
	s_barrier
	s_and_saveexec_b64 s[2:3], vcc
	s_cbranch_execz .LBB63_124
; %bb.122:
	s_waitcnt vmcnt(7)
	ds_write_b64 v192, v[104:105]
	s_waitcnt vmcnt(5)
	ds_write2_b64 v193, v[72:73], v[102:103] offset0:25 offset1:26
	s_waitcnt vmcnt(3)
	ds_write2_b64 v193, v[70:71], v[100:101] offset0:27 offset1:28
	;; [unrolled: 2-line block ×3, first 2 shown]
	s_waitcnt vmcnt(0)
	ds_write_b64 v193, v[128:129] offset:248
	ds_read_b64 v[178:179], v192
	s_waitcnt lgkmcnt(0)
	v_cmp_neq_f64_e32 vcc, 0, v[178:179]
	s_and_b64 exec, exec, vcc
	s_cbranch_execz .LBB63_124
; %bb.123:
	v_div_scale_f64 v[180:181], s[6:7], v[178:179], v[178:179], 1.0
	v_rcp_f64_e32 v[182:183], v[180:181]
	v_div_scale_f64 v[184:185], vcc, 1.0, v[178:179], 1.0
	v_fma_f64 v[186:187], -v[180:181], v[182:183], 1.0
	v_fmac_f64_e32 v[182:183], v[182:183], v[186:187]
	v_fma_f64 v[186:187], -v[180:181], v[182:183], 1.0
	v_fmac_f64_e32 v[182:183], v[182:183], v[186:187]
	v_mul_f64 v[186:187], v[184:185], v[182:183]
	v_fma_f64 v[180:181], -v[180:181], v[186:187], v[184:185]
	v_div_fmas_f64 v[180:181], v[180:181], v[182:183], v[186:187]
	v_div_fixup_f64 v[178:179], v[180:181], v[178:179], 1.0
	ds_write_b64 v192, v[178:179]
.LBB63_124:
	s_or_b64 exec, exec, s[2:3]
	s_waitcnt lgkmcnt(0)
	s_barrier
	ds_read_b64 v[178:179], v192
	v_cmp_lt_u32_e32 vcc, 24, v194
	s_and_saveexec_b64 s[2:3], vcc
	s_cbranch_execz .LBB63_126
; %bb.125:
	ds_read2_b64 v[180:183], v193 offset0:25 offset1:26
	ds_read2_b64 v[184:187], v193 offset0:27 offset1:28
	s_waitcnt vmcnt(7) lgkmcnt(2)
	v_mul_f64 v[104:105], v[178:179], v[104:105]
	ds_read2_b64 v[188:191], v193 offset0:29 offset1:30
	s_waitcnt vmcnt(6) lgkmcnt(2)
	v_fma_f64 v[72:73], -v[104:105], v[180:181], v[72:73]
	ds_read_b64 v[180:181], v193 offset:248
	s_waitcnt vmcnt(5)
	v_fma_f64 v[102:103], -v[104:105], v[182:183], v[102:103]
	s_waitcnt vmcnt(4) lgkmcnt(2)
	v_fma_f64 v[70:71], -v[104:105], v[184:185], v[70:71]
	s_waitcnt vmcnt(3)
	v_fma_f64 v[100:101], -v[104:105], v[186:187], v[100:101]
	s_waitcnt vmcnt(2) lgkmcnt(1)
	v_fma_f64 v[68:69], -v[104:105], v[188:189], v[68:69]
	;; [unrolled: 4-line block ×3, first 2 shown]
.LBB63_126:
	s_or_b64 exec, exec, s[2:3]
	v_cmp_eq_u32_e32 vcc, 25, v194
	s_waitcnt lgkmcnt(0)
	s_barrier
	s_and_saveexec_b64 s[2:3], vcc
	s_cbranch_execz .LBB63_129
; %bb.127:
	s_waitcnt vmcnt(5)
	v_mov_b32_e32 v180, v102
	v_mov_b32_e32 v181, v103
	s_waitcnt vmcnt(4)
	v_mov_b32_e32 v182, v70
	v_mov_b32_e32 v183, v71
	ds_write_b64 v192, v[72:73]
	ds_write2_b64 v193, v[180:181], v[182:183] offset0:26 offset1:27
	s_waitcnt vmcnt(3)
	v_mov_b32_e32 v180, v100
	v_mov_b32_e32 v181, v101
	s_waitcnt vmcnt(2)
	v_mov_b32_e32 v182, v68
	v_mov_b32_e32 v183, v69
	ds_write2_b64 v193, v[180:181], v[182:183] offset0:28 offset1:29
	s_waitcnt vmcnt(1)
	v_mov_b32_e32 v180, v98
	v_mov_b32_e32 v181, v99
	s_waitcnt vmcnt(0)
	ds_write2_b64 v193, v[180:181], v[128:129] offset0:30 offset1:31
	ds_read_b64 v[180:181], v192
	s_waitcnt lgkmcnt(0)
	v_cmp_neq_f64_e32 vcc, 0, v[180:181]
	s_and_b64 exec, exec, vcc
	s_cbranch_execz .LBB63_129
; %bb.128:
	v_div_scale_f64 v[182:183], s[6:7], v[180:181], v[180:181], 1.0
	v_rcp_f64_e32 v[184:185], v[182:183]
	v_div_scale_f64 v[186:187], vcc, 1.0, v[180:181], 1.0
	v_fma_f64 v[188:189], -v[182:183], v[184:185], 1.0
	v_fmac_f64_e32 v[184:185], v[184:185], v[188:189]
	v_fma_f64 v[188:189], -v[182:183], v[184:185], 1.0
	v_fmac_f64_e32 v[184:185], v[184:185], v[188:189]
	v_mul_f64 v[188:189], v[186:187], v[184:185]
	v_fma_f64 v[182:183], -v[182:183], v[188:189], v[186:187]
	v_div_fmas_f64 v[182:183], v[182:183], v[184:185], v[188:189]
	v_div_fixup_f64 v[180:181], v[182:183], v[180:181], 1.0
	ds_write_b64 v192, v[180:181]
.LBB63_129:
	s_or_b64 exec, exec, s[2:3]
	s_waitcnt lgkmcnt(0)
	s_barrier
	ds_read_b64 v[180:181], v192
	v_cmp_lt_u32_e32 vcc, 25, v194
	s_and_saveexec_b64 s[2:3], vcc
	s_cbranch_execz .LBB63_131
; %bb.130:
	ds_read2_b64 v[182:185], v193 offset0:26 offset1:27
	ds_read2_b64 v[186:189], v193 offset0:28 offset1:29
	;; [unrolled: 1-line block ×3, first 2 shown]
	s_waitcnt vmcnt(6) lgkmcnt(3)
	v_mul_f64 v[72:73], v[180:181], v[72:73]
	s_waitcnt vmcnt(5) lgkmcnt(2)
	v_fma_f64 v[102:103], -v[72:73], v[182:183], v[102:103]
	s_waitcnt vmcnt(4)
	v_fma_f64 v[70:71], -v[72:73], v[184:185], v[70:71]
	s_waitcnt vmcnt(3) lgkmcnt(1)
	v_fma_f64 v[100:101], -v[72:73], v[186:187], v[100:101]
	s_waitcnt vmcnt(2)
	v_fma_f64 v[68:69], -v[72:73], v[188:189], v[68:69]
	;; [unrolled: 4-line block ×3, first 2 shown]
.LBB63_131:
	s_or_b64 exec, exec, s[2:3]
	v_cmp_eq_u32_e32 vcc, 26, v194
	s_waitcnt lgkmcnt(0)
	s_barrier
	s_and_saveexec_b64 s[2:3], vcc
	s_cbranch_execz .LBB63_134
; %bb.132:
	s_waitcnt vmcnt(5)
	ds_write_b64 v192, v[102:103]
	s_waitcnt vmcnt(3)
	ds_write2_b64 v193, v[70:71], v[100:101] offset0:27 offset1:28
	s_waitcnt vmcnt(1)
	ds_write2_b64 v193, v[68:69], v[98:99] offset0:29 offset1:30
	s_waitcnt vmcnt(0)
	ds_write_b64 v193, v[128:129] offset:248
	ds_read_b64 v[182:183], v192
	s_waitcnt lgkmcnt(0)
	v_cmp_neq_f64_e32 vcc, 0, v[182:183]
	s_and_b64 exec, exec, vcc
	s_cbranch_execz .LBB63_134
; %bb.133:
	v_div_scale_f64 v[184:185], s[6:7], v[182:183], v[182:183], 1.0
	v_rcp_f64_e32 v[186:187], v[184:185]
	v_div_scale_f64 v[188:189], vcc, 1.0, v[182:183], 1.0
	v_fma_f64 v[190:191], -v[184:185], v[186:187], 1.0
	v_fmac_f64_e32 v[186:187], v[186:187], v[190:191]
	v_fma_f64 v[190:191], -v[184:185], v[186:187], 1.0
	v_fmac_f64_e32 v[186:187], v[186:187], v[190:191]
	v_mul_f64 v[190:191], v[188:189], v[186:187]
	v_fma_f64 v[184:185], -v[184:185], v[190:191], v[188:189]
	v_div_fmas_f64 v[184:185], v[184:185], v[186:187], v[190:191]
	v_div_fixup_f64 v[182:183], v[184:185], v[182:183], 1.0
	ds_write_b64 v192, v[182:183]
.LBB63_134:
	s_or_b64 exec, exec, s[2:3]
	s_waitcnt lgkmcnt(0)
	s_barrier
	ds_read_b64 v[182:183], v192
	v_cmp_lt_u32_e32 vcc, 26, v194
	s_and_saveexec_b64 s[2:3], vcc
	s_cbranch_execz .LBB63_136
; %bb.135:
	ds_read2_b64 v[184:187], v193 offset0:27 offset1:28
	ds_read2_b64 v[188:191], v193 offset0:29 offset1:30
	ds_read_b64 v[196:197], v193 offset:248
	s_waitcnt vmcnt(5) lgkmcnt(3)
	v_mul_f64 v[102:103], v[182:183], v[102:103]
	s_waitcnt vmcnt(4) lgkmcnt(2)
	v_fma_f64 v[70:71], -v[102:103], v[184:185], v[70:71]
	s_waitcnt vmcnt(3)
	v_fma_f64 v[100:101], -v[102:103], v[186:187], v[100:101]
	s_waitcnt vmcnt(2) lgkmcnt(1)
	v_fma_f64 v[68:69], -v[102:103], v[188:189], v[68:69]
	s_waitcnt vmcnt(1)
	v_fma_f64 v[98:99], -v[102:103], v[190:191], v[98:99]
	s_waitcnt vmcnt(0) lgkmcnt(0)
	v_fma_f64 v[128:129], -v[102:103], v[196:197], v[128:129]
.LBB63_136:
	s_or_b64 exec, exec, s[2:3]
	v_cmp_eq_u32_e32 vcc, 27, v194
	s_waitcnt lgkmcnt(0)
	s_barrier
	s_and_saveexec_b64 s[2:3], vcc
	s_cbranch_execz .LBB63_139
; %bb.137:
	s_waitcnt vmcnt(3)
	v_mov_b32_e32 v184, v100
	v_mov_b32_e32 v185, v101
	s_waitcnt vmcnt(2)
	v_mov_b32_e32 v186, v68
	v_mov_b32_e32 v187, v69
	ds_write_b64 v192, v[70:71]
	ds_write2_b64 v193, v[184:185], v[186:187] offset0:28 offset1:29
	s_waitcnt vmcnt(1)
	v_mov_b32_e32 v184, v98
	v_mov_b32_e32 v185, v99
	s_waitcnt vmcnt(0)
	ds_write2_b64 v193, v[184:185], v[128:129] offset0:30 offset1:31
	ds_read_b64 v[184:185], v192
	s_waitcnt lgkmcnt(0)
	v_cmp_neq_f64_e32 vcc, 0, v[184:185]
	s_and_b64 exec, exec, vcc
	s_cbranch_execz .LBB63_139
; %bb.138:
	v_div_scale_f64 v[186:187], s[6:7], v[184:185], v[184:185], 1.0
	v_rcp_f64_e32 v[188:189], v[186:187]
	v_div_scale_f64 v[190:191], vcc, 1.0, v[184:185], 1.0
	v_fma_f64 v[196:197], -v[186:187], v[188:189], 1.0
	v_fmac_f64_e32 v[188:189], v[188:189], v[196:197]
	v_fma_f64 v[196:197], -v[186:187], v[188:189], 1.0
	v_fmac_f64_e32 v[188:189], v[188:189], v[196:197]
	v_mul_f64 v[196:197], v[190:191], v[188:189]
	v_fma_f64 v[186:187], -v[186:187], v[196:197], v[190:191]
	v_div_fmas_f64 v[186:187], v[186:187], v[188:189], v[196:197]
	v_div_fixup_f64 v[184:185], v[186:187], v[184:185], 1.0
	ds_write_b64 v192, v[184:185]
.LBB63_139:
	s_or_b64 exec, exec, s[2:3]
	s_waitcnt lgkmcnt(0)
	s_barrier
	ds_read_b64 v[184:185], v192
	v_cmp_lt_u32_e32 vcc, 27, v194
	s_and_saveexec_b64 s[2:3], vcc
	s_cbranch_execz .LBB63_141
; %bb.140:
	ds_read2_b64 v[186:189], v193 offset0:28 offset1:29
	ds_read2_b64 v[196:199], v193 offset0:30 offset1:31
	s_waitcnt vmcnt(4) lgkmcnt(2)
	v_mul_f64 v[70:71], v[184:185], v[70:71]
	s_waitcnt vmcnt(3) lgkmcnt(1)
	v_fma_f64 v[100:101], -v[70:71], v[186:187], v[100:101]
	s_waitcnt vmcnt(2)
	v_fma_f64 v[68:69], -v[70:71], v[188:189], v[68:69]
	s_waitcnt vmcnt(1) lgkmcnt(0)
	v_fma_f64 v[98:99], -v[70:71], v[196:197], v[98:99]
	s_waitcnt vmcnt(0)
	v_fma_f64 v[128:129], -v[70:71], v[198:199], v[128:129]
.LBB63_141:
	s_or_b64 exec, exec, s[2:3]
	v_cmp_eq_u32_e32 vcc, 28, v194
	s_waitcnt lgkmcnt(0)
	s_barrier
	s_and_saveexec_b64 s[2:3], vcc
	s_cbranch_execz .LBB63_144
; %bb.142:
	s_waitcnt vmcnt(3)
	ds_write_b64 v192, v[100:101]
	s_waitcnt vmcnt(1)
	ds_write2_b64 v193, v[68:69], v[98:99] offset0:29 offset1:30
	s_waitcnt vmcnt(0)
	ds_write_b64 v193, v[128:129] offset:248
	ds_read_b64 v[186:187], v192
	s_waitcnt lgkmcnt(0)
	v_cmp_neq_f64_e32 vcc, 0, v[186:187]
	s_and_b64 exec, exec, vcc
	s_cbranch_execz .LBB63_144
; %bb.143:
	v_div_scale_f64 v[188:189], s[6:7], v[186:187], v[186:187], 1.0
	v_rcp_f64_e32 v[190:191], v[188:189]
	v_div_scale_f64 v[196:197], vcc, 1.0, v[186:187], 1.0
	v_fma_f64 v[198:199], -v[188:189], v[190:191], 1.0
	v_fmac_f64_e32 v[190:191], v[190:191], v[198:199]
	v_fma_f64 v[198:199], -v[188:189], v[190:191], 1.0
	v_fmac_f64_e32 v[190:191], v[190:191], v[198:199]
	v_mul_f64 v[198:199], v[196:197], v[190:191]
	v_fma_f64 v[188:189], -v[188:189], v[198:199], v[196:197]
	v_div_fmas_f64 v[188:189], v[188:189], v[190:191], v[198:199]
	v_div_fixup_f64 v[186:187], v[188:189], v[186:187], 1.0
	ds_write_b64 v192, v[186:187]
.LBB63_144:
	s_or_b64 exec, exec, s[2:3]
	s_waitcnt lgkmcnt(0)
	s_barrier
	ds_read_b64 v[186:187], v192
	v_cmp_lt_u32_e32 vcc, 28, v194
	s_and_saveexec_b64 s[2:3], vcc
	s_cbranch_execz .LBB63_146
; %bb.145:
	ds_read2_b64 v[188:191], v193 offset0:29 offset1:30
	ds_read_b64 v[196:197], v193 offset:248
	s_waitcnt vmcnt(3) lgkmcnt(2)
	v_mul_f64 v[100:101], v[186:187], v[100:101]
	s_waitcnt vmcnt(2) lgkmcnt(1)
	v_fma_f64 v[68:69], -v[100:101], v[188:189], v[68:69]
	s_waitcnt vmcnt(1)
	v_fma_f64 v[98:99], -v[100:101], v[190:191], v[98:99]
	s_waitcnt vmcnt(0) lgkmcnt(0)
	v_fma_f64 v[128:129], -v[100:101], v[196:197], v[128:129]
.LBB63_146:
	s_or_b64 exec, exec, s[2:3]
	v_cmp_eq_u32_e32 vcc, 29, v194
	s_waitcnt lgkmcnt(0)
	s_barrier
	s_and_saveexec_b64 s[2:3], vcc
	s_cbranch_execz .LBB63_149
; %bb.147:
	s_waitcnt vmcnt(1)
	v_mov_b32_e32 v188, v98
	v_mov_b32_e32 v189, v99
	ds_write_b64 v192, v[68:69]
	s_waitcnt vmcnt(0)
	ds_write2_b64 v193, v[188:189], v[128:129] offset0:30 offset1:31
	ds_read_b64 v[188:189], v192
	s_waitcnt lgkmcnt(0)
	v_cmp_neq_f64_e32 vcc, 0, v[188:189]
	s_and_b64 exec, exec, vcc
	s_cbranch_execz .LBB63_149
; %bb.148:
	v_div_scale_f64 v[190:191], s[6:7], v[188:189], v[188:189], 1.0
	v_rcp_f64_e32 v[196:197], v[190:191]
	v_div_scale_f64 v[198:199], vcc, 1.0, v[188:189], 1.0
	v_fma_f64 v[200:201], -v[190:191], v[196:197], 1.0
	v_fmac_f64_e32 v[196:197], v[196:197], v[200:201]
	v_fma_f64 v[200:201], -v[190:191], v[196:197], 1.0
	v_fmac_f64_e32 v[196:197], v[196:197], v[200:201]
	v_mul_f64 v[200:201], v[198:199], v[196:197]
	v_fma_f64 v[190:191], -v[190:191], v[200:201], v[198:199]
	v_div_fmas_f64 v[190:191], v[190:191], v[196:197], v[200:201]
	v_div_fixup_f64 v[188:189], v[190:191], v[188:189], 1.0
	ds_write_b64 v192, v[188:189]
.LBB63_149:
	s_or_b64 exec, exec, s[2:3]
	s_waitcnt lgkmcnt(0)
	s_barrier
	ds_read_b64 v[188:189], v192
	v_cmp_lt_u32_e32 vcc, 29, v194
	s_and_saveexec_b64 s[2:3], vcc
	s_cbranch_execz .LBB63_151
; %bb.150:
	ds_read2_b64 v[196:199], v193 offset0:30 offset1:31
	s_waitcnt vmcnt(2) lgkmcnt(1)
	v_mul_f64 v[68:69], v[188:189], v[68:69]
	s_waitcnt vmcnt(1) lgkmcnt(0)
	v_fma_f64 v[98:99], -v[68:69], v[196:197], v[98:99]
	s_waitcnt vmcnt(0)
	v_fma_f64 v[128:129], -v[68:69], v[198:199], v[128:129]
.LBB63_151:
	s_or_b64 exec, exec, s[2:3]
	v_cmp_eq_u32_e32 vcc, 30, v194
	s_waitcnt lgkmcnt(0)
	s_barrier
	s_and_saveexec_b64 s[2:3], vcc
	s_cbranch_execz .LBB63_154
; %bb.152:
	s_waitcnt vmcnt(1)
	ds_write_b64 v192, v[98:99]
	s_waitcnt vmcnt(0)
	ds_write_b64 v193, v[128:129] offset:248
	ds_read_b64 v[190:191], v192
	s_waitcnt lgkmcnt(0)
	v_cmp_neq_f64_e32 vcc, 0, v[190:191]
	s_and_b64 exec, exec, vcc
	s_cbranch_execz .LBB63_154
; %bb.153:
	v_div_scale_f64 v[196:197], s[6:7], v[190:191], v[190:191], 1.0
	v_rcp_f64_e32 v[198:199], v[196:197]
	v_div_scale_f64 v[200:201], vcc, 1.0, v[190:191], 1.0
	v_fma_f64 v[202:203], -v[196:197], v[198:199], 1.0
	v_fmac_f64_e32 v[198:199], v[198:199], v[202:203]
	v_fma_f64 v[202:203], -v[196:197], v[198:199], 1.0
	v_fmac_f64_e32 v[198:199], v[198:199], v[202:203]
	v_mul_f64 v[202:203], v[200:201], v[198:199]
	v_fma_f64 v[196:197], -v[196:197], v[202:203], v[200:201]
	v_div_fmas_f64 v[196:197], v[196:197], v[198:199], v[202:203]
	v_div_fixup_f64 v[190:191], v[196:197], v[190:191], 1.0
	ds_write_b64 v192, v[190:191]
.LBB63_154:
	s_or_b64 exec, exec, s[2:3]
	s_waitcnt lgkmcnt(0)
	s_barrier
	ds_read_b64 v[190:191], v192
	v_cmp_lt_u32_e32 vcc, 30, v194
	s_and_saveexec_b64 s[2:3], vcc
	s_cbranch_execz .LBB63_156
; %bb.155:
	ds_read_b64 v[196:197], v193 offset:248
	s_waitcnt vmcnt(1) lgkmcnt(1)
	v_mul_f64 v[98:99], v[190:191], v[98:99]
	s_waitcnt vmcnt(0) lgkmcnt(0)
	v_fma_f64 v[128:129], -v[98:99], v[196:197], v[128:129]
.LBB63_156:
	s_or_b64 exec, exec, s[2:3]
	v_cmp_eq_u32_e32 vcc, 31, v194
	s_waitcnt lgkmcnt(0)
	s_barrier
	s_and_saveexec_b64 s[2:3], vcc
	s_cbranch_execz .LBB63_159
; %bb.157:
	s_waitcnt vmcnt(0)
	v_cmp_neq_f64_e32 vcc, 0, v[128:129]
	ds_write_b64 v192, v[128:129]
	s_and_b64 exec, exec, vcc
	s_cbranch_execz .LBB63_159
; %bb.158:
	v_div_scale_f64 v[196:197], s[6:7], v[128:129], v[128:129], 1.0
	v_rcp_f64_e32 v[198:199], v[196:197]
	v_div_scale_f64 v[200:201], vcc, 1.0, v[128:129], 1.0
	v_fma_f64 v[202:203], -v[196:197], v[198:199], 1.0
	v_fmac_f64_e32 v[198:199], v[198:199], v[202:203]
	v_fma_f64 v[202:203], -v[196:197], v[198:199], 1.0
	v_fmac_f64_e32 v[198:199], v[198:199], v[202:203]
	v_mul_f64 v[202:203], v[200:201], v[198:199]
	v_fma_f64 v[196:197], -v[196:197], v[202:203], v[200:201]
	v_div_fmas_f64 v[196:197], v[196:197], v[198:199], v[202:203]
	v_div_fixup_f64 v[196:197], v[196:197], v[128:129], 1.0
	ds_write_b64 v192, v[196:197]
.LBB63_159:
	s_or_b64 exec, exec, s[2:3]
	s_waitcnt lgkmcnt(0)
	s_barrier
	ds_read_b64 v[192:193], v192
	s_waitcnt lgkmcnt(0)
	s_barrier
	s_and_saveexec_b64 s[2:3], s[0:1]
	s_cbranch_execz .LBB63_162
; %bb.160:
	v_cmp_eq_f64_e32 vcc, 0, v[130:131]
	v_cmp_neq_f64_e64 s[0:1], 0, v[132:133]
	v_cndmask_b32_e64 v130, 0, 1, vcc
	s_or_b64 vcc, s[0:1], vcc
	v_cndmask_b32_e32 v130, 2, v130, vcc
	v_cmp_eq_f64_e32 vcc, 0, v[134:135]
	v_cmp_eq_u32_e64 s[0:1], 0, v130
	s_and_b64 s[0:1], vcc, s[0:1]
	v_cndmask_b32_e64 v130, v130, 3, s[0:1]
	v_cmp_eq_f64_e32 vcc, 0, v[136:137]
	v_cmp_eq_u32_e64 s[0:1], 0, v130
	s_and_b64 s[0:1], vcc, s[0:1]
	v_cndmask_b32_e64 v130, v130, 4, s[0:1]
	;; [unrolled: 4-line block ×8, first 2 shown]
	v_cmp_eq_f64_e32 vcc, 0, v[150:151]
	v_cmp_eq_u32_e64 s[0:1], 0, v130
	s_load_dwordx2 s[4:5], s[4:5], 0x28
	s_and_b64 s[0:1], vcc, s[0:1]
	v_cndmask_b32_e64 v130, v130, 11, s[0:1]
	v_cmp_eq_f64_e32 vcc, 0, v[152:153]
	v_cmp_eq_u32_e64 s[0:1], 0, v130
	s_and_b64 s[0:1], vcc, s[0:1]
	v_lshlrev_b64 v[2:3], 2, v[2:3]
	v_cndmask_b32_e64 v130, v130, 12, s[0:1]
	s_waitcnt lgkmcnt(0)
	v_mov_b32_e32 v131, s5
	v_add_co_u32_e64 v2, s[0:1], s4, v2
	v_addc_co_u32_e64 v3, s[0:1], v131, v3, s[0:1]
	global_load_dword v131, v[2:3], off
	v_cmp_eq_f64_e32 vcc, 0, v[154:155]
	v_cmp_eq_u32_e64 s[0:1], 0, v130
	s_and_b64 s[0:1], vcc, s[0:1]
	v_cndmask_b32_e64 v130, v130, 13, s[0:1]
	v_cmp_eq_f64_e32 vcc, 0, v[156:157]
	v_cmp_eq_u32_e64 s[0:1], 0, v130
	s_and_b64 s[0:1], vcc, s[0:1]
	v_cndmask_b32_e64 v130, v130, 14, s[0:1]
	;; [unrolled: 4-line block ×20, first 2 shown]
	s_waitcnt vmcnt(0)
	v_cmp_eq_u32_e32 vcc, 0, v131
	v_cmp_ne_u32_e64 s[0:1], 0, v130
	s_and_b64 s[0:1], vcc, s[0:1]
	s_and_b64 exec, exec, s[0:1]
	s_cbranch_execz .LBB63_162
; %bb.161:
	v_add_u32_e32 v130, s9, v130
	global_store_dword v[2:3], v130, off
.LBB63_162:
	s_or_b64 exec, exec, s[2:3]
	s_waitcnt vmcnt(0)
	v_mul_f64 v[2:3], v[192:193], v[128:129]
	v_cmp_lt_u32_e32 vcc, 31, v194
	v_cndmask_b32_e32 v3, v129, v3, vcc
	v_cndmask_b32_e32 v2, v128, v2, vcc
	global_store_dwordx2 v[62:63], v[66:67], off
	global_store_dwordx2 v[64:65], v[96:97], off
	;; [unrolled: 1-line block ×32, first 2 shown]
.LBB63_163:
	s_endpgm
	.section	.rodata,"a",@progbits
	.p2align	6, 0x0
	.amdhsa_kernel _ZN9rocsolver6v33100L23getf2_npvt_small_kernelILi32EdiiPKPdEEvT1_T3_lS5_lPT2_S5_S5_
		.amdhsa_group_segment_fixed_size 0
		.amdhsa_private_segment_fixed_size 0
		.amdhsa_kernarg_size 312
		.amdhsa_user_sgpr_count 6
		.amdhsa_user_sgpr_private_segment_buffer 1
		.amdhsa_user_sgpr_dispatch_ptr 0
		.amdhsa_user_sgpr_queue_ptr 0
		.amdhsa_user_sgpr_kernarg_segment_ptr 1
		.amdhsa_user_sgpr_dispatch_id 0
		.amdhsa_user_sgpr_flat_scratch_init 0
		.amdhsa_user_sgpr_kernarg_preload_length 0
		.amdhsa_user_sgpr_kernarg_preload_offset 0
		.amdhsa_user_sgpr_private_segment_size 0
		.amdhsa_uses_dynamic_stack 0
		.amdhsa_system_sgpr_private_segment_wavefront_offset 0
		.amdhsa_system_sgpr_workgroup_id_x 1
		.amdhsa_system_sgpr_workgroup_id_y 1
		.amdhsa_system_sgpr_workgroup_id_z 0
		.amdhsa_system_sgpr_workgroup_info 0
		.amdhsa_system_vgpr_workitem_id 1
		.amdhsa_next_free_vgpr 204
		.amdhsa_next_free_sgpr 16
		.amdhsa_accum_offset 204
		.amdhsa_reserve_vcc 1
		.amdhsa_reserve_flat_scratch 0
		.amdhsa_float_round_mode_32 0
		.amdhsa_float_round_mode_16_64 0
		.amdhsa_float_denorm_mode_32 3
		.amdhsa_float_denorm_mode_16_64 3
		.amdhsa_dx10_clamp 1
		.amdhsa_ieee_mode 1
		.amdhsa_fp16_overflow 0
		.amdhsa_tg_split 0
		.amdhsa_exception_fp_ieee_invalid_op 0
		.amdhsa_exception_fp_denorm_src 0
		.amdhsa_exception_fp_ieee_div_zero 0
		.amdhsa_exception_fp_ieee_overflow 0
		.amdhsa_exception_fp_ieee_underflow 0
		.amdhsa_exception_fp_ieee_inexact 0
		.amdhsa_exception_int_div_zero 0
	.end_amdhsa_kernel
	.section	.text._ZN9rocsolver6v33100L23getf2_npvt_small_kernelILi32EdiiPKPdEEvT1_T3_lS5_lPT2_S5_S5_,"axG",@progbits,_ZN9rocsolver6v33100L23getf2_npvt_small_kernelILi32EdiiPKPdEEvT1_T3_lS5_lPT2_S5_S5_,comdat
.Lfunc_end63:
	.size	_ZN9rocsolver6v33100L23getf2_npvt_small_kernelILi32EdiiPKPdEEvT1_T3_lS5_lPT2_S5_S5_, .Lfunc_end63-_ZN9rocsolver6v33100L23getf2_npvt_small_kernelILi32EdiiPKPdEEvT1_T3_lS5_lPT2_S5_S5_
                                        ; -- End function
	.section	.AMDGPU.csdata,"",@progbits
; Kernel info:
; codeLenInByte = 21568
; NumSgprs: 20
; NumVgprs: 204
; NumAgprs: 0
; TotalNumVgprs: 204
; ScratchSize: 0
; MemoryBound: 0
; FloatMode: 240
; IeeeMode: 1
; LDSByteSize: 0 bytes/workgroup (compile time only)
; SGPRBlocks: 2
; VGPRBlocks: 25
; NumSGPRsForWavesPerEU: 20
; NumVGPRsForWavesPerEU: 204
; AccumOffset: 204
; Occupancy: 2
; WaveLimiterHint : 1
; COMPUTE_PGM_RSRC2:SCRATCH_EN: 0
; COMPUTE_PGM_RSRC2:USER_SGPR: 6
; COMPUTE_PGM_RSRC2:TRAP_HANDLER: 0
; COMPUTE_PGM_RSRC2:TGID_X_EN: 1
; COMPUTE_PGM_RSRC2:TGID_Y_EN: 1
; COMPUTE_PGM_RSRC2:TGID_Z_EN: 0
; COMPUTE_PGM_RSRC2:TIDIG_COMP_CNT: 1
; COMPUTE_PGM_RSRC3_GFX90A:ACCUM_OFFSET: 50
; COMPUTE_PGM_RSRC3_GFX90A:TG_SPLIT: 0
	.section	.text._ZN9rocsolver6v33100L18getf2_small_kernelILi33EdiiPKPdEEvT1_T3_lS5_lPS5_llPT2_S5_S5_S7_l,"axG",@progbits,_ZN9rocsolver6v33100L18getf2_small_kernelILi33EdiiPKPdEEvT1_T3_lS5_lPS5_llPT2_S5_S5_S7_l,comdat
	.globl	_ZN9rocsolver6v33100L18getf2_small_kernelILi33EdiiPKPdEEvT1_T3_lS5_lPS5_llPT2_S5_S5_S7_l ; -- Begin function _ZN9rocsolver6v33100L18getf2_small_kernelILi33EdiiPKPdEEvT1_T3_lS5_lPS5_llPT2_S5_S5_S7_l
	.p2align	8
	.type	_ZN9rocsolver6v33100L18getf2_small_kernelILi33EdiiPKPdEEvT1_T3_lS5_lPS5_llPT2_S5_S5_S7_l,@function
_ZN9rocsolver6v33100L18getf2_small_kernelILi33EdiiPKPdEEvT1_T3_lS5_lPS5_llPT2_S5_S5_S7_l: ; @_ZN9rocsolver6v33100L18getf2_small_kernelILi33EdiiPKPdEEvT1_T3_lS5_lPS5_llPT2_S5_S5_S7_l
; %bb.0:
	s_load_dword s0, s[4:5], 0x6c
	s_load_dwordx2 s[12:13], s[4:5], 0x48
	v_bfe_u32 v70, v0, 10, 10
	s_waitcnt lgkmcnt(0)
	s_lshr_b32 s0, s0, 16
	s_mul_i32 s7, s7, s0
	v_add_u32_e32 v2, s7, v70
	v_cmp_gt_i32_e32 vcc, s12, v2
	s_and_saveexec_b64 s[0:1], vcc
	s_cbranch_execz .LBB64_558
; %bb.1:
	s_load_dwordx4 s[0:3], s[4:5], 0x8
	s_load_dwordx4 s[8:11], s[4:5], 0x50
	v_ashrrev_i32_e32 v3, 31, v2
	v_lshlrev_b64 v[4:5], 3, v[2:3]
	s_waitcnt lgkmcnt(0)
	v_mov_b32_e32 v1, s1
	v_add_co_u32_e32 v4, vcc, s0, v4
	v_addc_co_u32_e32 v5, vcc, v1, v5, vcc
	global_load_dwordx2 v[6:7], v[4:5], off
	s_cmp_eq_u64 s[8:9], 0
	s_cselect_b64 s[6:7], -1, 0
	s_and_b64 vcc, exec, s[6:7]
	v_pk_mov_b32 v[4:5], 0, 0
	s_cbranch_vccnz .LBB64_3
; %bb.2:
	v_mul_lo_u32 v1, v3, s10
	v_mul_lo_u32 v8, v2, s11
	v_mad_u64_u32 v[4:5], s[0:1], v2, s10, 0
	v_add3_u32 v5, v5, v8, v1
	v_lshlrev_b64 v[4:5], 2, v[4:5]
	v_mov_b32_e32 v1, s9
	v_add_co_u32_e32 v4, vcc, s8, v4
	v_addc_co_u32_e32 v5, vcc, v1, v5, vcc
.LBB64_3:
	s_load_dword s8, s[4:5], 0x18
	s_load_dword s18, s[4:5], 0x0
	s_lshl_b64 s[0:1], s[2:3], 3
	v_and_b32_e32 v78, 0x3ff, v0
	v_mov_b32_e32 v1, s1
	s_waitcnt lgkmcnt(0)
	s_add_i32 s12, s8, s8
	s_waitcnt vmcnt(0)
	v_add_co_u32_e32 v76, vcc, s0, v6
	v_add_u32_e32 v0, s12, v78
	v_addc_co_u32_e32 v77, vcc, v7, v1, vcc
	v_ashrrev_i32_e32 v1, 31, v0
	v_lshlrev_b64 v[6:7], 3, v[0:1]
	v_add_u32_e32 v0, s8, v0
	v_add_co_u32_e32 v6, vcc, v76, v6
	v_ashrrev_i32_e32 v1, 31, v0
	v_addc_co_u32_e32 v7, vcc, v77, v7, vcc
	v_lshlrev_b64 v[8:9], 3, v[0:1]
	v_add_u32_e32 v0, s8, v0
	v_add_co_u32_e32 v8, vcc, v76, v8
	v_ashrrev_i32_e32 v1, 31, v0
	v_addc_co_u32_e32 v9, vcc, v77, v9, vcc
	v_lshlrev_b64 v[10:11], 3, v[0:1]
	v_add_u32_e32 v0, s8, v0
	v_add_co_u32_e32 v10, vcc, v76, v10
	v_ashrrev_i32_e32 v1, 31, v0
	v_addc_co_u32_e32 v11, vcc, v77, v11, vcc
	v_lshlrev_b64 v[12:13], 3, v[0:1]
	v_add_u32_e32 v0, s8, v0
	v_add_co_u32_e32 v12, vcc, v76, v12
	v_ashrrev_i32_e32 v1, 31, v0
	v_addc_co_u32_e32 v13, vcc, v77, v13, vcc
	v_lshlrev_b64 v[14:15], 3, v[0:1]
	v_add_u32_e32 v0, s8, v0
	v_add_co_u32_e32 v14, vcc, v76, v14
	v_ashrrev_i32_e32 v1, 31, v0
	v_addc_co_u32_e32 v15, vcc, v77, v15, vcc
	v_lshlrev_b64 v[16:17], 3, v[0:1]
	v_add_u32_e32 v0, s8, v0
	v_add_co_u32_e32 v16, vcc, v76, v16
	v_ashrrev_i32_e32 v1, 31, v0
	v_addc_co_u32_e32 v17, vcc, v77, v17, vcc
	v_lshlrev_b64 v[18:19], 3, v[0:1]
	v_add_u32_e32 v0, s8, v0
	v_add_co_u32_e32 v18, vcc, v76, v18
	v_ashrrev_i32_e32 v1, 31, v0
	v_addc_co_u32_e32 v19, vcc, v77, v19, vcc
	v_lshlrev_b64 v[20:21], 3, v[0:1]
	v_add_u32_e32 v0, s8, v0
	v_add_co_u32_e32 v20, vcc, v76, v20
	v_ashrrev_i32_e32 v1, 31, v0
	v_addc_co_u32_e32 v21, vcc, v77, v21, vcc
	v_lshlrev_b64 v[22:23], 3, v[0:1]
	v_add_u32_e32 v0, s8, v0
	v_add_co_u32_e32 v22, vcc, v76, v22
	v_ashrrev_i32_e32 v1, 31, v0
	v_addc_co_u32_e32 v23, vcc, v77, v23, vcc
	v_lshlrev_b64 v[24:25], 3, v[0:1]
	v_add_u32_e32 v0, s8, v0
	v_add_co_u32_e32 v24, vcc, v76, v24
	v_ashrrev_i32_e32 v1, 31, v0
	v_addc_co_u32_e32 v25, vcc, v77, v25, vcc
	v_lshlrev_b64 v[26:27], 3, v[0:1]
	v_add_u32_e32 v0, s8, v0
	v_add_co_u32_e32 v26, vcc, v76, v26
	v_ashrrev_i32_e32 v1, 31, v0
	v_addc_co_u32_e32 v27, vcc, v77, v27, vcc
	v_lshlrev_b64 v[28:29], 3, v[0:1]
	v_add_u32_e32 v0, s8, v0
	v_add_co_u32_e32 v28, vcc, v76, v28
	v_ashrrev_i32_e32 v1, 31, v0
	v_addc_co_u32_e32 v29, vcc, v77, v29, vcc
	v_lshlrev_b64 v[30:31], 3, v[0:1]
	v_add_u32_e32 v0, s8, v0
	v_add_co_u32_e32 v30, vcc, v76, v30
	v_ashrrev_i32_e32 v1, 31, v0
	v_addc_co_u32_e32 v31, vcc, v77, v31, vcc
	v_lshlrev_b64 v[32:33], 3, v[0:1]
	v_add_u32_e32 v0, s8, v0
	v_add_co_u32_e32 v68, vcc, v76, v32
	v_ashrrev_i32_e32 v1, 31, v0
	v_addc_co_u32_e32 v69, vcc, v77, v33, vcc
	v_lshlrev_b64 v[32:33], 3, v[0:1]
	v_add_u32_e32 v0, s8, v0
	v_add_co_u32_e32 v72, vcc, v76, v32
	v_ashrrev_i32_e32 v1, 31, v0
	v_addc_co_u32_e32 v73, vcc, v77, v33, vcc
	v_lshlrev_b64 v[32:33], 3, v[0:1]
	v_add_u32_e32 v0, s8, v0
	v_add_co_u32_e32 v74, vcc, v76, v32
	v_ashrrev_i32_e32 v1, 31, v0
	v_addc_co_u32_e32 v75, vcc, v77, v33, vcc
	v_lshlrev_b64 v[32:33], 3, v[0:1]
	v_add_u32_e32 v0, s8, v0
	v_add_co_u32_e32 v80, vcc, v76, v32
	v_ashrrev_i32_e32 v1, 31, v0
	v_addc_co_u32_e32 v81, vcc, v77, v33, vcc
	v_lshlrev_b64 v[32:33], 3, v[0:1]
	v_add_u32_e32 v0, s8, v0
	v_add_co_u32_e32 v82, vcc, v76, v32
	v_ashrrev_i32_e32 v1, 31, v0
	v_addc_co_u32_e32 v83, vcc, v77, v33, vcc
	v_lshlrev_b64 v[32:33], 3, v[0:1]
	v_add_u32_e32 v0, s8, v0
	v_add_co_u32_e32 v84, vcc, v76, v32
	v_ashrrev_i32_e32 v1, 31, v0
	v_addc_co_u32_e32 v85, vcc, v77, v33, vcc
	v_lshlrev_b64 v[32:33], 3, v[0:1]
	v_add_u32_e32 v0, s8, v0
	v_add_co_u32_e32 v86, vcc, v76, v32
	v_ashrrev_i32_e32 v1, 31, v0
	v_addc_co_u32_e32 v87, vcc, v77, v33, vcc
	v_lshlrev_b64 v[32:33], 3, v[0:1]
	v_add_u32_e32 v0, s8, v0
	v_add_co_u32_e32 v88, vcc, v76, v32
	v_ashrrev_i32_e32 v1, 31, v0
	v_addc_co_u32_e32 v89, vcc, v77, v33, vcc
	v_lshlrev_b64 v[32:33], 3, v[0:1]
	v_add_u32_e32 v0, s8, v0
	v_add_co_u32_e32 v90, vcc, v76, v32
	v_ashrrev_i32_e32 v1, 31, v0
	v_addc_co_u32_e32 v91, vcc, v77, v33, vcc
	v_lshlrev_b64 v[32:33], 3, v[0:1]
	v_add_u32_e32 v0, s8, v0
	v_add_co_u32_e32 v92, vcc, v76, v32
	v_ashrrev_i32_e32 v1, 31, v0
	v_addc_co_u32_e32 v93, vcc, v77, v33, vcc
	v_lshlrev_b64 v[32:33], 3, v[0:1]
	v_add_u32_e32 v0, s8, v0
	v_add_co_u32_e32 v94, vcc, v76, v32
	v_ashrrev_i32_e32 v1, 31, v0
	v_addc_co_u32_e32 v95, vcc, v77, v33, vcc
	v_lshlrev_b64 v[32:33], 3, v[0:1]
	v_add_u32_e32 v0, s8, v0
	v_add_co_u32_e32 v96, vcc, v76, v32
	v_ashrrev_i32_e32 v1, 31, v0
	v_addc_co_u32_e32 v97, vcc, v77, v33, vcc
	v_lshlrev_b64 v[32:33], 3, v[0:1]
	v_add_u32_e32 v0, s8, v0
	v_add_co_u32_e32 v98, vcc, v76, v32
	v_ashrrev_i32_e32 v1, 31, v0
	v_addc_co_u32_e32 v99, vcc, v77, v33, vcc
	v_lshlrev_b64 v[32:33], 3, v[0:1]
	v_add_u32_e32 v0, s8, v0
	v_add_co_u32_e32 v100, vcc, v76, v32
	v_ashrrev_i32_e32 v1, 31, v0
	v_addc_co_u32_e32 v101, vcc, v77, v33, vcc
	v_lshlrev_b64 v[32:33], 3, v[0:1]
	v_add_u32_e32 v0, s8, v0
	v_add_co_u32_e32 v102, vcc, v76, v32
	v_ashrrev_i32_e32 v1, 31, v0
	v_addc_co_u32_e32 v103, vcc, v77, v33, vcc
	v_lshlrev_b64 v[32:33], 3, v[0:1]
	v_add_u32_e32 v0, s8, v0
	v_add_co_u32_e32 v104, vcc, v76, v32
	v_ashrrev_i32_e32 v1, 31, v0
	v_addc_co_u32_e32 v105, vcc, v77, v33, vcc
	v_lshlrev_b64 v[32:33], 3, v[0:1]
	v_add_u32_e32 v0, s8, v0
	v_add_co_u32_e32 v106, vcc, v76, v32
	v_ashrrev_i32_e32 v1, 31, v0
	v_addc_co_u32_e32 v107, vcc, v77, v33, vcc
	v_lshlrev_b64 v[0:1], 3, v[0:1]
	v_add_co_u32_e32 v108, vcc, v76, v0
	v_addc_co_u32_e32 v109, vcc, v77, v1, vcc
	v_lshlrev_b32_e32 v71, 3, v78
	v_add_co_u32_e32 v0, vcc, v76, v71
	s_ashr_i32 s9, s8, 31
	v_addc_co_u32_e32 v1, vcc, 0, v77, vcc
	s_lshl_b64 s[10:11], s[8:9], 3
	v_mov_b32_e32 v33, s11
	v_add_co_u32_e32 v32, vcc, s10, v0
	v_addc_co_u32_e32 v33, vcc, v1, v33, vcc
	global_load_dwordx2 v[66:67], v[0:1], off
	global_load_dwordx2 v[64:65], v[32:33], off
	;; [unrolled: 1-line block ×15, first 2 shown]
                                        ; kill: killed $vgpr26 killed $vgpr27
                                        ; kill: killed $vgpr30 killed $vgpr31
                                        ; kill: killed $vgpr8 killed $vgpr9
                                        ; kill: killed $vgpr12 killed $vgpr13
                                        ; kill: killed $vgpr16 killed $vgpr17
                                        ; kill: killed $vgpr20 killed $vgpr21
                                        ; kill: killed $vgpr24 killed $vgpr25
                                        ; kill: killed $vgpr28 killed $vgpr29
                                        ; kill: killed $vgpr0 killed $vgpr1
                                        ; kill: killed $vgpr6 killed $vgpr7
                                        ; kill: killed $vgpr32 killed $vgpr33
                                        ; kill: killed $vgpr10 killed $vgpr11
                                        ; kill: killed $vgpr14 killed $vgpr15
                                        ; kill: killed $vgpr18 killed $vgpr19
                                        ; kill: killed $vgpr22 killed $vgpr23
	global_load_dwordx2 v[38:39], v[68:69], off
	global_load_dwordx2 v[34:35], v[72:73], off
	global_load_dwordx2 v[32:33], v[74:75], off
	s_nop 0
	global_load_dwordx2 v[30:31], v[80:81], off
	global_load_dwordx2 v[28:29], v[82:83], off
	;; [unrolled: 1-line block ×12, first 2 shown]
                                        ; kill: killed $vgpr98 killed $vgpr99
                                        ; kill: killed $vgpr102 killed $vgpr103
                                        ; kill: killed $vgpr72 killed $vgpr73
                                        ; kill: killed $vgpr80 killed $vgpr81
                                        ; kill: killed $vgpr84 killed $vgpr85
                                        ; kill: killed $vgpr88 killed $vgpr89
                                        ; kill: killed $vgpr92 killed $vgpr93
                                        ; kill: killed $vgpr96 killed $vgpr97
                                        ; kill: killed $vgpr100 killed $vgpr101
                                        ; kill: killed $vgpr68 killed $vgpr69
                                        ; kill: killed $vgpr74 killed $vgpr75
                                        ; kill: killed $vgpr82 killed $vgpr83
                                        ; kill: killed $vgpr86 killed $vgpr87
                                        ; kill: killed $vgpr90 killed $vgpr91
                                        ; kill: killed $vgpr94 killed $vgpr95
	global_load_dwordx2 v[8:9], v[104:105], off
	global_load_dwordx2 v[0:1], v[106:107], off
	;; [unrolled: 1-line block ×3, first 2 shown]
	s_max_i32 s0, s18, 33
	v_mul_lo_u32 v72, s0, v70
	v_lshl_add_u32 v74, v72, 3, 0
	v_add_u32_e32 v70, v74, v71
	s_cmp_lt_i32 s18, 2
	v_lshlrev_b32_e32 v79, 3, v72
	v_mov_b32_e32 v72, 0
	s_waitcnt vmcnt(32)
	ds_write_b64 v70, v[66:67]
	s_waitcnt lgkmcnt(0)
	s_barrier
	ds_read_b64 v[70:71], v74
	s_cbranch_scc1 .LBB64_6
; %bb.4:
	v_add3_u32 v73, v79, 0, 8
	s_mov_b32 s0, 1
	v_mov_b32_e32 v72, 0
.LBB64_5:                               ; =>This Inner Loop Header: Depth=1
	ds_read_b64 v[80:81], v73
	v_mov_b32_e32 v75, s0
	s_add_i32 s0, s0, 1
	v_add_u32_e32 v73, 8, v73
	s_cmp_eq_u32 s18, s0
	s_waitcnt lgkmcnt(0)
	v_cmp_lt_f64_e64 vcc, |v[70:71]|, |v[80:81]|
	v_cndmask_b32_e32 v71, v71, v81, vcc
	v_cndmask_b32_e32 v70, v70, v80, vcc
	;; [unrolled: 1-line block ×3, first 2 shown]
	s_cbranch_scc0 .LBB64_5
.LBB64_6:
	v_cmp_ne_u32_e32 vcc, v78, v72
                                        ; implicit-def: $vgpr75
	s_and_saveexec_b64 s[0:1], vcc
	s_xor_b64 s[0:1], exec, s[0:1]
	s_cbranch_execz .LBB64_12
; %bb.7:
	v_cmp_eq_u32_e32 vcc, 0, v78
	s_and_saveexec_b64 s[2:3], vcc
	s_cbranch_execz .LBB64_11
; %bb.8:
	v_cmp_ne_u32_e32 vcc, 0, v72
	s_xor_b64 s[14:15], s[6:7], -1
	s_and_b64 s[16:17], s[14:15], vcc
	s_and_saveexec_b64 s[14:15], s[16:17]
	s_cbranch_execz .LBB64_10
; %bb.9:
	v_ashrrev_i32_e32 v73, 31, v72
	v_lshlrev_b64 v[80:81], 2, v[72:73]
	v_add_co_u32_e32 v80, vcc, v4, v80
	v_addc_co_u32_e32 v81, vcc, v5, v81, vcc
	flat_load_dword v73, v[80:81]
	flat_load_dword v75, v[4:5]
	s_waitcnt vmcnt(0) lgkmcnt(0)
	flat_store_dword v[4:5], v73
	flat_store_dword v[80:81], v75
.LBB64_10:
	s_or_b64 exec, exec, s[14:15]
	v_mov_b32_e32 v78, v72
.LBB64_11:
	s_or_b64 exec, exec, s[2:3]
	v_mov_b32_e32 v75, v78
                                        ; implicit-def: $vgpr78
.LBB64_12:
	s_or_saveexec_b64 s[0:1], s[0:1]
	v_mov_b32_e32 v73, v75
	s_xor_b64 exec, exec, s[0:1]
	s_cbranch_execz .LBB64_14
; %bb.13:
	v_mov_b32_e32 v75, 0
	v_mov_b32_e32 v73, v78
	s_waitcnt vmcnt(0)
	ds_write2_b64 v74, v[64:65], v[62:63] offset0:1 offset1:2
	ds_write2_b64 v74, v[60:61], v[58:59] offset0:3 offset1:4
	;; [unrolled: 1-line block ×16, first 2 shown]
.LBB64_14:
	s_or_b64 exec, exec, s[0:1]
	s_waitcnt lgkmcnt(0)
	v_cmp_eq_f64_e64 s[0:1], 0, v[70:71]
	v_cmp_lt_i32_e32 vcc, 0, v75
	s_barrier
	s_and_saveexec_b64 s[2:3], vcc
	s_cbranch_execz .LBB64_16
; %bb.15:
	v_div_scale_f64 v[80:81], s[14:15], v[70:71], v[70:71], 1.0
	v_rcp_f64_e32 v[82:83], v[80:81]
	v_div_scale_f64 v[84:85], vcc, 1.0, v[70:71], 1.0
	ds_read2_b64 v[88:91], v74 offset0:5 offset1:6
	v_fma_f64 v[86:87], -v[80:81], v[82:83], 1.0
	v_fmac_f64_e32 v[82:83], v[82:83], v[86:87]
	v_fma_f64 v[86:87], -v[80:81], v[82:83], 1.0
	v_fmac_f64_e32 v[82:83], v[82:83], v[86:87]
	v_mul_f64 v[86:87], v[84:85], v[82:83]
	v_fma_f64 v[80:81], -v[80:81], v[86:87], v[84:85]
	v_div_fmas_f64 v[80:81], v[80:81], v[82:83], v[86:87]
	v_div_fixup_f64 v[84:85], v[80:81], v[70:71], 1.0
	ds_read2_b64 v[80:83], v74 offset0:1 offset1:2
	v_cndmask_b32_e64 v71, v85, v71, s[0:1]
	v_cndmask_b32_e64 v70, v84, v70, s[0:1]
	ds_read2_b64 v[84:87], v74 offset0:3 offset1:4
	v_mul_f64 v[66:67], v[70:71], v[66:67]
	s_waitcnt vmcnt(0) lgkmcnt(0)
	v_fma_f64 v[64:65], -v[66:67], v[80:81], v[64:65]
	v_fma_f64 v[62:63], -v[66:67], v[82:83], v[62:63]
	ds_read2_b64 v[80:83], v74 offset0:7 offset1:8
	v_fma_f64 v[60:61], -v[66:67], v[84:85], v[60:61]
	v_fma_f64 v[58:59], -v[66:67], v[86:87], v[58:59]
	;; [unrolled: 1-line block ×3, first 2 shown]
	ds_read2_b64 v[84:87], v74 offset0:9 offset1:10
	v_fma_f64 v[54:55], -v[66:67], v[90:91], v[54:55]
	ds_read2_b64 v[88:91], v74 offset0:11 offset1:12
	s_waitcnt lgkmcnt(2)
	v_fma_f64 v[52:53], -v[66:67], v[80:81], v[52:53]
	v_fma_f64 v[50:51], -v[66:67], v[82:83], v[50:51]
	ds_read2_b64 v[80:83], v74 offset0:13 offset1:14
	s_waitcnt lgkmcnt(2)
	v_fma_f64 v[48:49], -v[66:67], v[84:85], v[48:49]
	;; [unrolled: 4-line block ×3, first 2 shown]
	v_fma_f64 v[42:43], -v[66:67], v[90:91], v[42:43]
	s_waitcnt lgkmcnt(1)
	v_fma_f64 v[40:41], -v[66:67], v[80:81], v[40:41]
	ds_read2_b64 v[88:91], v74 offset0:17 offset1:18
	v_fma_f64 v[36:37], -v[66:67], v[82:83], v[36:37]
	ds_read2_b64 v[80:83], v74 offset0:19 offset1:20
	s_waitcnt lgkmcnt(2)
	v_fma_f64 v[38:39], -v[66:67], v[84:85], v[38:39]
	v_fma_f64 v[34:35], -v[66:67], v[86:87], v[34:35]
	s_waitcnt lgkmcnt(1)
	v_fma_f64 v[32:33], -v[66:67], v[88:89], v[32:33]
	ds_read2_b64 v[84:87], v74 offset0:21 offset1:22
	v_fma_f64 v[30:31], -v[66:67], v[90:91], v[30:31]
	ds_read2_b64 v[88:91], v74 offset0:23 offset1:24
	s_waitcnt lgkmcnt(2)
	v_fma_f64 v[28:29], -v[66:67], v[80:81], v[28:29]
	v_fma_f64 v[26:27], -v[66:67], v[82:83], v[26:27]
	ds_read2_b64 v[80:83], v74 offset0:25 offset1:26
	s_waitcnt lgkmcnt(2)
	v_fma_f64 v[24:25], -v[66:67], v[84:85], v[24:25]
	;; [unrolled: 4-line block ×3, first 2 shown]
	v_fma_f64 v[18:19], -v[66:67], v[90:91], v[18:19]
	s_waitcnt lgkmcnt(1)
	v_fma_f64 v[16:17], -v[66:67], v[80:81], v[16:17]
	ds_read2_b64 v[88:91], v74 offset0:29 offset1:30
	v_fma_f64 v[14:15], -v[66:67], v[82:83], v[14:15]
	ds_read2_b64 v[80:83], v74 offset0:31 offset1:32
	s_waitcnt lgkmcnt(2)
	v_fma_f64 v[12:13], -v[66:67], v[84:85], v[12:13]
	v_fma_f64 v[10:11], -v[66:67], v[86:87], v[10:11]
	s_waitcnt lgkmcnt(1)
	v_fma_f64 v[6:7], -v[66:67], v[88:89], v[6:7]
	v_fma_f64 v[8:9], -v[66:67], v[90:91], v[8:9]
	;; [unrolled: 3-line block ×3, first 2 shown]
.LBB64_16:
	s_or_b64 exec, exec, s[2:3]
	v_lshl_add_u32 v70, v75, 3, v74
	s_barrier
	s_waitcnt vmcnt(0)
	ds_write_b64 v70, v[64:65]
	s_waitcnt lgkmcnt(0)
	s_barrier
	ds_read_b64 v[70:71], v74 offset:8
	s_cmp_lt_i32 s18, 3
	v_mov_b32_e32 v72, 1
	s_cbranch_scc1 .LBB64_19
; %bb.17:
	v_add3_u32 v78, v79, 0, 16
	s_mov_b32 s2, 2
	v_mov_b32_e32 v72, 1
.LBB64_18:                              ; =>This Inner Loop Header: Depth=1
	ds_read_b64 v[80:81], v78
	v_mov_b32_e32 v82, s2
	s_add_i32 s2, s2, 1
	v_add_u32_e32 v78, 8, v78
	s_cmp_lg_u32 s18, s2
	s_waitcnt lgkmcnt(0)
	v_cmp_lt_f64_e64 vcc, |v[70:71]|, |v[80:81]|
	v_cndmask_b32_e32 v71, v71, v81, vcc
	v_cndmask_b32_e32 v70, v70, v80, vcc
	;; [unrolled: 1-line block ×3, first 2 shown]
	s_cbranch_scc1 .LBB64_18
.LBB64_19:
	v_cmp_ne_u32_e32 vcc, v75, v72
	s_and_saveexec_b64 s[2:3], vcc
	s_xor_b64 s[2:3], exec, s[2:3]
	s_cbranch_execz .LBB64_25
; %bb.20:
	v_cmp_eq_u32_e32 vcc, 1, v75
	s_and_saveexec_b64 s[14:15], vcc
	s_cbranch_execz .LBB64_24
; %bb.21:
	v_cmp_ne_u32_e32 vcc, 1, v72
	s_xor_b64 s[16:17], s[6:7], -1
	s_and_b64 s[20:21], s[16:17], vcc
	s_and_saveexec_b64 s[16:17], s[20:21]
	s_cbranch_execz .LBB64_23
; %bb.22:
	v_ashrrev_i32_e32 v73, 31, v72
	v_lshlrev_b64 v[80:81], 2, v[72:73]
	v_add_co_u32_e32 v80, vcc, v4, v80
	v_addc_co_u32_e32 v81, vcc, v5, v81, vcc
	flat_load_dword v73, v[80:81]
	flat_load_dword v75, v[4:5] offset:4
	s_waitcnt vmcnt(0) lgkmcnt(0)
	flat_store_dword v[4:5], v73 offset:4
	flat_store_dword v[80:81], v75
.LBB64_23:
	s_or_b64 exec, exec, s[16:17]
	v_mov_b32_e32 v73, v72
	v_mov_b32_e32 v75, v72
.LBB64_24:
	s_or_b64 exec, exec, s[14:15]
.LBB64_25:
	s_andn2_saveexec_b64 s[2:3], s[2:3]
	s_cbranch_execz .LBB64_27
; %bb.26:
	v_mov_b32_e32 v80, v62
	v_mov_b32_e32 v81, v63
	v_mov_b32_e32 v82, v60
	v_mov_b32_e32 v83, v61
	ds_write2_b64 v74, v[80:81], v[82:83] offset0:2 offset1:3
	v_mov_b32_e32 v80, v58
	v_mov_b32_e32 v81, v59
	v_mov_b32_e32 v82, v56
	v_mov_b32_e32 v83, v57
	ds_write2_b64 v74, v[80:81], v[82:83] offset0:4 offset1:5
	;; [unrolled: 5-line block ×14, first 2 shown]
	v_mov_b32_e32 v80, v8
	v_mov_b32_e32 v81, v9
	;; [unrolled: 1-line block ×5, first 2 shown]
	ds_write2_b64 v74, v[80:81], v[82:83] offset0:30 offset1:31
	ds_write_b64 v74, v[68:69] offset:256
.LBB64_27:
	s_or_b64 exec, exec, s[2:3]
	s_waitcnt lgkmcnt(0)
	v_cmp_neq_f64_e64 s[2:3], 0, v[70:71]
	v_cmp_lt_i32_e32 vcc, 1, v75
	s_barrier
	s_and_saveexec_b64 s[14:15], vcc
	s_cbranch_execz .LBB64_29
; %bb.28:
	v_div_scale_f64 v[80:81], s[16:17], v[70:71], v[70:71], 1.0
	v_rcp_f64_e32 v[82:83], v[80:81]
	v_div_scale_f64 v[84:85], vcc, 1.0, v[70:71], 1.0
	ds_read2_b64 v[88:91], v74 offset0:6 offset1:7
	v_fma_f64 v[86:87], -v[80:81], v[82:83], 1.0
	v_fmac_f64_e32 v[82:83], v[82:83], v[86:87]
	v_fma_f64 v[86:87], -v[80:81], v[82:83], 1.0
	v_fmac_f64_e32 v[82:83], v[82:83], v[86:87]
	v_mul_f64 v[86:87], v[84:85], v[82:83]
	v_fma_f64 v[80:81], -v[80:81], v[86:87], v[84:85]
	v_div_fmas_f64 v[80:81], v[80:81], v[82:83], v[86:87]
	v_div_fixup_f64 v[84:85], v[80:81], v[70:71], 1.0
	ds_read2_b64 v[80:83], v74 offset0:2 offset1:3
	v_cndmask_b32_e64 v71, v71, v85, s[2:3]
	v_cndmask_b32_e64 v70, v70, v84, s[2:3]
	ds_read2_b64 v[84:87], v74 offset0:4 offset1:5
	v_mul_f64 v[64:65], v[70:71], v[64:65]
	s_waitcnt lgkmcnt(0)
	v_fma_f64 v[62:63], -v[64:65], v[80:81], v[62:63]
	v_fma_f64 v[60:61], -v[64:65], v[82:83], v[60:61]
	ds_read2_b64 v[80:83], v74 offset0:8 offset1:9
	v_fma_f64 v[58:59], -v[64:65], v[84:85], v[58:59]
	v_fma_f64 v[56:57], -v[64:65], v[86:87], v[56:57]
	;; [unrolled: 1-line block ×3, first 2 shown]
	ds_read2_b64 v[84:87], v74 offset0:10 offset1:11
	v_fma_f64 v[52:53], -v[64:65], v[90:91], v[52:53]
	ds_read2_b64 v[88:91], v74 offset0:12 offset1:13
	s_waitcnt lgkmcnt(0)
	v_fma_f64 v[50:51], -v[64:65], v[80:81], v[50:51]
	v_fma_f64 v[48:49], -v[64:65], v[82:83], v[48:49]
	;; [unrolled: 1-line block ×3, first 2 shown]
	ds_read2_b64 v[80:83], v74 offset0:14 offset1:15
	v_fma_f64 v[44:45], -v[64:65], v[86:87], v[44:45]
	ds_read2_b64 v[84:87], v74 offset0:16 offset1:17
	v_fma_f64 v[42:43], -v[64:65], v[88:89], v[42:43]
	v_fma_f64 v[40:41], -v[64:65], v[90:91], v[40:41]
	ds_read2_b64 v[88:91], v74 offset0:18 offset1:19
	s_waitcnt lgkmcnt(0)
	v_fma_f64 v[36:37], -v[64:65], v[80:81], v[36:37]
	v_fma_f64 v[38:39], -v[64:65], v[82:83], v[38:39]
	ds_read2_b64 v[80:83], v74 offset0:20 offset1:21
	v_fma_f64 v[34:35], -v[64:65], v[84:85], v[34:35]
	v_fma_f64 v[32:33], -v[64:65], v[86:87], v[32:33]
	;; [unrolled: 1-line block ×3, first 2 shown]
	ds_read2_b64 v[84:87], v74 offset0:22 offset1:23
	v_fma_f64 v[28:29], -v[64:65], v[90:91], v[28:29]
	ds_read2_b64 v[88:91], v74 offset0:24 offset1:25
	s_waitcnt lgkmcnt(0)
	v_fma_f64 v[26:27], -v[64:65], v[80:81], v[26:27]
	v_fma_f64 v[24:25], -v[64:65], v[82:83], v[24:25]
	;; [unrolled: 1-line block ×3, first 2 shown]
	ds_read2_b64 v[80:83], v74 offset0:26 offset1:27
	v_fma_f64 v[20:21], -v[64:65], v[86:87], v[20:21]
	ds_read2_b64 v[84:87], v74 offset0:28 offset1:29
	v_fma_f64 v[18:19], -v[64:65], v[88:89], v[18:19]
	v_fma_f64 v[16:17], -v[64:65], v[90:91], v[16:17]
	ds_read2_b64 v[88:91], v74 offset0:30 offset1:31
	ds_read_b64 v[70:71], v74 offset:256
	s_waitcnt lgkmcnt(0)
	v_fma_f64 v[14:15], -v[64:65], v[80:81], v[14:15]
	v_fma_f64 v[12:13], -v[64:65], v[82:83], v[12:13]
	;; [unrolled: 1-line block ×7, first 2 shown]
.LBB64_29:
	s_or_b64 exec, exec, s[14:15]
	v_lshl_add_u32 v70, v75, 3, v74
	s_barrier
	ds_write_b64 v70, v[62:63]
	s_waitcnt lgkmcnt(0)
	s_barrier
	ds_read_b64 v[70:71], v74 offset:16
	s_mov_b32 s9, 3
	s_cmp_lt_i32 s18, 4
	v_mov_b32_e32 v72, 2
	s_cbranch_scc1 .LBB64_32
; %bb.30:
	v_add3_u32 v78, v79, 0, 24
	v_mov_b32_e32 v72, 2
.LBB64_31:                              ; =>This Inner Loop Header: Depth=1
	ds_read_b64 v[80:81], v78
	v_mov_b32_e32 v82, s9
	s_add_i32 s9, s9, 1
	v_add_u32_e32 v78, 8, v78
	s_cmp_lg_u32 s18, s9
	s_waitcnt lgkmcnt(0)
	v_cmp_lt_f64_e64 vcc, |v[70:71]|, |v[80:81]|
	v_cndmask_b32_e32 v71, v71, v81, vcc
	v_cndmask_b32_e32 v70, v70, v80, vcc
	;; [unrolled: 1-line block ×3, first 2 shown]
	s_cbranch_scc1 .LBB64_31
.LBB64_32:
	v_cndmask_b32_e64 v78, 2, 1, s[0:1]
	v_cndmask_b32_e64 v80, 0, 1, s[0:1]
	;; [unrolled: 1-line block ×3, first 2 shown]
	s_waitcnt lgkmcnt(0)
	v_cmp_eq_f64_e32 vcc, 0, v[70:71]
	s_and_saveexec_b64 s[0:1], vcc
	s_xor_b64 s[0:1], exec, s[0:1]
; %bb.33:
	v_cmp_ne_u32_e32 vcc, 0, v78
	v_cndmask_b32_e32 v78, 3, v78, vcc
; %bb.34:
	s_andn2_saveexec_b64 s[0:1], s[0:1]
; %bb.35:
	v_div_scale_f64 v[80:81], s[2:3], v[70:71], v[70:71], 1.0
	v_rcp_f64_e32 v[82:83], v[80:81]
	v_div_scale_f64 v[84:85], vcc, 1.0, v[70:71], 1.0
	v_fma_f64 v[86:87], -v[80:81], v[82:83], 1.0
	v_fmac_f64_e32 v[82:83], v[82:83], v[86:87]
	v_fma_f64 v[86:87], -v[80:81], v[82:83], 1.0
	v_fmac_f64_e32 v[82:83], v[82:83], v[86:87]
	v_mul_f64 v[86:87], v[84:85], v[82:83]
	v_fma_f64 v[80:81], -v[80:81], v[86:87], v[84:85]
	v_div_fmas_f64 v[80:81], v[80:81], v[82:83], v[86:87]
	v_div_fixup_f64 v[70:71], v[80:81], v[70:71], 1.0
; %bb.36:
	s_or_b64 exec, exec, s[0:1]
	v_cmp_ne_u32_e32 vcc, v75, v72
	s_and_saveexec_b64 s[0:1], vcc
	s_xor_b64 s[0:1], exec, s[0:1]
	s_cbranch_execz .LBB64_42
; %bb.37:
	v_cmp_eq_u32_e32 vcc, 2, v75
	s_and_saveexec_b64 s[2:3], vcc
	s_cbranch_execz .LBB64_41
; %bb.38:
	v_cmp_ne_u32_e32 vcc, 2, v72
	s_xor_b64 s[14:15], s[6:7], -1
	s_and_b64 s[16:17], s[14:15], vcc
	s_and_saveexec_b64 s[14:15], s[16:17]
	s_cbranch_execz .LBB64_40
; %bb.39:
	v_ashrrev_i32_e32 v73, 31, v72
	v_lshlrev_b64 v[80:81], 2, v[72:73]
	v_add_co_u32_e32 v80, vcc, v4, v80
	v_addc_co_u32_e32 v81, vcc, v5, v81, vcc
	flat_load_dword v73, v[80:81]
	flat_load_dword v75, v[4:5] offset:8
	s_waitcnt vmcnt(0) lgkmcnt(0)
	flat_store_dword v[4:5], v73 offset:8
	flat_store_dword v[80:81], v75
.LBB64_40:
	s_or_b64 exec, exec, s[14:15]
	v_mov_b32_e32 v73, v72
	v_mov_b32_e32 v75, v72
.LBB64_41:
	s_or_b64 exec, exec, s[2:3]
.LBB64_42:
	s_andn2_saveexec_b64 s[0:1], s[0:1]
	s_cbranch_execz .LBB64_44
; %bb.43:
	v_mov_b32_e32 v75, 2
	ds_write2_b64 v74, v[60:61], v[58:59] offset0:3 offset1:4
	ds_write2_b64 v74, v[56:57], v[54:55] offset0:5 offset1:6
	;; [unrolled: 1-line block ×15, first 2 shown]
.LBB64_44:
	s_or_b64 exec, exec, s[0:1]
	v_cmp_lt_i32_e32 vcc, 2, v75
	s_waitcnt lgkmcnt(0)
	s_barrier
	s_and_saveexec_b64 s[0:1], vcc
	s_cbranch_execz .LBB64_46
; %bb.45:
	ds_read2_b64 v[80:83], v74 offset0:3 offset1:4
	ds_read2_b64 v[84:87], v74 offset0:5 offset1:6
	ds_read2_b64 v[88:91], v74 offset0:7 offset1:8
	v_mul_f64 v[62:63], v[70:71], v[62:63]
	s_waitcnt lgkmcnt(0)
	v_fma_f64 v[60:61], -v[62:63], v[80:81], v[60:61]
	v_fma_f64 v[58:59], -v[62:63], v[82:83], v[58:59]
	ds_read2_b64 v[80:83], v74 offset0:9 offset1:10
	v_fma_f64 v[56:57], -v[62:63], v[84:85], v[56:57]
	v_fma_f64 v[54:55], -v[62:63], v[86:87], v[54:55]
	;; [unrolled: 1-line block ×3, first 2 shown]
	ds_read2_b64 v[84:87], v74 offset0:11 offset1:12
	v_fma_f64 v[50:51], -v[62:63], v[90:91], v[50:51]
	ds_read2_b64 v[88:91], v74 offset0:13 offset1:14
	s_waitcnt lgkmcnt(0)
	v_fma_f64 v[48:49], -v[62:63], v[80:81], v[48:49]
	v_fma_f64 v[46:47], -v[62:63], v[82:83], v[46:47]
	;; [unrolled: 1-line block ×3, first 2 shown]
	ds_read2_b64 v[80:83], v74 offset0:15 offset1:16
	v_fma_f64 v[42:43], -v[62:63], v[86:87], v[42:43]
	ds_read2_b64 v[84:87], v74 offset0:17 offset1:18
	v_fma_f64 v[40:41], -v[62:63], v[88:89], v[40:41]
	v_fma_f64 v[36:37], -v[62:63], v[90:91], v[36:37]
	ds_read2_b64 v[88:91], v74 offset0:19 offset1:20
	s_waitcnt lgkmcnt(0)
	v_fma_f64 v[38:39], -v[62:63], v[80:81], v[38:39]
	v_fma_f64 v[34:35], -v[62:63], v[82:83], v[34:35]
	ds_read2_b64 v[80:83], v74 offset0:21 offset1:22
	v_fma_f64 v[32:33], -v[62:63], v[84:85], v[32:33]
	v_fma_f64 v[30:31], -v[62:63], v[86:87], v[30:31]
	;; [unrolled: 1-line block ×3, first 2 shown]
	ds_read2_b64 v[84:87], v74 offset0:23 offset1:24
	v_fma_f64 v[26:27], -v[62:63], v[90:91], v[26:27]
	ds_read2_b64 v[88:91], v74 offset0:25 offset1:26
	s_waitcnt lgkmcnt(0)
	v_fma_f64 v[24:25], -v[62:63], v[80:81], v[24:25]
	v_fma_f64 v[22:23], -v[62:63], v[82:83], v[22:23]
	;; [unrolled: 1-line block ×4, first 2 shown]
	ds_read2_b64 v[80:83], v74 offset0:27 offset1:28
	ds_read2_b64 v[84:87], v74 offset0:29 offset1:30
	v_fma_f64 v[16:17], -v[62:63], v[88:89], v[16:17]
	v_fma_f64 v[14:15], -v[62:63], v[90:91], v[14:15]
	ds_read2_b64 v[88:91], v74 offset0:31 offset1:32
	s_waitcnt lgkmcnt(0)
	v_fma_f64 v[12:13], -v[62:63], v[80:81], v[12:13]
	v_fma_f64 v[10:11], -v[62:63], v[82:83], v[10:11]
	;; [unrolled: 1-line block ×6, first 2 shown]
.LBB64_46:
	s_or_b64 exec, exec, s[0:1]
	v_lshl_add_u32 v70, v75, 3, v74
	s_barrier
	ds_write_b64 v70, v[60:61]
	s_waitcnt lgkmcnt(0)
	s_barrier
	ds_read_b64 v[70:71], v74 offset:24
	s_cmp_lt_i32 s18, 5
	v_mov_b32_e32 v72, 3
	s_cbranch_scc1 .LBB64_49
; %bb.47:
	v_add3_u32 v80, v79, 0, 32
	s_mov_b32 s0, 4
	v_mov_b32_e32 v72, 3
.LBB64_48:                              ; =>This Inner Loop Header: Depth=1
	ds_read_b64 v[82:83], v80
	v_mov_b32_e32 v81, s0
	s_add_i32 s0, s0, 1
	v_add_u32_e32 v80, 8, v80
	s_cmp_lg_u32 s18, s0
	s_waitcnt lgkmcnt(0)
	v_cmp_lt_f64_e64 vcc, |v[70:71]|, |v[82:83]|
	v_cndmask_b32_e32 v71, v71, v83, vcc
	v_cndmask_b32_e32 v70, v70, v82, vcc
	;; [unrolled: 1-line block ×3, first 2 shown]
	s_cbranch_scc1 .LBB64_48
.LBB64_49:
	s_waitcnt lgkmcnt(0)
	v_cmp_eq_f64_e32 vcc, 0, v[70:71]
	s_and_saveexec_b64 s[0:1], vcc
	s_xor_b64 s[0:1], exec, s[0:1]
; %bb.50:
	v_cmp_ne_u32_e32 vcc, 0, v78
	v_cndmask_b32_e32 v78, 4, v78, vcc
; %bb.51:
	s_andn2_saveexec_b64 s[0:1], s[0:1]
; %bb.52:
	v_div_scale_f64 v[80:81], s[2:3], v[70:71], v[70:71], 1.0
	v_rcp_f64_e32 v[82:83], v[80:81]
	v_div_scale_f64 v[84:85], vcc, 1.0, v[70:71], 1.0
	v_fma_f64 v[86:87], -v[80:81], v[82:83], 1.0
	v_fmac_f64_e32 v[82:83], v[82:83], v[86:87]
	v_fma_f64 v[86:87], -v[80:81], v[82:83], 1.0
	v_fmac_f64_e32 v[82:83], v[82:83], v[86:87]
	v_mul_f64 v[86:87], v[84:85], v[82:83]
	v_fma_f64 v[80:81], -v[80:81], v[86:87], v[84:85]
	v_div_fmas_f64 v[80:81], v[80:81], v[82:83], v[86:87]
	v_div_fixup_f64 v[70:71], v[80:81], v[70:71], 1.0
; %bb.53:
	s_or_b64 exec, exec, s[0:1]
	v_cmp_ne_u32_e32 vcc, v75, v72
	s_and_saveexec_b64 s[0:1], vcc
	s_xor_b64 s[0:1], exec, s[0:1]
	s_cbranch_execz .LBB64_59
; %bb.54:
	v_cmp_eq_u32_e32 vcc, 3, v75
	s_and_saveexec_b64 s[2:3], vcc
	s_cbranch_execz .LBB64_58
; %bb.55:
	v_cmp_ne_u32_e32 vcc, 3, v72
	s_xor_b64 s[14:15], s[6:7], -1
	s_and_b64 s[16:17], s[14:15], vcc
	s_and_saveexec_b64 s[14:15], s[16:17]
	s_cbranch_execz .LBB64_57
; %bb.56:
	v_ashrrev_i32_e32 v73, 31, v72
	v_lshlrev_b64 v[80:81], 2, v[72:73]
	v_add_co_u32_e32 v80, vcc, v4, v80
	v_addc_co_u32_e32 v81, vcc, v5, v81, vcc
	flat_load_dword v73, v[80:81]
	flat_load_dword v75, v[4:5] offset:12
	s_waitcnt vmcnt(0) lgkmcnt(0)
	flat_store_dword v[4:5], v73 offset:12
	flat_store_dword v[80:81], v75
.LBB64_57:
	s_or_b64 exec, exec, s[14:15]
	v_mov_b32_e32 v73, v72
	v_mov_b32_e32 v75, v72
.LBB64_58:
	s_or_b64 exec, exec, s[2:3]
.LBB64_59:
	s_andn2_saveexec_b64 s[0:1], s[0:1]
	s_cbranch_execz .LBB64_61
; %bb.60:
	v_mov_b32_e32 v80, v58
	v_mov_b32_e32 v81, v59
	v_mov_b32_e32 v82, v56
	v_mov_b32_e32 v83, v57
	ds_write2_b64 v74, v[80:81], v[82:83] offset0:4 offset1:5
	v_mov_b32_e32 v80, v54
	v_mov_b32_e32 v81, v55
	v_mov_b32_e32 v82, v52
	v_mov_b32_e32 v83, v53
	ds_write2_b64 v74, v[80:81], v[82:83] offset0:6 offset1:7
	;; [unrolled: 5-line block ×13, first 2 shown]
	v_mov_b32_e32 v80, v8
	v_mov_b32_e32 v81, v9
	;; [unrolled: 1-line block ×5, first 2 shown]
	ds_write2_b64 v74, v[80:81], v[82:83] offset0:30 offset1:31
	ds_write_b64 v74, v[68:69] offset:256
.LBB64_61:
	s_or_b64 exec, exec, s[0:1]
	v_cmp_lt_i32_e32 vcc, 3, v75
	s_waitcnt lgkmcnt(0)
	s_barrier
	s_and_saveexec_b64 s[0:1], vcc
	s_cbranch_execz .LBB64_63
; %bb.62:
	ds_read2_b64 v[80:83], v74 offset0:4 offset1:5
	ds_read2_b64 v[84:87], v74 offset0:6 offset1:7
	v_mul_f64 v[60:61], v[70:71], v[60:61]
	ds_read2_b64 v[88:91], v74 offset0:8 offset1:9
	ds_read_b64 v[70:71], v74 offset:256
	s_waitcnt lgkmcnt(0)
	v_fma_f64 v[58:59], -v[60:61], v[80:81], v[58:59]
	v_fma_f64 v[56:57], -v[60:61], v[82:83], v[56:57]
	ds_read2_b64 v[80:83], v74 offset0:10 offset1:11
	v_fma_f64 v[54:55], -v[60:61], v[84:85], v[54:55]
	v_fma_f64 v[52:53], -v[60:61], v[86:87], v[52:53]
	ds_read2_b64 v[84:87], v74 offset0:12 offset1:13
	;; [unrolled: 3-line block ×3, first 2 shown]
	s_waitcnt lgkmcnt(0)
	v_fma_f64 v[46:47], -v[60:61], v[80:81], v[46:47]
	v_fma_f64 v[44:45], -v[60:61], v[82:83], v[44:45]
	;; [unrolled: 1-line block ×3, first 2 shown]
	ds_read2_b64 v[80:83], v74 offset0:16 offset1:17
	v_fma_f64 v[40:41], -v[60:61], v[86:87], v[40:41]
	ds_read2_b64 v[84:87], v74 offset0:18 offset1:19
	v_fma_f64 v[36:37], -v[60:61], v[88:89], v[36:37]
	v_fma_f64 v[38:39], -v[60:61], v[90:91], v[38:39]
	s_waitcnt lgkmcnt(0)
	v_fma_f64 v[34:35], -v[60:61], v[80:81], v[34:35]
	ds_read2_b64 v[88:91], v74 offset0:20 offset1:21
	v_fma_f64 v[32:33], -v[60:61], v[82:83], v[32:33]
	ds_read2_b64 v[80:83], v74 offset0:22 offset1:23
	v_fma_f64 v[30:31], -v[60:61], v[84:85], v[30:31]
	v_fma_f64 v[28:29], -v[60:61], v[86:87], v[28:29]
	ds_read2_b64 v[84:87], v74 offset0:24 offset1:25
	s_waitcnt lgkmcnt(0)
	v_fma_f64 v[26:27], -v[60:61], v[88:89], v[26:27]
	v_fma_f64 v[24:25], -v[60:61], v[90:91], v[24:25]
	ds_read2_b64 v[88:91], v74 offset0:26 offset1:27
	v_fma_f64 v[22:23], -v[60:61], v[80:81], v[22:23]
	v_fma_f64 v[20:21], -v[60:61], v[82:83], v[20:21]
	;; [unrolled: 1-line block ×4, first 2 shown]
	ds_read2_b64 v[80:83], v74 offset0:28 offset1:29
	ds_read2_b64 v[84:87], v74 offset0:30 offset1:31
	s_waitcnt lgkmcnt(0)
	v_fma_f64 v[14:15], -v[60:61], v[88:89], v[14:15]
	v_fma_f64 v[12:13], -v[60:61], v[90:91], v[12:13]
	;; [unrolled: 1-line block ×7, first 2 shown]
.LBB64_63:
	s_or_b64 exec, exec, s[0:1]
	v_lshl_add_u32 v70, v75, 3, v74
	s_barrier
	ds_write_b64 v70, v[58:59]
	s_waitcnt lgkmcnt(0)
	s_barrier
	ds_read_b64 v[70:71], v74 offset:32
	s_cmp_lt_i32 s18, 6
	v_mov_b32_e32 v72, 4
	s_cbranch_scc1 .LBB64_66
; %bb.64:
	v_add3_u32 v80, v79, 0, 40
	s_mov_b32 s0, 5
	v_mov_b32_e32 v72, 4
.LBB64_65:                              ; =>This Inner Loop Header: Depth=1
	ds_read_b64 v[82:83], v80
	v_mov_b32_e32 v81, s0
	s_add_i32 s0, s0, 1
	v_add_u32_e32 v80, 8, v80
	s_cmp_lg_u32 s18, s0
	s_waitcnt lgkmcnt(0)
	v_cmp_lt_f64_e64 vcc, |v[70:71]|, |v[82:83]|
	v_cndmask_b32_e32 v71, v71, v83, vcc
	v_cndmask_b32_e32 v70, v70, v82, vcc
	;; [unrolled: 1-line block ×3, first 2 shown]
	s_cbranch_scc1 .LBB64_65
.LBB64_66:
	s_waitcnt lgkmcnt(0)
	v_cmp_eq_f64_e32 vcc, 0, v[70:71]
	s_and_saveexec_b64 s[0:1], vcc
	s_xor_b64 s[0:1], exec, s[0:1]
; %bb.67:
	v_cmp_ne_u32_e32 vcc, 0, v78
	v_cndmask_b32_e32 v78, 5, v78, vcc
; %bb.68:
	s_andn2_saveexec_b64 s[0:1], s[0:1]
; %bb.69:
	v_div_scale_f64 v[80:81], s[2:3], v[70:71], v[70:71], 1.0
	v_rcp_f64_e32 v[82:83], v[80:81]
	v_div_scale_f64 v[84:85], vcc, 1.0, v[70:71], 1.0
	v_fma_f64 v[86:87], -v[80:81], v[82:83], 1.0
	v_fmac_f64_e32 v[82:83], v[82:83], v[86:87]
	v_fma_f64 v[86:87], -v[80:81], v[82:83], 1.0
	v_fmac_f64_e32 v[82:83], v[82:83], v[86:87]
	v_mul_f64 v[86:87], v[84:85], v[82:83]
	v_fma_f64 v[80:81], -v[80:81], v[86:87], v[84:85]
	v_div_fmas_f64 v[80:81], v[80:81], v[82:83], v[86:87]
	v_div_fixup_f64 v[70:71], v[80:81], v[70:71], 1.0
; %bb.70:
	s_or_b64 exec, exec, s[0:1]
	v_cmp_ne_u32_e32 vcc, v75, v72
	s_and_saveexec_b64 s[0:1], vcc
	s_xor_b64 s[0:1], exec, s[0:1]
	s_cbranch_execz .LBB64_76
; %bb.71:
	v_cmp_eq_u32_e32 vcc, 4, v75
	s_and_saveexec_b64 s[2:3], vcc
	s_cbranch_execz .LBB64_75
; %bb.72:
	v_cmp_ne_u32_e32 vcc, 4, v72
	s_xor_b64 s[14:15], s[6:7], -1
	s_and_b64 s[16:17], s[14:15], vcc
	s_and_saveexec_b64 s[14:15], s[16:17]
	s_cbranch_execz .LBB64_74
; %bb.73:
	v_ashrrev_i32_e32 v73, 31, v72
	v_lshlrev_b64 v[80:81], 2, v[72:73]
	v_add_co_u32_e32 v80, vcc, v4, v80
	v_addc_co_u32_e32 v81, vcc, v5, v81, vcc
	flat_load_dword v73, v[80:81]
	flat_load_dword v75, v[4:5] offset:16
	s_waitcnt vmcnt(0) lgkmcnt(0)
	flat_store_dword v[4:5], v73 offset:16
	flat_store_dword v[80:81], v75
.LBB64_74:
	s_or_b64 exec, exec, s[14:15]
	v_mov_b32_e32 v73, v72
	v_mov_b32_e32 v75, v72
.LBB64_75:
	s_or_b64 exec, exec, s[2:3]
.LBB64_76:
	s_andn2_saveexec_b64 s[0:1], s[0:1]
	s_cbranch_execz .LBB64_78
; %bb.77:
	v_mov_b32_e32 v75, 4
	ds_write2_b64 v74, v[56:57], v[54:55] offset0:5 offset1:6
	ds_write2_b64 v74, v[52:53], v[50:51] offset0:7 offset1:8
	;; [unrolled: 1-line block ×14, first 2 shown]
.LBB64_78:
	s_or_b64 exec, exec, s[0:1]
	v_cmp_lt_i32_e32 vcc, 4, v75
	s_waitcnt lgkmcnt(0)
	s_barrier
	s_and_saveexec_b64 s[0:1], vcc
	s_cbranch_execz .LBB64_80
; %bb.79:
	ds_read2_b64 v[80:83], v74 offset0:5 offset1:6
	ds_read2_b64 v[84:87], v74 offset0:7 offset1:8
	v_mul_f64 v[58:59], v[70:71], v[58:59]
	ds_read2_b64 v[88:91], v74 offset0:9 offset1:10
	s_waitcnt lgkmcnt(0)
	v_fma_f64 v[56:57], -v[58:59], v[80:81], v[56:57]
	v_fma_f64 v[54:55], -v[58:59], v[82:83], v[54:55]
	ds_read2_b64 v[80:83], v74 offset0:11 offset1:12
	v_fma_f64 v[52:53], -v[58:59], v[84:85], v[52:53]
	v_fma_f64 v[50:51], -v[58:59], v[86:87], v[50:51]
	ds_read2_b64 v[84:87], v74 offset0:13 offset1:14
	;; [unrolled: 3-line block ×3, first 2 shown]
	s_waitcnt lgkmcnt(0)
	v_fma_f64 v[44:45], -v[58:59], v[80:81], v[44:45]
	v_fma_f64 v[42:43], -v[58:59], v[82:83], v[42:43]
	;; [unrolled: 1-line block ×3, first 2 shown]
	ds_read2_b64 v[80:83], v74 offset0:17 offset1:18
	v_fma_f64 v[36:37], -v[58:59], v[86:87], v[36:37]
	ds_read2_b64 v[84:87], v74 offset0:19 offset1:20
	v_fma_f64 v[38:39], -v[58:59], v[88:89], v[38:39]
	v_fma_f64 v[34:35], -v[58:59], v[90:91], v[34:35]
	s_waitcnt lgkmcnt(0)
	v_fma_f64 v[32:33], -v[58:59], v[80:81], v[32:33]
	ds_read2_b64 v[88:91], v74 offset0:21 offset1:22
	v_fma_f64 v[30:31], -v[58:59], v[82:83], v[30:31]
	ds_read2_b64 v[80:83], v74 offset0:23 offset1:24
	v_fma_f64 v[28:29], -v[58:59], v[84:85], v[28:29]
	v_fma_f64 v[26:27], -v[58:59], v[86:87], v[26:27]
	ds_read2_b64 v[84:87], v74 offset0:25 offset1:26
	s_waitcnt lgkmcnt(0)
	v_fma_f64 v[24:25], -v[58:59], v[88:89], v[24:25]
	v_fma_f64 v[22:23], -v[58:59], v[90:91], v[22:23]
	;; [unrolled: 1-line block ×4, first 2 shown]
	ds_read2_b64 v[80:83], v74 offset0:27 offset1:28
	v_fma_f64 v[16:17], -v[58:59], v[84:85], v[16:17]
	ds_read2_b64 v[88:91], v74 offset0:29 offset1:30
	v_fma_f64 v[14:15], -v[58:59], v[86:87], v[14:15]
	ds_read2_b64 v[84:87], v74 offset0:31 offset1:32
	s_waitcnt lgkmcnt(0)
	v_fma_f64 v[12:13], -v[58:59], v[80:81], v[12:13]
	v_fma_f64 v[10:11], -v[58:59], v[82:83], v[10:11]
	;; [unrolled: 1-line block ×6, first 2 shown]
.LBB64_80:
	s_or_b64 exec, exec, s[0:1]
	v_lshl_add_u32 v70, v75, 3, v74
	s_barrier
	ds_write_b64 v70, v[56:57]
	s_waitcnt lgkmcnt(0)
	s_barrier
	ds_read_b64 v[70:71], v74 offset:40
	s_cmp_lt_i32 s18, 7
	v_mov_b32_e32 v72, 5
	s_cbranch_scc1 .LBB64_83
; %bb.81:
	v_add3_u32 v80, v79, 0, 48
	s_mov_b32 s0, 6
	v_mov_b32_e32 v72, 5
.LBB64_82:                              ; =>This Inner Loop Header: Depth=1
	ds_read_b64 v[82:83], v80
	v_mov_b32_e32 v81, s0
	s_add_i32 s0, s0, 1
	v_add_u32_e32 v80, 8, v80
	s_cmp_lg_u32 s18, s0
	s_waitcnt lgkmcnt(0)
	v_cmp_lt_f64_e64 vcc, |v[70:71]|, |v[82:83]|
	v_cndmask_b32_e32 v71, v71, v83, vcc
	v_cndmask_b32_e32 v70, v70, v82, vcc
	v_cndmask_b32_e32 v72, v72, v81, vcc
	s_cbranch_scc1 .LBB64_82
.LBB64_83:
	s_waitcnt lgkmcnt(0)
	v_cmp_eq_f64_e32 vcc, 0, v[70:71]
	s_and_saveexec_b64 s[0:1], vcc
	s_xor_b64 s[0:1], exec, s[0:1]
; %bb.84:
	v_cmp_ne_u32_e32 vcc, 0, v78
	v_cndmask_b32_e32 v78, 6, v78, vcc
; %bb.85:
	s_andn2_saveexec_b64 s[0:1], s[0:1]
; %bb.86:
	v_div_scale_f64 v[80:81], s[2:3], v[70:71], v[70:71], 1.0
	v_rcp_f64_e32 v[82:83], v[80:81]
	v_div_scale_f64 v[84:85], vcc, 1.0, v[70:71], 1.0
	v_fma_f64 v[86:87], -v[80:81], v[82:83], 1.0
	v_fmac_f64_e32 v[82:83], v[82:83], v[86:87]
	v_fma_f64 v[86:87], -v[80:81], v[82:83], 1.0
	v_fmac_f64_e32 v[82:83], v[82:83], v[86:87]
	v_mul_f64 v[86:87], v[84:85], v[82:83]
	v_fma_f64 v[80:81], -v[80:81], v[86:87], v[84:85]
	v_div_fmas_f64 v[80:81], v[80:81], v[82:83], v[86:87]
	v_div_fixup_f64 v[70:71], v[80:81], v[70:71], 1.0
; %bb.87:
	s_or_b64 exec, exec, s[0:1]
	v_cmp_ne_u32_e32 vcc, v75, v72
	s_and_saveexec_b64 s[0:1], vcc
	s_xor_b64 s[0:1], exec, s[0:1]
	s_cbranch_execz .LBB64_93
; %bb.88:
	v_cmp_eq_u32_e32 vcc, 5, v75
	s_and_saveexec_b64 s[2:3], vcc
	s_cbranch_execz .LBB64_92
; %bb.89:
	v_cmp_ne_u32_e32 vcc, 5, v72
	s_xor_b64 s[14:15], s[6:7], -1
	s_and_b64 s[16:17], s[14:15], vcc
	s_and_saveexec_b64 s[14:15], s[16:17]
	s_cbranch_execz .LBB64_91
; %bb.90:
	v_ashrrev_i32_e32 v73, 31, v72
	v_lshlrev_b64 v[80:81], 2, v[72:73]
	v_add_co_u32_e32 v80, vcc, v4, v80
	v_addc_co_u32_e32 v81, vcc, v5, v81, vcc
	flat_load_dword v73, v[80:81]
	flat_load_dword v75, v[4:5] offset:20
	s_waitcnt vmcnt(0) lgkmcnt(0)
	flat_store_dword v[4:5], v73 offset:20
	flat_store_dword v[80:81], v75
.LBB64_91:
	s_or_b64 exec, exec, s[14:15]
	v_mov_b32_e32 v73, v72
	v_mov_b32_e32 v75, v72
.LBB64_92:
	s_or_b64 exec, exec, s[2:3]
.LBB64_93:
	s_andn2_saveexec_b64 s[0:1], s[0:1]
	s_cbranch_execz .LBB64_95
; %bb.94:
	v_mov_b32_e32 v80, v54
	v_mov_b32_e32 v81, v55
	v_mov_b32_e32 v82, v52
	v_mov_b32_e32 v83, v53
	ds_write2_b64 v74, v[80:81], v[82:83] offset0:6 offset1:7
	v_mov_b32_e32 v80, v50
	v_mov_b32_e32 v81, v51
	v_mov_b32_e32 v82, v48
	v_mov_b32_e32 v83, v49
	ds_write2_b64 v74, v[80:81], v[82:83] offset0:8 offset1:9
	;; [unrolled: 5-line block ×12, first 2 shown]
	v_mov_b32_e32 v80, v8
	v_mov_b32_e32 v81, v9
	;; [unrolled: 1-line block ×5, first 2 shown]
	ds_write2_b64 v74, v[80:81], v[82:83] offset0:30 offset1:31
	ds_write_b64 v74, v[68:69] offset:256
.LBB64_95:
	s_or_b64 exec, exec, s[0:1]
	v_cmp_lt_i32_e32 vcc, 5, v75
	s_waitcnt lgkmcnt(0)
	s_barrier
	s_and_saveexec_b64 s[0:1], vcc
	s_cbranch_execz .LBB64_97
; %bb.96:
	ds_read2_b64 v[80:83], v74 offset0:6 offset1:7
	ds_read2_b64 v[84:87], v74 offset0:8 offset1:9
	v_mul_f64 v[56:57], v[70:71], v[56:57]
	ds_read2_b64 v[88:91], v74 offset0:10 offset1:11
	ds_read_b64 v[70:71], v74 offset:256
	s_waitcnt lgkmcnt(0)
	v_fma_f64 v[54:55], -v[56:57], v[80:81], v[54:55]
	v_fma_f64 v[52:53], -v[56:57], v[82:83], v[52:53]
	ds_read2_b64 v[80:83], v74 offset0:12 offset1:13
	v_fma_f64 v[50:51], -v[56:57], v[84:85], v[50:51]
	v_fma_f64 v[48:49], -v[56:57], v[86:87], v[48:49]
	;; [unrolled: 1-line block ×3, first 2 shown]
	ds_read2_b64 v[84:87], v74 offset0:14 offset1:15
	v_fma_f64 v[44:45], -v[56:57], v[90:91], v[44:45]
	ds_read2_b64 v[88:91], v74 offset0:16 offset1:17
	s_waitcnt lgkmcnt(0)
	v_fma_f64 v[42:43], -v[56:57], v[80:81], v[42:43]
	v_fma_f64 v[40:41], -v[56:57], v[82:83], v[40:41]
	ds_read2_b64 v[80:83], v74 offset0:18 offset1:19
	v_fma_f64 v[36:37], -v[56:57], v[84:85], v[36:37]
	v_fma_f64 v[38:39], -v[56:57], v[86:87], v[38:39]
	ds_read2_b64 v[84:87], v74 offset0:20 offset1:21
	v_fma_f64 v[34:35], -v[56:57], v[88:89], v[34:35]
	v_fma_f64 v[32:33], -v[56:57], v[90:91], v[32:33]
	s_waitcnt lgkmcnt(0)
	v_fma_f64 v[30:31], -v[56:57], v[80:81], v[30:31]
	ds_read2_b64 v[88:91], v74 offset0:22 offset1:23
	v_fma_f64 v[28:29], -v[56:57], v[82:83], v[28:29]
	ds_read2_b64 v[80:83], v74 offset0:24 offset1:25
	v_fma_f64 v[26:27], -v[56:57], v[84:85], v[26:27]
	v_fma_f64 v[24:25], -v[56:57], v[86:87], v[24:25]
	s_waitcnt lgkmcnt(0)
	v_fma_f64 v[22:23], -v[56:57], v[88:89], v[22:23]
	ds_read2_b64 v[84:87], v74 offset0:26 offset1:27
	v_fma_f64 v[20:21], -v[56:57], v[90:91], v[20:21]
	v_fma_f64 v[18:19], -v[56:57], v[80:81], v[18:19]
	;; [unrolled: 1-line block ×3, first 2 shown]
	ds_read2_b64 v[80:83], v74 offset0:28 offset1:29
	ds_read2_b64 v[88:91], v74 offset0:30 offset1:31
	s_waitcnt lgkmcnt(0)
	v_fma_f64 v[14:15], -v[56:57], v[84:85], v[14:15]
	v_fma_f64 v[12:13], -v[56:57], v[86:87], v[12:13]
	;; [unrolled: 1-line block ×7, first 2 shown]
.LBB64_97:
	s_or_b64 exec, exec, s[0:1]
	v_lshl_add_u32 v70, v75, 3, v74
	s_barrier
	ds_write_b64 v70, v[54:55]
	s_waitcnt lgkmcnt(0)
	s_barrier
	ds_read_b64 v[70:71], v74 offset:48
	s_cmp_lt_i32 s18, 8
	v_mov_b32_e32 v72, 6
	s_cbranch_scc1 .LBB64_100
; %bb.98:
	v_add3_u32 v80, v79, 0, 56
	s_mov_b32 s0, 7
	v_mov_b32_e32 v72, 6
.LBB64_99:                              ; =>This Inner Loop Header: Depth=1
	ds_read_b64 v[82:83], v80
	v_mov_b32_e32 v81, s0
	s_add_i32 s0, s0, 1
	v_add_u32_e32 v80, 8, v80
	s_cmp_lg_u32 s18, s0
	s_waitcnt lgkmcnt(0)
	v_cmp_lt_f64_e64 vcc, |v[70:71]|, |v[82:83]|
	v_cndmask_b32_e32 v71, v71, v83, vcc
	v_cndmask_b32_e32 v70, v70, v82, vcc
	;; [unrolled: 1-line block ×3, first 2 shown]
	s_cbranch_scc1 .LBB64_99
.LBB64_100:
	s_waitcnt lgkmcnt(0)
	v_cmp_eq_f64_e32 vcc, 0, v[70:71]
	s_and_saveexec_b64 s[0:1], vcc
	s_xor_b64 s[0:1], exec, s[0:1]
; %bb.101:
	v_cmp_ne_u32_e32 vcc, 0, v78
	v_cndmask_b32_e32 v78, 7, v78, vcc
; %bb.102:
	s_andn2_saveexec_b64 s[0:1], s[0:1]
; %bb.103:
	v_div_scale_f64 v[80:81], s[2:3], v[70:71], v[70:71], 1.0
	v_rcp_f64_e32 v[82:83], v[80:81]
	v_div_scale_f64 v[84:85], vcc, 1.0, v[70:71], 1.0
	v_fma_f64 v[86:87], -v[80:81], v[82:83], 1.0
	v_fmac_f64_e32 v[82:83], v[82:83], v[86:87]
	v_fma_f64 v[86:87], -v[80:81], v[82:83], 1.0
	v_fmac_f64_e32 v[82:83], v[82:83], v[86:87]
	v_mul_f64 v[86:87], v[84:85], v[82:83]
	v_fma_f64 v[80:81], -v[80:81], v[86:87], v[84:85]
	v_div_fmas_f64 v[80:81], v[80:81], v[82:83], v[86:87]
	v_div_fixup_f64 v[70:71], v[80:81], v[70:71], 1.0
; %bb.104:
	s_or_b64 exec, exec, s[0:1]
	v_cmp_ne_u32_e32 vcc, v75, v72
	s_and_saveexec_b64 s[0:1], vcc
	s_xor_b64 s[0:1], exec, s[0:1]
	s_cbranch_execz .LBB64_110
; %bb.105:
	v_cmp_eq_u32_e32 vcc, 6, v75
	s_and_saveexec_b64 s[2:3], vcc
	s_cbranch_execz .LBB64_109
; %bb.106:
	v_cmp_ne_u32_e32 vcc, 6, v72
	s_xor_b64 s[14:15], s[6:7], -1
	s_and_b64 s[16:17], s[14:15], vcc
	s_and_saveexec_b64 s[14:15], s[16:17]
	s_cbranch_execz .LBB64_108
; %bb.107:
	v_ashrrev_i32_e32 v73, 31, v72
	v_lshlrev_b64 v[80:81], 2, v[72:73]
	v_add_co_u32_e32 v80, vcc, v4, v80
	v_addc_co_u32_e32 v81, vcc, v5, v81, vcc
	flat_load_dword v73, v[80:81]
	flat_load_dword v75, v[4:5] offset:24
	s_waitcnt vmcnt(0) lgkmcnt(0)
	flat_store_dword v[4:5], v73 offset:24
	flat_store_dword v[80:81], v75
.LBB64_108:
	s_or_b64 exec, exec, s[14:15]
	v_mov_b32_e32 v73, v72
	v_mov_b32_e32 v75, v72
.LBB64_109:
	s_or_b64 exec, exec, s[2:3]
.LBB64_110:
	s_andn2_saveexec_b64 s[0:1], s[0:1]
	s_cbranch_execz .LBB64_112
; %bb.111:
	v_mov_b32_e32 v75, 6
	ds_write2_b64 v74, v[52:53], v[50:51] offset0:7 offset1:8
	ds_write2_b64 v74, v[48:49], v[46:47] offset0:9 offset1:10
	;; [unrolled: 1-line block ×13, first 2 shown]
.LBB64_112:
	s_or_b64 exec, exec, s[0:1]
	v_cmp_lt_i32_e32 vcc, 6, v75
	s_waitcnt lgkmcnt(0)
	s_barrier
	s_and_saveexec_b64 s[0:1], vcc
	s_cbranch_execz .LBB64_114
; %bb.113:
	ds_read2_b64 v[80:83], v74 offset0:7 offset1:8
	ds_read2_b64 v[84:87], v74 offset0:9 offset1:10
	v_mul_f64 v[54:55], v[70:71], v[54:55]
	ds_read2_b64 v[88:91], v74 offset0:11 offset1:12
	s_waitcnt lgkmcnt(0)
	v_fma_f64 v[52:53], -v[54:55], v[80:81], v[52:53]
	v_fma_f64 v[50:51], -v[54:55], v[82:83], v[50:51]
	ds_read2_b64 v[80:83], v74 offset0:13 offset1:14
	v_fma_f64 v[48:49], -v[54:55], v[84:85], v[48:49]
	v_fma_f64 v[46:47], -v[54:55], v[86:87], v[46:47]
	;; [unrolled: 1-line block ×3, first 2 shown]
	ds_read2_b64 v[84:87], v74 offset0:15 offset1:16
	v_fma_f64 v[42:43], -v[54:55], v[90:91], v[42:43]
	ds_read2_b64 v[88:91], v74 offset0:17 offset1:18
	s_waitcnt lgkmcnt(0)
	v_fma_f64 v[40:41], -v[54:55], v[80:81], v[40:41]
	v_fma_f64 v[36:37], -v[54:55], v[82:83], v[36:37]
	ds_read2_b64 v[80:83], v74 offset0:19 offset1:20
	v_fma_f64 v[38:39], -v[54:55], v[84:85], v[38:39]
	v_fma_f64 v[34:35], -v[54:55], v[86:87], v[34:35]
	ds_read2_b64 v[84:87], v74 offset0:21 offset1:22
	v_fma_f64 v[32:33], -v[54:55], v[88:89], v[32:33]
	v_fma_f64 v[30:31], -v[54:55], v[90:91], v[30:31]
	s_waitcnt lgkmcnt(0)
	v_fma_f64 v[28:29], -v[54:55], v[80:81], v[28:29]
	ds_read2_b64 v[88:91], v74 offset0:23 offset1:24
	v_fma_f64 v[26:27], -v[54:55], v[82:83], v[26:27]
	ds_read2_b64 v[80:83], v74 offset0:25 offset1:26
	v_fma_f64 v[24:25], -v[54:55], v[84:85], v[24:25]
	v_fma_f64 v[22:23], -v[54:55], v[86:87], v[22:23]
	s_waitcnt lgkmcnt(0)
	v_fma_f64 v[20:21], -v[54:55], v[88:89], v[20:21]
	v_fma_f64 v[18:19], -v[54:55], v[90:91], v[18:19]
	ds_read2_b64 v[84:87], v74 offset0:27 offset1:28
	ds_read2_b64 v[88:91], v74 offset0:29 offset1:30
	v_fma_f64 v[16:17], -v[54:55], v[80:81], v[16:17]
	v_fma_f64 v[14:15], -v[54:55], v[82:83], v[14:15]
	ds_read2_b64 v[80:83], v74 offset0:31 offset1:32
	s_waitcnt lgkmcnt(0)
	v_fma_f64 v[12:13], -v[54:55], v[84:85], v[12:13]
	v_fma_f64 v[10:11], -v[54:55], v[86:87], v[10:11]
	;; [unrolled: 1-line block ×6, first 2 shown]
.LBB64_114:
	s_or_b64 exec, exec, s[0:1]
	v_lshl_add_u32 v70, v75, 3, v74
	s_barrier
	ds_write_b64 v70, v[52:53]
	s_waitcnt lgkmcnt(0)
	s_barrier
	ds_read_b64 v[70:71], v74 offset:56
	s_cmp_lt_i32 s18, 9
	v_mov_b32_e32 v72, 7
	s_cbranch_scc1 .LBB64_117
; %bb.115:
	v_add3_u32 v79, v79, 0, 64
	s_mov_b32 s0, 8
	v_mov_b32_e32 v72, 7
.LBB64_116:                             ; =>This Inner Loop Header: Depth=1
	ds_read_b64 v[80:81], v79
	v_mov_b32_e32 v82, s0
	s_add_i32 s0, s0, 1
	v_add_u32_e32 v79, 8, v79
	s_cmp_lg_u32 s18, s0
	s_waitcnt lgkmcnt(0)
	v_cmp_lt_f64_e64 vcc, |v[70:71]|, |v[80:81]|
	v_cndmask_b32_e32 v71, v71, v81, vcc
	v_cndmask_b32_e32 v70, v70, v80, vcc
	;; [unrolled: 1-line block ×3, first 2 shown]
	s_cbranch_scc1 .LBB64_116
.LBB64_117:
	s_waitcnt lgkmcnt(0)
	v_cmp_eq_f64_e32 vcc, 0, v[70:71]
	s_and_saveexec_b64 s[0:1], vcc
	s_xor_b64 s[0:1], exec, s[0:1]
; %bb.118:
	v_cmp_ne_u32_e32 vcc, 0, v78
	v_cndmask_b32_e32 v78, 8, v78, vcc
; %bb.119:
	s_andn2_saveexec_b64 s[0:1], s[0:1]
; %bb.120:
	v_div_scale_f64 v[80:81], s[2:3], v[70:71], v[70:71], 1.0
	v_rcp_f64_e32 v[82:83], v[80:81]
	v_div_scale_f64 v[84:85], vcc, 1.0, v[70:71], 1.0
	v_fma_f64 v[86:87], -v[80:81], v[82:83], 1.0
	v_fmac_f64_e32 v[82:83], v[82:83], v[86:87]
	v_fma_f64 v[86:87], -v[80:81], v[82:83], 1.0
	v_fmac_f64_e32 v[82:83], v[82:83], v[86:87]
	v_mul_f64 v[86:87], v[84:85], v[82:83]
	v_fma_f64 v[80:81], -v[80:81], v[86:87], v[84:85]
	v_div_fmas_f64 v[80:81], v[80:81], v[82:83], v[86:87]
	v_div_fixup_f64 v[70:71], v[80:81], v[70:71], 1.0
; %bb.121:
	s_or_b64 exec, exec, s[0:1]
	v_cmp_ne_u32_e32 vcc, v75, v72
	s_and_saveexec_b64 s[0:1], vcc
	s_xor_b64 s[0:1], exec, s[0:1]
	s_cbranch_execz .LBB64_127
; %bb.122:
	v_cmp_eq_u32_e32 vcc, 7, v75
	s_and_saveexec_b64 s[2:3], vcc
	s_cbranch_execz .LBB64_126
; %bb.123:
	v_cmp_ne_u32_e32 vcc, 7, v72
	s_xor_b64 s[14:15], s[6:7], -1
	s_and_b64 s[16:17], s[14:15], vcc
	s_and_saveexec_b64 s[14:15], s[16:17]
	s_cbranch_execz .LBB64_125
; %bb.124:
	v_ashrrev_i32_e32 v73, 31, v72
	v_lshlrev_b64 v[80:81], 2, v[72:73]
	v_add_co_u32_e32 v80, vcc, v4, v80
	v_addc_co_u32_e32 v81, vcc, v5, v81, vcc
	flat_load_dword v73, v[80:81]
	flat_load_dword v75, v[4:5] offset:28
	s_waitcnt vmcnt(0) lgkmcnt(0)
	flat_store_dword v[4:5], v73 offset:28
	flat_store_dword v[80:81], v75
.LBB64_125:
	s_or_b64 exec, exec, s[14:15]
	v_mov_b32_e32 v73, v72
	v_mov_b32_e32 v75, v72
.LBB64_126:
	s_or_b64 exec, exec, s[2:3]
.LBB64_127:
	s_andn2_saveexec_b64 s[0:1], s[0:1]
	s_cbranch_execz .LBB64_129
; %bb.128:
	v_mov_b32_e32 v80, v50
	v_mov_b32_e32 v81, v51
	v_mov_b32_e32 v82, v48
	v_mov_b32_e32 v83, v49
	ds_write2_b64 v74, v[80:81], v[82:83] offset0:8 offset1:9
	v_mov_b32_e32 v80, v46
	v_mov_b32_e32 v81, v47
	v_mov_b32_e32 v82, v44
	v_mov_b32_e32 v83, v45
	ds_write2_b64 v74, v[80:81], v[82:83] offset0:10 offset1:11
	;; [unrolled: 5-line block ×11, first 2 shown]
	v_mov_b32_e32 v80, v8
	v_mov_b32_e32 v81, v9
	;; [unrolled: 1-line block ×5, first 2 shown]
	ds_write2_b64 v74, v[80:81], v[82:83] offset0:30 offset1:31
	ds_write_b64 v74, v[68:69] offset:256
.LBB64_129:
	s_or_b64 exec, exec, s[0:1]
	v_cmp_lt_i32_e32 vcc, 7, v75
	s_waitcnt lgkmcnt(0)
	s_barrier
	s_and_saveexec_b64 s[0:1], vcc
	s_cbranch_execz .LBB64_131
; %bb.130:
	ds_read2_b64 v[80:83], v74 offset0:8 offset1:9
	ds_read2_b64 v[84:87], v74 offset0:10 offset1:11
	;; [unrolled: 1-line block ×3, first 2 shown]
	v_mul_f64 v[52:53], v[70:71], v[52:53]
	ds_read_b64 v[70:71], v74 offset:256
	s_waitcnt lgkmcnt(0)
	v_fma_f64 v[50:51], -v[52:53], v[80:81], v[50:51]
	v_fma_f64 v[48:49], -v[52:53], v[82:83], v[48:49]
	ds_read2_b64 v[80:83], v74 offset0:14 offset1:15
	v_fma_f64 v[46:47], -v[52:53], v[84:85], v[46:47]
	v_fma_f64 v[44:45], -v[52:53], v[86:87], v[44:45]
	;; [unrolled: 1-line block ×3, first 2 shown]
	ds_read2_b64 v[84:87], v74 offset0:16 offset1:17
	v_fma_f64 v[40:41], -v[52:53], v[90:91], v[40:41]
	ds_read2_b64 v[88:91], v74 offset0:18 offset1:19
	s_waitcnt lgkmcnt(0)
	v_fma_f64 v[36:37], -v[52:53], v[80:81], v[36:37]
	v_fma_f64 v[38:39], -v[52:53], v[82:83], v[38:39]
	;; [unrolled: 1-line block ×3, first 2 shown]
	ds_read2_b64 v[80:83], v74 offset0:20 offset1:21
	v_fma_f64 v[32:33], -v[52:53], v[86:87], v[32:33]
	ds_read2_b64 v[84:87], v74 offset0:22 offset1:23
	v_fma_f64 v[30:31], -v[52:53], v[88:89], v[30:31]
	v_fma_f64 v[28:29], -v[52:53], v[90:91], v[28:29]
	ds_read2_b64 v[88:91], v74 offset0:24 offset1:25
	s_waitcnt lgkmcnt(0)
	v_fma_f64 v[26:27], -v[52:53], v[80:81], v[26:27]
	v_fma_f64 v[24:25], -v[52:53], v[82:83], v[24:25]
	ds_read2_b64 v[80:83], v74 offset0:26 offset1:27
	v_fma_f64 v[22:23], -v[52:53], v[84:85], v[22:23]
	v_fma_f64 v[20:21], -v[52:53], v[86:87], v[20:21]
	v_fma_f64 v[18:19], -v[52:53], v[88:89], v[18:19]
	v_fma_f64 v[16:17], -v[52:53], v[90:91], v[16:17]
	ds_read2_b64 v[84:87], v74 offset0:28 offset1:29
	ds_read2_b64 v[88:91], v74 offset0:30 offset1:31
	s_waitcnt lgkmcnt(0)
	v_fma_f64 v[14:15], -v[52:53], v[80:81], v[14:15]
	v_fma_f64 v[12:13], -v[52:53], v[82:83], v[12:13]
	;; [unrolled: 1-line block ×7, first 2 shown]
.LBB64_131:
	s_or_b64 exec, exec, s[0:1]
	v_lshl_add_u32 v70, v75, 3, v74
	s_barrier
	ds_write_b64 v70, v[50:51]
	s_waitcnt lgkmcnt(0)
	s_barrier
	ds_read_b64 v[70:71], v74 offset:64
	s_cmp_lt_i32 s18, 10
	v_mov_b32_e32 v72, 8
	s_cbranch_scc1 .LBB64_134
; %bb.132:
	v_add_u32_e32 v79, 0x48, v74
	s_mov_b32 s0, 9
	v_mov_b32_e32 v72, 8
.LBB64_133:                             ; =>This Inner Loop Header: Depth=1
	ds_read_b64 v[80:81], v79
	v_mov_b32_e32 v82, s0
	s_add_i32 s0, s0, 1
	v_add_u32_e32 v79, 8, v79
	s_cmp_lg_u32 s18, s0
	s_waitcnt lgkmcnt(0)
	v_cmp_lt_f64_e64 vcc, |v[70:71]|, |v[80:81]|
	v_cndmask_b32_e32 v71, v71, v81, vcc
	v_cndmask_b32_e32 v70, v70, v80, vcc
	;; [unrolled: 1-line block ×3, first 2 shown]
	s_cbranch_scc1 .LBB64_133
.LBB64_134:
	s_waitcnt lgkmcnt(0)
	v_cmp_eq_f64_e32 vcc, 0, v[70:71]
	s_and_saveexec_b64 s[0:1], vcc
	s_xor_b64 s[0:1], exec, s[0:1]
; %bb.135:
	v_cmp_ne_u32_e32 vcc, 0, v78
	v_cndmask_b32_e32 v78, 9, v78, vcc
; %bb.136:
	s_andn2_saveexec_b64 s[0:1], s[0:1]
; %bb.137:
	v_div_scale_f64 v[80:81], s[2:3], v[70:71], v[70:71], 1.0
	v_rcp_f64_e32 v[82:83], v[80:81]
	v_div_scale_f64 v[84:85], vcc, 1.0, v[70:71], 1.0
	v_fma_f64 v[86:87], -v[80:81], v[82:83], 1.0
	v_fmac_f64_e32 v[82:83], v[82:83], v[86:87]
	v_fma_f64 v[86:87], -v[80:81], v[82:83], 1.0
	v_fmac_f64_e32 v[82:83], v[82:83], v[86:87]
	v_mul_f64 v[86:87], v[84:85], v[82:83]
	v_fma_f64 v[80:81], -v[80:81], v[86:87], v[84:85]
	v_div_fmas_f64 v[80:81], v[80:81], v[82:83], v[86:87]
	v_div_fixup_f64 v[70:71], v[80:81], v[70:71], 1.0
; %bb.138:
	s_or_b64 exec, exec, s[0:1]
	v_cmp_ne_u32_e32 vcc, v75, v72
	s_and_saveexec_b64 s[0:1], vcc
	s_xor_b64 s[0:1], exec, s[0:1]
	s_cbranch_execz .LBB64_144
; %bb.139:
	v_cmp_eq_u32_e32 vcc, 8, v75
	s_and_saveexec_b64 s[2:3], vcc
	s_cbranch_execz .LBB64_143
; %bb.140:
	v_cmp_ne_u32_e32 vcc, 8, v72
	s_xor_b64 s[14:15], s[6:7], -1
	s_and_b64 s[16:17], s[14:15], vcc
	s_and_saveexec_b64 s[14:15], s[16:17]
	s_cbranch_execz .LBB64_142
; %bb.141:
	v_ashrrev_i32_e32 v73, 31, v72
	v_lshlrev_b64 v[80:81], 2, v[72:73]
	v_add_co_u32_e32 v80, vcc, v4, v80
	v_addc_co_u32_e32 v81, vcc, v5, v81, vcc
	flat_load_dword v73, v[80:81]
	flat_load_dword v75, v[4:5] offset:32
	s_waitcnt vmcnt(0) lgkmcnt(0)
	flat_store_dword v[4:5], v73 offset:32
	flat_store_dword v[80:81], v75
.LBB64_142:
	s_or_b64 exec, exec, s[14:15]
	v_mov_b32_e32 v73, v72
	v_mov_b32_e32 v75, v72
.LBB64_143:
	s_or_b64 exec, exec, s[2:3]
.LBB64_144:
	s_andn2_saveexec_b64 s[0:1], s[0:1]
	s_cbranch_execz .LBB64_146
; %bb.145:
	v_mov_b32_e32 v75, 8
	ds_write2_b64 v74, v[48:49], v[46:47] offset0:9 offset1:10
	ds_write2_b64 v74, v[44:45], v[42:43] offset0:11 offset1:12
	;; [unrolled: 1-line block ×12, first 2 shown]
.LBB64_146:
	s_or_b64 exec, exec, s[0:1]
	v_cmp_lt_i32_e32 vcc, 8, v75
	s_waitcnt lgkmcnt(0)
	s_barrier
	s_and_saveexec_b64 s[0:1], vcc
	s_cbranch_execz .LBB64_148
; %bb.147:
	ds_read2_b64 v[80:83], v74 offset0:9 offset1:10
	ds_read2_b64 v[84:87], v74 offset0:11 offset1:12
	;; [unrolled: 1-line block ×3, first 2 shown]
	v_mul_f64 v[50:51], v[70:71], v[50:51]
	s_waitcnt lgkmcnt(0)
	v_fma_f64 v[48:49], -v[50:51], v[80:81], v[48:49]
	v_fma_f64 v[46:47], -v[50:51], v[82:83], v[46:47]
	ds_read2_b64 v[80:83], v74 offset0:15 offset1:16
	v_fma_f64 v[44:45], -v[50:51], v[84:85], v[44:45]
	v_fma_f64 v[42:43], -v[50:51], v[86:87], v[42:43]
	;; [unrolled: 1-line block ×3, first 2 shown]
	ds_read2_b64 v[84:87], v74 offset0:17 offset1:18
	v_fma_f64 v[36:37], -v[50:51], v[90:91], v[36:37]
	ds_read2_b64 v[88:91], v74 offset0:19 offset1:20
	s_waitcnt lgkmcnt(0)
	v_fma_f64 v[38:39], -v[50:51], v[80:81], v[38:39]
	v_fma_f64 v[34:35], -v[50:51], v[82:83], v[34:35]
	;; [unrolled: 1-line block ×3, first 2 shown]
	ds_read2_b64 v[80:83], v74 offset0:21 offset1:22
	v_fma_f64 v[30:31], -v[50:51], v[86:87], v[30:31]
	ds_read2_b64 v[84:87], v74 offset0:23 offset1:24
	v_fma_f64 v[28:29], -v[50:51], v[88:89], v[28:29]
	v_fma_f64 v[26:27], -v[50:51], v[90:91], v[26:27]
	ds_read2_b64 v[88:91], v74 offset0:25 offset1:26
	s_waitcnt lgkmcnt(0)
	v_fma_f64 v[24:25], -v[50:51], v[80:81], v[24:25]
	v_fma_f64 v[22:23], -v[50:51], v[82:83], v[22:23]
	ds_read2_b64 v[80:83], v74 offset0:27 offset1:28
	v_fma_f64 v[20:21], -v[50:51], v[84:85], v[20:21]
	v_fma_f64 v[18:19], -v[50:51], v[86:87], v[18:19]
	;; [unrolled: 1-line block ×3, first 2 shown]
	ds_read2_b64 v[84:87], v74 offset0:29 offset1:30
	v_fma_f64 v[14:15], -v[50:51], v[90:91], v[14:15]
	ds_read2_b64 v[88:91], v74 offset0:31 offset1:32
	s_waitcnt lgkmcnt(0)
	v_fma_f64 v[12:13], -v[50:51], v[80:81], v[12:13]
	v_fma_f64 v[10:11], -v[50:51], v[82:83], v[10:11]
	;; [unrolled: 1-line block ×6, first 2 shown]
.LBB64_148:
	s_or_b64 exec, exec, s[0:1]
	v_lshl_add_u32 v70, v75, 3, v74
	s_barrier
	ds_write_b64 v70, v[48:49]
	s_waitcnt lgkmcnt(0)
	s_barrier
	ds_read_b64 v[70:71], v74 offset:72
	s_cmp_lt_i32 s18, 11
	v_mov_b32_e32 v72, 9
	s_cbranch_scc1 .LBB64_151
; %bb.149:
	v_add_u32_e32 v79, 0x50, v74
	s_mov_b32 s0, 10
	v_mov_b32_e32 v72, 9
.LBB64_150:                             ; =>This Inner Loop Header: Depth=1
	ds_read_b64 v[80:81], v79
	v_mov_b32_e32 v82, s0
	s_add_i32 s0, s0, 1
	v_add_u32_e32 v79, 8, v79
	s_cmp_lg_u32 s18, s0
	s_waitcnt lgkmcnt(0)
	v_cmp_lt_f64_e64 vcc, |v[70:71]|, |v[80:81]|
	v_cndmask_b32_e32 v71, v71, v81, vcc
	v_cndmask_b32_e32 v70, v70, v80, vcc
	;; [unrolled: 1-line block ×3, first 2 shown]
	s_cbranch_scc1 .LBB64_150
.LBB64_151:
	s_waitcnt lgkmcnt(0)
	v_cmp_eq_f64_e32 vcc, 0, v[70:71]
	s_and_saveexec_b64 s[0:1], vcc
	s_xor_b64 s[0:1], exec, s[0:1]
; %bb.152:
	v_cmp_ne_u32_e32 vcc, 0, v78
	v_cndmask_b32_e32 v78, 10, v78, vcc
; %bb.153:
	s_andn2_saveexec_b64 s[0:1], s[0:1]
; %bb.154:
	v_div_scale_f64 v[80:81], s[2:3], v[70:71], v[70:71], 1.0
	v_rcp_f64_e32 v[82:83], v[80:81]
	v_div_scale_f64 v[84:85], vcc, 1.0, v[70:71], 1.0
	v_fma_f64 v[86:87], -v[80:81], v[82:83], 1.0
	v_fmac_f64_e32 v[82:83], v[82:83], v[86:87]
	v_fma_f64 v[86:87], -v[80:81], v[82:83], 1.0
	v_fmac_f64_e32 v[82:83], v[82:83], v[86:87]
	v_mul_f64 v[86:87], v[84:85], v[82:83]
	v_fma_f64 v[80:81], -v[80:81], v[86:87], v[84:85]
	v_div_fmas_f64 v[80:81], v[80:81], v[82:83], v[86:87]
	v_div_fixup_f64 v[70:71], v[80:81], v[70:71], 1.0
; %bb.155:
	s_or_b64 exec, exec, s[0:1]
	v_cmp_ne_u32_e32 vcc, v75, v72
	s_and_saveexec_b64 s[0:1], vcc
	s_xor_b64 s[0:1], exec, s[0:1]
	s_cbranch_execz .LBB64_161
; %bb.156:
	v_cmp_eq_u32_e32 vcc, 9, v75
	s_and_saveexec_b64 s[2:3], vcc
	s_cbranch_execz .LBB64_160
; %bb.157:
	v_cmp_ne_u32_e32 vcc, 9, v72
	s_xor_b64 s[14:15], s[6:7], -1
	s_and_b64 s[16:17], s[14:15], vcc
	s_and_saveexec_b64 s[14:15], s[16:17]
	s_cbranch_execz .LBB64_159
; %bb.158:
	v_ashrrev_i32_e32 v73, 31, v72
	v_lshlrev_b64 v[80:81], 2, v[72:73]
	v_add_co_u32_e32 v80, vcc, v4, v80
	v_addc_co_u32_e32 v81, vcc, v5, v81, vcc
	flat_load_dword v73, v[80:81]
	flat_load_dword v75, v[4:5] offset:36
	s_waitcnt vmcnt(0) lgkmcnt(0)
	flat_store_dword v[4:5], v73 offset:36
	flat_store_dword v[80:81], v75
.LBB64_159:
	s_or_b64 exec, exec, s[14:15]
	v_mov_b32_e32 v73, v72
	v_mov_b32_e32 v75, v72
.LBB64_160:
	s_or_b64 exec, exec, s[2:3]
.LBB64_161:
	s_andn2_saveexec_b64 s[0:1], s[0:1]
	s_cbranch_execz .LBB64_163
; %bb.162:
	v_mov_b32_e32 v80, v46
	v_mov_b32_e32 v81, v47
	v_mov_b32_e32 v82, v44
	v_mov_b32_e32 v83, v45
	ds_write2_b64 v74, v[80:81], v[82:83] offset0:10 offset1:11
	v_mov_b32_e32 v80, v42
	v_mov_b32_e32 v81, v43
	v_mov_b32_e32 v82, v40
	v_mov_b32_e32 v83, v41
	ds_write2_b64 v74, v[80:81], v[82:83] offset0:12 offset1:13
	;; [unrolled: 5-line block ×10, first 2 shown]
	v_mov_b32_e32 v80, v8
	v_mov_b32_e32 v81, v9
	;; [unrolled: 1-line block ×5, first 2 shown]
	ds_write2_b64 v74, v[80:81], v[82:83] offset0:30 offset1:31
	ds_write_b64 v74, v[68:69] offset:256
.LBB64_163:
	s_or_b64 exec, exec, s[0:1]
	v_cmp_lt_i32_e32 vcc, 9, v75
	s_waitcnt lgkmcnt(0)
	s_barrier
	s_and_saveexec_b64 s[0:1], vcc
	s_cbranch_execz .LBB64_165
; %bb.164:
	ds_read2_b64 v[80:83], v74 offset0:10 offset1:11
	ds_read2_b64 v[84:87], v74 offset0:12 offset1:13
	v_mul_f64 v[48:49], v[70:71], v[48:49]
	ds_read2_b64 v[88:91], v74 offset0:14 offset1:15
	ds_read_b64 v[70:71], v74 offset:256
	s_waitcnt lgkmcnt(0)
	v_fma_f64 v[46:47], -v[48:49], v[80:81], v[46:47]
	v_fma_f64 v[44:45], -v[48:49], v[82:83], v[44:45]
	ds_read2_b64 v[80:83], v74 offset0:16 offset1:17
	v_fma_f64 v[42:43], -v[48:49], v[84:85], v[42:43]
	v_fma_f64 v[40:41], -v[48:49], v[86:87], v[40:41]
	ds_read2_b64 v[84:87], v74 offset0:18 offset1:19
	v_fma_f64 v[36:37], -v[48:49], v[88:89], v[36:37]
	v_fma_f64 v[38:39], -v[48:49], v[90:91], v[38:39]
	ds_read2_b64 v[88:91], v74 offset0:20 offset1:21
	s_waitcnt lgkmcnt(0)
	v_fma_f64 v[34:35], -v[48:49], v[80:81], v[34:35]
	v_fma_f64 v[32:33], -v[48:49], v[82:83], v[32:33]
	;; [unrolled: 1-line block ×3, first 2 shown]
	ds_read2_b64 v[80:83], v74 offset0:22 offset1:23
	v_fma_f64 v[28:29], -v[48:49], v[86:87], v[28:29]
	ds_read2_b64 v[84:87], v74 offset0:24 offset1:25
	v_fma_f64 v[26:27], -v[48:49], v[88:89], v[26:27]
	v_fma_f64 v[24:25], -v[48:49], v[90:91], v[24:25]
	s_waitcnt lgkmcnt(0)
	v_fma_f64 v[22:23], -v[48:49], v[80:81], v[22:23]
	ds_read2_b64 v[88:91], v74 offset0:26 offset1:27
	v_fma_f64 v[20:21], -v[48:49], v[82:83], v[20:21]
	ds_read2_b64 v[80:83], v74 offset0:28 offset1:29
	v_fma_f64 v[18:19], -v[48:49], v[84:85], v[18:19]
	v_fma_f64 v[16:17], -v[48:49], v[86:87], v[16:17]
	ds_read2_b64 v[84:87], v74 offset0:30 offset1:31
	s_waitcnt lgkmcnt(0)
	v_fma_f64 v[14:15], -v[48:49], v[88:89], v[14:15]
	v_fma_f64 v[12:13], -v[48:49], v[90:91], v[12:13]
	;; [unrolled: 1-line block ×7, first 2 shown]
.LBB64_165:
	s_or_b64 exec, exec, s[0:1]
	v_lshl_add_u32 v70, v75, 3, v74
	s_barrier
	ds_write_b64 v70, v[46:47]
	s_waitcnt lgkmcnt(0)
	s_barrier
	ds_read_b64 v[70:71], v74 offset:80
	s_cmp_lt_i32 s18, 12
	v_mov_b32_e32 v72, 10
	s_cbranch_scc1 .LBB64_168
; %bb.166:
	v_add_u32_e32 v79, 0x58, v74
	s_mov_b32 s0, 11
	v_mov_b32_e32 v72, 10
.LBB64_167:                             ; =>This Inner Loop Header: Depth=1
	ds_read_b64 v[80:81], v79
	v_mov_b32_e32 v82, s0
	s_add_i32 s0, s0, 1
	v_add_u32_e32 v79, 8, v79
	s_cmp_lg_u32 s18, s0
	s_waitcnt lgkmcnt(0)
	v_cmp_lt_f64_e64 vcc, |v[70:71]|, |v[80:81]|
	v_cndmask_b32_e32 v71, v71, v81, vcc
	v_cndmask_b32_e32 v70, v70, v80, vcc
	;; [unrolled: 1-line block ×3, first 2 shown]
	s_cbranch_scc1 .LBB64_167
.LBB64_168:
	s_waitcnt lgkmcnt(0)
	v_cmp_eq_f64_e32 vcc, 0, v[70:71]
	s_and_saveexec_b64 s[0:1], vcc
	s_xor_b64 s[0:1], exec, s[0:1]
; %bb.169:
	v_cmp_ne_u32_e32 vcc, 0, v78
	v_cndmask_b32_e32 v78, 11, v78, vcc
; %bb.170:
	s_andn2_saveexec_b64 s[0:1], s[0:1]
; %bb.171:
	v_div_scale_f64 v[80:81], s[2:3], v[70:71], v[70:71], 1.0
	v_rcp_f64_e32 v[82:83], v[80:81]
	v_div_scale_f64 v[84:85], vcc, 1.0, v[70:71], 1.0
	v_fma_f64 v[86:87], -v[80:81], v[82:83], 1.0
	v_fmac_f64_e32 v[82:83], v[82:83], v[86:87]
	v_fma_f64 v[86:87], -v[80:81], v[82:83], 1.0
	v_fmac_f64_e32 v[82:83], v[82:83], v[86:87]
	v_mul_f64 v[86:87], v[84:85], v[82:83]
	v_fma_f64 v[80:81], -v[80:81], v[86:87], v[84:85]
	v_div_fmas_f64 v[80:81], v[80:81], v[82:83], v[86:87]
	v_div_fixup_f64 v[70:71], v[80:81], v[70:71], 1.0
; %bb.172:
	s_or_b64 exec, exec, s[0:1]
	v_cmp_ne_u32_e32 vcc, v75, v72
	s_and_saveexec_b64 s[0:1], vcc
	s_xor_b64 s[0:1], exec, s[0:1]
	s_cbranch_execz .LBB64_178
; %bb.173:
	v_cmp_eq_u32_e32 vcc, 10, v75
	s_and_saveexec_b64 s[2:3], vcc
	s_cbranch_execz .LBB64_177
; %bb.174:
	v_cmp_ne_u32_e32 vcc, 10, v72
	s_xor_b64 s[14:15], s[6:7], -1
	s_and_b64 s[16:17], s[14:15], vcc
	s_and_saveexec_b64 s[14:15], s[16:17]
	s_cbranch_execz .LBB64_176
; %bb.175:
	v_ashrrev_i32_e32 v73, 31, v72
	v_lshlrev_b64 v[80:81], 2, v[72:73]
	v_add_co_u32_e32 v80, vcc, v4, v80
	v_addc_co_u32_e32 v81, vcc, v5, v81, vcc
	flat_load_dword v73, v[80:81]
	flat_load_dword v75, v[4:5] offset:40
	s_waitcnt vmcnt(0) lgkmcnt(0)
	flat_store_dword v[4:5], v73 offset:40
	flat_store_dword v[80:81], v75
.LBB64_176:
	s_or_b64 exec, exec, s[14:15]
	v_mov_b32_e32 v73, v72
	v_mov_b32_e32 v75, v72
.LBB64_177:
	s_or_b64 exec, exec, s[2:3]
.LBB64_178:
	s_andn2_saveexec_b64 s[0:1], s[0:1]
	s_cbranch_execz .LBB64_180
; %bb.179:
	v_mov_b32_e32 v75, 10
	ds_write2_b64 v74, v[44:45], v[42:43] offset0:11 offset1:12
	ds_write2_b64 v74, v[40:41], v[36:37] offset0:13 offset1:14
	;; [unrolled: 1-line block ×11, first 2 shown]
.LBB64_180:
	s_or_b64 exec, exec, s[0:1]
	v_cmp_lt_i32_e32 vcc, 10, v75
	s_waitcnt lgkmcnt(0)
	s_barrier
	s_and_saveexec_b64 s[0:1], vcc
	s_cbranch_execz .LBB64_182
; %bb.181:
	ds_read2_b64 v[80:83], v74 offset0:11 offset1:12
	ds_read2_b64 v[84:87], v74 offset0:13 offset1:14
	v_mul_f64 v[46:47], v[70:71], v[46:47]
	ds_read2_b64 v[88:91], v74 offset0:15 offset1:16
	s_waitcnt lgkmcnt(0)
	v_fma_f64 v[44:45], -v[46:47], v[80:81], v[44:45]
	v_fma_f64 v[42:43], -v[46:47], v[82:83], v[42:43]
	ds_read2_b64 v[80:83], v74 offset0:17 offset1:18
	v_fma_f64 v[40:41], -v[46:47], v[84:85], v[40:41]
	v_fma_f64 v[36:37], -v[46:47], v[86:87], v[36:37]
	ds_read2_b64 v[84:87], v74 offset0:19 offset1:20
	;; [unrolled: 3-line block ×3, first 2 shown]
	s_waitcnt lgkmcnt(0)
	v_fma_f64 v[32:33], -v[46:47], v[80:81], v[32:33]
	v_fma_f64 v[30:31], -v[46:47], v[82:83], v[30:31]
	;; [unrolled: 1-line block ×3, first 2 shown]
	ds_read2_b64 v[80:83], v74 offset0:23 offset1:24
	v_fma_f64 v[26:27], -v[46:47], v[86:87], v[26:27]
	ds_read2_b64 v[84:87], v74 offset0:25 offset1:26
	v_fma_f64 v[24:25], -v[46:47], v[88:89], v[24:25]
	v_fma_f64 v[22:23], -v[46:47], v[90:91], v[22:23]
	s_waitcnt lgkmcnt(0)
	v_fma_f64 v[20:21], -v[46:47], v[80:81], v[20:21]
	v_fma_f64 v[18:19], -v[46:47], v[82:83], v[18:19]
	ds_read2_b64 v[80:83], v74 offset0:27 offset1:28
	ds_read2_b64 v[88:91], v74 offset0:29 offset1:30
	v_fma_f64 v[16:17], -v[46:47], v[84:85], v[16:17]
	v_fma_f64 v[14:15], -v[46:47], v[86:87], v[14:15]
	ds_read2_b64 v[84:87], v74 offset0:31 offset1:32
	s_waitcnt lgkmcnt(0)
	v_fma_f64 v[12:13], -v[46:47], v[80:81], v[12:13]
	v_fma_f64 v[10:11], -v[46:47], v[82:83], v[10:11]
	;; [unrolled: 1-line block ×6, first 2 shown]
.LBB64_182:
	s_or_b64 exec, exec, s[0:1]
	v_lshl_add_u32 v70, v75, 3, v74
	s_barrier
	ds_write_b64 v70, v[44:45]
	s_waitcnt lgkmcnt(0)
	s_barrier
	ds_read_b64 v[70:71], v74 offset:88
	s_cmp_lt_i32 s18, 13
	v_mov_b32_e32 v72, 11
	s_cbranch_scc1 .LBB64_185
; %bb.183:
	v_add_u32_e32 v79, 0x60, v74
	s_mov_b32 s0, 12
	v_mov_b32_e32 v72, 11
.LBB64_184:                             ; =>This Inner Loop Header: Depth=1
	ds_read_b64 v[80:81], v79
	v_mov_b32_e32 v82, s0
	s_add_i32 s0, s0, 1
	v_add_u32_e32 v79, 8, v79
	s_cmp_lg_u32 s18, s0
	s_waitcnt lgkmcnt(0)
	v_cmp_lt_f64_e64 vcc, |v[70:71]|, |v[80:81]|
	v_cndmask_b32_e32 v71, v71, v81, vcc
	v_cndmask_b32_e32 v70, v70, v80, vcc
	v_cndmask_b32_e32 v72, v72, v82, vcc
	s_cbranch_scc1 .LBB64_184
.LBB64_185:
	s_waitcnt lgkmcnt(0)
	v_cmp_eq_f64_e32 vcc, 0, v[70:71]
	s_and_saveexec_b64 s[0:1], vcc
	s_xor_b64 s[0:1], exec, s[0:1]
; %bb.186:
	v_cmp_ne_u32_e32 vcc, 0, v78
	v_cndmask_b32_e32 v78, 12, v78, vcc
; %bb.187:
	s_andn2_saveexec_b64 s[0:1], s[0:1]
; %bb.188:
	v_div_scale_f64 v[80:81], s[2:3], v[70:71], v[70:71], 1.0
	v_rcp_f64_e32 v[82:83], v[80:81]
	v_div_scale_f64 v[84:85], vcc, 1.0, v[70:71], 1.0
	v_fma_f64 v[86:87], -v[80:81], v[82:83], 1.0
	v_fmac_f64_e32 v[82:83], v[82:83], v[86:87]
	v_fma_f64 v[86:87], -v[80:81], v[82:83], 1.0
	v_fmac_f64_e32 v[82:83], v[82:83], v[86:87]
	v_mul_f64 v[86:87], v[84:85], v[82:83]
	v_fma_f64 v[80:81], -v[80:81], v[86:87], v[84:85]
	v_div_fmas_f64 v[80:81], v[80:81], v[82:83], v[86:87]
	v_div_fixup_f64 v[70:71], v[80:81], v[70:71], 1.0
; %bb.189:
	s_or_b64 exec, exec, s[0:1]
	v_cmp_ne_u32_e32 vcc, v75, v72
	s_and_saveexec_b64 s[0:1], vcc
	s_xor_b64 s[0:1], exec, s[0:1]
	s_cbranch_execz .LBB64_195
; %bb.190:
	v_cmp_eq_u32_e32 vcc, 11, v75
	s_and_saveexec_b64 s[2:3], vcc
	s_cbranch_execz .LBB64_194
; %bb.191:
	v_cmp_ne_u32_e32 vcc, 11, v72
	s_xor_b64 s[14:15], s[6:7], -1
	s_and_b64 s[16:17], s[14:15], vcc
	s_and_saveexec_b64 s[14:15], s[16:17]
	s_cbranch_execz .LBB64_193
; %bb.192:
	v_ashrrev_i32_e32 v73, 31, v72
	v_lshlrev_b64 v[80:81], 2, v[72:73]
	v_add_co_u32_e32 v80, vcc, v4, v80
	v_addc_co_u32_e32 v81, vcc, v5, v81, vcc
	flat_load_dword v73, v[80:81]
	flat_load_dword v75, v[4:5] offset:44
	s_waitcnt vmcnt(0) lgkmcnt(0)
	flat_store_dword v[4:5], v73 offset:44
	flat_store_dword v[80:81], v75
.LBB64_193:
	s_or_b64 exec, exec, s[14:15]
	v_mov_b32_e32 v73, v72
	v_mov_b32_e32 v75, v72
.LBB64_194:
	s_or_b64 exec, exec, s[2:3]
.LBB64_195:
	s_andn2_saveexec_b64 s[0:1], s[0:1]
	s_cbranch_execz .LBB64_197
; %bb.196:
	v_mov_b32_e32 v80, v42
	v_mov_b32_e32 v81, v43
	v_mov_b32_e32 v82, v40
	v_mov_b32_e32 v83, v41
	ds_write2_b64 v74, v[80:81], v[82:83] offset0:12 offset1:13
	v_mov_b32_e32 v80, v36
	v_mov_b32_e32 v81, v37
	v_mov_b32_e32 v82, v38
	v_mov_b32_e32 v83, v39
	ds_write2_b64 v74, v[80:81], v[82:83] offset0:14 offset1:15
	;; [unrolled: 5-line block ×9, first 2 shown]
	v_mov_b32_e32 v80, v8
	v_mov_b32_e32 v81, v9
	;; [unrolled: 1-line block ×5, first 2 shown]
	ds_write2_b64 v74, v[80:81], v[82:83] offset0:30 offset1:31
	ds_write_b64 v74, v[68:69] offset:256
.LBB64_197:
	s_or_b64 exec, exec, s[0:1]
	v_cmp_lt_i32_e32 vcc, 11, v75
	s_waitcnt lgkmcnt(0)
	s_barrier
	s_and_saveexec_b64 s[0:1], vcc
	s_cbranch_execz .LBB64_199
; %bb.198:
	ds_read2_b64 v[80:83], v74 offset0:12 offset1:13
	ds_read2_b64 v[84:87], v74 offset0:14 offset1:15
	v_mul_f64 v[44:45], v[70:71], v[44:45]
	ds_read2_b64 v[88:91], v74 offset0:16 offset1:17
	ds_read_b64 v[70:71], v74 offset:256
	s_waitcnt lgkmcnt(0)
	v_fma_f64 v[42:43], -v[44:45], v[80:81], v[42:43]
	v_fma_f64 v[40:41], -v[44:45], v[82:83], v[40:41]
	ds_read2_b64 v[80:83], v74 offset0:18 offset1:19
	v_fma_f64 v[36:37], -v[44:45], v[84:85], v[36:37]
	v_fma_f64 v[38:39], -v[44:45], v[86:87], v[38:39]
	v_fma_f64 v[34:35], -v[44:45], v[88:89], v[34:35]
	ds_read2_b64 v[84:87], v74 offset0:20 offset1:21
	v_fma_f64 v[32:33], -v[44:45], v[90:91], v[32:33]
	ds_read2_b64 v[88:91], v74 offset0:22 offset1:23
	s_waitcnt lgkmcnt(0)
	v_fma_f64 v[30:31], -v[44:45], v[80:81], v[30:31]
	v_fma_f64 v[28:29], -v[44:45], v[82:83], v[28:29]
	ds_read2_b64 v[80:83], v74 offset0:24 offset1:25
	v_fma_f64 v[26:27], -v[44:45], v[84:85], v[26:27]
	v_fma_f64 v[24:25], -v[44:45], v[86:87], v[24:25]
	ds_read2_b64 v[84:87], v74 offset0:26 offset1:27
	v_fma_f64 v[22:23], -v[44:45], v[88:89], v[22:23]
	v_fma_f64 v[20:21], -v[44:45], v[90:91], v[20:21]
	s_waitcnt lgkmcnt(0)
	v_fma_f64 v[18:19], -v[44:45], v[80:81], v[18:19]
	v_fma_f64 v[16:17], -v[44:45], v[82:83], v[16:17]
	ds_read2_b64 v[80:83], v74 offset0:28 offset1:29
	ds_read2_b64 v[88:91], v74 offset0:30 offset1:31
	v_fma_f64 v[14:15], -v[44:45], v[84:85], v[14:15]
	v_fma_f64 v[12:13], -v[44:45], v[86:87], v[12:13]
	;; [unrolled: 1-line block ×3, first 2 shown]
	s_waitcnt lgkmcnt(0)
	v_fma_f64 v[10:11], -v[44:45], v[80:81], v[10:11]
	v_fma_f64 v[6:7], -v[44:45], v[82:83], v[6:7]
	;; [unrolled: 1-line block ×4, first 2 shown]
.LBB64_199:
	s_or_b64 exec, exec, s[0:1]
	v_lshl_add_u32 v70, v75, 3, v74
	s_barrier
	ds_write_b64 v70, v[42:43]
	s_waitcnt lgkmcnt(0)
	s_barrier
	ds_read_b64 v[70:71], v74 offset:96
	s_cmp_lt_i32 s18, 14
	v_mov_b32_e32 v72, 12
	s_cbranch_scc1 .LBB64_202
; %bb.200:
	v_add_u32_e32 v79, 0x68, v74
	s_mov_b32 s0, 13
	v_mov_b32_e32 v72, 12
.LBB64_201:                             ; =>This Inner Loop Header: Depth=1
	ds_read_b64 v[80:81], v79
	v_mov_b32_e32 v82, s0
	s_add_i32 s0, s0, 1
	v_add_u32_e32 v79, 8, v79
	s_cmp_lg_u32 s18, s0
	s_waitcnt lgkmcnt(0)
	v_cmp_lt_f64_e64 vcc, |v[70:71]|, |v[80:81]|
	v_cndmask_b32_e32 v71, v71, v81, vcc
	v_cndmask_b32_e32 v70, v70, v80, vcc
	;; [unrolled: 1-line block ×3, first 2 shown]
	s_cbranch_scc1 .LBB64_201
.LBB64_202:
	s_waitcnt lgkmcnt(0)
	v_cmp_eq_f64_e32 vcc, 0, v[70:71]
	s_and_saveexec_b64 s[0:1], vcc
	s_xor_b64 s[0:1], exec, s[0:1]
; %bb.203:
	v_cmp_ne_u32_e32 vcc, 0, v78
	v_cndmask_b32_e32 v78, 13, v78, vcc
; %bb.204:
	s_andn2_saveexec_b64 s[0:1], s[0:1]
; %bb.205:
	v_div_scale_f64 v[80:81], s[2:3], v[70:71], v[70:71], 1.0
	v_rcp_f64_e32 v[82:83], v[80:81]
	v_div_scale_f64 v[84:85], vcc, 1.0, v[70:71], 1.0
	v_fma_f64 v[86:87], -v[80:81], v[82:83], 1.0
	v_fmac_f64_e32 v[82:83], v[82:83], v[86:87]
	v_fma_f64 v[86:87], -v[80:81], v[82:83], 1.0
	v_fmac_f64_e32 v[82:83], v[82:83], v[86:87]
	v_mul_f64 v[86:87], v[84:85], v[82:83]
	v_fma_f64 v[80:81], -v[80:81], v[86:87], v[84:85]
	v_div_fmas_f64 v[80:81], v[80:81], v[82:83], v[86:87]
	v_div_fixup_f64 v[70:71], v[80:81], v[70:71], 1.0
; %bb.206:
	s_or_b64 exec, exec, s[0:1]
	v_cmp_ne_u32_e32 vcc, v75, v72
	s_and_saveexec_b64 s[0:1], vcc
	s_xor_b64 s[0:1], exec, s[0:1]
	s_cbranch_execz .LBB64_212
; %bb.207:
	v_cmp_eq_u32_e32 vcc, 12, v75
	s_and_saveexec_b64 s[2:3], vcc
	s_cbranch_execz .LBB64_211
; %bb.208:
	v_cmp_ne_u32_e32 vcc, 12, v72
	s_xor_b64 s[14:15], s[6:7], -1
	s_and_b64 s[16:17], s[14:15], vcc
	s_and_saveexec_b64 s[14:15], s[16:17]
	s_cbranch_execz .LBB64_210
; %bb.209:
	v_ashrrev_i32_e32 v73, 31, v72
	v_lshlrev_b64 v[80:81], 2, v[72:73]
	v_add_co_u32_e32 v80, vcc, v4, v80
	v_addc_co_u32_e32 v81, vcc, v5, v81, vcc
	flat_load_dword v73, v[80:81]
	flat_load_dword v75, v[4:5] offset:48
	s_waitcnt vmcnt(0) lgkmcnt(0)
	flat_store_dword v[4:5], v73 offset:48
	flat_store_dword v[80:81], v75
.LBB64_210:
	s_or_b64 exec, exec, s[14:15]
	v_mov_b32_e32 v73, v72
	v_mov_b32_e32 v75, v72
.LBB64_211:
	s_or_b64 exec, exec, s[2:3]
.LBB64_212:
	s_andn2_saveexec_b64 s[0:1], s[0:1]
	s_cbranch_execz .LBB64_214
; %bb.213:
	v_mov_b32_e32 v75, 12
	ds_write2_b64 v74, v[40:41], v[36:37] offset0:13 offset1:14
	ds_write2_b64 v74, v[38:39], v[34:35] offset0:15 offset1:16
	;; [unrolled: 1-line block ×10, first 2 shown]
.LBB64_214:
	s_or_b64 exec, exec, s[0:1]
	v_cmp_lt_i32_e32 vcc, 12, v75
	s_waitcnt lgkmcnt(0)
	s_barrier
	s_and_saveexec_b64 s[0:1], vcc
	s_cbranch_execz .LBB64_216
; %bb.215:
	ds_read2_b64 v[80:83], v74 offset0:13 offset1:14
	ds_read2_b64 v[84:87], v74 offset0:15 offset1:16
	v_mul_f64 v[42:43], v[70:71], v[42:43]
	ds_read2_b64 v[88:91], v74 offset0:17 offset1:18
	s_waitcnt lgkmcnt(0)
	v_fma_f64 v[40:41], -v[42:43], v[80:81], v[40:41]
	v_fma_f64 v[36:37], -v[42:43], v[82:83], v[36:37]
	ds_read2_b64 v[80:83], v74 offset0:19 offset1:20
	v_fma_f64 v[38:39], -v[42:43], v[84:85], v[38:39]
	v_fma_f64 v[34:35], -v[42:43], v[86:87], v[34:35]
	;; [unrolled: 1-line block ×3, first 2 shown]
	ds_read2_b64 v[84:87], v74 offset0:21 offset1:22
	v_fma_f64 v[30:31], -v[42:43], v[90:91], v[30:31]
	ds_read2_b64 v[88:91], v74 offset0:23 offset1:24
	s_waitcnt lgkmcnt(0)
	v_fma_f64 v[28:29], -v[42:43], v[80:81], v[28:29]
	v_fma_f64 v[26:27], -v[42:43], v[82:83], v[26:27]
	ds_read2_b64 v[80:83], v74 offset0:25 offset1:26
	v_fma_f64 v[24:25], -v[42:43], v[84:85], v[24:25]
	v_fma_f64 v[22:23], -v[42:43], v[86:87], v[22:23]
	ds_read2_b64 v[84:87], v74 offset0:27 offset1:28
	v_fma_f64 v[20:21], -v[42:43], v[88:89], v[20:21]
	v_fma_f64 v[18:19], -v[42:43], v[90:91], v[18:19]
	s_waitcnt lgkmcnt(0)
	v_fma_f64 v[16:17], -v[42:43], v[80:81], v[16:17]
	ds_read2_b64 v[88:91], v74 offset0:29 offset1:30
	v_fma_f64 v[14:15], -v[42:43], v[82:83], v[14:15]
	ds_read2_b64 v[80:83], v74 offset0:31 offset1:32
	v_fma_f64 v[12:13], -v[42:43], v[84:85], v[12:13]
	v_fma_f64 v[10:11], -v[42:43], v[86:87], v[10:11]
	s_waitcnt lgkmcnt(0)
	v_fma_f64 v[6:7], -v[42:43], v[88:89], v[6:7]
	v_fma_f64 v[8:9], -v[42:43], v[90:91], v[8:9]
	v_fma_f64 v[0:1], -v[42:43], v[80:81], v[0:1]
	v_fma_f64 v[68:69], -v[42:43], v[82:83], v[68:69]
.LBB64_216:
	s_or_b64 exec, exec, s[0:1]
	v_lshl_add_u32 v70, v75, 3, v74
	s_barrier
	ds_write_b64 v70, v[40:41]
	s_waitcnt lgkmcnt(0)
	s_barrier
	ds_read_b64 v[70:71], v74 offset:104
	s_cmp_lt_i32 s18, 15
	v_mov_b32_e32 v72, 13
	s_cbranch_scc1 .LBB64_219
; %bb.217:
	v_add_u32_e32 v79, 0x70, v74
	s_mov_b32 s0, 14
	v_mov_b32_e32 v72, 13
.LBB64_218:                             ; =>This Inner Loop Header: Depth=1
	ds_read_b64 v[80:81], v79
	v_mov_b32_e32 v82, s0
	s_add_i32 s0, s0, 1
	v_add_u32_e32 v79, 8, v79
	s_cmp_lg_u32 s18, s0
	s_waitcnt lgkmcnt(0)
	v_cmp_lt_f64_e64 vcc, |v[70:71]|, |v[80:81]|
	v_cndmask_b32_e32 v71, v71, v81, vcc
	v_cndmask_b32_e32 v70, v70, v80, vcc
	;; [unrolled: 1-line block ×3, first 2 shown]
	s_cbranch_scc1 .LBB64_218
.LBB64_219:
	s_waitcnt lgkmcnt(0)
	v_cmp_eq_f64_e32 vcc, 0, v[70:71]
	s_and_saveexec_b64 s[0:1], vcc
	s_xor_b64 s[0:1], exec, s[0:1]
; %bb.220:
	v_cmp_ne_u32_e32 vcc, 0, v78
	v_cndmask_b32_e32 v78, 14, v78, vcc
; %bb.221:
	s_andn2_saveexec_b64 s[0:1], s[0:1]
; %bb.222:
	v_div_scale_f64 v[80:81], s[2:3], v[70:71], v[70:71], 1.0
	v_rcp_f64_e32 v[82:83], v[80:81]
	v_div_scale_f64 v[84:85], vcc, 1.0, v[70:71], 1.0
	v_fma_f64 v[86:87], -v[80:81], v[82:83], 1.0
	v_fmac_f64_e32 v[82:83], v[82:83], v[86:87]
	v_fma_f64 v[86:87], -v[80:81], v[82:83], 1.0
	v_fmac_f64_e32 v[82:83], v[82:83], v[86:87]
	v_mul_f64 v[86:87], v[84:85], v[82:83]
	v_fma_f64 v[80:81], -v[80:81], v[86:87], v[84:85]
	v_div_fmas_f64 v[80:81], v[80:81], v[82:83], v[86:87]
	v_div_fixup_f64 v[70:71], v[80:81], v[70:71], 1.0
; %bb.223:
	s_or_b64 exec, exec, s[0:1]
	v_cmp_ne_u32_e32 vcc, v75, v72
	s_and_saveexec_b64 s[0:1], vcc
	s_xor_b64 s[0:1], exec, s[0:1]
	s_cbranch_execz .LBB64_229
; %bb.224:
	v_cmp_eq_u32_e32 vcc, 13, v75
	s_and_saveexec_b64 s[2:3], vcc
	s_cbranch_execz .LBB64_228
; %bb.225:
	v_cmp_ne_u32_e32 vcc, 13, v72
	s_xor_b64 s[14:15], s[6:7], -1
	s_and_b64 s[16:17], s[14:15], vcc
	s_and_saveexec_b64 s[14:15], s[16:17]
	s_cbranch_execz .LBB64_227
; %bb.226:
	v_ashrrev_i32_e32 v73, 31, v72
	v_lshlrev_b64 v[80:81], 2, v[72:73]
	v_add_co_u32_e32 v80, vcc, v4, v80
	v_addc_co_u32_e32 v81, vcc, v5, v81, vcc
	flat_load_dword v73, v[80:81]
	flat_load_dword v75, v[4:5] offset:52
	s_waitcnt vmcnt(0) lgkmcnt(0)
	flat_store_dword v[4:5], v73 offset:52
	flat_store_dword v[80:81], v75
.LBB64_227:
	s_or_b64 exec, exec, s[14:15]
	v_mov_b32_e32 v73, v72
	v_mov_b32_e32 v75, v72
.LBB64_228:
	s_or_b64 exec, exec, s[2:3]
.LBB64_229:
	s_andn2_saveexec_b64 s[0:1], s[0:1]
	s_cbranch_execz .LBB64_231
; %bb.230:
	v_mov_b32_e32 v80, v36
	v_mov_b32_e32 v81, v37
	v_mov_b32_e32 v82, v38
	v_mov_b32_e32 v83, v39
	ds_write2_b64 v74, v[80:81], v[82:83] offset0:14 offset1:15
	v_mov_b32_e32 v80, v34
	v_mov_b32_e32 v81, v35
	v_mov_b32_e32 v82, v32
	v_mov_b32_e32 v83, v33
	ds_write2_b64 v74, v[80:81], v[82:83] offset0:16 offset1:17
	;; [unrolled: 5-line block ×8, first 2 shown]
	v_mov_b32_e32 v80, v8
	v_mov_b32_e32 v81, v9
	v_mov_b32_e32 v82, v0
	v_mov_b32_e32 v83, v1
	v_mov_b32_e32 v75, 13
	ds_write2_b64 v74, v[80:81], v[82:83] offset0:30 offset1:31
	ds_write_b64 v74, v[68:69] offset:256
.LBB64_231:
	s_or_b64 exec, exec, s[0:1]
	v_cmp_lt_i32_e32 vcc, 13, v75
	s_waitcnt lgkmcnt(0)
	s_barrier
	s_and_saveexec_b64 s[0:1], vcc
	s_cbranch_execz .LBB64_233
; %bb.232:
	ds_read2_b64 v[80:83], v74 offset0:14 offset1:15
	ds_read2_b64 v[84:87], v74 offset0:16 offset1:17
	;; [unrolled: 1-line block ×3, first 2 shown]
	v_mul_f64 v[40:41], v[70:71], v[40:41]
	ds_read_b64 v[70:71], v74 offset:256
	s_waitcnt lgkmcnt(0)
	v_fma_f64 v[36:37], -v[40:41], v[80:81], v[36:37]
	v_fma_f64 v[38:39], -v[40:41], v[82:83], v[38:39]
	ds_read2_b64 v[80:83], v74 offset0:20 offset1:21
	v_fma_f64 v[34:35], -v[40:41], v[84:85], v[34:35]
	v_fma_f64 v[32:33], -v[40:41], v[86:87], v[32:33]
	;; [unrolled: 1-line block ×3, first 2 shown]
	ds_read2_b64 v[84:87], v74 offset0:22 offset1:23
	v_fma_f64 v[28:29], -v[40:41], v[90:91], v[28:29]
	ds_read2_b64 v[88:91], v74 offset0:24 offset1:25
	s_waitcnt lgkmcnt(0)
	v_fma_f64 v[26:27], -v[40:41], v[80:81], v[26:27]
	v_fma_f64 v[24:25], -v[40:41], v[82:83], v[24:25]
	;; [unrolled: 1-line block ×3, first 2 shown]
	ds_read2_b64 v[80:83], v74 offset0:26 offset1:27
	v_fma_f64 v[20:21], -v[40:41], v[86:87], v[20:21]
	ds_read2_b64 v[84:87], v74 offset0:28 offset1:29
	v_fma_f64 v[18:19], -v[40:41], v[88:89], v[18:19]
	v_fma_f64 v[16:17], -v[40:41], v[90:91], v[16:17]
	ds_read2_b64 v[88:91], v74 offset0:30 offset1:31
	s_waitcnt lgkmcnt(0)
	v_fma_f64 v[14:15], -v[40:41], v[80:81], v[14:15]
	v_fma_f64 v[12:13], -v[40:41], v[82:83], v[12:13]
	v_fma_f64 v[10:11], -v[40:41], v[84:85], v[10:11]
	v_fma_f64 v[6:7], -v[40:41], v[86:87], v[6:7]
	v_fma_f64 v[8:9], -v[40:41], v[88:89], v[8:9]
	v_fma_f64 v[0:1], -v[40:41], v[90:91], v[0:1]
	v_fma_f64 v[68:69], -v[40:41], v[70:71], v[68:69]
.LBB64_233:
	s_or_b64 exec, exec, s[0:1]
	v_lshl_add_u32 v70, v75, 3, v74
	s_barrier
	ds_write_b64 v70, v[36:37]
	s_waitcnt lgkmcnt(0)
	s_barrier
	ds_read_b64 v[70:71], v74 offset:112
	s_cmp_lt_i32 s18, 16
	v_mov_b32_e32 v72, 14
	s_cbranch_scc1 .LBB64_236
; %bb.234:
	v_add_u32_e32 v79, 0x78, v74
	s_mov_b32 s0, 15
	v_mov_b32_e32 v72, 14
.LBB64_235:                             ; =>This Inner Loop Header: Depth=1
	ds_read_b64 v[80:81], v79
	v_mov_b32_e32 v82, s0
	s_add_i32 s0, s0, 1
	v_add_u32_e32 v79, 8, v79
	s_cmp_lg_u32 s18, s0
	s_waitcnt lgkmcnt(0)
	v_cmp_lt_f64_e64 vcc, |v[70:71]|, |v[80:81]|
	v_cndmask_b32_e32 v71, v71, v81, vcc
	v_cndmask_b32_e32 v70, v70, v80, vcc
	;; [unrolled: 1-line block ×3, first 2 shown]
	s_cbranch_scc1 .LBB64_235
.LBB64_236:
	s_waitcnt lgkmcnt(0)
	v_cmp_eq_f64_e32 vcc, 0, v[70:71]
	s_and_saveexec_b64 s[0:1], vcc
	s_xor_b64 s[0:1], exec, s[0:1]
; %bb.237:
	v_cmp_ne_u32_e32 vcc, 0, v78
	v_cndmask_b32_e32 v78, 15, v78, vcc
; %bb.238:
	s_andn2_saveexec_b64 s[0:1], s[0:1]
; %bb.239:
	v_div_scale_f64 v[80:81], s[2:3], v[70:71], v[70:71], 1.0
	v_rcp_f64_e32 v[82:83], v[80:81]
	v_div_scale_f64 v[84:85], vcc, 1.0, v[70:71], 1.0
	v_fma_f64 v[86:87], -v[80:81], v[82:83], 1.0
	v_fmac_f64_e32 v[82:83], v[82:83], v[86:87]
	v_fma_f64 v[86:87], -v[80:81], v[82:83], 1.0
	v_fmac_f64_e32 v[82:83], v[82:83], v[86:87]
	v_mul_f64 v[86:87], v[84:85], v[82:83]
	v_fma_f64 v[80:81], -v[80:81], v[86:87], v[84:85]
	v_div_fmas_f64 v[80:81], v[80:81], v[82:83], v[86:87]
	v_div_fixup_f64 v[70:71], v[80:81], v[70:71], 1.0
; %bb.240:
	s_or_b64 exec, exec, s[0:1]
	v_cmp_ne_u32_e32 vcc, v75, v72
	s_and_saveexec_b64 s[0:1], vcc
	s_xor_b64 s[0:1], exec, s[0:1]
	s_cbranch_execz .LBB64_246
; %bb.241:
	v_cmp_eq_u32_e32 vcc, 14, v75
	s_and_saveexec_b64 s[2:3], vcc
	s_cbranch_execz .LBB64_245
; %bb.242:
	v_cmp_ne_u32_e32 vcc, 14, v72
	s_xor_b64 s[14:15], s[6:7], -1
	s_and_b64 s[16:17], s[14:15], vcc
	s_and_saveexec_b64 s[14:15], s[16:17]
	s_cbranch_execz .LBB64_244
; %bb.243:
	v_ashrrev_i32_e32 v73, 31, v72
	v_lshlrev_b64 v[80:81], 2, v[72:73]
	v_add_co_u32_e32 v80, vcc, v4, v80
	v_addc_co_u32_e32 v81, vcc, v5, v81, vcc
	flat_load_dword v73, v[80:81]
	flat_load_dword v75, v[4:5] offset:56
	s_waitcnt vmcnt(0) lgkmcnt(0)
	flat_store_dword v[4:5], v73 offset:56
	flat_store_dword v[80:81], v75
.LBB64_244:
	s_or_b64 exec, exec, s[14:15]
	v_mov_b32_e32 v73, v72
	v_mov_b32_e32 v75, v72
.LBB64_245:
	s_or_b64 exec, exec, s[2:3]
.LBB64_246:
	s_andn2_saveexec_b64 s[0:1], s[0:1]
	s_cbranch_execz .LBB64_248
; %bb.247:
	v_mov_b32_e32 v75, 14
	ds_write2_b64 v74, v[38:39], v[34:35] offset0:15 offset1:16
	ds_write2_b64 v74, v[32:33], v[30:31] offset0:17 offset1:18
	;; [unrolled: 1-line block ×9, first 2 shown]
.LBB64_248:
	s_or_b64 exec, exec, s[0:1]
	v_cmp_lt_i32_e32 vcc, 14, v75
	s_waitcnt lgkmcnt(0)
	s_barrier
	s_and_saveexec_b64 s[0:1], vcc
	s_cbranch_execz .LBB64_250
; %bb.249:
	ds_read2_b64 v[80:83], v74 offset0:15 offset1:16
	ds_read2_b64 v[84:87], v74 offset0:17 offset1:18
	;; [unrolled: 1-line block ×3, first 2 shown]
	v_mul_f64 v[36:37], v[70:71], v[36:37]
	s_waitcnt lgkmcnt(0)
	v_fma_f64 v[38:39], -v[36:37], v[80:81], v[38:39]
	v_fma_f64 v[34:35], -v[36:37], v[82:83], v[34:35]
	ds_read2_b64 v[80:83], v74 offset0:21 offset1:22
	v_fma_f64 v[32:33], -v[36:37], v[84:85], v[32:33]
	v_fma_f64 v[30:31], -v[36:37], v[86:87], v[30:31]
	;; [unrolled: 1-line block ×3, first 2 shown]
	ds_read2_b64 v[84:87], v74 offset0:23 offset1:24
	v_fma_f64 v[26:27], -v[36:37], v[90:91], v[26:27]
	ds_read2_b64 v[88:91], v74 offset0:25 offset1:26
	s_waitcnt lgkmcnt(0)
	v_fma_f64 v[24:25], -v[36:37], v[80:81], v[24:25]
	v_fma_f64 v[22:23], -v[36:37], v[82:83], v[22:23]
	;; [unrolled: 1-line block ×4, first 2 shown]
	ds_read2_b64 v[80:83], v74 offset0:27 offset1:28
	ds_read2_b64 v[84:87], v74 offset0:29 offset1:30
	v_fma_f64 v[16:17], -v[36:37], v[88:89], v[16:17]
	v_fma_f64 v[14:15], -v[36:37], v[90:91], v[14:15]
	ds_read2_b64 v[88:91], v74 offset0:31 offset1:32
	s_waitcnt lgkmcnt(0)
	v_fma_f64 v[12:13], -v[36:37], v[80:81], v[12:13]
	v_fma_f64 v[10:11], -v[36:37], v[82:83], v[10:11]
	;; [unrolled: 1-line block ×6, first 2 shown]
.LBB64_250:
	s_or_b64 exec, exec, s[0:1]
	v_lshl_add_u32 v70, v75, 3, v74
	s_barrier
	ds_write_b64 v70, v[38:39]
	s_waitcnt lgkmcnt(0)
	s_barrier
	ds_read_b64 v[70:71], v74 offset:120
	s_cmp_lt_i32 s18, 17
	v_mov_b32_e32 v72, 15
	s_cbranch_scc1 .LBB64_253
; %bb.251:
	v_add_u32_e32 v79, 0x80, v74
	s_mov_b32 s0, 16
	v_mov_b32_e32 v72, 15
.LBB64_252:                             ; =>This Inner Loop Header: Depth=1
	ds_read_b64 v[80:81], v79
	v_mov_b32_e32 v82, s0
	s_add_i32 s0, s0, 1
	v_add_u32_e32 v79, 8, v79
	s_cmp_lg_u32 s18, s0
	s_waitcnt lgkmcnt(0)
	v_cmp_lt_f64_e64 vcc, |v[70:71]|, |v[80:81]|
	v_cndmask_b32_e32 v71, v71, v81, vcc
	v_cndmask_b32_e32 v70, v70, v80, vcc
	;; [unrolled: 1-line block ×3, first 2 shown]
	s_cbranch_scc1 .LBB64_252
.LBB64_253:
	s_waitcnt lgkmcnt(0)
	v_cmp_eq_f64_e32 vcc, 0, v[70:71]
	s_and_saveexec_b64 s[0:1], vcc
	s_xor_b64 s[0:1], exec, s[0:1]
; %bb.254:
	v_cmp_ne_u32_e32 vcc, 0, v78
	v_cndmask_b32_e32 v78, 16, v78, vcc
; %bb.255:
	s_andn2_saveexec_b64 s[0:1], s[0:1]
; %bb.256:
	v_div_scale_f64 v[80:81], s[2:3], v[70:71], v[70:71], 1.0
	v_rcp_f64_e32 v[82:83], v[80:81]
	v_div_scale_f64 v[84:85], vcc, 1.0, v[70:71], 1.0
	v_fma_f64 v[86:87], -v[80:81], v[82:83], 1.0
	v_fmac_f64_e32 v[82:83], v[82:83], v[86:87]
	v_fma_f64 v[86:87], -v[80:81], v[82:83], 1.0
	v_fmac_f64_e32 v[82:83], v[82:83], v[86:87]
	v_mul_f64 v[86:87], v[84:85], v[82:83]
	v_fma_f64 v[80:81], -v[80:81], v[86:87], v[84:85]
	v_div_fmas_f64 v[80:81], v[80:81], v[82:83], v[86:87]
	v_div_fixup_f64 v[70:71], v[80:81], v[70:71], 1.0
; %bb.257:
	s_or_b64 exec, exec, s[0:1]
	v_cmp_ne_u32_e32 vcc, v75, v72
	s_and_saveexec_b64 s[0:1], vcc
	s_xor_b64 s[0:1], exec, s[0:1]
	s_cbranch_execz .LBB64_263
; %bb.258:
	v_cmp_eq_u32_e32 vcc, 15, v75
	s_and_saveexec_b64 s[2:3], vcc
	s_cbranch_execz .LBB64_262
; %bb.259:
	v_cmp_ne_u32_e32 vcc, 15, v72
	s_xor_b64 s[14:15], s[6:7], -1
	s_and_b64 s[16:17], s[14:15], vcc
	s_and_saveexec_b64 s[14:15], s[16:17]
	s_cbranch_execz .LBB64_261
; %bb.260:
	v_ashrrev_i32_e32 v73, 31, v72
	v_lshlrev_b64 v[80:81], 2, v[72:73]
	v_add_co_u32_e32 v80, vcc, v4, v80
	v_addc_co_u32_e32 v81, vcc, v5, v81, vcc
	flat_load_dword v73, v[80:81]
	flat_load_dword v75, v[4:5] offset:60
	s_waitcnt vmcnt(0) lgkmcnt(0)
	flat_store_dword v[4:5], v73 offset:60
	flat_store_dword v[80:81], v75
.LBB64_261:
	s_or_b64 exec, exec, s[14:15]
	v_mov_b32_e32 v73, v72
	v_mov_b32_e32 v75, v72
.LBB64_262:
	s_or_b64 exec, exec, s[2:3]
.LBB64_263:
	s_andn2_saveexec_b64 s[0:1], s[0:1]
	s_cbranch_execz .LBB64_265
; %bb.264:
	v_mov_b32_e32 v80, v34
	v_mov_b32_e32 v81, v35
	v_mov_b32_e32 v82, v32
	v_mov_b32_e32 v83, v33
	ds_write2_b64 v74, v[80:81], v[82:83] offset0:16 offset1:17
	v_mov_b32_e32 v80, v30
	v_mov_b32_e32 v81, v31
	v_mov_b32_e32 v82, v28
	v_mov_b32_e32 v83, v29
	ds_write2_b64 v74, v[80:81], v[82:83] offset0:18 offset1:19
	;; [unrolled: 5-line block ×7, first 2 shown]
	v_mov_b32_e32 v80, v8
	v_mov_b32_e32 v81, v9
	;; [unrolled: 1-line block ×5, first 2 shown]
	ds_write2_b64 v74, v[80:81], v[82:83] offset0:30 offset1:31
	ds_write_b64 v74, v[68:69] offset:256
.LBB64_265:
	s_or_b64 exec, exec, s[0:1]
	v_cmp_lt_i32_e32 vcc, 15, v75
	s_waitcnt lgkmcnt(0)
	s_barrier
	s_and_saveexec_b64 s[0:1], vcc
	s_cbranch_execz .LBB64_267
; %bb.266:
	ds_read2_b64 v[80:83], v74 offset0:16 offset1:17
	ds_read2_b64 v[84:87], v74 offset0:18 offset1:19
	v_mul_f64 v[38:39], v[70:71], v[38:39]
	ds_read2_b64 v[88:91], v74 offset0:20 offset1:21
	ds_read_b64 v[70:71], v74 offset:256
	s_waitcnt lgkmcnt(0)
	v_fma_f64 v[34:35], -v[38:39], v[80:81], v[34:35]
	v_fma_f64 v[32:33], -v[38:39], v[82:83], v[32:33]
	ds_read2_b64 v[80:83], v74 offset0:22 offset1:23
	v_fma_f64 v[30:31], -v[38:39], v[84:85], v[30:31]
	v_fma_f64 v[28:29], -v[38:39], v[86:87], v[28:29]
	ds_read2_b64 v[84:87], v74 offset0:24 offset1:25
	;; [unrolled: 3-line block ×3, first 2 shown]
	s_waitcnt lgkmcnt(0)
	v_fma_f64 v[22:23], -v[38:39], v[80:81], v[22:23]
	v_fma_f64 v[20:21], -v[38:39], v[82:83], v[20:21]
	;; [unrolled: 1-line block ×4, first 2 shown]
	ds_read2_b64 v[80:83], v74 offset0:28 offset1:29
	ds_read2_b64 v[84:87], v74 offset0:30 offset1:31
	v_fma_f64 v[14:15], -v[38:39], v[88:89], v[14:15]
	v_fma_f64 v[12:13], -v[38:39], v[90:91], v[12:13]
	;; [unrolled: 1-line block ×3, first 2 shown]
	s_waitcnt lgkmcnt(0)
	v_fma_f64 v[10:11], -v[38:39], v[80:81], v[10:11]
	v_fma_f64 v[6:7], -v[38:39], v[82:83], v[6:7]
	;; [unrolled: 1-line block ×4, first 2 shown]
.LBB64_267:
	s_or_b64 exec, exec, s[0:1]
	v_lshl_add_u32 v70, v75, 3, v74
	s_barrier
	ds_write_b64 v70, v[34:35]
	s_waitcnt lgkmcnt(0)
	s_barrier
	ds_read_b64 v[70:71], v74 offset:128
	s_cmp_lt_i32 s18, 18
	v_mov_b32_e32 v72, 16
	s_cbranch_scc1 .LBB64_270
; %bb.268:
	v_add_u32_e32 v79, 0x88, v74
	s_mov_b32 s0, 17
	v_mov_b32_e32 v72, 16
.LBB64_269:                             ; =>This Inner Loop Header: Depth=1
	ds_read_b64 v[80:81], v79
	v_mov_b32_e32 v82, s0
	s_add_i32 s0, s0, 1
	v_add_u32_e32 v79, 8, v79
	s_cmp_lg_u32 s18, s0
	s_waitcnt lgkmcnt(0)
	v_cmp_lt_f64_e64 vcc, |v[70:71]|, |v[80:81]|
	v_cndmask_b32_e32 v71, v71, v81, vcc
	v_cndmask_b32_e32 v70, v70, v80, vcc
	;; [unrolled: 1-line block ×3, first 2 shown]
	s_cbranch_scc1 .LBB64_269
.LBB64_270:
	s_waitcnt lgkmcnt(0)
	v_cmp_eq_f64_e32 vcc, 0, v[70:71]
	s_and_saveexec_b64 s[0:1], vcc
	s_xor_b64 s[0:1], exec, s[0:1]
; %bb.271:
	v_cmp_ne_u32_e32 vcc, 0, v78
	v_cndmask_b32_e32 v78, 17, v78, vcc
; %bb.272:
	s_andn2_saveexec_b64 s[0:1], s[0:1]
; %bb.273:
	v_div_scale_f64 v[80:81], s[2:3], v[70:71], v[70:71], 1.0
	v_rcp_f64_e32 v[82:83], v[80:81]
	v_div_scale_f64 v[84:85], vcc, 1.0, v[70:71], 1.0
	v_fma_f64 v[86:87], -v[80:81], v[82:83], 1.0
	v_fmac_f64_e32 v[82:83], v[82:83], v[86:87]
	v_fma_f64 v[86:87], -v[80:81], v[82:83], 1.0
	v_fmac_f64_e32 v[82:83], v[82:83], v[86:87]
	v_mul_f64 v[86:87], v[84:85], v[82:83]
	v_fma_f64 v[80:81], -v[80:81], v[86:87], v[84:85]
	v_div_fmas_f64 v[80:81], v[80:81], v[82:83], v[86:87]
	v_div_fixup_f64 v[70:71], v[80:81], v[70:71], 1.0
; %bb.274:
	s_or_b64 exec, exec, s[0:1]
	v_cmp_ne_u32_e32 vcc, v75, v72
	s_and_saveexec_b64 s[0:1], vcc
	s_xor_b64 s[0:1], exec, s[0:1]
	s_cbranch_execz .LBB64_280
; %bb.275:
	v_cmp_eq_u32_e32 vcc, 16, v75
	s_and_saveexec_b64 s[2:3], vcc
	s_cbranch_execz .LBB64_279
; %bb.276:
	v_cmp_ne_u32_e32 vcc, 16, v72
	s_xor_b64 s[14:15], s[6:7], -1
	s_and_b64 s[16:17], s[14:15], vcc
	s_and_saveexec_b64 s[14:15], s[16:17]
	s_cbranch_execz .LBB64_278
; %bb.277:
	v_ashrrev_i32_e32 v73, 31, v72
	v_lshlrev_b64 v[80:81], 2, v[72:73]
	v_add_co_u32_e32 v80, vcc, v4, v80
	v_addc_co_u32_e32 v81, vcc, v5, v81, vcc
	flat_load_dword v73, v[80:81]
	flat_load_dword v75, v[4:5] offset:64
	s_waitcnt vmcnt(0) lgkmcnt(0)
	flat_store_dword v[4:5], v73 offset:64
	flat_store_dword v[80:81], v75
.LBB64_278:
	s_or_b64 exec, exec, s[14:15]
	v_mov_b32_e32 v73, v72
	v_mov_b32_e32 v75, v72
.LBB64_279:
	s_or_b64 exec, exec, s[2:3]
.LBB64_280:
	s_andn2_saveexec_b64 s[0:1], s[0:1]
	s_cbranch_execz .LBB64_282
; %bb.281:
	v_mov_b32_e32 v75, 16
	ds_write2_b64 v74, v[32:33], v[30:31] offset0:17 offset1:18
	ds_write2_b64 v74, v[28:29], v[26:27] offset0:19 offset1:20
	;; [unrolled: 1-line block ×8, first 2 shown]
.LBB64_282:
	s_or_b64 exec, exec, s[0:1]
	v_cmp_lt_i32_e32 vcc, 16, v75
	s_waitcnt lgkmcnt(0)
	s_barrier
	s_and_saveexec_b64 s[0:1], vcc
	s_cbranch_execz .LBB64_284
; %bb.283:
	ds_read2_b64 v[80:83], v74 offset0:17 offset1:18
	ds_read2_b64 v[84:87], v74 offset0:19 offset1:20
	v_mul_f64 v[34:35], v[70:71], v[34:35]
	ds_read2_b64 v[88:91], v74 offset0:21 offset1:22
	s_waitcnt lgkmcnt(0)
	v_fma_f64 v[32:33], -v[34:35], v[80:81], v[32:33]
	v_fma_f64 v[30:31], -v[34:35], v[82:83], v[30:31]
	ds_read2_b64 v[80:83], v74 offset0:23 offset1:24
	v_fma_f64 v[28:29], -v[34:35], v[84:85], v[28:29]
	v_fma_f64 v[26:27], -v[34:35], v[86:87], v[26:27]
	ds_read2_b64 v[84:87], v74 offset0:25 offset1:26
	v_fma_f64 v[24:25], -v[34:35], v[88:89], v[24:25]
	v_fma_f64 v[22:23], -v[34:35], v[90:91], v[22:23]
	s_waitcnt lgkmcnt(0)
	v_fma_f64 v[20:21], -v[34:35], v[80:81], v[20:21]
	v_fma_f64 v[18:19], -v[34:35], v[82:83], v[18:19]
	ds_read2_b64 v[80:83], v74 offset0:27 offset1:28
	v_fma_f64 v[16:17], -v[34:35], v[84:85], v[16:17]
	ds_read2_b64 v[88:91], v74 offset0:29 offset1:30
	;; [unrolled: 2-line block ×3, first 2 shown]
	s_waitcnt lgkmcnt(0)
	v_fma_f64 v[12:13], -v[34:35], v[80:81], v[12:13]
	v_fma_f64 v[10:11], -v[34:35], v[82:83], v[10:11]
	;; [unrolled: 1-line block ×6, first 2 shown]
.LBB64_284:
	s_or_b64 exec, exec, s[0:1]
	v_lshl_add_u32 v70, v75, 3, v74
	s_barrier
	ds_write_b64 v70, v[32:33]
	s_waitcnt lgkmcnt(0)
	s_barrier
	ds_read_b64 v[70:71], v74 offset:136
	s_cmp_lt_i32 s18, 19
	v_mov_b32_e32 v72, 17
	s_cbranch_scc1 .LBB64_287
; %bb.285:
	v_add_u32_e32 v79, 0x90, v74
	s_mov_b32 s0, 18
	v_mov_b32_e32 v72, 17
.LBB64_286:                             ; =>This Inner Loop Header: Depth=1
	ds_read_b64 v[80:81], v79
	v_mov_b32_e32 v82, s0
	s_add_i32 s0, s0, 1
	v_add_u32_e32 v79, 8, v79
	s_cmp_lg_u32 s18, s0
	s_waitcnt lgkmcnt(0)
	v_cmp_lt_f64_e64 vcc, |v[70:71]|, |v[80:81]|
	v_cndmask_b32_e32 v71, v71, v81, vcc
	v_cndmask_b32_e32 v70, v70, v80, vcc
	;; [unrolled: 1-line block ×3, first 2 shown]
	s_cbranch_scc1 .LBB64_286
.LBB64_287:
	s_waitcnt lgkmcnt(0)
	v_cmp_eq_f64_e32 vcc, 0, v[70:71]
	s_and_saveexec_b64 s[0:1], vcc
	s_xor_b64 s[0:1], exec, s[0:1]
; %bb.288:
	v_cmp_ne_u32_e32 vcc, 0, v78
	v_cndmask_b32_e32 v78, 18, v78, vcc
; %bb.289:
	s_andn2_saveexec_b64 s[0:1], s[0:1]
; %bb.290:
	v_div_scale_f64 v[80:81], s[2:3], v[70:71], v[70:71], 1.0
	v_rcp_f64_e32 v[82:83], v[80:81]
	v_div_scale_f64 v[84:85], vcc, 1.0, v[70:71], 1.0
	v_fma_f64 v[86:87], -v[80:81], v[82:83], 1.0
	v_fmac_f64_e32 v[82:83], v[82:83], v[86:87]
	v_fma_f64 v[86:87], -v[80:81], v[82:83], 1.0
	v_fmac_f64_e32 v[82:83], v[82:83], v[86:87]
	v_mul_f64 v[86:87], v[84:85], v[82:83]
	v_fma_f64 v[80:81], -v[80:81], v[86:87], v[84:85]
	v_div_fmas_f64 v[80:81], v[80:81], v[82:83], v[86:87]
	v_div_fixup_f64 v[70:71], v[80:81], v[70:71], 1.0
; %bb.291:
	s_or_b64 exec, exec, s[0:1]
	v_cmp_ne_u32_e32 vcc, v75, v72
	s_and_saveexec_b64 s[0:1], vcc
	s_xor_b64 s[0:1], exec, s[0:1]
	s_cbranch_execz .LBB64_297
; %bb.292:
	v_cmp_eq_u32_e32 vcc, 17, v75
	s_and_saveexec_b64 s[2:3], vcc
	s_cbranch_execz .LBB64_296
; %bb.293:
	v_cmp_ne_u32_e32 vcc, 17, v72
	s_xor_b64 s[14:15], s[6:7], -1
	s_and_b64 s[16:17], s[14:15], vcc
	s_and_saveexec_b64 s[14:15], s[16:17]
	s_cbranch_execz .LBB64_295
; %bb.294:
	v_ashrrev_i32_e32 v73, 31, v72
	v_lshlrev_b64 v[80:81], 2, v[72:73]
	v_add_co_u32_e32 v80, vcc, v4, v80
	v_addc_co_u32_e32 v81, vcc, v5, v81, vcc
	flat_load_dword v73, v[80:81]
	flat_load_dword v75, v[4:5] offset:68
	s_waitcnt vmcnt(0) lgkmcnt(0)
	flat_store_dword v[4:5], v73 offset:68
	flat_store_dword v[80:81], v75
.LBB64_295:
	s_or_b64 exec, exec, s[14:15]
	v_mov_b32_e32 v73, v72
	v_mov_b32_e32 v75, v72
.LBB64_296:
	s_or_b64 exec, exec, s[2:3]
.LBB64_297:
	s_andn2_saveexec_b64 s[0:1], s[0:1]
	s_cbranch_execz .LBB64_299
; %bb.298:
	v_mov_b32_e32 v80, v30
	v_mov_b32_e32 v81, v31
	v_mov_b32_e32 v82, v28
	v_mov_b32_e32 v83, v29
	ds_write2_b64 v74, v[80:81], v[82:83] offset0:18 offset1:19
	v_mov_b32_e32 v80, v26
	v_mov_b32_e32 v81, v27
	v_mov_b32_e32 v82, v24
	v_mov_b32_e32 v83, v25
	ds_write2_b64 v74, v[80:81], v[82:83] offset0:20 offset1:21
	;; [unrolled: 5-line block ×6, first 2 shown]
	v_mov_b32_e32 v80, v8
	v_mov_b32_e32 v81, v9
	;; [unrolled: 1-line block ×5, first 2 shown]
	ds_write2_b64 v74, v[80:81], v[82:83] offset0:30 offset1:31
	ds_write_b64 v74, v[68:69] offset:256
.LBB64_299:
	s_or_b64 exec, exec, s[0:1]
	v_cmp_lt_i32_e32 vcc, 17, v75
	s_waitcnt lgkmcnt(0)
	s_barrier
	s_and_saveexec_b64 s[0:1], vcc
	s_cbranch_execz .LBB64_301
; %bb.300:
	ds_read2_b64 v[80:83], v74 offset0:18 offset1:19
	ds_read2_b64 v[84:87], v74 offset0:20 offset1:21
	v_mul_f64 v[32:33], v[70:71], v[32:33]
	ds_read2_b64 v[88:91], v74 offset0:22 offset1:23
	ds_read_b64 v[70:71], v74 offset:256
	s_waitcnt lgkmcnt(0)
	v_fma_f64 v[30:31], -v[32:33], v[80:81], v[30:31]
	v_fma_f64 v[28:29], -v[32:33], v[82:83], v[28:29]
	ds_read2_b64 v[80:83], v74 offset0:24 offset1:25
	v_fma_f64 v[26:27], -v[32:33], v[84:85], v[26:27]
	v_fma_f64 v[24:25], -v[32:33], v[86:87], v[24:25]
	;; [unrolled: 1-line block ×3, first 2 shown]
	ds_read2_b64 v[84:87], v74 offset0:26 offset1:27
	v_fma_f64 v[20:21], -v[32:33], v[90:91], v[20:21]
	s_waitcnt lgkmcnt(0)
	v_fma_f64 v[18:19], -v[32:33], v[80:81], v[18:19]
	v_fma_f64 v[16:17], -v[32:33], v[82:83], v[16:17]
	ds_read2_b64 v[80:83], v74 offset0:28 offset1:29
	ds_read2_b64 v[88:91], v74 offset0:30 offset1:31
	v_fma_f64 v[14:15], -v[32:33], v[84:85], v[14:15]
	v_fma_f64 v[12:13], -v[32:33], v[86:87], v[12:13]
	;; [unrolled: 1-line block ×3, first 2 shown]
	s_waitcnt lgkmcnt(0)
	v_fma_f64 v[10:11], -v[32:33], v[80:81], v[10:11]
	v_fma_f64 v[6:7], -v[32:33], v[82:83], v[6:7]
	v_fma_f64 v[8:9], -v[32:33], v[88:89], v[8:9]
	v_fma_f64 v[0:1], -v[32:33], v[90:91], v[0:1]
.LBB64_301:
	s_or_b64 exec, exec, s[0:1]
	v_lshl_add_u32 v70, v75, 3, v74
	s_barrier
	ds_write_b64 v70, v[30:31]
	s_waitcnt lgkmcnt(0)
	s_barrier
	ds_read_b64 v[70:71], v74 offset:144
	s_cmp_lt_i32 s18, 20
	v_mov_b32_e32 v72, 18
	s_cbranch_scc1 .LBB64_304
; %bb.302:
	v_add_u32_e32 v79, 0x98, v74
	s_mov_b32 s0, 19
	v_mov_b32_e32 v72, 18
.LBB64_303:                             ; =>This Inner Loop Header: Depth=1
	ds_read_b64 v[80:81], v79
	v_mov_b32_e32 v82, s0
	s_add_i32 s0, s0, 1
	v_add_u32_e32 v79, 8, v79
	s_cmp_lg_u32 s18, s0
	s_waitcnt lgkmcnt(0)
	v_cmp_lt_f64_e64 vcc, |v[70:71]|, |v[80:81]|
	v_cndmask_b32_e32 v71, v71, v81, vcc
	v_cndmask_b32_e32 v70, v70, v80, vcc
	;; [unrolled: 1-line block ×3, first 2 shown]
	s_cbranch_scc1 .LBB64_303
.LBB64_304:
	s_waitcnt lgkmcnt(0)
	v_cmp_eq_f64_e32 vcc, 0, v[70:71]
	s_and_saveexec_b64 s[0:1], vcc
	s_xor_b64 s[0:1], exec, s[0:1]
; %bb.305:
	v_cmp_ne_u32_e32 vcc, 0, v78
	v_cndmask_b32_e32 v78, 19, v78, vcc
; %bb.306:
	s_andn2_saveexec_b64 s[0:1], s[0:1]
; %bb.307:
	v_div_scale_f64 v[80:81], s[2:3], v[70:71], v[70:71], 1.0
	v_rcp_f64_e32 v[82:83], v[80:81]
	v_div_scale_f64 v[84:85], vcc, 1.0, v[70:71], 1.0
	v_fma_f64 v[86:87], -v[80:81], v[82:83], 1.0
	v_fmac_f64_e32 v[82:83], v[82:83], v[86:87]
	v_fma_f64 v[86:87], -v[80:81], v[82:83], 1.0
	v_fmac_f64_e32 v[82:83], v[82:83], v[86:87]
	v_mul_f64 v[86:87], v[84:85], v[82:83]
	v_fma_f64 v[80:81], -v[80:81], v[86:87], v[84:85]
	v_div_fmas_f64 v[80:81], v[80:81], v[82:83], v[86:87]
	v_div_fixup_f64 v[70:71], v[80:81], v[70:71], 1.0
; %bb.308:
	s_or_b64 exec, exec, s[0:1]
	v_cmp_ne_u32_e32 vcc, v75, v72
	s_and_saveexec_b64 s[0:1], vcc
	s_xor_b64 s[0:1], exec, s[0:1]
	s_cbranch_execz .LBB64_314
; %bb.309:
	v_cmp_eq_u32_e32 vcc, 18, v75
	s_and_saveexec_b64 s[2:3], vcc
	s_cbranch_execz .LBB64_313
; %bb.310:
	v_cmp_ne_u32_e32 vcc, 18, v72
	s_xor_b64 s[14:15], s[6:7], -1
	s_and_b64 s[16:17], s[14:15], vcc
	s_and_saveexec_b64 s[14:15], s[16:17]
	s_cbranch_execz .LBB64_312
; %bb.311:
	v_ashrrev_i32_e32 v73, 31, v72
	v_lshlrev_b64 v[80:81], 2, v[72:73]
	v_add_co_u32_e32 v80, vcc, v4, v80
	v_addc_co_u32_e32 v81, vcc, v5, v81, vcc
	flat_load_dword v73, v[80:81]
	flat_load_dword v75, v[4:5] offset:72
	s_waitcnt vmcnt(0) lgkmcnt(0)
	flat_store_dword v[4:5], v73 offset:72
	flat_store_dword v[80:81], v75
.LBB64_312:
	s_or_b64 exec, exec, s[14:15]
	v_mov_b32_e32 v73, v72
	v_mov_b32_e32 v75, v72
.LBB64_313:
	s_or_b64 exec, exec, s[2:3]
.LBB64_314:
	s_andn2_saveexec_b64 s[0:1], s[0:1]
	s_cbranch_execz .LBB64_316
; %bb.315:
	v_mov_b32_e32 v75, 18
	ds_write2_b64 v74, v[28:29], v[26:27] offset0:19 offset1:20
	ds_write2_b64 v74, v[24:25], v[22:23] offset0:21 offset1:22
	;; [unrolled: 1-line block ×7, first 2 shown]
.LBB64_316:
	s_or_b64 exec, exec, s[0:1]
	v_cmp_lt_i32_e32 vcc, 18, v75
	s_waitcnt lgkmcnt(0)
	s_barrier
	s_and_saveexec_b64 s[0:1], vcc
	s_cbranch_execz .LBB64_318
; %bb.317:
	ds_read2_b64 v[80:83], v74 offset0:19 offset1:20
	ds_read2_b64 v[84:87], v74 offset0:21 offset1:22
	v_mul_f64 v[30:31], v[70:71], v[30:31]
	ds_read2_b64 v[88:91], v74 offset0:23 offset1:24
	s_waitcnt lgkmcnt(0)
	v_fma_f64 v[28:29], -v[30:31], v[80:81], v[28:29]
	v_fma_f64 v[26:27], -v[30:31], v[82:83], v[26:27]
	ds_read2_b64 v[80:83], v74 offset0:25 offset1:26
	v_fma_f64 v[24:25], -v[30:31], v[84:85], v[24:25]
	v_fma_f64 v[22:23], -v[30:31], v[86:87], v[22:23]
	;; [unrolled: 1-line block ×4, first 2 shown]
	ds_read2_b64 v[84:87], v74 offset0:27 offset1:28
	ds_read2_b64 v[88:91], v74 offset0:29 offset1:30
	s_waitcnt lgkmcnt(0)
	v_fma_f64 v[16:17], -v[30:31], v[80:81], v[16:17]
	v_fma_f64 v[14:15], -v[30:31], v[82:83], v[14:15]
	ds_read2_b64 v[80:83], v74 offset0:31 offset1:32
	v_fma_f64 v[12:13], -v[30:31], v[84:85], v[12:13]
	v_fma_f64 v[10:11], -v[30:31], v[86:87], v[10:11]
	;; [unrolled: 1-line block ×4, first 2 shown]
	s_waitcnt lgkmcnt(0)
	v_fma_f64 v[0:1], -v[30:31], v[80:81], v[0:1]
	v_fma_f64 v[68:69], -v[30:31], v[82:83], v[68:69]
.LBB64_318:
	s_or_b64 exec, exec, s[0:1]
	v_lshl_add_u32 v70, v75, 3, v74
	s_barrier
	ds_write_b64 v70, v[28:29]
	s_waitcnt lgkmcnt(0)
	s_barrier
	ds_read_b64 v[70:71], v74 offset:152
	s_cmp_lt_i32 s18, 21
	v_mov_b32_e32 v72, 19
	s_cbranch_scc1 .LBB64_321
; %bb.319:
	v_add_u32_e32 v79, 0xa0, v74
	s_mov_b32 s0, 20
	v_mov_b32_e32 v72, 19
.LBB64_320:                             ; =>This Inner Loop Header: Depth=1
	ds_read_b64 v[80:81], v79
	v_mov_b32_e32 v82, s0
	s_add_i32 s0, s0, 1
	v_add_u32_e32 v79, 8, v79
	s_cmp_lg_u32 s18, s0
	s_waitcnt lgkmcnt(0)
	v_cmp_lt_f64_e64 vcc, |v[70:71]|, |v[80:81]|
	v_cndmask_b32_e32 v71, v71, v81, vcc
	v_cndmask_b32_e32 v70, v70, v80, vcc
	;; [unrolled: 1-line block ×3, first 2 shown]
	s_cbranch_scc1 .LBB64_320
.LBB64_321:
	s_waitcnt lgkmcnt(0)
	v_cmp_eq_f64_e32 vcc, 0, v[70:71]
	s_and_saveexec_b64 s[0:1], vcc
	s_xor_b64 s[0:1], exec, s[0:1]
; %bb.322:
	v_cmp_ne_u32_e32 vcc, 0, v78
	v_cndmask_b32_e32 v78, 20, v78, vcc
; %bb.323:
	s_andn2_saveexec_b64 s[0:1], s[0:1]
; %bb.324:
	v_div_scale_f64 v[80:81], s[2:3], v[70:71], v[70:71], 1.0
	v_rcp_f64_e32 v[82:83], v[80:81]
	v_div_scale_f64 v[84:85], vcc, 1.0, v[70:71], 1.0
	v_fma_f64 v[86:87], -v[80:81], v[82:83], 1.0
	v_fmac_f64_e32 v[82:83], v[82:83], v[86:87]
	v_fma_f64 v[86:87], -v[80:81], v[82:83], 1.0
	v_fmac_f64_e32 v[82:83], v[82:83], v[86:87]
	v_mul_f64 v[86:87], v[84:85], v[82:83]
	v_fma_f64 v[80:81], -v[80:81], v[86:87], v[84:85]
	v_div_fmas_f64 v[80:81], v[80:81], v[82:83], v[86:87]
	v_div_fixup_f64 v[70:71], v[80:81], v[70:71], 1.0
; %bb.325:
	s_or_b64 exec, exec, s[0:1]
	v_cmp_ne_u32_e32 vcc, v75, v72
	s_and_saveexec_b64 s[0:1], vcc
	s_xor_b64 s[0:1], exec, s[0:1]
	s_cbranch_execz .LBB64_331
; %bb.326:
	v_cmp_eq_u32_e32 vcc, 19, v75
	s_and_saveexec_b64 s[2:3], vcc
	s_cbranch_execz .LBB64_330
; %bb.327:
	v_cmp_ne_u32_e32 vcc, 19, v72
	s_xor_b64 s[14:15], s[6:7], -1
	s_and_b64 s[16:17], s[14:15], vcc
	s_and_saveexec_b64 s[14:15], s[16:17]
	s_cbranch_execz .LBB64_329
; %bb.328:
	v_ashrrev_i32_e32 v73, 31, v72
	v_lshlrev_b64 v[80:81], 2, v[72:73]
	v_add_co_u32_e32 v80, vcc, v4, v80
	v_addc_co_u32_e32 v81, vcc, v5, v81, vcc
	flat_load_dword v73, v[80:81]
	flat_load_dword v75, v[4:5] offset:76
	s_waitcnt vmcnt(0) lgkmcnt(0)
	flat_store_dword v[4:5], v73 offset:76
	flat_store_dword v[80:81], v75
.LBB64_329:
	s_or_b64 exec, exec, s[14:15]
	v_mov_b32_e32 v73, v72
	v_mov_b32_e32 v75, v72
.LBB64_330:
	s_or_b64 exec, exec, s[2:3]
.LBB64_331:
	s_andn2_saveexec_b64 s[0:1], s[0:1]
	s_cbranch_execz .LBB64_333
; %bb.332:
	v_mov_b32_e32 v80, v26
	v_mov_b32_e32 v81, v27
	v_mov_b32_e32 v82, v24
	v_mov_b32_e32 v83, v25
	ds_write2_b64 v74, v[80:81], v[82:83] offset0:20 offset1:21
	v_mov_b32_e32 v80, v22
	v_mov_b32_e32 v81, v23
	v_mov_b32_e32 v82, v20
	v_mov_b32_e32 v83, v21
	ds_write2_b64 v74, v[80:81], v[82:83] offset0:22 offset1:23
	;; [unrolled: 5-line block ×5, first 2 shown]
	v_mov_b32_e32 v80, v8
	v_mov_b32_e32 v81, v9
	;; [unrolled: 1-line block ×5, first 2 shown]
	ds_write2_b64 v74, v[80:81], v[82:83] offset0:30 offset1:31
	ds_write_b64 v74, v[68:69] offset:256
.LBB64_333:
	s_or_b64 exec, exec, s[0:1]
	v_cmp_lt_i32_e32 vcc, 19, v75
	s_waitcnt lgkmcnt(0)
	s_barrier
	s_and_saveexec_b64 s[0:1], vcc
	s_cbranch_execz .LBB64_335
; %bb.334:
	ds_read2_b64 v[80:83], v74 offset0:20 offset1:21
	ds_read2_b64 v[84:87], v74 offset0:22 offset1:23
	;; [unrolled: 1-line block ×3, first 2 shown]
	v_mul_f64 v[28:29], v[70:71], v[28:29]
	ds_read_b64 v[70:71], v74 offset:256
	s_waitcnt lgkmcnt(0)
	v_fma_f64 v[26:27], -v[28:29], v[80:81], v[26:27]
	v_fma_f64 v[24:25], -v[28:29], v[82:83], v[24:25]
	ds_read2_b64 v[80:83], v74 offset0:26 offset1:27
	v_fma_f64 v[22:23], -v[28:29], v[84:85], v[22:23]
	v_fma_f64 v[20:21], -v[28:29], v[86:87], v[20:21]
	;; [unrolled: 1-line block ×4, first 2 shown]
	ds_read2_b64 v[84:87], v74 offset0:28 offset1:29
	ds_read2_b64 v[88:91], v74 offset0:30 offset1:31
	s_waitcnt lgkmcnt(0)
	v_fma_f64 v[14:15], -v[28:29], v[80:81], v[14:15]
	v_fma_f64 v[12:13], -v[28:29], v[82:83], v[12:13]
	;; [unrolled: 1-line block ×7, first 2 shown]
.LBB64_335:
	s_or_b64 exec, exec, s[0:1]
	v_lshl_add_u32 v70, v75, 3, v74
	s_barrier
	ds_write_b64 v70, v[26:27]
	s_waitcnt lgkmcnt(0)
	s_barrier
	ds_read_b64 v[70:71], v74 offset:160
	s_cmp_lt_i32 s18, 22
	v_mov_b32_e32 v72, 20
	s_cbranch_scc1 .LBB64_338
; %bb.336:
	v_add_u32_e32 v79, 0xa8, v74
	s_mov_b32 s0, 21
	v_mov_b32_e32 v72, 20
.LBB64_337:                             ; =>This Inner Loop Header: Depth=1
	ds_read_b64 v[80:81], v79
	v_mov_b32_e32 v82, s0
	s_add_i32 s0, s0, 1
	v_add_u32_e32 v79, 8, v79
	s_cmp_lg_u32 s18, s0
	s_waitcnt lgkmcnt(0)
	v_cmp_lt_f64_e64 vcc, |v[70:71]|, |v[80:81]|
	v_cndmask_b32_e32 v71, v71, v81, vcc
	v_cndmask_b32_e32 v70, v70, v80, vcc
	;; [unrolled: 1-line block ×3, first 2 shown]
	s_cbranch_scc1 .LBB64_337
.LBB64_338:
	s_waitcnt lgkmcnt(0)
	v_cmp_eq_f64_e32 vcc, 0, v[70:71]
	s_and_saveexec_b64 s[0:1], vcc
	s_xor_b64 s[0:1], exec, s[0:1]
; %bb.339:
	v_cmp_ne_u32_e32 vcc, 0, v78
	v_cndmask_b32_e32 v78, 21, v78, vcc
; %bb.340:
	s_andn2_saveexec_b64 s[0:1], s[0:1]
; %bb.341:
	v_div_scale_f64 v[80:81], s[2:3], v[70:71], v[70:71], 1.0
	v_rcp_f64_e32 v[82:83], v[80:81]
	v_div_scale_f64 v[84:85], vcc, 1.0, v[70:71], 1.0
	v_fma_f64 v[86:87], -v[80:81], v[82:83], 1.0
	v_fmac_f64_e32 v[82:83], v[82:83], v[86:87]
	v_fma_f64 v[86:87], -v[80:81], v[82:83], 1.0
	v_fmac_f64_e32 v[82:83], v[82:83], v[86:87]
	v_mul_f64 v[86:87], v[84:85], v[82:83]
	v_fma_f64 v[80:81], -v[80:81], v[86:87], v[84:85]
	v_div_fmas_f64 v[80:81], v[80:81], v[82:83], v[86:87]
	v_div_fixup_f64 v[70:71], v[80:81], v[70:71], 1.0
; %bb.342:
	s_or_b64 exec, exec, s[0:1]
	v_cmp_ne_u32_e32 vcc, v75, v72
	s_and_saveexec_b64 s[0:1], vcc
	s_xor_b64 s[0:1], exec, s[0:1]
	s_cbranch_execz .LBB64_348
; %bb.343:
	v_cmp_eq_u32_e32 vcc, 20, v75
	s_and_saveexec_b64 s[2:3], vcc
	s_cbranch_execz .LBB64_347
; %bb.344:
	v_cmp_ne_u32_e32 vcc, 20, v72
	s_xor_b64 s[14:15], s[6:7], -1
	s_and_b64 s[16:17], s[14:15], vcc
	s_and_saveexec_b64 s[14:15], s[16:17]
	s_cbranch_execz .LBB64_346
; %bb.345:
	v_ashrrev_i32_e32 v73, 31, v72
	v_lshlrev_b64 v[80:81], 2, v[72:73]
	v_add_co_u32_e32 v80, vcc, v4, v80
	v_addc_co_u32_e32 v81, vcc, v5, v81, vcc
	flat_load_dword v73, v[80:81]
	flat_load_dword v75, v[4:5] offset:80
	s_waitcnt vmcnt(0) lgkmcnt(0)
	flat_store_dword v[4:5], v73 offset:80
	flat_store_dword v[80:81], v75
.LBB64_346:
	s_or_b64 exec, exec, s[14:15]
	v_mov_b32_e32 v73, v72
	v_mov_b32_e32 v75, v72
.LBB64_347:
	s_or_b64 exec, exec, s[2:3]
.LBB64_348:
	s_andn2_saveexec_b64 s[0:1], s[0:1]
	s_cbranch_execz .LBB64_350
; %bb.349:
	v_mov_b32_e32 v75, 20
	ds_write2_b64 v74, v[24:25], v[22:23] offset0:21 offset1:22
	ds_write2_b64 v74, v[20:21], v[18:19] offset0:23 offset1:24
	;; [unrolled: 1-line block ×6, first 2 shown]
.LBB64_350:
	s_or_b64 exec, exec, s[0:1]
	v_cmp_lt_i32_e32 vcc, 20, v75
	s_waitcnt lgkmcnt(0)
	s_barrier
	s_and_saveexec_b64 s[0:1], vcc
	s_cbranch_execz .LBB64_352
; %bb.351:
	ds_read2_b64 v[80:83], v74 offset0:21 offset1:22
	ds_read2_b64 v[84:87], v74 offset0:23 offset1:24
	;; [unrolled: 1-line block ×3, first 2 shown]
	v_mul_f64 v[26:27], v[70:71], v[26:27]
	s_waitcnt lgkmcnt(0)
	v_fma_f64 v[24:25], -v[26:27], v[80:81], v[24:25]
	v_fma_f64 v[22:23], -v[26:27], v[82:83], v[22:23]
	ds_read2_b64 v[80:83], v74 offset0:27 offset1:28
	v_fma_f64 v[20:21], -v[26:27], v[84:85], v[20:21]
	v_fma_f64 v[18:19], -v[26:27], v[86:87], v[18:19]
	;; [unrolled: 1-line block ×3, first 2 shown]
	ds_read2_b64 v[84:87], v74 offset0:29 offset1:30
	v_fma_f64 v[14:15], -v[26:27], v[90:91], v[14:15]
	ds_read2_b64 v[88:91], v74 offset0:31 offset1:32
	s_waitcnt lgkmcnt(0)
	v_fma_f64 v[12:13], -v[26:27], v[80:81], v[12:13]
	v_fma_f64 v[10:11], -v[26:27], v[82:83], v[10:11]
	;; [unrolled: 1-line block ×6, first 2 shown]
.LBB64_352:
	s_or_b64 exec, exec, s[0:1]
	v_lshl_add_u32 v70, v75, 3, v74
	s_barrier
	ds_write_b64 v70, v[24:25]
	s_waitcnt lgkmcnt(0)
	s_barrier
	ds_read_b64 v[70:71], v74 offset:168
	s_cmp_lt_i32 s18, 23
	v_mov_b32_e32 v72, 21
	s_cbranch_scc1 .LBB64_355
; %bb.353:
	v_add_u32_e32 v79, 0xb0, v74
	s_mov_b32 s0, 22
	v_mov_b32_e32 v72, 21
.LBB64_354:                             ; =>This Inner Loop Header: Depth=1
	ds_read_b64 v[80:81], v79
	v_mov_b32_e32 v82, s0
	s_add_i32 s0, s0, 1
	v_add_u32_e32 v79, 8, v79
	s_cmp_lg_u32 s18, s0
	s_waitcnt lgkmcnt(0)
	v_cmp_lt_f64_e64 vcc, |v[70:71]|, |v[80:81]|
	v_cndmask_b32_e32 v71, v71, v81, vcc
	v_cndmask_b32_e32 v70, v70, v80, vcc
	;; [unrolled: 1-line block ×3, first 2 shown]
	s_cbranch_scc1 .LBB64_354
.LBB64_355:
	s_waitcnt lgkmcnt(0)
	v_cmp_eq_f64_e32 vcc, 0, v[70:71]
	s_and_saveexec_b64 s[0:1], vcc
	s_xor_b64 s[0:1], exec, s[0:1]
; %bb.356:
	v_cmp_ne_u32_e32 vcc, 0, v78
	v_cndmask_b32_e32 v78, 22, v78, vcc
; %bb.357:
	s_andn2_saveexec_b64 s[0:1], s[0:1]
; %bb.358:
	v_div_scale_f64 v[80:81], s[2:3], v[70:71], v[70:71], 1.0
	v_rcp_f64_e32 v[82:83], v[80:81]
	v_div_scale_f64 v[84:85], vcc, 1.0, v[70:71], 1.0
	v_fma_f64 v[86:87], -v[80:81], v[82:83], 1.0
	v_fmac_f64_e32 v[82:83], v[82:83], v[86:87]
	v_fma_f64 v[86:87], -v[80:81], v[82:83], 1.0
	v_fmac_f64_e32 v[82:83], v[82:83], v[86:87]
	v_mul_f64 v[86:87], v[84:85], v[82:83]
	v_fma_f64 v[80:81], -v[80:81], v[86:87], v[84:85]
	v_div_fmas_f64 v[80:81], v[80:81], v[82:83], v[86:87]
	v_div_fixup_f64 v[70:71], v[80:81], v[70:71], 1.0
; %bb.359:
	s_or_b64 exec, exec, s[0:1]
	v_cmp_ne_u32_e32 vcc, v75, v72
	s_and_saveexec_b64 s[0:1], vcc
	s_xor_b64 s[0:1], exec, s[0:1]
	s_cbranch_execz .LBB64_365
; %bb.360:
	v_cmp_eq_u32_e32 vcc, 21, v75
	s_and_saveexec_b64 s[2:3], vcc
	s_cbranch_execz .LBB64_364
; %bb.361:
	v_cmp_ne_u32_e32 vcc, 21, v72
	s_xor_b64 s[14:15], s[6:7], -1
	s_and_b64 s[16:17], s[14:15], vcc
	s_and_saveexec_b64 s[14:15], s[16:17]
	s_cbranch_execz .LBB64_363
; %bb.362:
	v_ashrrev_i32_e32 v73, 31, v72
	v_lshlrev_b64 v[80:81], 2, v[72:73]
	v_add_co_u32_e32 v80, vcc, v4, v80
	v_addc_co_u32_e32 v81, vcc, v5, v81, vcc
	flat_load_dword v73, v[80:81]
	flat_load_dword v75, v[4:5] offset:84
	s_waitcnt vmcnt(0) lgkmcnt(0)
	flat_store_dword v[4:5], v73 offset:84
	flat_store_dword v[80:81], v75
.LBB64_363:
	s_or_b64 exec, exec, s[14:15]
	v_mov_b32_e32 v73, v72
	v_mov_b32_e32 v75, v72
.LBB64_364:
	s_or_b64 exec, exec, s[2:3]
.LBB64_365:
	s_andn2_saveexec_b64 s[0:1], s[0:1]
	s_cbranch_execz .LBB64_367
; %bb.366:
	v_mov_b32_e32 v80, v22
	v_mov_b32_e32 v81, v23
	v_mov_b32_e32 v82, v20
	v_mov_b32_e32 v83, v21
	ds_write2_b64 v74, v[80:81], v[82:83] offset0:22 offset1:23
	v_mov_b32_e32 v80, v18
	v_mov_b32_e32 v81, v19
	v_mov_b32_e32 v82, v16
	v_mov_b32_e32 v83, v17
	ds_write2_b64 v74, v[80:81], v[82:83] offset0:24 offset1:25
	;; [unrolled: 5-line block ×4, first 2 shown]
	v_mov_b32_e32 v80, v8
	v_mov_b32_e32 v81, v9
	;; [unrolled: 1-line block ×5, first 2 shown]
	ds_write2_b64 v74, v[80:81], v[82:83] offset0:30 offset1:31
	ds_write_b64 v74, v[68:69] offset:256
.LBB64_367:
	s_or_b64 exec, exec, s[0:1]
	v_cmp_lt_i32_e32 vcc, 21, v75
	s_waitcnt lgkmcnt(0)
	s_barrier
	s_and_saveexec_b64 s[0:1], vcc
	s_cbranch_execz .LBB64_369
; %bb.368:
	ds_read2_b64 v[80:83], v74 offset0:22 offset1:23
	ds_read2_b64 v[84:87], v74 offset0:24 offset1:25
	v_mul_f64 v[24:25], v[70:71], v[24:25]
	ds_read2_b64 v[88:91], v74 offset0:26 offset1:27
	ds_read_b64 v[70:71], v74 offset:256
	s_waitcnt lgkmcnt(0)
	v_fma_f64 v[22:23], -v[24:25], v[80:81], v[22:23]
	v_fma_f64 v[20:21], -v[24:25], v[82:83], v[20:21]
	ds_read2_b64 v[80:83], v74 offset0:28 offset1:29
	v_fma_f64 v[18:19], -v[24:25], v[84:85], v[18:19]
	v_fma_f64 v[16:17], -v[24:25], v[86:87], v[16:17]
	ds_read2_b64 v[84:87], v74 offset0:30 offset1:31
	v_fma_f64 v[14:15], -v[24:25], v[88:89], v[14:15]
	v_fma_f64 v[12:13], -v[24:25], v[90:91], v[12:13]
	s_waitcnt lgkmcnt(0)
	v_fma_f64 v[10:11], -v[24:25], v[80:81], v[10:11]
	v_fma_f64 v[6:7], -v[24:25], v[82:83], v[6:7]
	;; [unrolled: 1-line block ×5, first 2 shown]
.LBB64_369:
	s_or_b64 exec, exec, s[0:1]
	v_lshl_add_u32 v70, v75, 3, v74
	s_barrier
	ds_write_b64 v70, v[22:23]
	s_waitcnt lgkmcnt(0)
	s_barrier
	ds_read_b64 v[70:71], v74 offset:176
	s_cmp_lt_i32 s18, 24
	v_mov_b32_e32 v72, 22
	s_cbranch_scc1 .LBB64_372
; %bb.370:
	v_add_u32_e32 v79, 0xb8, v74
	s_mov_b32 s0, 23
	v_mov_b32_e32 v72, 22
.LBB64_371:                             ; =>This Inner Loop Header: Depth=1
	ds_read_b64 v[80:81], v79
	v_mov_b32_e32 v82, s0
	s_add_i32 s0, s0, 1
	v_add_u32_e32 v79, 8, v79
	s_cmp_lg_u32 s18, s0
	s_waitcnt lgkmcnt(0)
	v_cmp_lt_f64_e64 vcc, |v[70:71]|, |v[80:81]|
	v_cndmask_b32_e32 v71, v71, v81, vcc
	v_cndmask_b32_e32 v70, v70, v80, vcc
	;; [unrolled: 1-line block ×3, first 2 shown]
	s_cbranch_scc1 .LBB64_371
.LBB64_372:
	s_waitcnt lgkmcnt(0)
	v_cmp_eq_f64_e32 vcc, 0, v[70:71]
	s_and_saveexec_b64 s[0:1], vcc
	s_xor_b64 s[0:1], exec, s[0:1]
; %bb.373:
	v_cmp_ne_u32_e32 vcc, 0, v78
	v_cndmask_b32_e32 v78, 23, v78, vcc
; %bb.374:
	s_andn2_saveexec_b64 s[0:1], s[0:1]
; %bb.375:
	v_div_scale_f64 v[80:81], s[2:3], v[70:71], v[70:71], 1.0
	v_rcp_f64_e32 v[82:83], v[80:81]
	v_div_scale_f64 v[84:85], vcc, 1.0, v[70:71], 1.0
	v_fma_f64 v[86:87], -v[80:81], v[82:83], 1.0
	v_fmac_f64_e32 v[82:83], v[82:83], v[86:87]
	v_fma_f64 v[86:87], -v[80:81], v[82:83], 1.0
	v_fmac_f64_e32 v[82:83], v[82:83], v[86:87]
	v_mul_f64 v[86:87], v[84:85], v[82:83]
	v_fma_f64 v[80:81], -v[80:81], v[86:87], v[84:85]
	v_div_fmas_f64 v[80:81], v[80:81], v[82:83], v[86:87]
	v_div_fixup_f64 v[70:71], v[80:81], v[70:71], 1.0
; %bb.376:
	s_or_b64 exec, exec, s[0:1]
	v_cmp_ne_u32_e32 vcc, v75, v72
	s_and_saveexec_b64 s[0:1], vcc
	s_xor_b64 s[0:1], exec, s[0:1]
	s_cbranch_execz .LBB64_382
; %bb.377:
	v_cmp_eq_u32_e32 vcc, 22, v75
	s_and_saveexec_b64 s[2:3], vcc
	s_cbranch_execz .LBB64_381
; %bb.378:
	v_cmp_ne_u32_e32 vcc, 22, v72
	s_xor_b64 s[14:15], s[6:7], -1
	s_and_b64 s[16:17], s[14:15], vcc
	s_and_saveexec_b64 s[14:15], s[16:17]
	s_cbranch_execz .LBB64_380
; %bb.379:
	v_ashrrev_i32_e32 v73, 31, v72
	v_lshlrev_b64 v[80:81], 2, v[72:73]
	v_add_co_u32_e32 v80, vcc, v4, v80
	v_addc_co_u32_e32 v81, vcc, v5, v81, vcc
	flat_load_dword v73, v[80:81]
	flat_load_dword v75, v[4:5] offset:88
	s_waitcnt vmcnt(0) lgkmcnt(0)
	flat_store_dword v[4:5], v73 offset:88
	flat_store_dword v[80:81], v75
.LBB64_380:
	s_or_b64 exec, exec, s[14:15]
	v_mov_b32_e32 v73, v72
	v_mov_b32_e32 v75, v72
.LBB64_381:
	s_or_b64 exec, exec, s[2:3]
.LBB64_382:
	s_andn2_saveexec_b64 s[0:1], s[0:1]
	s_cbranch_execz .LBB64_384
; %bb.383:
	v_mov_b32_e32 v75, 22
	ds_write2_b64 v74, v[20:21], v[18:19] offset0:23 offset1:24
	ds_write2_b64 v74, v[16:17], v[14:15] offset0:25 offset1:26
	;; [unrolled: 1-line block ×5, first 2 shown]
.LBB64_384:
	s_or_b64 exec, exec, s[0:1]
	v_cmp_lt_i32_e32 vcc, 22, v75
	s_waitcnt lgkmcnt(0)
	s_barrier
	s_and_saveexec_b64 s[0:1], vcc
	s_cbranch_execz .LBB64_386
; %bb.385:
	ds_read2_b64 v[80:83], v74 offset0:23 offset1:24
	ds_read2_b64 v[84:87], v74 offset0:25 offset1:26
	v_mul_f64 v[22:23], v[70:71], v[22:23]
	ds_read2_b64 v[88:91], v74 offset0:29 offset1:30
	s_waitcnt lgkmcnt(0)
	v_fma_f64 v[20:21], -v[22:23], v[80:81], v[20:21]
	v_fma_f64 v[18:19], -v[22:23], v[82:83], v[18:19]
	ds_read2_b64 v[80:83], v74 offset0:27 offset1:28
	v_fma_f64 v[16:17], -v[22:23], v[84:85], v[16:17]
	v_fma_f64 v[14:15], -v[22:23], v[86:87], v[14:15]
	ds_read2_b64 v[84:87], v74 offset0:31 offset1:32
	v_fma_f64 v[6:7], -v[22:23], v[88:89], v[6:7]
	s_waitcnt lgkmcnt(0)
	v_fma_f64 v[12:13], -v[22:23], v[80:81], v[12:13]
	v_fma_f64 v[10:11], -v[22:23], v[82:83], v[10:11]
	;; [unrolled: 1-line block ×5, first 2 shown]
.LBB64_386:
	s_or_b64 exec, exec, s[0:1]
	v_lshl_add_u32 v70, v75, 3, v74
	s_barrier
	ds_write_b64 v70, v[20:21]
	s_waitcnt lgkmcnt(0)
	s_barrier
	ds_read_b64 v[70:71], v74 offset:184
	s_cmp_lt_i32 s18, 25
	v_mov_b32_e32 v72, 23
	s_cbranch_scc1 .LBB64_389
; %bb.387:
	v_add_u32_e32 v79, 0xc0, v74
	s_mov_b32 s0, 24
	v_mov_b32_e32 v72, 23
.LBB64_388:                             ; =>This Inner Loop Header: Depth=1
	ds_read_b64 v[80:81], v79
	v_mov_b32_e32 v82, s0
	s_add_i32 s0, s0, 1
	v_add_u32_e32 v79, 8, v79
	s_cmp_lg_u32 s18, s0
	s_waitcnt lgkmcnt(0)
	v_cmp_lt_f64_e64 vcc, |v[70:71]|, |v[80:81]|
	v_cndmask_b32_e32 v71, v71, v81, vcc
	v_cndmask_b32_e32 v70, v70, v80, vcc
	;; [unrolled: 1-line block ×3, first 2 shown]
	s_cbranch_scc1 .LBB64_388
.LBB64_389:
	s_waitcnt lgkmcnt(0)
	v_cmp_eq_f64_e32 vcc, 0, v[70:71]
	s_and_saveexec_b64 s[0:1], vcc
	s_xor_b64 s[0:1], exec, s[0:1]
; %bb.390:
	v_cmp_ne_u32_e32 vcc, 0, v78
	v_cndmask_b32_e32 v78, 24, v78, vcc
; %bb.391:
	s_andn2_saveexec_b64 s[0:1], s[0:1]
; %bb.392:
	v_div_scale_f64 v[80:81], s[2:3], v[70:71], v[70:71], 1.0
	v_rcp_f64_e32 v[82:83], v[80:81]
	v_div_scale_f64 v[84:85], vcc, 1.0, v[70:71], 1.0
	v_fma_f64 v[86:87], -v[80:81], v[82:83], 1.0
	v_fmac_f64_e32 v[82:83], v[82:83], v[86:87]
	v_fma_f64 v[86:87], -v[80:81], v[82:83], 1.0
	v_fmac_f64_e32 v[82:83], v[82:83], v[86:87]
	v_mul_f64 v[86:87], v[84:85], v[82:83]
	v_fma_f64 v[80:81], -v[80:81], v[86:87], v[84:85]
	v_div_fmas_f64 v[80:81], v[80:81], v[82:83], v[86:87]
	v_div_fixup_f64 v[70:71], v[80:81], v[70:71], 1.0
; %bb.393:
	s_or_b64 exec, exec, s[0:1]
	v_cmp_ne_u32_e32 vcc, v75, v72
	s_and_saveexec_b64 s[0:1], vcc
	s_xor_b64 s[0:1], exec, s[0:1]
	s_cbranch_execz .LBB64_399
; %bb.394:
	v_cmp_eq_u32_e32 vcc, 23, v75
	s_and_saveexec_b64 s[2:3], vcc
	s_cbranch_execz .LBB64_398
; %bb.395:
	v_cmp_ne_u32_e32 vcc, 23, v72
	s_xor_b64 s[14:15], s[6:7], -1
	s_and_b64 s[16:17], s[14:15], vcc
	s_and_saveexec_b64 s[14:15], s[16:17]
	s_cbranch_execz .LBB64_397
; %bb.396:
	v_ashrrev_i32_e32 v73, 31, v72
	v_lshlrev_b64 v[80:81], 2, v[72:73]
	v_add_co_u32_e32 v80, vcc, v4, v80
	v_addc_co_u32_e32 v81, vcc, v5, v81, vcc
	flat_load_dword v73, v[80:81]
	flat_load_dword v75, v[4:5] offset:92
	s_waitcnt vmcnt(0) lgkmcnt(0)
	flat_store_dword v[4:5], v73 offset:92
	flat_store_dword v[80:81], v75
.LBB64_397:
	s_or_b64 exec, exec, s[14:15]
	v_mov_b32_e32 v73, v72
	v_mov_b32_e32 v75, v72
.LBB64_398:
	s_or_b64 exec, exec, s[2:3]
.LBB64_399:
	s_andn2_saveexec_b64 s[0:1], s[0:1]
	s_cbranch_execz .LBB64_401
; %bb.400:
	v_mov_b32_e32 v80, v18
	v_mov_b32_e32 v81, v19
	v_mov_b32_e32 v82, v16
	v_mov_b32_e32 v83, v17
	ds_write2_b64 v74, v[80:81], v[82:83] offset0:24 offset1:25
	v_mov_b32_e32 v80, v14
	v_mov_b32_e32 v81, v15
	v_mov_b32_e32 v82, v12
	v_mov_b32_e32 v83, v13
	ds_write2_b64 v74, v[80:81], v[82:83] offset0:26 offset1:27
	;; [unrolled: 5-line block ×3, first 2 shown]
	v_mov_b32_e32 v80, v8
	v_mov_b32_e32 v81, v9
	;; [unrolled: 1-line block ×5, first 2 shown]
	ds_write2_b64 v74, v[80:81], v[82:83] offset0:30 offset1:31
	ds_write_b64 v74, v[68:69] offset:256
.LBB64_401:
	s_or_b64 exec, exec, s[0:1]
	v_cmp_lt_i32_e32 vcc, 23, v75
	s_waitcnt lgkmcnt(0)
	s_barrier
	s_and_saveexec_b64 s[0:1], vcc
	s_cbranch_execz .LBB64_403
; %bb.402:
	ds_read2_b64 v[80:83], v74 offset0:24 offset1:25
	ds_read2_b64 v[84:87], v74 offset0:26 offset1:27
	v_mul_f64 v[20:21], v[70:71], v[20:21]
	ds_read_b64 v[70:71], v74 offset:256
	ds_read2_b64 v[88:91], v74 offset0:30 offset1:31
	s_waitcnt lgkmcnt(0)
	v_fma_f64 v[18:19], -v[20:21], v[80:81], v[18:19]
	v_fma_f64 v[16:17], -v[20:21], v[82:83], v[16:17]
	ds_read2_b64 v[80:83], v74 offset0:28 offset1:29
	v_fma_f64 v[14:15], -v[20:21], v[84:85], v[14:15]
	v_fma_f64 v[12:13], -v[20:21], v[86:87], v[12:13]
	;; [unrolled: 1-line block ×4, first 2 shown]
	s_waitcnt lgkmcnt(0)
	v_fma_f64 v[10:11], -v[20:21], v[80:81], v[10:11]
	v_fma_f64 v[6:7], -v[20:21], v[82:83], v[6:7]
	;; [unrolled: 1-line block ×3, first 2 shown]
.LBB64_403:
	s_or_b64 exec, exec, s[0:1]
	v_lshl_add_u32 v70, v75, 3, v74
	s_barrier
	ds_write_b64 v70, v[18:19]
	s_waitcnt lgkmcnt(0)
	s_barrier
	ds_read_b64 v[70:71], v74 offset:192
	s_cmp_lt_i32 s18, 26
	v_mov_b32_e32 v72, 24
	s_cbranch_scc1 .LBB64_406
; %bb.404:
	v_add_u32_e32 v79, 0xc8, v74
	s_mov_b32 s0, 25
	v_mov_b32_e32 v72, 24
.LBB64_405:                             ; =>This Inner Loop Header: Depth=1
	ds_read_b64 v[80:81], v79
	v_mov_b32_e32 v82, s0
	s_add_i32 s0, s0, 1
	v_add_u32_e32 v79, 8, v79
	s_cmp_lg_u32 s18, s0
	s_waitcnt lgkmcnt(0)
	v_cmp_lt_f64_e64 vcc, |v[70:71]|, |v[80:81]|
	v_cndmask_b32_e32 v71, v71, v81, vcc
	v_cndmask_b32_e32 v70, v70, v80, vcc
	;; [unrolled: 1-line block ×3, first 2 shown]
	s_cbranch_scc1 .LBB64_405
.LBB64_406:
	s_waitcnt lgkmcnt(0)
	v_cmp_eq_f64_e32 vcc, 0, v[70:71]
	s_and_saveexec_b64 s[0:1], vcc
	s_xor_b64 s[0:1], exec, s[0:1]
; %bb.407:
	v_cmp_ne_u32_e32 vcc, 0, v78
	v_cndmask_b32_e32 v78, 25, v78, vcc
; %bb.408:
	s_andn2_saveexec_b64 s[0:1], s[0:1]
; %bb.409:
	v_div_scale_f64 v[80:81], s[2:3], v[70:71], v[70:71], 1.0
	v_rcp_f64_e32 v[82:83], v[80:81]
	v_div_scale_f64 v[84:85], vcc, 1.0, v[70:71], 1.0
	v_fma_f64 v[86:87], -v[80:81], v[82:83], 1.0
	v_fmac_f64_e32 v[82:83], v[82:83], v[86:87]
	v_fma_f64 v[86:87], -v[80:81], v[82:83], 1.0
	v_fmac_f64_e32 v[82:83], v[82:83], v[86:87]
	v_mul_f64 v[86:87], v[84:85], v[82:83]
	v_fma_f64 v[80:81], -v[80:81], v[86:87], v[84:85]
	v_div_fmas_f64 v[80:81], v[80:81], v[82:83], v[86:87]
	v_div_fixup_f64 v[70:71], v[80:81], v[70:71], 1.0
; %bb.410:
	s_or_b64 exec, exec, s[0:1]
	v_cmp_ne_u32_e32 vcc, v75, v72
	s_and_saveexec_b64 s[0:1], vcc
	s_xor_b64 s[0:1], exec, s[0:1]
	s_cbranch_execz .LBB64_416
; %bb.411:
	v_cmp_eq_u32_e32 vcc, 24, v75
	s_and_saveexec_b64 s[2:3], vcc
	s_cbranch_execz .LBB64_415
; %bb.412:
	v_cmp_ne_u32_e32 vcc, 24, v72
	s_xor_b64 s[14:15], s[6:7], -1
	s_and_b64 s[16:17], s[14:15], vcc
	s_and_saveexec_b64 s[14:15], s[16:17]
	s_cbranch_execz .LBB64_414
; %bb.413:
	v_ashrrev_i32_e32 v73, 31, v72
	v_lshlrev_b64 v[80:81], 2, v[72:73]
	v_add_co_u32_e32 v80, vcc, v4, v80
	v_addc_co_u32_e32 v81, vcc, v5, v81, vcc
	flat_load_dword v73, v[80:81]
	flat_load_dword v75, v[4:5] offset:96
	s_waitcnt vmcnt(0) lgkmcnt(0)
	flat_store_dword v[4:5], v73 offset:96
	flat_store_dword v[80:81], v75
.LBB64_414:
	s_or_b64 exec, exec, s[14:15]
	v_mov_b32_e32 v73, v72
	v_mov_b32_e32 v75, v72
.LBB64_415:
	s_or_b64 exec, exec, s[2:3]
.LBB64_416:
	s_andn2_saveexec_b64 s[0:1], s[0:1]
	s_cbranch_execz .LBB64_418
; %bb.417:
	v_mov_b32_e32 v75, 24
	ds_write2_b64 v74, v[16:17], v[14:15] offset0:25 offset1:26
	ds_write2_b64 v74, v[12:13], v[10:11] offset0:27 offset1:28
	;; [unrolled: 1-line block ×4, first 2 shown]
.LBB64_418:
	s_or_b64 exec, exec, s[0:1]
	v_cmp_lt_i32_e32 vcc, 24, v75
	s_waitcnt lgkmcnt(0)
	s_barrier
	s_and_saveexec_b64 s[0:1], vcc
	s_cbranch_execz .LBB64_420
; %bb.419:
	ds_read2_b64 v[80:83], v74 offset0:25 offset1:26
	ds_read2_b64 v[84:87], v74 offset0:27 offset1:28
	v_mul_f64 v[18:19], v[70:71], v[18:19]
	ds_read2_b64 v[88:91], v74 offset0:29 offset1:30
	s_waitcnt lgkmcnt(0)
	v_fma_f64 v[16:17], -v[18:19], v[80:81], v[16:17]
	v_fma_f64 v[14:15], -v[18:19], v[82:83], v[14:15]
	ds_read2_b64 v[80:83], v74 offset0:31 offset1:32
	v_fma_f64 v[12:13], -v[18:19], v[84:85], v[12:13]
	v_fma_f64 v[10:11], -v[18:19], v[86:87], v[10:11]
	;; [unrolled: 1-line block ×4, first 2 shown]
	s_waitcnt lgkmcnt(0)
	v_fma_f64 v[0:1], -v[18:19], v[80:81], v[0:1]
	v_fma_f64 v[68:69], -v[18:19], v[82:83], v[68:69]
.LBB64_420:
	s_or_b64 exec, exec, s[0:1]
	v_lshl_add_u32 v70, v75, 3, v74
	s_barrier
	ds_write_b64 v70, v[16:17]
	s_waitcnt lgkmcnt(0)
	s_barrier
	ds_read_b64 v[70:71], v74 offset:200
	s_cmp_lt_i32 s18, 27
	v_mov_b32_e32 v72, 25
	s_cbranch_scc1 .LBB64_423
; %bb.421:
	v_add_u32_e32 v79, 0xd0, v74
	s_mov_b32 s0, 26
	v_mov_b32_e32 v72, 25
.LBB64_422:                             ; =>This Inner Loop Header: Depth=1
	ds_read_b64 v[80:81], v79
	v_mov_b32_e32 v82, s0
	s_add_i32 s0, s0, 1
	v_add_u32_e32 v79, 8, v79
	s_cmp_lg_u32 s18, s0
	s_waitcnt lgkmcnt(0)
	v_cmp_lt_f64_e64 vcc, |v[70:71]|, |v[80:81]|
	v_cndmask_b32_e32 v71, v71, v81, vcc
	v_cndmask_b32_e32 v70, v70, v80, vcc
	;; [unrolled: 1-line block ×3, first 2 shown]
	s_cbranch_scc1 .LBB64_422
.LBB64_423:
	s_waitcnt lgkmcnt(0)
	v_cmp_eq_f64_e32 vcc, 0, v[70:71]
	s_and_saveexec_b64 s[0:1], vcc
	s_xor_b64 s[0:1], exec, s[0:1]
; %bb.424:
	v_cmp_ne_u32_e32 vcc, 0, v78
	v_cndmask_b32_e32 v78, 26, v78, vcc
; %bb.425:
	s_andn2_saveexec_b64 s[0:1], s[0:1]
; %bb.426:
	v_div_scale_f64 v[80:81], s[2:3], v[70:71], v[70:71], 1.0
	v_rcp_f64_e32 v[82:83], v[80:81]
	v_div_scale_f64 v[84:85], vcc, 1.0, v[70:71], 1.0
	v_fma_f64 v[86:87], -v[80:81], v[82:83], 1.0
	v_fmac_f64_e32 v[82:83], v[82:83], v[86:87]
	v_fma_f64 v[86:87], -v[80:81], v[82:83], 1.0
	v_fmac_f64_e32 v[82:83], v[82:83], v[86:87]
	v_mul_f64 v[86:87], v[84:85], v[82:83]
	v_fma_f64 v[80:81], -v[80:81], v[86:87], v[84:85]
	v_div_fmas_f64 v[80:81], v[80:81], v[82:83], v[86:87]
	v_div_fixup_f64 v[70:71], v[80:81], v[70:71], 1.0
; %bb.427:
	s_or_b64 exec, exec, s[0:1]
	v_cmp_ne_u32_e32 vcc, v75, v72
	s_and_saveexec_b64 s[0:1], vcc
	s_xor_b64 s[0:1], exec, s[0:1]
	s_cbranch_execz .LBB64_433
; %bb.428:
	v_cmp_eq_u32_e32 vcc, 25, v75
	s_and_saveexec_b64 s[2:3], vcc
	s_cbranch_execz .LBB64_432
; %bb.429:
	v_cmp_ne_u32_e32 vcc, 25, v72
	s_xor_b64 s[14:15], s[6:7], -1
	s_and_b64 s[16:17], s[14:15], vcc
	s_and_saveexec_b64 s[14:15], s[16:17]
	s_cbranch_execz .LBB64_431
; %bb.430:
	v_ashrrev_i32_e32 v73, 31, v72
	v_lshlrev_b64 v[80:81], 2, v[72:73]
	v_add_co_u32_e32 v80, vcc, v4, v80
	v_addc_co_u32_e32 v81, vcc, v5, v81, vcc
	flat_load_dword v73, v[80:81]
	flat_load_dword v75, v[4:5] offset:100
	s_waitcnt vmcnt(0) lgkmcnt(0)
	flat_store_dword v[4:5], v73 offset:100
	flat_store_dword v[80:81], v75
.LBB64_431:
	s_or_b64 exec, exec, s[14:15]
	v_mov_b32_e32 v73, v72
	v_mov_b32_e32 v75, v72
.LBB64_432:
	s_or_b64 exec, exec, s[2:3]
.LBB64_433:
	s_andn2_saveexec_b64 s[0:1], s[0:1]
	s_cbranch_execz .LBB64_435
; %bb.434:
	v_mov_b32_e32 v80, v14
	v_mov_b32_e32 v81, v15
	;; [unrolled: 1-line block ×4, first 2 shown]
	ds_write2_b64 v74, v[80:81], v[82:83] offset0:26 offset1:27
	v_mov_b32_e32 v80, v10
	v_mov_b32_e32 v81, v11
	;; [unrolled: 1-line block ×4, first 2 shown]
	ds_write2_b64 v74, v[80:81], v[82:83] offset0:28 offset1:29
	v_mov_b32_e32 v80, v8
	v_mov_b32_e32 v81, v9
	;; [unrolled: 1-line block ×5, first 2 shown]
	ds_write2_b64 v74, v[80:81], v[82:83] offset0:30 offset1:31
	ds_write_b64 v74, v[68:69] offset:256
.LBB64_435:
	s_or_b64 exec, exec, s[0:1]
	v_cmp_lt_i32_e32 vcc, 25, v75
	s_waitcnt lgkmcnt(0)
	s_barrier
	s_and_saveexec_b64 s[0:1], vcc
	s_cbranch_execz .LBB64_437
; %bb.436:
	ds_read2_b64 v[80:83], v74 offset0:26 offset1:27
	ds_read2_b64 v[84:87], v74 offset0:28 offset1:29
	v_mul_f64 v[16:17], v[70:71], v[16:17]
	ds_read2_b64 v[88:91], v74 offset0:30 offset1:31
	ds_read_b64 v[70:71], v74 offset:256
	s_waitcnt lgkmcnt(0)
	v_fma_f64 v[14:15], -v[16:17], v[80:81], v[14:15]
	v_fma_f64 v[12:13], -v[16:17], v[82:83], v[12:13]
	;; [unrolled: 1-line block ×7, first 2 shown]
.LBB64_437:
	s_or_b64 exec, exec, s[0:1]
	v_lshl_add_u32 v70, v75, 3, v74
	s_barrier
	ds_write_b64 v70, v[14:15]
	s_waitcnt lgkmcnt(0)
	s_barrier
	ds_read_b64 v[70:71], v74 offset:208
	s_cmp_lt_i32 s18, 28
	v_mov_b32_e32 v72, 26
	s_cbranch_scc1 .LBB64_440
; %bb.438:
	v_add_u32_e32 v79, 0xd8, v74
	s_mov_b32 s0, 27
	v_mov_b32_e32 v72, 26
.LBB64_439:                             ; =>This Inner Loop Header: Depth=1
	ds_read_b64 v[80:81], v79
	v_mov_b32_e32 v82, s0
	s_add_i32 s0, s0, 1
	v_add_u32_e32 v79, 8, v79
	s_cmp_lg_u32 s18, s0
	s_waitcnt lgkmcnt(0)
	v_cmp_lt_f64_e64 vcc, |v[70:71]|, |v[80:81]|
	v_cndmask_b32_e32 v71, v71, v81, vcc
	v_cndmask_b32_e32 v70, v70, v80, vcc
	;; [unrolled: 1-line block ×3, first 2 shown]
	s_cbranch_scc1 .LBB64_439
.LBB64_440:
	s_waitcnt lgkmcnt(0)
	v_cmp_eq_f64_e32 vcc, 0, v[70:71]
	s_and_saveexec_b64 s[0:1], vcc
	s_xor_b64 s[0:1], exec, s[0:1]
; %bb.441:
	v_cmp_ne_u32_e32 vcc, 0, v78
	v_cndmask_b32_e32 v78, 27, v78, vcc
; %bb.442:
	s_andn2_saveexec_b64 s[0:1], s[0:1]
; %bb.443:
	v_div_scale_f64 v[80:81], s[2:3], v[70:71], v[70:71], 1.0
	v_rcp_f64_e32 v[82:83], v[80:81]
	v_div_scale_f64 v[84:85], vcc, 1.0, v[70:71], 1.0
	v_fma_f64 v[86:87], -v[80:81], v[82:83], 1.0
	v_fmac_f64_e32 v[82:83], v[82:83], v[86:87]
	v_fma_f64 v[86:87], -v[80:81], v[82:83], 1.0
	v_fmac_f64_e32 v[82:83], v[82:83], v[86:87]
	v_mul_f64 v[86:87], v[84:85], v[82:83]
	v_fma_f64 v[80:81], -v[80:81], v[86:87], v[84:85]
	v_div_fmas_f64 v[80:81], v[80:81], v[82:83], v[86:87]
	v_div_fixup_f64 v[70:71], v[80:81], v[70:71], 1.0
; %bb.444:
	s_or_b64 exec, exec, s[0:1]
	v_cmp_ne_u32_e32 vcc, v75, v72
	s_and_saveexec_b64 s[0:1], vcc
	s_xor_b64 s[0:1], exec, s[0:1]
	s_cbranch_execz .LBB64_450
; %bb.445:
	v_cmp_eq_u32_e32 vcc, 26, v75
	s_and_saveexec_b64 s[2:3], vcc
	s_cbranch_execz .LBB64_449
; %bb.446:
	v_cmp_ne_u32_e32 vcc, 26, v72
	s_xor_b64 s[14:15], s[6:7], -1
	s_and_b64 s[16:17], s[14:15], vcc
	s_and_saveexec_b64 s[14:15], s[16:17]
	s_cbranch_execz .LBB64_448
; %bb.447:
	v_ashrrev_i32_e32 v73, 31, v72
	v_lshlrev_b64 v[80:81], 2, v[72:73]
	v_add_co_u32_e32 v80, vcc, v4, v80
	v_addc_co_u32_e32 v81, vcc, v5, v81, vcc
	flat_load_dword v73, v[80:81]
	flat_load_dword v75, v[4:5] offset:104
	s_waitcnt vmcnt(0) lgkmcnt(0)
	flat_store_dword v[4:5], v73 offset:104
	flat_store_dword v[80:81], v75
.LBB64_448:
	s_or_b64 exec, exec, s[14:15]
	v_mov_b32_e32 v73, v72
	v_mov_b32_e32 v75, v72
.LBB64_449:
	s_or_b64 exec, exec, s[2:3]
.LBB64_450:
	s_andn2_saveexec_b64 s[0:1], s[0:1]
	s_cbranch_execz .LBB64_452
; %bb.451:
	v_mov_b32_e32 v75, 26
	ds_write2_b64 v74, v[12:13], v[10:11] offset0:27 offset1:28
	ds_write2_b64 v74, v[6:7], v[8:9] offset0:29 offset1:30
	;; [unrolled: 1-line block ×3, first 2 shown]
.LBB64_452:
	s_or_b64 exec, exec, s[0:1]
	v_cmp_lt_i32_e32 vcc, 26, v75
	s_waitcnt lgkmcnt(0)
	s_barrier
	s_and_saveexec_b64 s[0:1], vcc
	s_cbranch_execz .LBB64_454
; %bb.453:
	ds_read2_b64 v[80:83], v74 offset0:27 offset1:28
	ds_read2_b64 v[84:87], v74 offset0:29 offset1:30
	;; [unrolled: 1-line block ×3, first 2 shown]
	v_mul_f64 v[14:15], v[70:71], v[14:15]
	s_waitcnt lgkmcnt(0)
	v_fma_f64 v[12:13], -v[14:15], v[80:81], v[12:13]
	v_fma_f64 v[10:11], -v[14:15], v[82:83], v[10:11]
	;; [unrolled: 1-line block ×6, first 2 shown]
.LBB64_454:
	s_or_b64 exec, exec, s[0:1]
	v_lshl_add_u32 v70, v75, 3, v74
	s_barrier
	ds_write_b64 v70, v[12:13]
	s_waitcnt lgkmcnt(0)
	s_barrier
	ds_read_b64 v[70:71], v74 offset:216
	s_cmp_lt_i32 s18, 29
	v_mov_b32_e32 v72, 27
	s_cbranch_scc1 .LBB64_457
; %bb.455:
	v_add_u32_e32 v79, 0xe0, v74
	s_mov_b32 s0, 28
	v_mov_b32_e32 v72, 27
.LBB64_456:                             ; =>This Inner Loop Header: Depth=1
	ds_read_b64 v[80:81], v79
	v_mov_b32_e32 v82, s0
	s_add_i32 s0, s0, 1
	v_add_u32_e32 v79, 8, v79
	s_cmp_lg_u32 s18, s0
	s_waitcnt lgkmcnt(0)
	v_cmp_lt_f64_e64 vcc, |v[70:71]|, |v[80:81]|
	v_cndmask_b32_e32 v71, v71, v81, vcc
	v_cndmask_b32_e32 v70, v70, v80, vcc
	;; [unrolled: 1-line block ×3, first 2 shown]
	s_cbranch_scc1 .LBB64_456
.LBB64_457:
	s_waitcnt lgkmcnt(0)
	v_cmp_eq_f64_e32 vcc, 0, v[70:71]
	s_and_saveexec_b64 s[0:1], vcc
	s_xor_b64 s[0:1], exec, s[0:1]
; %bb.458:
	v_cmp_ne_u32_e32 vcc, 0, v78
	v_cndmask_b32_e32 v78, 28, v78, vcc
; %bb.459:
	s_andn2_saveexec_b64 s[0:1], s[0:1]
; %bb.460:
	v_div_scale_f64 v[80:81], s[2:3], v[70:71], v[70:71], 1.0
	v_rcp_f64_e32 v[82:83], v[80:81]
	v_div_scale_f64 v[84:85], vcc, 1.0, v[70:71], 1.0
	v_fma_f64 v[86:87], -v[80:81], v[82:83], 1.0
	v_fmac_f64_e32 v[82:83], v[82:83], v[86:87]
	v_fma_f64 v[86:87], -v[80:81], v[82:83], 1.0
	v_fmac_f64_e32 v[82:83], v[82:83], v[86:87]
	v_mul_f64 v[86:87], v[84:85], v[82:83]
	v_fma_f64 v[80:81], -v[80:81], v[86:87], v[84:85]
	v_div_fmas_f64 v[80:81], v[80:81], v[82:83], v[86:87]
	v_div_fixup_f64 v[70:71], v[80:81], v[70:71], 1.0
; %bb.461:
	s_or_b64 exec, exec, s[0:1]
	v_cmp_ne_u32_e32 vcc, v75, v72
	s_and_saveexec_b64 s[0:1], vcc
	s_xor_b64 s[0:1], exec, s[0:1]
	s_cbranch_execz .LBB64_467
; %bb.462:
	v_cmp_eq_u32_e32 vcc, 27, v75
	s_and_saveexec_b64 s[2:3], vcc
	s_cbranch_execz .LBB64_466
; %bb.463:
	v_cmp_ne_u32_e32 vcc, 27, v72
	s_xor_b64 s[14:15], s[6:7], -1
	s_and_b64 s[16:17], s[14:15], vcc
	s_and_saveexec_b64 s[14:15], s[16:17]
	s_cbranch_execz .LBB64_465
; %bb.464:
	v_ashrrev_i32_e32 v73, 31, v72
	v_lshlrev_b64 v[80:81], 2, v[72:73]
	v_add_co_u32_e32 v80, vcc, v4, v80
	v_addc_co_u32_e32 v81, vcc, v5, v81, vcc
	flat_load_dword v73, v[80:81]
	flat_load_dword v75, v[4:5] offset:108
	s_waitcnt vmcnt(0) lgkmcnt(0)
	flat_store_dword v[4:5], v73 offset:108
	flat_store_dword v[80:81], v75
.LBB64_465:
	s_or_b64 exec, exec, s[14:15]
	v_mov_b32_e32 v73, v72
	v_mov_b32_e32 v75, v72
.LBB64_466:
	s_or_b64 exec, exec, s[2:3]
.LBB64_467:
	s_andn2_saveexec_b64 s[0:1], s[0:1]
	s_cbranch_execz .LBB64_469
; %bb.468:
	v_mov_b32_e32 v80, v10
	v_mov_b32_e32 v81, v11
	;; [unrolled: 1-line block ×4, first 2 shown]
	ds_write2_b64 v74, v[80:81], v[82:83] offset0:28 offset1:29
	v_mov_b32_e32 v80, v8
	v_mov_b32_e32 v81, v9
	;; [unrolled: 1-line block ×5, first 2 shown]
	ds_write2_b64 v74, v[80:81], v[82:83] offset0:30 offset1:31
	ds_write_b64 v74, v[68:69] offset:256
.LBB64_469:
	s_or_b64 exec, exec, s[0:1]
	v_cmp_lt_i32_e32 vcc, 27, v75
	s_waitcnt lgkmcnt(0)
	s_barrier
	s_and_saveexec_b64 s[0:1], vcc
	s_cbranch_execz .LBB64_471
; %bb.470:
	ds_read2_b64 v[80:83], v74 offset0:28 offset1:29
	ds_read2_b64 v[84:87], v74 offset0:30 offset1:31
	v_mul_f64 v[12:13], v[70:71], v[12:13]
	ds_read_b64 v[70:71], v74 offset:256
	s_waitcnt lgkmcnt(0)
	v_fma_f64 v[10:11], -v[12:13], v[80:81], v[10:11]
	v_fma_f64 v[6:7], -v[12:13], v[82:83], v[6:7]
	;; [unrolled: 1-line block ×5, first 2 shown]
.LBB64_471:
	s_or_b64 exec, exec, s[0:1]
	v_lshl_add_u32 v70, v75, 3, v74
	s_barrier
	ds_write_b64 v70, v[10:11]
	s_waitcnt lgkmcnt(0)
	s_barrier
	ds_read_b64 v[70:71], v74 offset:224
	s_cmp_lt_i32 s18, 30
	v_mov_b32_e32 v72, 28
	s_cbranch_scc1 .LBB64_474
; %bb.472:
	v_add_u32_e32 v79, 0xe8, v74
	s_mov_b32 s0, 29
	v_mov_b32_e32 v72, 28
.LBB64_473:                             ; =>This Inner Loop Header: Depth=1
	ds_read_b64 v[80:81], v79
	v_mov_b32_e32 v82, s0
	s_add_i32 s0, s0, 1
	v_add_u32_e32 v79, 8, v79
	s_cmp_lg_u32 s18, s0
	s_waitcnt lgkmcnt(0)
	v_cmp_lt_f64_e64 vcc, |v[70:71]|, |v[80:81]|
	v_cndmask_b32_e32 v71, v71, v81, vcc
	v_cndmask_b32_e32 v70, v70, v80, vcc
	;; [unrolled: 1-line block ×3, first 2 shown]
	s_cbranch_scc1 .LBB64_473
.LBB64_474:
	s_waitcnt lgkmcnt(0)
	v_cmp_eq_f64_e32 vcc, 0, v[70:71]
	s_and_saveexec_b64 s[0:1], vcc
	s_xor_b64 s[0:1], exec, s[0:1]
; %bb.475:
	v_cmp_ne_u32_e32 vcc, 0, v78
	v_cndmask_b32_e32 v78, 29, v78, vcc
; %bb.476:
	s_andn2_saveexec_b64 s[0:1], s[0:1]
; %bb.477:
	v_div_scale_f64 v[80:81], s[2:3], v[70:71], v[70:71], 1.0
	v_rcp_f64_e32 v[82:83], v[80:81]
	v_div_scale_f64 v[84:85], vcc, 1.0, v[70:71], 1.0
	v_fma_f64 v[86:87], -v[80:81], v[82:83], 1.0
	v_fmac_f64_e32 v[82:83], v[82:83], v[86:87]
	v_fma_f64 v[86:87], -v[80:81], v[82:83], 1.0
	v_fmac_f64_e32 v[82:83], v[82:83], v[86:87]
	v_mul_f64 v[86:87], v[84:85], v[82:83]
	v_fma_f64 v[80:81], -v[80:81], v[86:87], v[84:85]
	v_div_fmas_f64 v[80:81], v[80:81], v[82:83], v[86:87]
	v_div_fixup_f64 v[70:71], v[80:81], v[70:71], 1.0
; %bb.478:
	s_or_b64 exec, exec, s[0:1]
	v_cmp_ne_u32_e32 vcc, v75, v72
	s_and_saveexec_b64 s[0:1], vcc
	s_xor_b64 s[0:1], exec, s[0:1]
	s_cbranch_execz .LBB64_484
; %bb.479:
	v_cmp_eq_u32_e32 vcc, 28, v75
	s_and_saveexec_b64 s[2:3], vcc
	s_cbranch_execz .LBB64_483
; %bb.480:
	v_cmp_ne_u32_e32 vcc, 28, v72
	s_xor_b64 s[14:15], s[6:7], -1
	s_and_b64 s[16:17], s[14:15], vcc
	s_and_saveexec_b64 s[14:15], s[16:17]
	s_cbranch_execz .LBB64_482
; %bb.481:
	v_ashrrev_i32_e32 v73, 31, v72
	v_lshlrev_b64 v[80:81], 2, v[72:73]
	v_add_co_u32_e32 v80, vcc, v4, v80
	v_addc_co_u32_e32 v81, vcc, v5, v81, vcc
	flat_load_dword v73, v[80:81]
	flat_load_dword v75, v[4:5] offset:112
	s_waitcnt vmcnt(0) lgkmcnt(0)
	flat_store_dword v[4:5], v73 offset:112
	flat_store_dword v[80:81], v75
.LBB64_482:
	s_or_b64 exec, exec, s[14:15]
	v_mov_b32_e32 v73, v72
	v_mov_b32_e32 v75, v72
.LBB64_483:
	s_or_b64 exec, exec, s[2:3]
.LBB64_484:
	s_andn2_saveexec_b64 s[0:1], s[0:1]
	s_cbranch_execz .LBB64_486
; %bb.485:
	v_mov_b32_e32 v75, 28
	ds_write2_b64 v74, v[6:7], v[8:9] offset0:29 offset1:30
	ds_write2_b64 v74, v[0:1], v[68:69] offset0:31 offset1:32
.LBB64_486:
	s_or_b64 exec, exec, s[0:1]
	v_cmp_lt_i32_e32 vcc, 28, v75
	s_waitcnt lgkmcnt(0)
	s_barrier
	s_and_saveexec_b64 s[0:1], vcc
	s_cbranch_execz .LBB64_488
; %bb.487:
	ds_read2_b64 v[80:83], v74 offset0:29 offset1:30
	ds_read2_b64 v[84:87], v74 offset0:31 offset1:32
	v_mul_f64 v[10:11], v[70:71], v[10:11]
	s_waitcnt lgkmcnt(0)
	v_fma_f64 v[6:7], -v[10:11], v[80:81], v[6:7]
	v_fma_f64 v[8:9], -v[10:11], v[82:83], v[8:9]
	;; [unrolled: 1-line block ×4, first 2 shown]
.LBB64_488:
	s_or_b64 exec, exec, s[0:1]
	v_lshl_add_u32 v70, v75, 3, v74
	s_barrier
	ds_write_b64 v70, v[6:7]
	s_waitcnt lgkmcnt(0)
	s_barrier
	ds_read_b64 v[70:71], v74 offset:232
	s_cmp_lt_i32 s18, 31
	v_mov_b32_e32 v72, 29
	s_cbranch_scc1 .LBB64_491
; %bb.489:
	v_add_u32_e32 v79, 0xf0, v74
	s_mov_b32 s0, 30
	v_mov_b32_e32 v72, 29
.LBB64_490:                             ; =>This Inner Loop Header: Depth=1
	ds_read_b64 v[80:81], v79
	v_mov_b32_e32 v82, s0
	s_add_i32 s0, s0, 1
	v_add_u32_e32 v79, 8, v79
	s_cmp_lg_u32 s18, s0
	s_waitcnt lgkmcnt(0)
	v_cmp_lt_f64_e64 vcc, |v[70:71]|, |v[80:81]|
	v_cndmask_b32_e32 v71, v71, v81, vcc
	v_cndmask_b32_e32 v70, v70, v80, vcc
	;; [unrolled: 1-line block ×3, first 2 shown]
	s_cbranch_scc1 .LBB64_490
.LBB64_491:
	s_waitcnt lgkmcnt(0)
	v_cmp_eq_f64_e32 vcc, 0, v[70:71]
	s_and_saveexec_b64 s[0:1], vcc
	s_xor_b64 s[0:1], exec, s[0:1]
; %bb.492:
	v_cmp_ne_u32_e32 vcc, 0, v78
	v_cndmask_b32_e32 v78, 30, v78, vcc
; %bb.493:
	s_andn2_saveexec_b64 s[0:1], s[0:1]
; %bb.494:
	v_div_scale_f64 v[80:81], s[2:3], v[70:71], v[70:71], 1.0
	v_rcp_f64_e32 v[82:83], v[80:81]
	v_div_scale_f64 v[84:85], vcc, 1.0, v[70:71], 1.0
	v_fma_f64 v[86:87], -v[80:81], v[82:83], 1.0
	v_fmac_f64_e32 v[82:83], v[82:83], v[86:87]
	v_fma_f64 v[86:87], -v[80:81], v[82:83], 1.0
	v_fmac_f64_e32 v[82:83], v[82:83], v[86:87]
	v_mul_f64 v[86:87], v[84:85], v[82:83]
	v_fma_f64 v[80:81], -v[80:81], v[86:87], v[84:85]
	v_div_fmas_f64 v[80:81], v[80:81], v[82:83], v[86:87]
	v_div_fixup_f64 v[70:71], v[80:81], v[70:71], 1.0
; %bb.495:
	s_or_b64 exec, exec, s[0:1]
	v_cmp_ne_u32_e32 vcc, v75, v72
	s_and_saveexec_b64 s[0:1], vcc
	s_xor_b64 s[0:1], exec, s[0:1]
	s_cbranch_execz .LBB64_501
; %bb.496:
	v_cmp_eq_u32_e32 vcc, 29, v75
	s_and_saveexec_b64 s[2:3], vcc
	s_cbranch_execz .LBB64_500
; %bb.497:
	v_cmp_ne_u32_e32 vcc, 29, v72
	s_xor_b64 s[14:15], s[6:7], -1
	s_and_b64 s[16:17], s[14:15], vcc
	s_and_saveexec_b64 s[14:15], s[16:17]
	s_cbranch_execz .LBB64_499
; %bb.498:
	v_ashrrev_i32_e32 v73, 31, v72
	v_lshlrev_b64 v[80:81], 2, v[72:73]
	v_add_co_u32_e32 v80, vcc, v4, v80
	v_addc_co_u32_e32 v81, vcc, v5, v81, vcc
	flat_load_dword v73, v[80:81]
	flat_load_dword v75, v[4:5] offset:116
	s_waitcnt vmcnt(0) lgkmcnt(0)
	flat_store_dword v[4:5], v73 offset:116
	flat_store_dword v[80:81], v75
.LBB64_499:
	s_or_b64 exec, exec, s[14:15]
	v_mov_b32_e32 v73, v72
	v_mov_b32_e32 v75, v72
.LBB64_500:
	s_or_b64 exec, exec, s[2:3]
.LBB64_501:
	s_andn2_saveexec_b64 s[0:1], s[0:1]
	s_cbranch_execz .LBB64_503
; %bb.502:
	v_mov_b32_e32 v80, v8
	v_mov_b32_e32 v81, v9
	;; [unrolled: 1-line block ×5, first 2 shown]
	ds_write2_b64 v74, v[80:81], v[82:83] offset0:30 offset1:31
	ds_write_b64 v74, v[68:69] offset:256
.LBB64_503:
	s_or_b64 exec, exec, s[0:1]
	v_cmp_lt_i32_e32 vcc, 29, v75
	s_waitcnt lgkmcnt(0)
	s_barrier
	s_and_saveexec_b64 s[0:1], vcc
	s_cbranch_execz .LBB64_505
; %bb.504:
	ds_read2_b64 v[80:83], v74 offset0:30 offset1:31
	ds_read_b64 v[84:85], v74 offset:256
	v_mul_f64 v[6:7], v[70:71], v[6:7]
	s_waitcnt lgkmcnt(0)
	v_fma_f64 v[8:9], -v[6:7], v[80:81], v[8:9]
	v_fma_f64 v[0:1], -v[6:7], v[82:83], v[0:1]
	;; [unrolled: 1-line block ×3, first 2 shown]
.LBB64_505:
	s_or_b64 exec, exec, s[0:1]
	v_lshl_add_u32 v70, v75, 3, v74
	s_barrier
	ds_write_b64 v70, v[8:9]
	s_waitcnt lgkmcnt(0)
	s_barrier
	ds_read_b64 v[70:71], v74 offset:240
	s_cmp_lt_i32 s18, 32
	v_mov_b32_e32 v72, 30
	s_cbranch_scc1 .LBB64_508
; %bb.506:
	v_add_u32_e32 v79, 0xf8, v74
	s_mov_b32 s0, 31
	v_mov_b32_e32 v72, 30
.LBB64_507:                             ; =>This Inner Loop Header: Depth=1
	ds_read_b64 v[80:81], v79
	v_mov_b32_e32 v82, s0
	s_add_i32 s0, s0, 1
	v_add_u32_e32 v79, 8, v79
	s_cmp_lg_u32 s18, s0
	s_waitcnt lgkmcnt(0)
	v_cmp_lt_f64_e64 vcc, |v[70:71]|, |v[80:81]|
	v_cndmask_b32_e32 v71, v71, v81, vcc
	v_cndmask_b32_e32 v70, v70, v80, vcc
	;; [unrolled: 1-line block ×3, first 2 shown]
	s_cbranch_scc1 .LBB64_507
.LBB64_508:
	s_waitcnt lgkmcnt(0)
	v_cmp_eq_f64_e32 vcc, 0, v[70:71]
	s_and_saveexec_b64 s[0:1], vcc
	s_xor_b64 s[0:1], exec, s[0:1]
; %bb.509:
	v_cmp_ne_u32_e32 vcc, 0, v78
	v_cndmask_b32_e32 v78, 31, v78, vcc
; %bb.510:
	s_andn2_saveexec_b64 s[0:1], s[0:1]
; %bb.511:
	v_div_scale_f64 v[80:81], s[2:3], v[70:71], v[70:71], 1.0
	v_rcp_f64_e32 v[82:83], v[80:81]
	v_div_scale_f64 v[84:85], vcc, 1.0, v[70:71], 1.0
	v_fma_f64 v[86:87], -v[80:81], v[82:83], 1.0
	v_fmac_f64_e32 v[82:83], v[82:83], v[86:87]
	v_fma_f64 v[86:87], -v[80:81], v[82:83], 1.0
	v_fmac_f64_e32 v[82:83], v[82:83], v[86:87]
	v_mul_f64 v[86:87], v[84:85], v[82:83]
	v_fma_f64 v[80:81], -v[80:81], v[86:87], v[84:85]
	v_div_fmas_f64 v[80:81], v[80:81], v[82:83], v[86:87]
	v_div_fixup_f64 v[70:71], v[80:81], v[70:71], 1.0
; %bb.512:
	s_or_b64 exec, exec, s[0:1]
	v_cmp_ne_u32_e32 vcc, v75, v72
	s_and_saveexec_b64 s[0:1], vcc
	s_xor_b64 s[0:1], exec, s[0:1]
	s_cbranch_execz .LBB64_518
; %bb.513:
	v_cmp_eq_u32_e32 vcc, 30, v75
	s_and_saveexec_b64 s[2:3], vcc
	s_cbranch_execz .LBB64_517
; %bb.514:
	v_cmp_ne_u32_e32 vcc, 30, v72
	s_xor_b64 s[14:15], s[6:7], -1
	s_and_b64 s[16:17], s[14:15], vcc
	s_and_saveexec_b64 s[14:15], s[16:17]
	s_cbranch_execz .LBB64_516
; %bb.515:
	v_ashrrev_i32_e32 v73, 31, v72
	v_lshlrev_b64 v[80:81], 2, v[72:73]
	v_add_co_u32_e32 v80, vcc, v4, v80
	v_addc_co_u32_e32 v81, vcc, v5, v81, vcc
	flat_load_dword v73, v[80:81]
	flat_load_dword v75, v[4:5] offset:120
	s_waitcnt vmcnt(0) lgkmcnt(0)
	flat_store_dword v[4:5], v73 offset:120
	flat_store_dword v[80:81], v75
.LBB64_516:
	s_or_b64 exec, exec, s[14:15]
	v_mov_b32_e32 v73, v72
	v_mov_b32_e32 v75, v72
.LBB64_517:
	s_or_b64 exec, exec, s[2:3]
.LBB64_518:
	s_andn2_saveexec_b64 s[0:1], s[0:1]
	s_cbranch_execz .LBB64_520
; %bb.519:
	v_mov_b32_e32 v75, 30
	ds_write2_b64 v74, v[0:1], v[68:69] offset0:31 offset1:32
.LBB64_520:
	s_or_b64 exec, exec, s[0:1]
	v_cmp_lt_i32_e32 vcc, 30, v75
	s_waitcnt lgkmcnt(0)
	s_barrier
	s_and_saveexec_b64 s[0:1], vcc
	s_cbranch_execz .LBB64_522
; %bb.521:
	ds_read2_b64 v[80:83], v74 offset0:31 offset1:32
	v_mul_f64 v[8:9], v[70:71], v[8:9]
	s_waitcnt lgkmcnt(0)
	v_fma_f64 v[0:1], -v[8:9], v[80:81], v[0:1]
	v_fma_f64 v[68:69], -v[8:9], v[82:83], v[68:69]
.LBB64_522:
	s_or_b64 exec, exec, s[0:1]
	v_lshl_add_u32 v70, v75, 3, v74
	s_barrier
	ds_write_b64 v70, v[0:1]
	s_waitcnt lgkmcnt(0)
	s_barrier
	ds_read_b64 v[70:71], v74 offset:248
	s_cmp_lt_i32 s18, 33
	v_mov_b32_e32 v72, 31
	s_cbranch_scc1 .LBB64_525
; %bb.523:
	v_add_u32_e32 v79, 0x100, v74
	s_mov_b32 s0, 32
	v_mov_b32_e32 v72, 31
.LBB64_524:                             ; =>This Inner Loop Header: Depth=1
	ds_read_b64 v[80:81], v79
	v_mov_b32_e32 v82, s0
	s_add_i32 s0, s0, 1
	v_add_u32_e32 v79, 8, v79
	s_cmp_lg_u32 s18, s0
	s_waitcnt lgkmcnt(0)
	v_cmp_lt_f64_e64 vcc, |v[70:71]|, |v[80:81]|
	v_cndmask_b32_e32 v71, v71, v81, vcc
	v_cndmask_b32_e32 v70, v70, v80, vcc
	v_cndmask_b32_e32 v72, v72, v82, vcc
	s_cbranch_scc1 .LBB64_524
.LBB64_525:
	s_waitcnt lgkmcnt(0)
	v_cmp_eq_f64_e32 vcc, 0, v[70:71]
	s_and_saveexec_b64 s[0:1], vcc
	s_xor_b64 s[0:1], exec, s[0:1]
; %bb.526:
	v_cmp_ne_u32_e32 vcc, 0, v78
	v_cndmask_b32_e32 v78, 32, v78, vcc
; %bb.527:
	s_andn2_saveexec_b64 s[0:1], s[0:1]
; %bb.528:
	v_div_scale_f64 v[80:81], s[2:3], v[70:71], v[70:71], 1.0
	v_rcp_f64_e32 v[82:83], v[80:81]
	v_div_scale_f64 v[84:85], vcc, 1.0, v[70:71], 1.0
	v_fma_f64 v[86:87], -v[80:81], v[82:83], 1.0
	v_fmac_f64_e32 v[82:83], v[82:83], v[86:87]
	v_fma_f64 v[86:87], -v[80:81], v[82:83], 1.0
	v_fmac_f64_e32 v[82:83], v[82:83], v[86:87]
	v_mul_f64 v[86:87], v[84:85], v[82:83]
	v_fma_f64 v[80:81], -v[80:81], v[86:87], v[84:85]
	v_div_fmas_f64 v[80:81], v[80:81], v[82:83], v[86:87]
	v_div_fixup_f64 v[70:71], v[80:81], v[70:71], 1.0
; %bb.529:
	s_or_b64 exec, exec, s[0:1]
	v_cmp_ne_u32_e32 vcc, v75, v72
	s_and_saveexec_b64 s[0:1], vcc
	s_xor_b64 s[0:1], exec, s[0:1]
	s_cbranch_execz .LBB64_535
; %bb.530:
	v_cmp_eq_u32_e32 vcc, 31, v75
	s_and_saveexec_b64 s[2:3], vcc
	s_cbranch_execz .LBB64_534
; %bb.531:
	v_cmp_ne_u32_e32 vcc, 31, v72
	s_xor_b64 s[14:15], s[6:7], -1
	s_and_b64 s[16:17], s[14:15], vcc
	s_and_saveexec_b64 s[14:15], s[16:17]
	s_cbranch_execz .LBB64_533
; %bb.532:
	v_ashrrev_i32_e32 v73, 31, v72
	v_lshlrev_b64 v[80:81], 2, v[72:73]
	v_add_co_u32_e32 v80, vcc, v4, v80
	v_addc_co_u32_e32 v81, vcc, v5, v81, vcc
	flat_load_dword v73, v[80:81]
	flat_load_dword v75, v[4:5] offset:124
	s_waitcnt vmcnt(0) lgkmcnt(0)
	flat_store_dword v[4:5], v73 offset:124
	flat_store_dword v[80:81], v75
.LBB64_533:
	s_or_b64 exec, exec, s[14:15]
	v_mov_b32_e32 v73, v72
	v_mov_b32_e32 v75, v72
.LBB64_534:
	s_or_b64 exec, exec, s[2:3]
.LBB64_535:
	s_andn2_saveexec_b64 s[0:1], s[0:1]
	s_cbranch_execz .LBB64_537
; %bb.536:
	v_mov_b32_e32 v75, 31
	ds_write_b64 v74, v[68:69] offset:256
.LBB64_537:
	s_or_b64 exec, exec, s[0:1]
	v_cmp_lt_i32_e32 vcc, 31, v75
	s_waitcnt lgkmcnt(0)
	s_barrier
	s_and_saveexec_b64 s[0:1], vcc
	s_cbranch_execz .LBB64_539
; %bb.538:
	ds_read_b64 v[80:81], v74 offset:256
	v_mul_f64 v[0:1], v[70:71], v[0:1]
	s_waitcnt lgkmcnt(0)
	v_fma_f64 v[68:69], -v[0:1], v[80:81], v[68:69]
.LBB64_539:
	s_or_b64 exec, exec, s[0:1]
	v_lshl_add_u32 v70, v75, 3, v74
	s_barrier
	ds_write_b64 v70, v[68:69]
	s_waitcnt lgkmcnt(0)
	s_barrier
	ds_read_b64 v[70:71], v74 offset:256
	s_cmp_lt_i32 s18, 34
	v_mov_b32_e32 v72, 32
	s_cbranch_scc1 .LBB64_542
; %bb.540:
	v_add_u32_e32 v74, 0x108, v74
	s_mov_b32 s0, 33
	v_mov_b32_e32 v72, 32
.LBB64_541:                             ; =>This Inner Loop Header: Depth=1
	ds_read_b64 v[80:81], v74
	v_mov_b32_e32 v79, s0
	s_add_i32 s0, s0, 1
	v_add_u32_e32 v74, 8, v74
	s_cmp_lg_u32 s18, s0
	s_waitcnt lgkmcnt(0)
	v_cmp_lt_f64_e64 vcc, |v[70:71]|, |v[80:81]|
	v_cndmask_b32_e32 v71, v71, v81, vcc
	v_cndmask_b32_e32 v70, v70, v80, vcc
	;; [unrolled: 1-line block ×3, first 2 shown]
	s_cbranch_scc1 .LBB64_541
.LBB64_542:
	s_waitcnt lgkmcnt(0)
	v_cmp_eq_f64_e32 vcc, 0, v[70:71]
	s_and_saveexec_b64 s[0:1], vcc
	s_xor_b64 s[0:1], exec, s[0:1]
; %bb.543:
	v_cmp_ne_u32_e32 vcc, 0, v78
	v_cndmask_b32_e32 v78, 33, v78, vcc
; %bb.544:
	s_andn2_saveexec_b64 s[0:1], s[0:1]
; %bb.545:
	v_div_scale_f64 v[80:81], s[2:3], v[70:71], v[70:71], 1.0
	v_rcp_f64_e32 v[82:83], v[80:81]
	v_div_scale_f64 v[84:85], vcc, 1.0, v[70:71], 1.0
	v_fma_f64 v[86:87], -v[80:81], v[82:83], 1.0
	v_fmac_f64_e32 v[82:83], v[82:83], v[86:87]
	v_fma_f64 v[86:87], -v[80:81], v[82:83], 1.0
	v_fmac_f64_e32 v[82:83], v[82:83], v[86:87]
	v_mul_f64 v[86:87], v[84:85], v[82:83]
	v_fma_f64 v[80:81], -v[80:81], v[86:87], v[84:85]
	v_div_fmas_f64 v[80:81], v[80:81], v[82:83], v[86:87]
	v_div_fixup_f64 v[70:71], v[80:81], v[70:71], 1.0
; %bb.546:
	s_or_b64 exec, exec, s[0:1]
	v_cmp_ne_u32_e32 vcc, v75, v72
	v_mov_b32_e32 v74, 32
	s_and_saveexec_b64 s[0:1], vcc
	s_cbranch_execz .LBB64_552
; %bb.547:
	v_cmp_eq_u32_e32 vcc, 32, v75
	s_and_saveexec_b64 s[2:3], vcc
	s_cbranch_execz .LBB64_551
; %bb.548:
	v_cmp_ne_u32_e32 vcc, 32, v72
	s_xor_b64 s[6:7], s[6:7], -1
	s_and_b64 s[14:15], s[6:7], vcc
	s_and_saveexec_b64 s[6:7], s[14:15]
	s_cbranch_execz .LBB64_550
; %bb.549:
	v_ashrrev_i32_e32 v73, 31, v72
	v_lshlrev_b64 v[74:75], 2, v[72:73]
	v_add_co_u32_e32 v74, vcc, v4, v74
	v_addc_co_u32_e32 v75, vcc, v5, v75, vcc
	flat_load_dword v73, v[74:75]
	flat_load_dword v79, v[4:5] offset:128
	s_waitcnt vmcnt(0) lgkmcnt(0)
	flat_store_dword v[4:5], v73 offset:128
	flat_store_dword v[74:75], v79
.LBB64_550:
	s_or_b64 exec, exec, s[6:7]
	v_mov_b32_e32 v73, v72
	v_mov_b32_e32 v75, v72
.LBB64_551:
	s_or_b64 exec, exec, s[2:3]
	v_mov_b32_e32 v74, v75
.LBB64_552:
	s_or_b64 exec, exec, s[0:1]
	s_load_dwordx8 s[0:7], s[4:5], 0x28
	v_cmp_gt_i32_e32 vcc, 33, v74
	v_ashrrev_i32_e32 v75, 31, v74
	s_waitcnt lgkmcnt(0)
	s_barrier
	s_barrier
	s_and_saveexec_b64 s[14:15], vcc
	s_cbranch_execz .LBB64_554
; %bb.553:
	v_mul_lo_u32 v72, v3, s4
	v_mul_lo_u32 v79, v2, s5
	v_mad_u64_u32 v[4:5], s[4:5], v2, s4, 0
	s_lshl_b64 s[2:3], s[2:3], 2
	v_add3_u32 v5, v5, v79, v72
	s_add_u32 s0, s2, s0
	v_lshlrev_b64 v[4:5], 2, v[4:5]
	s_addc_u32 s1, s3, s1
	v_mov_b32_e32 v72, s1
	v_add_co_u32_e32 v79, vcc, s0, v4
	v_addc_co_u32_e32 v72, vcc, v72, v5, vcc
	v_lshlrev_b64 v[4:5], 2, v[74:75]
	v_add_co_u32_e32 v4, vcc, v79, v4
	v_addc_co_u32_e32 v5, vcc, v72, v5, vcc
	v_add3_u32 v72, v73, s13, 1
	global_store_dword v[4:5], v72, off
.LBB64_554:
	s_or_b64 exec, exec, s[14:15]
	v_cmp_eq_u32_e32 vcc, 0, v74
	s_and_saveexec_b64 s[2:3], vcc
	s_cbranch_execz .LBB64_557
; %bb.555:
	v_lshlrev_b64 v[2:3], 2, v[2:3]
	v_mov_b32_e32 v4, s7
	v_add_co_u32_e32 v2, vcc, s6, v2
	v_addc_co_u32_e32 v3, vcc, v4, v3, vcc
	global_load_dword v4, v[2:3], off
	v_cmp_lt_i32_e64 s[0:1], 0, v78
	s_waitcnt vmcnt(0)
	v_cmp_eq_u32_e32 vcc, 0, v4
	s_and_b64 s[0:1], vcc, s[0:1]
	s_and_b64 exec, exec, s[0:1]
	s_cbranch_execz .LBB64_557
; %bb.556:
	v_add_u32_e32 v4, s13, v78
	global_store_dword v[2:3], v4, off
.LBB64_557:
	s_or_b64 exec, exec, s[2:3]
	v_mul_f64 v[2:3], v[70:71], v[68:69]
	v_cmp_lt_i32_e32 vcc, 32, v74
	v_lshlrev_b64 v[4:5], 3, v[74:75]
	v_cndmask_b32_e32 v3, v69, v3, vcc
	v_cndmask_b32_e32 v2, v68, v2, vcc
	v_add_co_u32_e32 v4, vcc, v76, v4
	v_addc_co_u32_e32 v5, vcc, v77, v5, vcc
	global_store_dwordx2 v[4:5], v[66:67], off
	v_mov_b32_e32 v66, s11
	v_add_co_u32_e32 v4, vcc, s10, v4
	v_addc_co_u32_e32 v5, vcc, v5, v66, vcc
	global_store_dwordx2 v[4:5], v[64:65], off
	v_add_u32_e32 v4, s12, v74
	v_ashrrev_i32_e32 v5, 31, v4
	v_lshlrev_b64 v[64:65], 3, v[4:5]
	v_add_co_u32_e32 v64, vcc, v76, v64
	v_add_u32_e32 v4, s8, v4
	v_addc_co_u32_e32 v65, vcc, v77, v65, vcc
	v_ashrrev_i32_e32 v5, 31, v4
	global_store_dwordx2 v[64:65], v[62:63], off
	v_lshlrev_b64 v[62:63], 3, v[4:5]
	v_add_co_u32_e32 v62, vcc, v76, v62
	v_add_u32_e32 v4, s8, v4
	v_addc_co_u32_e32 v63, vcc, v77, v63, vcc
	v_ashrrev_i32_e32 v5, 31, v4
	global_store_dwordx2 v[62:63], v[60:61], off
	;; [unrolled: 6-line block ×29, first 2 shown]
	v_lshlrev_b64 v[6:7], 3, v[4:5]
	v_add_co_u32_e32 v6, vcc, v76, v6
	v_addc_co_u32_e32 v7, vcc, v77, v7, vcc
	global_store_dwordx2 v[6:7], v[0:1], off
	v_add_u32_e32 v0, s8, v4
	v_ashrrev_i32_e32 v1, 31, v0
	v_lshlrev_b64 v[0:1], 3, v[0:1]
	v_add_co_u32_e32 v0, vcc, v76, v0
	v_addc_co_u32_e32 v1, vcc, v77, v1, vcc
	global_store_dwordx2 v[0:1], v[2:3], off
.LBB64_558:
	s_endpgm
	.section	.rodata,"a",@progbits
	.p2align	6, 0x0
	.amdhsa_kernel _ZN9rocsolver6v33100L18getf2_small_kernelILi33EdiiPKPdEEvT1_T3_lS5_lPS5_llPT2_S5_S5_S7_l
		.amdhsa_group_segment_fixed_size 0
		.amdhsa_private_segment_fixed_size 0
		.amdhsa_kernarg_size 352
		.amdhsa_user_sgpr_count 6
		.amdhsa_user_sgpr_private_segment_buffer 1
		.amdhsa_user_sgpr_dispatch_ptr 0
		.amdhsa_user_sgpr_queue_ptr 0
		.amdhsa_user_sgpr_kernarg_segment_ptr 1
		.amdhsa_user_sgpr_dispatch_id 0
		.amdhsa_user_sgpr_flat_scratch_init 0
		.amdhsa_user_sgpr_kernarg_preload_length 0
		.amdhsa_user_sgpr_kernarg_preload_offset 0
		.amdhsa_user_sgpr_private_segment_size 0
		.amdhsa_uses_dynamic_stack 0
		.amdhsa_system_sgpr_private_segment_wavefront_offset 0
		.amdhsa_system_sgpr_workgroup_id_x 1
		.amdhsa_system_sgpr_workgroup_id_y 1
		.amdhsa_system_sgpr_workgroup_id_z 0
		.amdhsa_system_sgpr_workgroup_info 0
		.amdhsa_system_vgpr_workitem_id 1
		.amdhsa_next_free_vgpr 110
		.amdhsa_next_free_sgpr 22
		.amdhsa_accum_offset 112
		.amdhsa_reserve_vcc 1
		.amdhsa_reserve_flat_scratch 0
		.amdhsa_float_round_mode_32 0
		.amdhsa_float_round_mode_16_64 0
		.amdhsa_float_denorm_mode_32 3
		.amdhsa_float_denorm_mode_16_64 3
		.amdhsa_dx10_clamp 1
		.amdhsa_ieee_mode 1
		.amdhsa_fp16_overflow 0
		.amdhsa_tg_split 0
		.amdhsa_exception_fp_ieee_invalid_op 0
		.amdhsa_exception_fp_denorm_src 0
		.amdhsa_exception_fp_ieee_div_zero 0
		.amdhsa_exception_fp_ieee_overflow 0
		.amdhsa_exception_fp_ieee_underflow 0
		.amdhsa_exception_fp_ieee_inexact 0
		.amdhsa_exception_int_div_zero 0
	.end_amdhsa_kernel
	.section	.text._ZN9rocsolver6v33100L18getf2_small_kernelILi33EdiiPKPdEEvT1_T3_lS5_lPS5_llPT2_S5_S5_S7_l,"axG",@progbits,_ZN9rocsolver6v33100L18getf2_small_kernelILi33EdiiPKPdEEvT1_T3_lS5_lPS5_llPT2_S5_S5_S7_l,comdat
.Lfunc_end64:
	.size	_ZN9rocsolver6v33100L18getf2_small_kernelILi33EdiiPKPdEEvT1_T3_lS5_lPS5_llPT2_S5_S5_S7_l, .Lfunc_end64-_ZN9rocsolver6v33100L18getf2_small_kernelILi33EdiiPKPdEEvT1_T3_lS5_lPS5_llPT2_S5_S5_S7_l
                                        ; -- End function
	.section	.AMDGPU.csdata,"",@progbits
; Kernel info:
; codeLenInByte = 26416
; NumSgprs: 26
; NumVgprs: 110
; NumAgprs: 0
; TotalNumVgprs: 110
; ScratchSize: 0
; MemoryBound: 0
; FloatMode: 240
; IeeeMode: 1
; LDSByteSize: 0 bytes/workgroup (compile time only)
; SGPRBlocks: 3
; VGPRBlocks: 13
; NumSGPRsForWavesPerEU: 26
; NumVGPRsForWavesPerEU: 110
; AccumOffset: 112
; Occupancy: 4
; WaveLimiterHint : 1
; COMPUTE_PGM_RSRC2:SCRATCH_EN: 0
; COMPUTE_PGM_RSRC2:USER_SGPR: 6
; COMPUTE_PGM_RSRC2:TRAP_HANDLER: 0
; COMPUTE_PGM_RSRC2:TGID_X_EN: 1
; COMPUTE_PGM_RSRC2:TGID_Y_EN: 1
; COMPUTE_PGM_RSRC2:TGID_Z_EN: 0
; COMPUTE_PGM_RSRC2:TIDIG_COMP_CNT: 1
; COMPUTE_PGM_RSRC3_GFX90A:ACCUM_OFFSET: 27
; COMPUTE_PGM_RSRC3_GFX90A:TG_SPLIT: 0
	.section	.text._ZN9rocsolver6v33100L23getf2_npvt_small_kernelILi33EdiiPKPdEEvT1_T3_lS5_lPT2_S5_S5_,"axG",@progbits,_ZN9rocsolver6v33100L23getf2_npvt_small_kernelILi33EdiiPKPdEEvT1_T3_lS5_lPT2_S5_S5_,comdat
	.globl	_ZN9rocsolver6v33100L23getf2_npvt_small_kernelILi33EdiiPKPdEEvT1_T3_lS5_lPT2_S5_S5_ ; -- Begin function _ZN9rocsolver6v33100L23getf2_npvt_small_kernelILi33EdiiPKPdEEvT1_T3_lS5_lPT2_S5_S5_
	.p2align	8
	.type	_ZN9rocsolver6v33100L23getf2_npvt_small_kernelILi33EdiiPKPdEEvT1_T3_lS5_lPT2_S5_S5_,@function
_ZN9rocsolver6v33100L23getf2_npvt_small_kernelILi33EdiiPKPdEEvT1_T3_lS5_lPT2_S5_S5_: ; @_ZN9rocsolver6v33100L23getf2_npvt_small_kernelILi33EdiiPKPdEEvT1_T3_lS5_lPT2_S5_S5_
; %bb.0:
	s_load_dword s0, s[4:5], 0x44
	s_load_dwordx2 s[8:9], s[4:5], 0x30
	v_bfe_u32 v134, v0, 10, 10
	s_waitcnt lgkmcnt(0)
	s_lshr_b32 s6, s0, 16
	s_mul_i32 s7, s7, s6
	v_add_u32_e32 v2, s7, v134
	v_cmp_gt_i32_e32 vcc, s8, v2
	s_and_saveexec_b64 s[0:1], vcc
	s_cbranch_execz .LBB65_168
; %bb.1:
	s_load_dwordx4 s[12:15], s[4:5], 0x8
	s_load_dword s0, s[4:5], 0x18
	v_ashrrev_i32_e32 v3, 31, v2
	v_lshlrev_b64 v[4:5], 3, v[2:3]
	v_and_b32_e32 v200, 0x3ff, v0
	s_waitcnt lgkmcnt(0)
	v_mov_b32_e32 v1, s13
	v_add_co_u32_e32 v4, vcc, s12, v4
	v_addc_co_u32_e32 v5, vcc, v1, v5, vcc
	global_load_dwordx2 v[4:5], v[4:5], off
	s_add_i32 s1, s0, s0
	s_lshl_b64 s[2:3], s[14:15], 3
	v_add_u32_e32 v0, s1, v200
	v_mov_b32_e32 v25, s3
	v_ashrrev_i32_e32 v1, 31, v0
	v_add_u32_e32 v6, s0, v0
	v_lshlrev_b64 v[0:1], 3, v[0:1]
	v_ashrrev_i32_e32 v7, 31, v6
	v_add_u32_e32 v8, s0, v6
	v_lshlrev_b64 v[6:7], 3, v[6:7]
	;; [unrolled: 3-line block ×10, first 2 shown]
	v_add_u32_e32 v26, s0, v24
	v_ashrrev_i32_e32 v27, 31, v26
	v_add_u32_e32 v28, s0, v26
	v_ashrrev_i32_e32 v29, 31, v28
	;; [unrolled: 2-line block ×19, first 2 shown]
	v_lshlrev_b32_e32 v66, 3, v200
	s_ashr_i32 s1, s0, 31
	s_mulk_i32 s6, 0x108
	s_waitcnt vmcnt(0)
	v_add_co_u32_e32 v64, vcc, s2, v4
	v_addc_co_u32_e32 v65, vcc, v5, v25, vcc
	v_add_co_u32_e32 v0, vcc, v64, v0
	v_addc_co_u32_e32 v1, vcc, v65, v1, vcc
	;; [unrolled: 2-line block ×10, first 2 shown]
	v_add_co_u32_e32 v20, vcc, v64, v22
	v_ashrrev_i32_e32 v25, 31, v24
	v_addc_co_u32_e32 v21, vcc, v65, v23, vcc
	v_lshlrev_b64 v[22:23], 3, v[24:25]
	v_add_co_u32_e32 v22, vcc, v64, v22
	v_addc_co_u32_e32 v23, vcc, v65, v23, vcc
	v_lshlrev_b64 v[24:25], 3, v[26:27]
	v_add_co_u32_e32 v24, vcc, v64, v24
	;; [unrolled: 3-line block ×19, first 2 shown]
	v_addc_co_u32_e32 v59, vcc, v65, v59, vcc
	v_lshlrev_b64 v[60:61], 3, v[62:63]
	v_add_u32_e32 v62, s0, v62
	v_add_co_u32_e32 v60, vcc, v64, v60
	v_ashrrev_i32_e32 v63, 31, v62
	v_addc_co_u32_e32 v61, vcc, v65, v61, vcc
	v_lshlrev_b64 v[62:63], 3, v[62:63]
	v_add_co_u32_e32 v62, vcc, v64, v62
	v_addc_co_u32_e32 v63, vcc, v65, v63, vcc
	v_add_co_u32_e32 v64, vcc, v64, v66
	v_addc_co_u32_e32 v65, vcc, 0, v65, vcc
	s_lshl_b64 s[0:1], s[0:1], 3
	v_mov_b32_e32 v67, s1
	v_add_co_u32_e32 v66, vcc, s0, v64
	v_addc_co_u32_e32 v67, vcc, v65, v67, vcc
	global_load_dwordx2 v[68:69], v[64:65], off
	global_load_dwordx2 v[100:101], v[66:67], off
	;; [unrolled: 1-line block ×33, first 2 shown]
	s_movk_i32 s0, 0x108
	s_add_i32 s1, s6, 0
	v_mad_u32_u24 v199, v134, s0, 0
	v_lshl_add_u32 v198, v134, 3, s1
	v_cmp_ne_u32_e64 s[2:3], 0, v200
	v_cmp_eq_u32_e64 s[0:1], 0, v200
	s_and_saveexec_b64 s[6:7], s[0:1]
	s_cbranch_execz .LBB65_4
; %bb.2:
	s_waitcnt vmcnt(32)
	ds_write_b64 v198, v[68:69]
	s_waitcnt vmcnt(30)
	ds_write2_b64 v199, v[100:101], v[130:131] offset0:1 offset1:2
	s_waitcnt vmcnt(28)
	ds_write2_b64 v199, v[98:99], v[128:129] offset0:3 offset1:4
	;; [unrolled: 2-line block ×16, first 2 shown]
	ds_read_b64 v[134:135], v198
	s_waitcnt lgkmcnt(0)
	v_cmp_neq_f64_e32 vcc, 0, v[134:135]
	s_and_b64 exec, exec, vcc
	s_cbranch_execz .LBB65_4
; %bb.3:
	v_div_scale_f64 v[136:137], s[10:11], v[134:135], v[134:135], 1.0
	v_rcp_f64_e32 v[138:139], v[136:137]
	v_div_scale_f64 v[140:141], vcc, 1.0, v[134:135], 1.0
	v_fma_f64 v[142:143], -v[136:137], v[138:139], 1.0
	v_fmac_f64_e32 v[138:139], v[138:139], v[142:143]
	v_fma_f64 v[142:143], -v[136:137], v[138:139], 1.0
	v_fmac_f64_e32 v[138:139], v[138:139], v[142:143]
	v_mul_f64 v[142:143], v[140:141], v[138:139]
	v_fma_f64 v[136:137], -v[136:137], v[142:143], v[140:141]
	v_div_fmas_f64 v[136:137], v[136:137], v[138:139], v[142:143]
	v_div_fixup_f64 v[134:135], v[136:137], v[134:135], 1.0
	ds_write_b64 v198, v[134:135]
.LBB65_4:
	s_or_b64 exec, exec, s[6:7]
	s_waitcnt lgkmcnt(0)
	s_barrier
	ds_read_b64 v[134:135], v198
	s_and_saveexec_b64 s[6:7], s[2:3]
	s_cbranch_execz .LBB65_6
; %bb.5:
	ds_read2_b64 v[136:139], v199 offset0:1 offset1:2
	ds_read2_b64 v[140:143], v199 offset0:3 offset1:4
	s_waitcnt vmcnt(32) lgkmcnt(2)
	v_mul_f64 v[68:69], v[134:135], v[68:69]
	ds_read2_b64 v[144:147], v199 offset0:5 offset1:6
	s_waitcnt vmcnt(31) lgkmcnt(2)
	v_fma_f64 v[100:101], -v[68:69], v[136:137], v[100:101]
	s_waitcnt vmcnt(30)
	v_fma_f64 v[130:131], -v[68:69], v[138:139], v[130:131]
	ds_read2_b64 v[136:139], v199 offset0:7 offset1:8
	s_waitcnt vmcnt(29) lgkmcnt(2)
	v_fma_f64 v[98:99], -v[68:69], v[140:141], v[98:99]
	s_waitcnt vmcnt(28)
	v_fma_f64 v[128:129], -v[68:69], v[142:143], v[128:129]
	s_waitcnt vmcnt(27) lgkmcnt(1)
	v_fma_f64 v[96:97], -v[68:69], v[144:145], v[96:97]
	ds_read2_b64 v[140:143], v199 offset0:9 offset1:10
	s_waitcnt vmcnt(26)
	v_fma_f64 v[126:127], -v[68:69], v[146:147], v[126:127]
	ds_read2_b64 v[144:147], v199 offset0:11 offset1:12
	s_waitcnt vmcnt(25) lgkmcnt(2)
	v_fma_f64 v[94:95], -v[68:69], v[136:137], v[94:95]
	s_waitcnt vmcnt(24)
	v_fma_f64 v[124:125], -v[68:69], v[138:139], v[124:125]
	ds_read2_b64 v[136:139], v199 offset0:13 offset1:14
	s_waitcnt vmcnt(23) lgkmcnt(2)
	v_fma_f64 v[92:93], -v[68:69], v[140:141], v[92:93]
	;; [unrolled: 5-line block ×3, first 2 shown]
	s_waitcnt vmcnt(20)
	v_fma_f64 v[120:121], -v[68:69], v[146:147], v[120:121]
	s_waitcnt vmcnt(19) lgkmcnt(1)
	v_fma_f64 v[88:89], -v[68:69], v[136:137], v[88:89]
	ds_read2_b64 v[144:147], v199 offset0:17 offset1:18
	s_waitcnt vmcnt(18)
	v_fma_f64 v[118:119], -v[68:69], v[138:139], v[118:119]
	ds_read2_b64 v[136:139], v199 offset0:19 offset1:20
	s_waitcnt vmcnt(17) lgkmcnt(2)
	v_fma_f64 v[86:87], -v[68:69], v[140:141], v[86:87]
	s_waitcnt vmcnt(16)
	v_fma_f64 v[116:117], -v[68:69], v[142:143], v[116:117]
	s_waitcnt vmcnt(15) lgkmcnt(1)
	v_fma_f64 v[84:85], -v[68:69], v[144:145], v[84:85]
	ds_read2_b64 v[140:143], v199 offset0:21 offset1:22
	s_waitcnt vmcnt(14)
	v_fma_f64 v[114:115], -v[68:69], v[146:147], v[114:115]
	ds_read2_b64 v[144:147], v199 offset0:23 offset1:24
	s_waitcnt vmcnt(13) lgkmcnt(2)
	v_fma_f64 v[82:83], -v[68:69], v[136:137], v[82:83]
	s_waitcnt vmcnt(12)
	v_fma_f64 v[112:113], -v[68:69], v[138:139], v[112:113]
	ds_read2_b64 v[136:139], v199 offset0:25 offset1:26
	s_waitcnt vmcnt(11) lgkmcnt(2)
	v_fma_f64 v[80:81], -v[68:69], v[140:141], v[80:81]
	;; [unrolled: 5-line block ×3, first 2 shown]
	s_waitcnt vmcnt(8)
	v_fma_f64 v[108:109], -v[68:69], v[146:147], v[108:109]
	s_waitcnt vmcnt(7) lgkmcnt(1)
	v_fma_f64 v[76:77], -v[68:69], v[136:137], v[76:77]
	ds_read2_b64 v[144:147], v199 offset0:29 offset1:30
	s_waitcnt vmcnt(6)
	v_fma_f64 v[106:107], -v[68:69], v[138:139], v[106:107]
	ds_read2_b64 v[136:139], v199 offset0:31 offset1:32
	s_waitcnt vmcnt(5) lgkmcnt(2)
	v_fma_f64 v[74:75], -v[68:69], v[140:141], v[74:75]
	s_waitcnt vmcnt(4)
	v_fma_f64 v[104:105], -v[68:69], v[142:143], v[104:105]
	s_waitcnt vmcnt(3) lgkmcnt(1)
	v_fma_f64 v[72:73], -v[68:69], v[144:145], v[72:73]
	s_waitcnt vmcnt(2)
	v_fma_f64 v[102:103], -v[68:69], v[146:147], v[102:103]
	;; [unrolled: 4-line block ×3, first 2 shown]
.LBB65_6:
	s_or_b64 exec, exec, s[6:7]
	v_cmp_eq_u32_e32 vcc, 1, v200
	s_waitcnt lgkmcnt(0)
	s_barrier
	s_and_saveexec_b64 s[2:3], vcc
	s_cbranch_execz .LBB65_9
; %bb.7:
	s_waitcnt vmcnt(30)
	v_mov_b32_e32 v136, v130
	v_mov_b32_e32 v137, v131
	s_waitcnt vmcnt(29)
	v_mov_b32_e32 v138, v98
	v_mov_b32_e32 v139, v99
	ds_write_b64 v198, v[100:101]
	ds_write2_b64 v199, v[136:137], v[138:139] offset0:2 offset1:3
	s_waitcnt vmcnt(28)
	v_mov_b32_e32 v136, v128
	v_mov_b32_e32 v137, v129
	s_waitcnt vmcnt(27)
	v_mov_b32_e32 v138, v96
	v_mov_b32_e32 v139, v97
	ds_write2_b64 v199, v[136:137], v[138:139] offset0:4 offset1:5
	s_waitcnt vmcnt(26)
	v_mov_b32_e32 v136, v126
	v_mov_b32_e32 v137, v127
	s_waitcnt vmcnt(25)
	v_mov_b32_e32 v138, v94
	v_mov_b32_e32 v139, v95
	;; [unrolled: 7-line block ×14, first 2 shown]
	ds_write2_b64 v199, v[136:137], v[138:139] offset0:30 offset1:31
	s_waitcnt vmcnt(0)
	ds_write_b64 v199, v[132:133] offset:256
	ds_read_b64 v[136:137], v198
	s_waitcnt lgkmcnt(0)
	v_cmp_neq_f64_e32 vcc, 0, v[136:137]
	s_and_b64 exec, exec, vcc
	s_cbranch_execz .LBB65_9
; %bb.8:
	v_div_scale_f64 v[138:139], s[6:7], v[136:137], v[136:137], 1.0
	v_rcp_f64_e32 v[140:141], v[138:139]
	v_div_scale_f64 v[142:143], vcc, 1.0, v[136:137], 1.0
	v_fma_f64 v[144:145], -v[138:139], v[140:141], 1.0
	v_fmac_f64_e32 v[140:141], v[140:141], v[144:145]
	v_fma_f64 v[144:145], -v[138:139], v[140:141], 1.0
	v_fmac_f64_e32 v[140:141], v[140:141], v[144:145]
	v_mul_f64 v[144:145], v[142:143], v[140:141]
	v_fma_f64 v[138:139], -v[138:139], v[144:145], v[142:143]
	v_div_fmas_f64 v[138:139], v[138:139], v[140:141], v[144:145]
	v_div_fixup_f64 v[136:137], v[138:139], v[136:137], 1.0
	ds_write_b64 v198, v[136:137]
.LBB65_9:
	s_or_b64 exec, exec, s[2:3]
	s_waitcnt lgkmcnt(0)
	s_barrier
	ds_read_b64 v[136:137], v198
	v_cmp_lt_u32_e32 vcc, 1, v200
	s_and_saveexec_b64 s[2:3], vcc
	s_cbranch_execz .LBB65_11
; %bb.10:
	ds_read2_b64 v[138:141], v199 offset0:2 offset1:3
	ds_read2_b64 v[142:145], v199 offset0:4 offset1:5
	s_waitcnt vmcnt(31) lgkmcnt(2)
	v_mul_f64 v[100:101], v[136:137], v[100:101]
	ds_read2_b64 v[146:149], v199 offset0:6 offset1:7
	s_waitcnt vmcnt(30) lgkmcnt(2)
	v_fma_f64 v[130:131], -v[100:101], v[138:139], v[130:131]
	s_waitcnt vmcnt(29)
	v_fma_f64 v[98:99], -v[100:101], v[140:141], v[98:99]
	ds_read2_b64 v[138:141], v199 offset0:8 offset1:9
	s_waitcnt vmcnt(28) lgkmcnt(2)
	v_fma_f64 v[128:129], -v[100:101], v[142:143], v[128:129]
	s_waitcnt vmcnt(27)
	v_fma_f64 v[96:97], -v[100:101], v[144:145], v[96:97]
	s_waitcnt vmcnt(26) lgkmcnt(1)
	v_fma_f64 v[126:127], -v[100:101], v[146:147], v[126:127]
	ds_read2_b64 v[142:145], v199 offset0:10 offset1:11
	s_waitcnt vmcnt(25)
	v_fma_f64 v[94:95], -v[100:101], v[148:149], v[94:95]
	ds_read2_b64 v[146:149], v199 offset0:12 offset1:13
	s_waitcnt vmcnt(24) lgkmcnt(2)
	v_fma_f64 v[124:125], -v[100:101], v[138:139], v[124:125]
	s_waitcnt vmcnt(23)
	v_fma_f64 v[92:93], -v[100:101], v[140:141], v[92:93]
	ds_read2_b64 v[138:141], v199 offset0:14 offset1:15
	s_waitcnt vmcnt(22) lgkmcnt(2)
	v_fma_f64 v[122:123], -v[100:101], v[142:143], v[122:123]
	;; [unrolled: 5-line block ×3, first 2 shown]
	s_waitcnt vmcnt(19)
	v_fma_f64 v[88:89], -v[100:101], v[148:149], v[88:89]
	s_waitcnt vmcnt(18) lgkmcnt(1)
	v_fma_f64 v[118:119], -v[100:101], v[138:139], v[118:119]
	ds_read2_b64 v[146:149], v199 offset0:18 offset1:19
	s_waitcnt vmcnt(17)
	v_fma_f64 v[86:87], -v[100:101], v[140:141], v[86:87]
	ds_read2_b64 v[138:141], v199 offset0:20 offset1:21
	s_waitcnt vmcnt(16) lgkmcnt(2)
	v_fma_f64 v[116:117], -v[100:101], v[142:143], v[116:117]
	s_waitcnt vmcnt(15)
	v_fma_f64 v[84:85], -v[100:101], v[144:145], v[84:85]
	s_waitcnt vmcnt(14) lgkmcnt(1)
	v_fma_f64 v[114:115], -v[100:101], v[146:147], v[114:115]
	ds_read2_b64 v[142:145], v199 offset0:22 offset1:23
	s_waitcnt vmcnt(13)
	v_fma_f64 v[82:83], -v[100:101], v[148:149], v[82:83]
	ds_read2_b64 v[146:149], v199 offset0:24 offset1:25
	s_waitcnt vmcnt(12) lgkmcnt(2)
	v_fma_f64 v[112:113], -v[100:101], v[138:139], v[112:113]
	s_waitcnt vmcnt(11)
	v_fma_f64 v[80:81], -v[100:101], v[140:141], v[80:81]
	ds_read2_b64 v[138:141], v199 offset0:26 offset1:27
	s_waitcnt vmcnt(10) lgkmcnt(2)
	v_fma_f64 v[110:111], -v[100:101], v[142:143], v[110:111]
	;; [unrolled: 5-line block ×3, first 2 shown]
	s_waitcnt vmcnt(7)
	v_fma_f64 v[76:77], -v[100:101], v[148:149], v[76:77]
	s_waitcnt vmcnt(6) lgkmcnt(1)
	v_fma_f64 v[106:107], -v[100:101], v[138:139], v[106:107]
	ds_read2_b64 v[146:149], v199 offset0:30 offset1:31
	ds_read_b64 v[138:139], v199 offset:256
	s_waitcnt vmcnt(5)
	v_fma_f64 v[74:75], -v[100:101], v[140:141], v[74:75]
	s_waitcnt vmcnt(4) lgkmcnt(2)
	v_fma_f64 v[104:105], -v[100:101], v[142:143], v[104:105]
	s_waitcnt vmcnt(3)
	v_fma_f64 v[72:73], -v[100:101], v[144:145], v[72:73]
	s_waitcnt vmcnt(2) lgkmcnt(1)
	v_fma_f64 v[102:103], -v[100:101], v[146:147], v[102:103]
	;; [unrolled: 4-line block ×3, first 2 shown]
.LBB65_11:
	s_or_b64 exec, exec, s[2:3]
	v_cmp_eq_u32_e32 vcc, 2, v200
	s_waitcnt lgkmcnt(0)
	s_barrier
	s_and_saveexec_b64 s[2:3], vcc
	s_cbranch_execz .LBB65_14
; %bb.12:
	s_waitcnt vmcnt(30)
	ds_write_b64 v198, v[130:131]
	s_waitcnt vmcnt(28)
	ds_write2_b64 v199, v[98:99], v[128:129] offset0:3 offset1:4
	s_waitcnt vmcnt(26)
	ds_write2_b64 v199, v[96:97], v[126:127] offset0:5 offset1:6
	;; [unrolled: 2-line block ×15, first 2 shown]
	ds_read_b64 v[138:139], v198
	s_waitcnt lgkmcnt(0)
	v_cmp_neq_f64_e32 vcc, 0, v[138:139]
	s_and_b64 exec, exec, vcc
	s_cbranch_execz .LBB65_14
; %bb.13:
	v_div_scale_f64 v[140:141], s[6:7], v[138:139], v[138:139], 1.0
	v_rcp_f64_e32 v[142:143], v[140:141]
	v_div_scale_f64 v[144:145], vcc, 1.0, v[138:139], 1.0
	v_fma_f64 v[146:147], -v[140:141], v[142:143], 1.0
	v_fmac_f64_e32 v[142:143], v[142:143], v[146:147]
	v_fma_f64 v[146:147], -v[140:141], v[142:143], 1.0
	v_fmac_f64_e32 v[142:143], v[142:143], v[146:147]
	v_mul_f64 v[146:147], v[144:145], v[142:143]
	v_fma_f64 v[140:141], -v[140:141], v[146:147], v[144:145]
	v_div_fmas_f64 v[140:141], v[140:141], v[142:143], v[146:147]
	v_div_fixup_f64 v[138:139], v[140:141], v[138:139], 1.0
	ds_write_b64 v198, v[138:139]
.LBB65_14:
	s_or_b64 exec, exec, s[2:3]
	s_waitcnt lgkmcnt(0)
	s_barrier
	ds_read_b64 v[138:139], v198
	v_cmp_lt_u32_e32 vcc, 2, v200
	s_and_saveexec_b64 s[2:3], vcc
	s_cbranch_execz .LBB65_16
; %bb.15:
	ds_read2_b64 v[140:143], v199 offset0:3 offset1:4
	ds_read2_b64 v[144:147], v199 offset0:5 offset1:6
	;; [unrolled: 1-line block ×3, first 2 shown]
	s_waitcnt vmcnt(30) lgkmcnt(3)
	v_mul_f64 v[130:131], v[138:139], v[130:131]
	s_waitcnt vmcnt(29) lgkmcnt(2)
	v_fma_f64 v[98:99], -v[130:131], v[140:141], v[98:99]
	s_waitcnt vmcnt(28)
	v_fma_f64 v[128:129], -v[130:131], v[142:143], v[128:129]
	ds_read2_b64 v[140:143], v199 offset0:9 offset1:10
	s_waitcnt vmcnt(27) lgkmcnt(2)
	v_fma_f64 v[96:97], -v[130:131], v[144:145], v[96:97]
	s_waitcnt vmcnt(26)
	v_fma_f64 v[126:127], -v[130:131], v[146:147], v[126:127]
	s_waitcnt vmcnt(25) lgkmcnt(1)
	v_fma_f64 v[94:95], -v[130:131], v[148:149], v[94:95]
	ds_read2_b64 v[144:147], v199 offset0:11 offset1:12
	s_waitcnt vmcnt(24)
	v_fma_f64 v[124:125], -v[130:131], v[150:151], v[124:125]
	ds_read2_b64 v[148:151], v199 offset0:13 offset1:14
	s_waitcnt vmcnt(23) lgkmcnt(2)
	v_fma_f64 v[92:93], -v[130:131], v[140:141], v[92:93]
	s_waitcnt vmcnt(22)
	v_fma_f64 v[122:123], -v[130:131], v[142:143], v[122:123]
	s_waitcnt vmcnt(21) lgkmcnt(1)
	v_fma_f64 v[90:91], -v[130:131], v[144:145], v[90:91]
	ds_read2_b64 v[140:143], v199 offset0:15 offset1:16
	s_waitcnt vmcnt(20)
	v_fma_f64 v[120:121], -v[130:131], v[146:147], v[120:121]
	ds_read2_b64 v[144:147], v199 offset0:17 offset1:18
	s_waitcnt vmcnt(19) lgkmcnt(2)
	v_fma_f64 v[88:89], -v[130:131], v[148:149], v[88:89]
	s_waitcnt vmcnt(18)
	v_fma_f64 v[118:119], -v[130:131], v[150:151], v[118:119]
	ds_read2_b64 v[148:151], v199 offset0:19 offset1:20
	s_waitcnt vmcnt(17) lgkmcnt(2)
	v_fma_f64 v[86:87], -v[130:131], v[140:141], v[86:87]
	;; [unrolled: 5-line block ×3, first 2 shown]
	s_waitcnt vmcnt(14)
	v_fma_f64 v[114:115], -v[130:131], v[146:147], v[114:115]
	s_waitcnt vmcnt(13) lgkmcnt(1)
	v_fma_f64 v[82:83], -v[130:131], v[148:149], v[82:83]
	ds_read2_b64 v[144:147], v199 offset0:23 offset1:24
	s_waitcnt vmcnt(12)
	v_fma_f64 v[112:113], -v[130:131], v[150:151], v[112:113]
	ds_read2_b64 v[148:151], v199 offset0:25 offset1:26
	s_waitcnt vmcnt(11) lgkmcnt(2)
	v_fma_f64 v[80:81], -v[130:131], v[140:141], v[80:81]
	s_waitcnt vmcnt(10)
	v_fma_f64 v[110:111], -v[130:131], v[142:143], v[110:111]
	s_waitcnt vmcnt(9) lgkmcnt(1)
	v_fma_f64 v[78:79], -v[130:131], v[144:145], v[78:79]
	s_waitcnt vmcnt(8)
	v_fma_f64 v[108:109], -v[130:131], v[146:147], v[108:109]
	ds_read2_b64 v[140:143], v199 offset0:27 offset1:28
	ds_read2_b64 v[144:147], v199 offset0:29 offset1:30
	s_waitcnt vmcnt(7) lgkmcnt(2)
	v_fma_f64 v[76:77], -v[130:131], v[148:149], v[76:77]
	s_waitcnt vmcnt(6)
	v_fma_f64 v[106:107], -v[130:131], v[150:151], v[106:107]
	ds_read2_b64 v[148:151], v199 offset0:31 offset1:32
	s_waitcnt vmcnt(5) lgkmcnt(2)
	v_fma_f64 v[74:75], -v[130:131], v[140:141], v[74:75]
	s_waitcnt vmcnt(4)
	v_fma_f64 v[104:105], -v[130:131], v[142:143], v[104:105]
	s_waitcnt vmcnt(3) lgkmcnt(1)
	v_fma_f64 v[72:73], -v[130:131], v[144:145], v[72:73]
	s_waitcnt vmcnt(2)
	v_fma_f64 v[102:103], -v[130:131], v[146:147], v[102:103]
	;; [unrolled: 4-line block ×3, first 2 shown]
.LBB65_16:
	s_or_b64 exec, exec, s[2:3]
	v_cmp_eq_u32_e32 vcc, 3, v200
	s_waitcnt lgkmcnt(0)
	s_barrier
	s_and_saveexec_b64 s[2:3], vcc
	s_cbranch_execz .LBB65_19
; %bb.17:
	s_waitcnt vmcnt(28)
	v_mov_b32_e32 v140, v128
	v_mov_b32_e32 v141, v129
	s_waitcnt vmcnt(27)
	v_mov_b32_e32 v142, v96
	v_mov_b32_e32 v143, v97
	ds_write_b64 v198, v[98:99]
	ds_write2_b64 v199, v[140:141], v[142:143] offset0:4 offset1:5
	s_waitcnt vmcnt(26)
	v_mov_b32_e32 v140, v126
	v_mov_b32_e32 v141, v127
	s_waitcnt vmcnt(25)
	v_mov_b32_e32 v142, v94
	v_mov_b32_e32 v143, v95
	ds_write2_b64 v199, v[140:141], v[142:143] offset0:6 offset1:7
	s_waitcnt vmcnt(24)
	v_mov_b32_e32 v140, v124
	v_mov_b32_e32 v141, v125
	s_waitcnt vmcnt(23)
	v_mov_b32_e32 v142, v92
	v_mov_b32_e32 v143, v93
	;; [unrolled: 7-line block ×13, first 2 shown]
	ds_write2_b64 v199, v[140:141], v[142:143] offset0:30 offset1:31
	s_waitcnt vmcnt(0)
	ds_write_b64 v199, v[132:133] offset:256
	ds_read_b64 v[140:141], v198
	s_waitcnt lgkmcnt(0)
	v_cmp_neq_f64_e32 vcc, 0, v[140:141]
	s_and_b64 exec, exec, vcc
	s_cbranch_execz .LBB65_19
; %bb.18:
	v_div_scale_f64 v[142:143], s[6:7], v[140:141], v[140:141], 1.0
	v_rcp_f64_e32 v[144:145], v[142:143]
	v_div_scale_f64 v[146:147], vcc, 1.0, v[140:141], 1.0
	v_fma_f64 v[148:149], -v[142:143], v[144:145], 1.0
	v_fmac_f64_e32 v[144:145], v[144:145], v[148:149]
	v_fma_f64 v[148:149], -v[142:143], v[144:145], 1.0
	v_fmac_f64_e32 v[144:145], v[144:145], v[148:149]
	v_mul_f64 v[148:149], v[146:147], v[144:145]
	v_fma_f64 v[142:143], -v[142:143], v[148:149], v[146:147]
	v_div_fmas_f64 v[142:143], v[142:143], v[144:145], v[148:149]
	v_div_fixup_f64 v[140:141], v[142:143], v[140:141], 1.0
	ds_write_b64 v198, v[140:141]
.LBB65_19:
	s_or_b64 exec, exec, s[2:3]
	s_waitcnt lgkmcnt(0)
	s_barrier
	ds_read_b64 v[140:141], v198
	v_cmp_lt_u32_e32 vcc, 3, v200
	s_and_saveexec_b64 s[2:3], vcc
	s_cbranch_execz .LBB65_21
; %bb.20:
	ds_read2_b64 v[142:145], v199 offset0:4 offset1:5
	ds_read2_b64 v[146:149], v199 offset0:6 offset1:7
	;; [unrolled: 1-line block ×3, first 2 shown]
	s_waitcnt vmcnt(29) lgkmcnt(3)
	v_mul_f64 v[98:99], v[140:141], v[98:99]
	s_waitcnt vmcnt(28) lgkmcnt(2)
	v_fma_f64 v[128:129], -v[98:99], v[142:143], v[128:129]
	s_waitcnt vmcnt(27)
	v_fma_f64 v[96:97], -v[98:99], v[144:145], v[96:97]
	ds_read2_b64 v[142:145], v199 offset0:10 offset1:11
	s_waitcnt vmcnt(26) lgkmcnt(2)
	v_fma_f64 v[126:127], -v[98:99], v[146:147], v[126:127]
	s_waitcnt vmcnt(25)
	v_fma_f64 v[94:95], -v[98:99], v[148:149], v[94:95]
	s_waitcnt vmcnt(24) lgkmcnt(1)
	v_fma_f64 v[124:125], -v[98:99], v[150:151], v[124:125]
	ds_read2_b64 v[146:149], v199 offset0:12 offset1:13
	s_waitcnt vmcnt(23)
	v_fma_f64 v[92:93], -v[98:99], v[152:153], v[92:93]
	ds_read2_b64 v[150:153], v199 offset0:14 offset1:15
	s_waitcnt vmcnt(22) lgkmcnt(2)
	v_fma_f64 v[122:123], -v[98:99], v[142:143], v[122:123]
	s_waitcnt vmcnt(21)
	v_fma_f64 v[90:91], -v[98:99], v[144:145], v[90:91]
	s_waitcnt vmcnt(20) lgkmcnt(1)
	v_fma_f64 v[120:121], -v[98:99], v[146:147], v[120:121]
	ds_read2_b64 v[142:145], v199 offset0:16 offset1:17
	s_waitcnt vmcnt(19)
	v_fma_f64 v[88:89], -v[98:99], v[148:149], v[88:89]
	ds_read2_b64 v[146:149], v199 offset0:18 offset1:19
	s_waitcnt vmcnt(18) lgkmcnt(2)
	v_fma_f64 v[118:119], -v[98:99], v[150:151], v[118:119]
	s_waitcnt vmcnt(17)
	v_fma_f64 v[86:87], -v[98:99], v[152:153], v[86:87]
	ds_read2_b64 v[150:153], v199 offset0:20 offset1:21
	s_waitcnt vmcnt(16) lgkmcnt(2)
	v_fma_f64 v[116:117], -v[98:99], v[142:143], v[116:117]
	;; [unrolled: 5-line block ×3, first 2 shown]
	s_waitcnt vmcnt(13)
	v_fma_f64 v[82:83], -v[98:99], v[148:149], v[82:83]
	s_waitcnt vmcnt(12) lgkmcnt(1)
	v_fma_f64 v[112:113], -v[98:99], v[150:151], v[112:113]
	ds_read2_b64 v[146:149], v199 offset0:24 offset1:25
	s_waitcnt vmcnt(11)
	v_fma_f64 v[80:81], -v[98:99], v[152:153], v[80:81]
	ds_read2_b64 v[150:153], v199 offset0:26 offset1:27
	s_waitcnt vmcnt(10) lgkmcnt(2)
	v_fma_f64 v[110:111], -v[98:99], v[142:143], v[110:111]
	s_waitcnt vmcnt(9)
	v_fma_f64 v[78:79], -v[98:99], v[144:145], v[78:79]
	s_waitcnt vmcnt(8) lgkmcnt(1)
	v_fma_f64 v[108:109], -v[98:99], v[146:147], v[108:109]
	s_waitcnt vmcnt(7)
	v_fma_f64 v[76:77], -v[98:99], v[148:149], v[76:77]
	ds_read2_b64 v[142:145], v199 offset0:28 offset1:29
	ds_read2_b64 v[146:149], v199 offset0:30 offset1:31
	s_waitcnt vmcnt(6) lgkmcnt(2)
	v_fma_f64 v[106:107], -v[98:99], v[150:151], v[106:107]
	ds_read_b64 v[150:151], v199 offset:256
	s_waitcnt vmcnt(5)
	v_fma_f64 v[74:75], -v[98:99], v[152:153], v[74:75]
	s_waitcnt vmcnt(4) lgkmcnt(2)
	v_fma_f64 v[104:105], -v[98:99], v[142:143], v[104:105]
	s_waitcnt vmcnt(3)
	v_fma_f64 v[72:73], -v[98:99], v[144:145], v[72:73]
	s_waitcnt vmcnt(2) lgkmcnt(1)
	v_fma_f64 v[102:103], -v[98:99], v[146:147], v[102:103]
	;; [unrolled: 4-line block ×3, first 2 shown]
.LBB65_21:
	s_or_b64 exec, exec, s[2:3]
	v_cmp_eq_u32_e32 vcc, 4, v200
	s_waitcnt lgkmcnt(0)
	s_barrier
	s_and_saveexec_b64 s[2:3], vcc
	s_cbranch_execz .LBB65_24
; %bb.22:
	s_waitcnt vmcnt(28)
	ds_write_b64 v198, v[128:129]
	s_waitcnt vmcnt(26)
	ds_write2_b64 v199, v[96:97], v[126:127] offset0:5 offset1:6
	s_waitcnt vmcnt(24)
	ds_write2_b64 v199, v[94:95], v[124:125] offset0:7 offset1:8
	;; [unrolled: 2-line block ×14, first 2 shown]
	ds_read_b64 v[142:143], v198
	s_waitcnt lgkmcnt(0)
	v_cmp_neq_f64_e32 vcc, 0, v[142:143]
	s_and_b64 exec, exec, vcc
	s_cbranch_execz .LBB65_24
; %bb.23:
	v_div_scale_f64 v[144:145], s[6:7], v[142:143], v[142:143], 1.0
	v_rcp_f64_e32 v[146:147], v[144:145]
	v_div_scale_f64 v[148:149], vcc, 1.0, v[142:143], 1.0
	v_fma_f64 v[150:151], -v[144:145], v[146:147], 1.0
	v_fmac_f64_e32 v[146:147], v[146:147], v[150:151]
	v_fma_f64 v[150:151], -v[144:145], v[146:147], 1.0
	v_fmac_f64_e32 v[146:147], v[146:147], v[150:151]
	v_mul_f64 v[150:151], v[148:149], v[146:147]
	v_fma_f64 v[144:145], -v[144:145], v[150:151], v[148:149]
	v_div_fmas_f64 v[144:145], v[144:145], v[146:147], v[150:151]
	v_div_fixup_f64 v[142:143], v[144:145], v[142:143], 1.0
	ds_write_b64 v198, v[142:143]
.LBB65_24:
	s_or_b64 exec, exec, s[2:3]
	s_waitcnt lgkmcnt(0)
	s_barrier
	ds_read_b64 v[142:143], v198
	v_cmp_lt_u32_e32 vcc, 4, v200
	s_and_saveexec_b64 s[2:3], vcc
	s_cbranch_execz .LBB65_26
; %bb.25:
	ds_read2_b64 v[144:147], v199 offset0:5 offset1:6
	ds_read2_b64 v[148:151], v199 offset0:7 offset1:8
	s_waitcnt vmcnt(28) lgkmcnt(2)
	v_mul_f64 v[128:129], v[142:143], v[128:129]
	ds_read2_b64 v[152:155], v199 offset0:9 offset1:10
	s_waitcnt vmcnt(27) lgkmcnt(2)
	v_fma_f64 v[96:97], -v[128:129], v[144:145], v[96:97]
	s_waitcnt vmcnt(26)
	v_fma_f64 v[126:127], -v[128:129], v[146:147], v[126:127]
	ds_read2_b64 v[144:147], v199 offset0:11 offset1:12
	s_waitcnt vmcnt(25) lgkmcnt(2)
	v_fma_f64 v[94:95], -v[128:129], v[148:149], v[94:95]
	s_waitcnt vmcnt(24)
	v_fma_f64 v[124:125], -v[128:129], v[150:151], v[124:125]
	;; [unrolled: 5-line block ×4, first 2 shown]
	s_waitcnt vmcnt(19) lgkmcnt(1)
	v_fma_f64 v[88:89], -v[128:129], v[148:149], v[88:89]
	ds_read2_b64 v[144:147], v199 offset0:17 offset1:18
	s_waitcnt vmcnt(18)
	v_fma_f64 v[118:119], -v[128:129], v[150:151], v[118:119]
	ds_read2_b64 v[148:151], v199 offset0:19 offset1:20
	s_waitcnt vmcnt(17) lgkmcnt(2)
	v_fma_f64 v[86:87], -v[128:129], v[152:153], v[86:87]
	s_waitcnt vmcnt(16)
	v_fma_f64 v[116:117], -v[128:129], v[154:155], v[116:117]
	s_waitcnt vmcnt(15) lgkmcnt(1)
	v_fma_f64 v[84:85], -v[128:129], v[144:145], v[84:85]
	ds_read2_b64 v[152:155], v199 offset0:21 offset1:22
	s_waitcnt vmcnt(14)
	v_fma_f64 v[114:115], -v[128:129], v[146:147], v[114:115]
	ds_read2_b64 v[144:147], v199 offset0:23 offset1:24
	s_waitcnt vmcnt(13) lgkmcnt(2)
	v_fma_f64 v[82:83], -v[128:129], v[148:149], v[82:83]
	s_waitcnt vmcnt(12)
	v_fma_f64 v[112:113], -v[128:129], v[150:151], v[112:113]
	ds_read2_b64 v[148:151], v199 offset0:25 offset1:26
	s_waitcnt vmcnt(11) lgkmcnt(2)
	v_fma_f64 v[80:81], -v[128:129], v[152:153], v[80:81]
	s_waitcnt vmcnt(10)
	v_fma_f64 v[110:111], -v[128:129], v[154:155], v[110:111]
	s_waitcnt vmcnt(9) lgkmcnt(1)
	v_fma_f64 v[78:79], -v[128:129], v[144:145], v[78:79]
	s_waitcnt vmcnt(8)
	v_fma_f64 v[108:109], -v[128:129], v[146:147], v[108:109]
	ds_read2_b64 v[144:147], v199 offset0:27 offset1:28
	s_waitcnt vmcnt(7) lgkmcnt(1)
	v_fma_f64 v[76:77], -v[128:129], v[148:149], v[76:77]
	ds_read2_b64 v[152:155], v199 offset0:29 offset1:30
	s_waitcnt vmcnt(6)
	v_fma_f64 v[106:107], -v[128:129], v[150:151], v[106:107]
	ds_read2_b64 v[148:151], v199 offset0:31 offset1:32
	s_waitcnt vmcnt(5) lgkmcnt(2)
	v_fma_f64 v[74:75], -v[128:129], v[144:145], v[74:75]
	s_waitcnt vmcnt(4)
	v_fma_f64 v[104:105], -v[128:129], v[146:147], v[104:105]
	s_waitcnt vmcnt(3) lgkmcnt(1)
	v_fma_f64 v[72:73], -v[128:129], v[152:153], v[72:73]
	s_waitcnt vmcnt(2)
	v_fma_f64 v[102:103], -v[128:129], v[154:155], v[102:103]
	;; [unrolled: 4-line block ×3, first 2 shown]
.LBB65_26:
	s_or_b64 exec, exec, s[2:3]
	v_cmp_eq_u32_e32 vcc, 5, v200
	s_waitcnt lgkmcnt(0)
	s_barrier
	s_and_saveexec_b64 s[2:3], vcc
	s_cbranch_execz .LBB65_29
; %bb.27:
	s_waitcnt vmcnt(26)
	v_mov_b32_e32 v144, v126
	v_mov_b32_e32 v145, v127
	s_waitcnt vmcnt(25)
	v_mov_b32_e32 v146, v94
	v_mov_b32_e32 v147, v95
	ds_write_b64 v198, v[96:97]
	ds_write2_b64 v199, v[144:145], v[146:147] offset0:6 offset1:7
	s_waitcnt vmcnt(24)
	v_mov_b32_e32 v144, v124
	v_mov_b32_e32 v145, v125
	s_waitcnt vmcnt(23)
	v_mov_b32_e32 v146, v92
	v_mov_b32_e32 v147, v93
	ds_write2_b64 v199, v[144:145], v[146:147] offset0:8 offset1:9
	s_waitcnt vmcnt(22)
	v_mov_b32_e32 v144, v122
	v_mov_b32_e32 v145, v123
	s_waitcnt vmcnt(21)
	v_mov_b32_e32 v146, v90
	v_mov_b32_e32 v147, v91
	;; [unrolled: 7-line block ×12, first 2 shown]
	ds_write2_b64 v199, v[144:145], v[146:147] offset0:30 offset1:31
	s_waitcnt vmcnt(0)
	ds_write_b64 v199, v[132:133] offset:256
	ds_read_b64 v[144:145], v198
	s_waitcnt lgkmcnt(0)
	v_cmp_neq_f64_e32 vcc, 0, v[144:145]
	s_and_b64 exec, exec, vcc
	s_cbranch_execz .LBB65_29
; %bb.28:
	v_div_scale_f64 v[146:147], s[6:7], v[144:145], v[144:145], 1.0
	v_rcp_f64_e32 v[148:149], v[146:147]
	v_div_scale_f64 v[150:151], vcc, 1.0, v[144:145], 1.0
	v_fma_f64 v[152:153], -v[146:147], v[148:149], 1.0
	v_fmac_f64_e32 v[148:149], v[148:149], v[152:153]
	v_fma_f64 v[152:153], -v[146:147], v[148:149], 1.0
	v_fmac_f64_e32 v[148:149], v[148:149], v[152:153]
	v_mul_f64 v[152:153], v[150:151], v[148:149]
	v_fma_f64 v[146:147], -v[146:147], v[152:153], v[150:151]
	v_div_fmas_f64 v[146:147], v[146:147], v[148:149], v[152:153]
	v_div_fixup_f64 v[144:145], v[146:147], v[144:145], 1.0
	ds_write_b64 v198, v[144:145]
.LBB65_29:
	s_or_b64 exec, exec, s[2:3]
	s_waitcnt lgkmcnt(0)
	s_barrier
	ds_read_b64 v[144:145], v198
	v_cmp_lt_u32_e32 vcc, 5, v200
	s_and_saveexec_b64 s[2:3], vcc
	s_cbranch_execz .LBB65_31
; %bb.30:
	ds_read2_b64 v[146:149], v199 offset0:6 offset1:7
	ds_read2_b64 v[150:153], v199 offset0:8 offset1:9
	s_waitcnt vmcnt(27) lgkmcnt(2)
	v_mul_f64 v[96:97], v[144:145], v[96:97]
	ds_read2_b64 v[154:157], v199 offset0:10 offset1:11
	s_waitcnt vmcnt(26) lgkmcnt(2)
	v_fma_f64 v[126:127], -v[96:97], v[146:147], v[126:127]
	s_waitcnt vmcnt(25)
	v_fma_f64 v[94:95], -v[96:97], v[148:149], v[94:95]
	ds_read2_b64 v[146:149], v199 offset0:12 offset1:13
	s_waitcnt vmcnt(24) lgkmcnt(2)
	v_fma_f64 v[124:125], -v[96:97], v[150:151], v[124:125]
	s_waitcnt vmcnt(23)
	v_fma_f64 v[92:93], -v[96:97], v[152:153], v[92:93]
	;; [unrolled: 5-line block ×4, first 2 shown]
	s_waitcnt vmcnt(18) lgkmcnt(1)
	v_fma_f64 v[118:119], -v[96:97], v[150:151], v[118:119]
	ds_read2_b64 v[146:149], v199 offset0:18 offset1:19
	s_waitcnt vmcnt(17)
	v_fma_f64 v[86:87], -v[96:97], v[152:153], v[86:87]
	ds_read2_b64 v[150:153], v199 offset0:20 offset1:21
	s_waitcnt vmcnt(16) lgkmcnt(2)
	v_fma_f64 v[116:117], -v[96:97], v[154:155], v[116:117]
	s_waitcnt vmcnt(15)
	v_fma_f64 v[84:85], -v[96:97], v[156:157], v[84:85]
	s_waitcnt vmcnt(14) lgkmcnt(1)
	v_fma_f64 v[114:115], -v[96:97], v[146:147], v[114:115]
	ds_read2_b64 v[154:157], v199 offset0:22 offset1:23
	s_waitcnt vmcnt(13)
	v_fma_f64 v[82:83], -v[96:97], v[148:149], v[82:83]
	ds_read2_b64 v[146:149], v199 offset0:24 offset1:25
	s_waitcnt vmcnt(12) lgkmcnt(2)
	v_fma_f64 v[112:113], -v[96:97], v[150:151], v[112:113]
	s_waitcnt vmcnt(11)
	v_fma_f64 v[80:81], -v[96:97], v[152:153], v[80:81]
	ds_read2_b64 v[150:153], v199 offset0:26 offset1:27
	s_waitcnt vmcnt(10) lgkmcnt(2)
	v_fma_f64 v[110:111], -v[96:97], v[154:155], v[110:111]
	s_waitcnt vmcnt(9)
	v_fma_f64 v[78:79], -v[96:97], v[156:157], v[78:79]
	s_waitcnt vmcnt(8) lgkmcnt(1)
	v_fma_f64 v[108:109], -v[96:97], v[146:147], v[108:109]
	s_waitcnt vmcnt(7)
	v_fma_f64 v[76:77], -v[96:97], v[148:149], v[76:77]
	ds_read2_b64 v[146:149], v199 offset0:28 offset1:29
	s_waitcnt vmcnt(6) lgkmcnt(1)
	v_fma_f64 v[106:107], -v[96:97], v[150:151], v[106:107]
	ds_read2_b64 v[154:157], v199 offset0:30 offset1:31
	ds_read_b64 v[150:151], v199 offset:256
	s_waitcnt vmcnt(5)
	v_fma_f64 v[74:75], -v[96:97], v[152:153], v[74:75]
	s_waitcnt vmcnt(4) lgkmcnt(2)
	v_fma_f64 v[104:105], -v[96:97], v[146:147], v[104:105]
	s_waitcnt vmcnt(3)
	v_fma_f64 v[72:73], -v[96:97], v[148:149], v[72:73]
	s_waitcnt vmcnt(2) lgkmcnt(1)
	v_fma_f64 v[102:103], -v[96:97], v[154:155], v[102:103]
	;; [unrolled: 4-line block ×3, first 2 shown]
.LBB65_31:
	s_or_b64 exec, exec, s[2:3]
	v_cmp_eq_u32_e32 vcc, 6, v200
	s_waitcnt lgkmcnt(0)
	s_barrier
	s_and_saveexec_b64 s[2:3], vcc
	s_cbranch_execz .LBB65_34
; %bb.32:
	s_waitcnt vmcnt(26)
	ds_write_b64 v198, v[126:127]
	s_waitcnt vmcnt(24)
	ds_write2_b64 v199, v[94:95], v[124:125] offset0:7 offset1:8
	s_waitcnt vmcnt(22)
	ds_write2_b64 v199, v[92:93], v[122:123] offset0:9 offset1:10
	;; [unrolled: 2-line block ×13, first 2 shown]
	ds_read_b64 v[146:147], v198
	s_waitcnt lgkmcnt(0)
	v_cmp_neq_f64_e32 vcc, 0, v[146:147]
	s_and_b64 exec, exec, vcc
	s_cbranch_execz .LBB65_34
; %bb.33:
	v_div_scale_f64 v[148:149], s[6:7], v[146:147], v[146:147], 1.0
	v_rcp_f64_e32 v[150:151], v[148:149]
	v_div_scale_f64 v[152:153], vcc, 1.0, v[146:147], 1.0
	v_fma_f64 v[154:155], -v[148:149], v[150:151], 1.0
	v_fmac_f64_e32 v[150:151], v[150:151], v[154:155]
	v_fma_f64 v[154:155], -v[148:149], v[150:151], 1.0
	v_fmac_f64_e32 v[150:151], v[150:151], v[154:155]
	v_mul_f64 v[154:155], v[152:153], v[150:151]
	v_fma_f64 v[148:149], -v[148:149], v[154:155], v[152:153]
	v_div_fmas_f64 v[148:149], v[148:149], v[150:151], v[154:155]
	v_div_fixup_f64 v[146:147], v[148:149], v[146:147], 1.0
	ds_write_b64 v198, v[146:147]
.LBB65_34:
	s_or_b64 exec, exec, s[2:3]
	s_waitcnt lgkmcnt(0)
	s_barrier
	ds_read_b64 v[146:147], v198
	v_cmp_lt_u32_e32 vcc, 6, v200
	s_and_saveexec_b64 s[2:3], vcc
	s_cbranch_execz .LBB65_36
; %bb.35:
	ds_read2_b64 v[148:151], v199 offset0:7 offset1:8
	ds_read2_b64 v[152:155], v199 offset0:9 offset1:10
	s_waitcnt vmcnt(26) lgkmcnt(2)
	v_mul_f64 v[126:127], v[146:147], v[126:127]
	ds_read2_b64 v[156:159], v199 offset0:11 offset1:12
	s_waitcnt vmcnt(25) lgkmcnt(2)
	v_fma_f64 v[94:95], -v[126:127], v[148:149], v[94:95]
	s_waitcnt vmcnt(24)
	v_fma_f64 v[124:125], -v[126:127], v[150:151], v[124:125]
	ds_read2_b64 v[148:151], v199 offset0:13 offset1:14
	s_waitcnt vmcnt(23) lgkmcnt(2)
	v_fma_f64 v[92:93], -v[126:127], v[152:153], v[92:93]
	s_waitcnt vmcnt(22)
	v_fma_f64 v[122:123], -v[126:127], v[154:155], v[122:123]
	s_waitcnt vmcnt(21) lgkmcnt(1)
	v_fma_f64 v[90:91], -v[126:127], v[156:157], v[90:91]
	ds_read2_b64 v[152:155], v199 offset0:15 offset1:16
	s_waitcnt vmcnt(20)
	v_fma_f64 v[120:121], -v[126:127], v[158:159], v[120:121]
	ds_read2_b64 v[156:159], v199 offset0:17 offset1:18
	s_waitcnt vmcnt(19) lgkmcnt(2)
	v_fma_f64 v[88:89], -v[126:127], v[148:149], v[88:89]
	s_waitcnt vmcnt(18)
	v_fma_f64 v[118:119], -v[126:127], v[150:151], v[118:119]
	ds_read2_b64 v[148:151], v199 offset0:19 offset1:20
	s_waitcnt vmcnt(17) lgkmcnt(2)
	v_fma_f64 v[86:87], -v[126:127], v[152:153], v[86:87]
	;; [unrolled: 5-line block ×3, first 2 shown]
	s_waitcnt vmcnt(14)
	v_fma_f64 v[114:115], -v[126:127], v[158:159], v[114:115]
	s_waitcnt vmcnt(13) lgkmcnt(1)
	v_fma_f64 v[82:83], -v[126:127], v[148:149], v[82:83]
	ds_read2_b64 v[156:159], v199 offset0:23 offset1:24
	s_waitcnt vmcnt(12)
	v_fma_f64 v[112:113], -v[126:127], v[150:151], v[112:113]
	ds_read2_b64 v[148:151], v199 offset0:25 offset1:26
	s_waitcnt vmcnt(11) lgkmcnt(2)
	v_fma_f64 v[80:81], -v[126:127], v[152:153], v[80:81]
	s_waitcnt vmcnt(10)
	v_fma_f64 v[110:111], -v[126:127], v[154:155], v[110:111]
	s_waitcnt vmcnt(9) lgkmcnt(1)
	v_fma_f64 v[78:79], -v[126:127], v[156:157], v[78:79]
	s_waitcnt vmcnt(8)
	v_fma_f64 v[108:109], -v[126:127], v[158:159], v[108:109]
	ds_read2_b64 v[152:155], v199 offset0:27 offset1:28
	ds_read2_b64 v[156:159], v199 offset0:29 offset1:30
	s_waitcnt vmcnt(7) lgkmcnt(2)
	v_fma_f64 v[76:77], -v[126:127], v[148:149], v[76:77]
	s_waitcnt vmcnt(6)
	v_fma_f64 v[106:107], -v[126:127], v[150:151], v[106:107]
	ds_read2_b64 v[148:151], v199 offset0:31 offset1:32
	s_waitcnt vmcnt(5) lgkmcnt(2)
	v_fma_f64 v[74:75], -v[126:127], v[152:153], v[74:75]
	s_waitcnt vmcnt(4)
	v_fma_f64 v[104:105], -v[126:127], v[154:155], v[104:105]
	s_waitcnt vmcnt(3) lgkmcnt(1)
	v_fma_f64 v[72:73], -v[126:127], v[156:157], v[72:73]
	s_waitcnt vmcnt(2)
	v_fma_f64 v[102:103], -v[126:127], v[158:159], v[102:103]
	;; [unrolled: 4-line block ×3, first 2 shown]
.LBB65_36:
	s_or_b64 exec, exec, s[2:3]
	v_cmp_eq_u32_e32 vcc, 7, v200
	s_waitcnt lgkmcnt(0)
	s_barrier
	s_and_saveexec_b64 s[2:3], vcc
	s_cbranch_execz .LBB65_39
; %bb.37:
	s_waitcnt vmcnt(24)
	v_mov_b32_e32 v148, v124
	v_mov_b32_e32 v149, v125
	s_waitcnt vmcnt(23)
	v_mov_b32_e32 v150, v92
	v_mov_b32_e32 v151, v93
	ds_write_b64 v198, v[94:95]
	ds_write2_b64 v199, v[148:149], v[150:151] offset0:8 offset1:9
	s_waitcnt vmcnt(22)
	v_mov_b32_e32 v148, v122
	v_mov_b32_e32 v149, v123
	s_waitcnt vmcnt(21)
	v_mov_b32_e32 v150, v90
	v_mov_b32_e32 v151, v91
	ds_write2_b64 v199, v[148:149], v[150:151] offset0:10 offset1:11
	s_waitcnt vmcnt(20)
	v_mov_b32_e32 v148, v120
	v_mov_b32_e32 v149, v121
	s_waitcnt vmcnt(19)
	v_mov_b32_e32 v150, v88
	v_mov_b32_e32 v151, v89
	;; [unrolled: 7-line block ×11, first 2 shown]
	ds_write2_b64 v199, v[148:149], v[150:151] offset0:30 offset1:31
	s_waitcnt vmcnt(0)
	ds_write_b64 v199, v[132:133] offset:256
	ds_read_b64 v[148:149], v198
	s_waitcnt lgkmcnt(0)
	v_cmp_neq_f64_e32 vcc, 0, v[148:149]
	s_and_b64 exec, exec, vcc
	s_cbranch_execz .LBB65_39
; %bb.38:
	v_div_scale_f64 v[150:151], s[6:7], v[148:149], v[148:149], 1.0
	v_rcp_f64_e32 v[152:153], v[150:151]
	v_div_scale_f64 v[154:155], vcc, 1.0, v[148:149], 1.0
	v_fma_f64 v[156:157], -v[150:151], v[152:153], 1.0
	v_fmac_f64_e32 v[152:153], v[152:153], v[156:157]
	v_fma_f64 v[156:157], -v[150:151], v[152:153], 1.0
	v_fmac_f64_e32 v[152:153], v[152:153], v[156:157]
	v_mul_f64 v[156:157], v[154:155], v[152:153]
	v_fma_f64 v[150:151], -v[150:151], v[156:157], v[154:155]
	v_div_fmas_f64 v[150:151], v[150:151], v[152:153], v[156:157]
	v_div_fixup_f64 v[148:149], v[150:151], v[148:149], 1.0
	ds_write_b64 v198, v[148:149]
.LBB65_39:
	s_or_b64 exec, exec, s[2:3]
	s_waitcnt lgkmcnt(0)
	s_barrier
	ds_read_b64 v[148:149], v198
	v_cmp_lt_u32_e32 vcc, 7, v200
	s_and_saveexec_b64 s[2:3], vcc
	s_cbranch_execz .LBB65_41
; %bb.40:
	ds_read2_b64 v[150:153], v199 offset0:8 offset1:9
	ds_read2_b64 v[154:157], v199 offset0:10 offset1:11
	s_waitcnt vmcnt(25) lgkmcnt(2)
	v_mul_f64 v[94:95], v[148:149], v[94:95]
	ds_read2_b64 v[158:161], v199 offset0:12 offset1:13
	s_waitcnt vmcnt(24) lgkmcnt(2)
	v_fma_f64 v[124:125], -v[94:95], v[150:151], v[124:125]
	s_waitcnt vmcnt(23)
	v_fma_f64 v[92:93], -v[94:95], v[152:153], v[92:93]
	ds_read2_b64 v[150:153], v199 offset0:14 offset1:15
	s_waitcnt vmcnt(22) lgkmcnt(2)
	v_fma_f64 v[122:123], -v[94:95], v[154:155], v[122:123]
	s_waitcnt vmcnt(21)
	v_fma_f64 v[90:91], -v[94:95], v[156:157], v[90:91]
	s_waitcnt vmcnt(20) lgkmcnt(1)
	v_fma_f64 v[120:121], -v[94:95], v[158:159], v[120:121]
	ds_read2_b64 v[154:157], v199 offset0:16 offset1:17
	s_waitcnt vmcnt(19)
	v_fma_f64 v[88:89], -v[94:95], v[160:161], v[88:89]
	ds_read2_b64 v[158:161], v199 offset0:18 offset1:19
	s_waitcnt vmcnt(18) lgkmcnt(2)
	v_fma_f64 v[118:119], -v[94:95], v[150:151], v[118:119]
	s_waitcnt vmcnt(17)
	v_fma_f64 v[86:87], -v[94:95], v[152:153], v[86:87]
	ds_read2_b64 v[150:153], v199 offset0:20 offset1:21
	s_waitcnt vmcnt(16) lgkmcnt(2)
	v_fma_f64 v[116:117], -v[94:95], v[154:155], v[116:117]
	;; [unrolled: 5-line block ×3, first 2 shown]
	s_waitcnt vmcnt(13)
	v_fma_f64 v[82:83], -v[94:95], v[160:161], v[82:83]
	s_waitcnt vmcnt(12) lgkmcnt(1)
	v_fma_f64 v[112:113], -v[94:95], v[150:151], v[112:113]
	ds_read2_b64 v[158:161], v199 offset0:24 offset1:25
	s_waitcnt vmcnt(11)
	v_fma_f64 v[80:81], -v[94:95], v[152:153], v[80:81]
	ds_read2_b64 v[150:153], v199 offset0:26 offset1:27
	s_waitcnt vmcnt(10) lgkmcnt(2)
	v_fma_f64 v[110:111], -v[94:95], v[154:155], v[110:111]
	s_waitcnt vmcnt(9)
	v_fma_f64 v[78:79], -v[94:95], v[156:157], v[78:79]
	s_waitcnt vmcnt(8) lgkmcnt(1)
	v_fma_f64 v[108:109], -v[94:95], v[158:159], v[108:109]
	s_waitcnt vmcnt(7)
	v_fma_f64 v[76:77], -v[94:95], v[160:161], v[76:77]
	ds_read2_b64 v[154:157], v199 offset0:28 offset1:29
	ds_read2_b64 v[158:161], v199 offset0:30 offset1:31
	s_waitcnt vmcnt(6) lgkmcnt(2)
	v_fma_f64 v[106:107], -v[94:95], v[150:151], v[106:107]
	ds_read_b64 v[150:151], v199 offset:256
	s_waitcnt vmcnt(5)
	v_fma_f64 v[74:75], -v[94:95], v[152:153], v[74:75]
	s_waitcnt vmcnt(4) lgkmcnt(2)
	v_fma_f64 v[104:105], -v[94:95], v[154:155], v[104:105]
	s_waitcnt vmcnt(3)
	v_fma_f64 v[72:73], -v[94:95], v[156:157], v[72:73]
	s_waitcnt vmcnt(2) lgkmcnt(1)
	v_fma_f64 v[102:103], -v[94:95], v[158:159], v[102:103]
	;; [unrolled: 4-line block ×3, first 2 shown]
.LBB65_41:
	s_or_b64 exec, exec, s[2:3]
	v_cmp_eq_u32_e32 vcc, 8, v200
	s_waitcnt lgkmcnt(0)
	s_barrier
	s_and_saveexec_b64 s[2:3], vcc
	s_cbranch_execz .LBB65_44
; %bb.42:
	s_waitcnt vmcnt(24)
	ds_write_b64 v198, v[124:125]
	s_waitcnt vmcnt(22)
	ds_write2_b64 v199, v[92:93], v[122:123] offset0:9 offset1:10
	s_waitcnt vmcnt(20)
	ds_write2_b64 v199, v[90:91], v[120:121] offset0:11 offset1:12
	;; [unrolled: 2-line block ×12, first 2 shown]
	ds_read_b64 v[150:151], v198
	s_waitcnt lgkmcnt(0)
	v_cmp_neq_f64_e32 vcc, 0, v[150:151]
	s_and_b64 exec, exec, vcc
	s_cbranch_execz .LBB65_44
; %bb.43:
	v_div_scale_f64 v[152:153], s[6:7], v[150:151], v[150:151], 1.0
	v_rcp_f64_e32 v[154:155], v[152:153]
	v_div_scale_f64 v[156:157], vcc, 1.0, v[150:151], 1.0
	v_fma_f64 v[158:159], -v[152:153], v[154:155], 1.0
	v_fmac_f64_e32 v[154:155], v[154:155], v[158:159]
	v_fma_f64 v[158:159], -v[152:153], v[154:155], 1.0
	v_fmac_f64_e32 v[154:155], v[154:155], v[158:159]
	v_mul_f64 v[158:159], v[156:157], v[154:155]
	v_fma_f64 v[152:153], -v[152:153], v[158:159], v[156:157]
	v_div_fmas_f64 v[152:153], v[152:153], v[154:155], v[158:159]
	v_div_fixup_f64 v[150:151], v[152:153], v[150:151], 1.0
	ds_write_b64 v198, v[150:151]
.LBB65_44:
	s_or_b64 exec, exec, s[2:3]
	s_waitcnt lgkmcnt(0)
	s_barrier
	ds_read_b64 v[150:151], v198
	v_cmp_lt_u32_e32 vcc, 8, v200
	s_and_saveexec_b64 s[2:3], vcc
	s_cbranch_execz .LBB65_46
; %bb.45:
	ds_read2_b64 v[152:155], v199 offset0:9 offset1:10
	ds_read2_b64 v[156:159], v199 offset0:11 offset1:12
	;; [unrolled: 1-line block ×3, first 2 shown]
	s_waitcnt vmcnt(24) lgkmcnt(3)
	v_mul_f64 v[124:125], v[150:151], v[124:125]
	s_waitcnt vmcnt(23) lgkmcnt(2)
	v_fma_f64 v[92:93], -v[124:125], v[152:153], v[92:93]
	s_waitcnt vmcnt(22)
	v_fma_f64 v[122:123], -v[124:125], v[154:155], v[122:123]
	ds_read2_b64 v[152:155], v199 offset0:15 offset1:16
	s_waitcnt vmcnt(21) lgkmcnt(2)
	v_fma_f64 v[90:91], -v[124:125], v[156:157], v[90:91]
	s_waitcnt vmcnt(20)
	v_fma_f64 v[120:121], -v[124:125], v[158:159], v[120:121]
	s_waitcnt vmcnt(19) lgkmcnt(1)
	v_fma_f64 v[88:89], -v[124:125], v[160:161], v[88:89]
	ds_read2_b64 v[156:159], v199 offset0:17 offset1:18
	s_waitcnt vmcnt(18)
	v_fma_f64 v[118:119], -v[124:125], v[162:163], v[118:119]
	ds_read2_b64 v[160:163], v199 offset0:19 offset1:20
	s_waitcnt vmcnt(17) lgkmcnt(2)
	v_fma_f64 v[86:87], -v[124:125], v[152:153], v[86:87]
	s_waitcnt vmcnt(16)
	v_fma_f64 v[116:117], -v[124:125], v[154:155], v[116:117]
	s_waitcnt vmcnt(15) lgkmcnt(1)
	v_fma_f64 v[84:85], -v[124:125], v[156:157], v[84:85]
	ds_read2_b64 v[152:155], v199 offset0:21 offset1:22
	s_waitcnt vmcnt(14)
	v_fma_f64 v[114:115], -v[124:125], v[158:159], v[114:115]
	ds_read2_b64 v[156:159], v199 offset0:23 offset1:24
	s_waitcnt vmcnt(13) lgkmcnt(2)
	v_fma_f64 v[82:83], -v[124:125], v[160:161], v[82:83]
	s_waitcnt vmcnt(12)
	v_fma_f64 v[112:113], -v[124:125], v[162:163], v[112:113]
	ds_read2_b64 v[160:163], v199 offset0:25 offset1:26
	s_waitcnt vmcnt(11) lgkmcnt(2)
	v_fma_f64 v[80:81], -v[124:125], v[152:153], v[80:81]
	;; [unrolled: 5-line block ×3, first 2 shown]
	s_waitcnt vmcnt(8)
	v_fma_f64 v[108:109], -v[124:125], v[158:159], v[108:109]
	s_waitcnt vmcnt(7) lgkmcnt(1)
	v_fma_f64 v[76:77], -v[124:125], v[160:161], v[76:77]
	ds_read2_b64 v[156:159], v199 offset0:29 offset1:30
	s_waitcnt vmcnt(6)
	v_fma_f64 v[106:107], -v[124:125], v[162:163], v[106:107]
	ds_read2_b64 v[160:163], v199 offset0:31 offset1:32
	s_waitcnt vmcnt(5) lgkmcnt(2)
	v_fma_f64 v[74:75], -v[124:125], v[152:153], v[74:75]
	s_waitcnt vmcnt(4)
	v_fma_f64 v[104:105], -v[124:125], v[154:155], v[104:105]
	s_waitcnt vmcnt(3) lgkmcnt(1)
	v_fma_f64 v[72:73], -v[124:125], v[156:157], v[72:73]
	s_waitcnt vmcnt(2)
	v_fma_f64 v[102:103], -v[124:125], v[158:159], v[102:103]
	;; [unrolled: 4-line block ×3, first 2 shown]
.LBB65_46:
	s_or_b64 exec, exec, s[2:3]
	v_cmp_eq_u32_e32 vcc, 9, v200
	s_waitcnt lgkmcnt(0)
	s_barrier
	s_and_saveexec_b64 s[2:3], vcc
	s_cbranch_execz .LBB65_49
; %bb.47:
	s_waitcnt vmcnt(22)
	v_mov_b32_e32 v152, v122
	v_mov_b32_e32 v153, v123
	s_waitcnt vmcnt(21)
	v_mov_b32_e32 v154, v90
	v_mov_b32_e32 v155, v91
	ds_write_b64 v198, v[92:93]
	ds_write2_b64 v199, v[152:153], v[154:155] offset0:10 offset1:11
	s_waitcnt vmcnt(20)
	v_mov_b32_e32 v152, v120
	v_mov_b32_e32 v153, v121
	s_waitcnt vmcnt(19)
	v_mov_b32_e32 v154, v88
	v_mov_b32_e32 v155, v89
	ds_write2_b64 v199, v[152:153], v[154:155] offset0:12 offset1:13
	s_waitcnt vmcnt(18)
	v_mov_b32_e32 v152, v118
	v_mov_b32_e32 v153, v119
	s_waitcnt vmcnt(17)
	v_mov_b32_e32 v154, v86
	v_mov_b32_e32 v155, v87
	;; [unrolled: 7-line block ×10, first 2 shown]
	ds_write2_b64 v199, v[152:153], v[154:155] offset0:30 offset1:31
	s_waitcnt vmcnt(0)
	ds_write_b64 v199, v[132:133] offset:256
	ds_read_b64 v[152:153], v198
	s_waitcnt lgkmcnt(0)
	v_cmp_neq_f64_e32 vcc, 0, v[152:153]
	s_and_b64 exec, exec, vcc
	s_cbranch_execz .LBB65_49
; %bb.48:
	v_div_scale_f64 v[154:155], s[6:7], v[152:153], v[152:153], 1.0
	v_rcp_f64_e32 v[156:157], v[154:155]
	v_div_scale_f64 v[158:159], vcc, 1.0, v[152:153], 1.0
	v_fma_f64 v[160:161], -v[154:155], v[156:157], 1.0
	v_fmac_f64_e32 v[156:157], v[156:157], v[160:161]
	v_fma_f64 v[160:161], -v[154:155], v[156:157], 1.0
	v_fmac_f64_e32 v[156:157], v[156:157], v[160:161]
	v_mul_f64 v[160:161], v[158:159], v[156:157]
	v_fma_f64 v[154:155], -v[154:155], v[160:161], v[158:159]
	v_div_fmas_f64 v[154:155], v[154:155], v[156:157], v[160:161]
	v_div_fixup_f64 v[152:153], v[154:155], v[152:153], 1.0
	ds_write_b64 v198, v[152:153]
.LBB65_49:
	s_or_b64 exec, exec, s[2:3]
	s_waitcnt lgkmcnt(0)
	s_barrier
	ds_read_b64 v[152:153], v198
	v_cmp_lt_u32_e32 vcc, 9, v200
	s_and_saveexec_b64 s[2:3], vcc
	s_cbranch_execz .LBB65_51
; %bb.50:
	ds_read2_b64 v[154:157], v199 offset0:10 offset1:11
	ds_read2_b64 v[158:161], v199 offset0:12 offset1:13
	;; [unrolled: 1-line block ×3, first 2 shown]
	s_waitcnt vmcnt(23) lgkmcnt(3)
	v_mul_f64 v[92:93], v[152:153], v[92:93]
	s_waitcnt vmcnt(22) lgkmcnt(2)
	v_fma_f64 v[122:123], -v[92:93], v[154:155], v[122:123]
	s_waitcnt vmcnt(21)
	v_fma_f64 v[90:91], -v[92:93], v[156:157], v[90:91]
	ds_read2_b64 v[154:157], v199 offset0:16 offset1:17
	s_waitcnt vmcnt(20) lgkmcnt(2)
	v_fma_f64 v[120:121], -v[92:93], v[158:159], v[120:121]
	s_waitcnt vmcnt(19)
	v_fma_f64 v[88:89], -v[92:93], v[160:161], v[88:89]
	s_waitcnt vmcnt(18) lgkmcnt(1)
	v_fma_f64 v[118:119], -v[92:93], v[162:163], v[118:119]
	ds_read2_b64 v[158:161], v199 offset0:18 offset1:19
	s_waitcnt vmcnt(17)
	v_fma_f64 v[86:87], -v[92:93], v[164:165], v[86:87]
	ds_read2_b64 v[162:165], v199 offset0:20 offset1:21
	s_waitcnt vmcnt(16) lgkmcnt(2)
	v_fma_f64 v[116:117], -v[92:93], v[154:155], v[116:117]
	s_waitcnt vmcnt(15)
	v_fma_f64 v[84:85], -v[92:93], v[156:157], v[84:85]
	s_waitcnt vmcnt(14) lgkmcnt(1)
	v_fma_f64 v[114:115], -v[92:93], v[158:159], v[114:115]
	ds_read2_b64 v[154:157], v199 offset0:22 offset1:23
	s_waitcnt vmcnt(13)
	v_fma_f64 v[82:83], -v[92:93], v[160:161], v[82:83]
	ds_read2_b64 v[158:161], v199 offset0:24 offset1:25
	s_waitcnt vmcnt(12) lgkmcnt(2)
	v_fma_f64 v[112:113], -v[92:93], v[162:163], v[112:113]
	s_waitcnt vmcnt(11)
	v_fma_f64 v[80:81], -v[92:93], v[164:165], v[80:81]
	ds_read2_b64 v[162:165], v199 offset0:26 offset1:27
	s_waitcnt vmcnt(10) lgkmcnt(2)
	v_fma_f64 v[110:111], -v[92:93], v[154:155], v[110:111]
	;; [unrolled: 5-line block ×3, first 2 shown]
	s_waitcnt vmcnt(7)
	v_fma_f64 v[76:77], -v[92:93], v[160:161], v[76:77]
	s_waitcnt vmcnt(6) lgkmcnt(1)
	v_fma_f64 v[106:107], -v[92:93], v[162:163], v[106:107]
	ds_read2_b64 v[158:161], v199 offset0:30 offset1:31
	ds_read_b64 v[162:163], v199 offset:256
	s_waitcnt vmcnt(5)
	v_fma_f64 v[74:75], -v[92:93], v[164:165], v[74:75]
	s_waitcnt vmcnt(4) lgkmcnt(2)
	v_fma_f64 v[104:105], -v[92:93], v[154:155], v[104:105]
	s_waitcnt vmcnt(3)
	v_fma_f64 v[72:73], -v[92:93], v[156:157], v[72:73]
	s_waitcnt vmcnt(2) lgkmcnt(1)
	v_fma_f64 v[102:103], -v[92:93], v[158:159], v[102:103]
	;; [unrolled: 4-line block ×3, first 2 shown]
.LBB65_51:
	s_or_b64 exec, exec, s[2:3]
	v_cmp_eq_u32_e32 vcc, 10, v200
	s_waitcnt lgkmcnt(0)
	s_barrier
	s_and_saveexec_b64 s[2:3], vcc
	s_cbranch_execz .LBB65_54
; %bb.52:
	s_waitcnt vmcnt(22)
	ds_write_b64 v198, v[122:123]
	s_waitcnt vmcnt(20)
	ds_write2_b64 v199, v[90:91], v[120:121] offset0:11 offset1:12
	s_waitcnt vmcnt(18)
	ds_write2_b64 v199, v[88:89], v[118:119] offset0:13 offset1:14
	;; [unrolled: 2-line block ×11, first 2 shown]
	ds_read_b64 v[154:155], v198
	s_waitcnt lgkmcnt(0)
	v_cmp_neq_f64_e32 vcc, 0, v[154:155]
	s_and_b64 exec, exec, vcc
	s_cbranch_execz .LBB65_54
; %bb.53:
	v_div_scale_f64 v[156:157], s[6:7], v[154:155], v[154:155], 1.0
	v_rcp_f64_e32 v[158:159], v[156:157]
	v_div_scale_f64 v[160:161], vcc, 1.0, v[154:155], 1.0
	v_fma_f64 v[162:163], -v[156:157], v[158:159], 1.0
	v_fmac_f64_e32 v[158:159], v[158:159], v[162:163]
	v_fma_f64 v[162:163], -v[156:157], v[158:159], 1.0
	v_fmac_f64_e32 v[158:159], v[158:159], v[162:163]
	v_mul_f64 v[162:163], v[160:161], v[158:159]
	v_fma_f64 v[156:157], -v[156:157], v[162:163], v[160:161]
	v_div_fmas_f64 v[156:157], v[156:157], v[158:159], v[162:163]
	v_div_fixup_f64 v[154:155], v[156:157], v[154:155], 1.0
	ds_write_b64 v198, v[154:155]
.LBB65_54:
	s_or_b64 exec, exec, s[2:3]
	s_waitcnt lgkmcnt(0)
	s_barrier
	ds_read_b64 v[154:155], v198
	v_cmp_lt_u32_e32 vcc, 10, v200
	s_and_saveexec_b64 s[2:3], vcc
	s_cbranch_execz .LBB65_56
; %bb.55:
	ds_read2_b64 v[156:159], v199 offset0:11 offset1:12
	ds_read2_b64 v[160:163], v199 offset0:13 offset1:14
	s_waitcnt vmcnt(22) lgkmcnt(2)
	v_mul_f64 v[122:123], v[154:155], v[122:123]
	ds_read2_b64 v[164:167], v199 offset0:15 offset1:16
	s_waitcnt vmcnt(21) lgkmcnt(2)
	v_fma_f64 v[90:91], -v[122:123], v[156:157], v[90:91]
	s_waitcnt vmcnt(20)
	v_fma_f64 v[120:121], -v[122:123], v[158:159], v[120:121]
	ds_read2_b64 v[156:159], v199 offset0:17 offset1:18
	s_waitcnt vmcnt(19) lgkmcnt(2)
	v_fma_f64 v[88:89], -v[122:123], v[160:161], v[88:89]
	s_waitcnt vmcnt(18)
	v_fma_f64 v[118:119], -v[122:123], v[162:163], v[118:119]
	;; [unrolled: 5-line block ×4, first 2 shown]
	s_waitcnt vmcnt(13) lgkmcnt(1)
	v_fma_f64 v[82:83], -v[122:123], v[160:161], v[82:83]
	ds_read2_b64 v[156:159], v199 offset0:23 offset1:24
	s_waitcnt vmcnt(12)
	v_fma_f64 v[112:113], -v[122:123], v[162:163], v[112:113]
	ds_read2_b64 v[160:163], v199 offset0:25 offset1:26
	s_waitcnt vmcnt(11) lgkmcnt(2)
	v_fma_f64 v[80:81], -v[122:123], v[164:165], v[80:81]
	s_waitcnt vmcnt(10)
	v_fma_f64 v[110:111], -v[122:123], v[166:167], v[110:111]
	s_waitcnt vmcnt(9) lgkmcnt(1)
	v_fma_f64 v[78:79], -v[122:123], v[156:157], v[78:79]
	s_waitcnt vmcnt(8)
	v_fma_f64 v[108:109], -v[122:123], v[158:159], v[108:109]
	ds_read2_b64 v[156:159], v199 offset0:27 offset1:28
	ds_read2_b64 v[164:167], v199 offset0:29 offset1:30
	s_waitcnt vmcnt(7) lgkmcnt(2)
	v_fma_f64 v[76:77], -v[122:123], v[160:161], v[76:77]
	s_waitcnt vmcnt(6)
	v_fma_f64 v[106:107], -v[122:123], v[162:163], v[106:107]
	ds_read2_b64 v[160:163], v199 offset0:31 offset1:32
	s_waitcnt vmcnt(5) lgkmcnt(2)
	v_fma_f64 v[74:75], -v[122:123], v[156:157], v[74:75]
	s_waitcnt vmcnt(4)
	v_fma_f64 v[104:105], -v[122:123], v[158:159], v[104:105]
	s_waitcnt vmcnt(3) lgkmcnt(1)
	v_fma_f64 v[72:73], -v[122:123], v[164:165], v[72:73]
	s_waitcnt vmcnt(2)
	v_fma_f64 v[102:103], -v[122:123], v[166:167], v[102:103]
	s_waitcnt vmcnt(1) lgkmcnt(0)
	v_fma_f64 v[70:71], -v[122:123], v[160:161], v[70:71]
	s_waitcnt vmcnt(0)
	v_fma_f64 v[132:133], -v[122:123], v[162:163], v[132:133]
.LBB65_56:
	s_or_b64 exec, exec, s[2:3]
	v_cmp_eq_u32_e32 vcc, 11, v200
	s_waitcnt lgkmcnt(0)
	s_barrier
	s_and_saveexec_b64 s[2:3], vcc
	s_cbranch_execz .LBB65_59
; %bb.57:
	s_waitcnt vmcnt(20)
	v_mov_b32_e32 v156, v120
	v_mov_b32_e32 v157, v121
	s_waitcnt vmcnt(19)
	v_mov_b32_e32 v158, v88
	v_mov_b32_e32 v159, v89
	ds_write_b64 v198, v[90:91]
	ds_write2_b64 v199, v[156:157], v[158:159] offset0:12 offset1:13
	s_waitcnt vmcnt(18)
	v_mov_b32_e32 v156, v118
	v_mov_b32_e32 v157, v119
	s_waitcnt vmcnt(17)
	v_mov_b32_e32 v158, v86
	v_mov_b32_e32 v159, v87
	ds_write2_b64 v199, v[156:157], v[158:159] offset0:14 offset1:15
	s_waitcnt vmcnt(16)
	v_mov_b32_e32 v156, v116
	v_mov_b32_e32 v157, v117
	s_waitcnt vmcnt(15)
	v_mov_b32_e32 v158, v84
	v_mov_b32_e32 v159, v85
	;; [unrolled: 7-line block ×9, first 2 shown]
	ds_write2_b64 v199, v[156:157], v[158:159] offset0:30 offset1:31
	s_waitcnt vmcnt(0)
	ds_write_b64 v199, v[132:133] offset:256
	ds_read_b64 v[156:157], v198
	s_waitcnt lgkmcnt(0)
	v_cmp_neq_f64_e32 vcc, 0, v[156:157]
	s_and_b64 exec, exec, vcc
	s_cbranch_execz .LBB65_59
; %bb.58:
	v_div_scale_f64 v[158:159], s[6:7], v[156:157], v[156:157], 1.0
	v_rcp_f64_e32 v[160:161], v[158:159]
	v_div_scale_f64 v[162:163], vcc, 1.0, v[156:157], 1.0
	v_fma_f64 v[164:165], -v[158:159], v[160:161], 1.0
	v_fmac_f64_e32 v[160:161], v[160:161], v[164:165]
	v_fma_f64 v[164:165], -v[158:159], v[160:161], 1.0
	v_fmac_f64_e32 v[160:161], v[160:161], v[164:165]
	v_mul_f64 v[164:165], v[162:163], v[160:161]
	v_fma_f64 v[158:159], -v[158:159], v[164:165], v[162:163]
	v_div_fmas_f64 v[158:159], v[158:159], v[160:161], v[164:165]
	v_div_fixup_f64 v[156:157], v[158:159], v[156:157], 1.0
	ds_write_b64 v198, v[156:157]
.LBB65_59:
	s_or_b64 exec, exec, s[2:3]
	s_waitcnt lgkmcnt(0)
	s_barrier
	ds_read_b64 v[156:157], v198
	v_cmp_lt_u32_e32 vcc, 11, v200
	s_and_saveexec_b64 s[2:3], vcc
	s_cbranch_execz .LBB65_61
; %bb.60:
	ds_read2_b64 v[158:161], v199 offset0:12 offset1:13
	ds_read2_b64 v[162:165], v199 offset0:14 offset1:15
	s_waitcnt vmcnt(21) lgkmcnt(2)
	v_mul_f64 v[90:91], v[156:157], v[90:91]
	ds_read2_b64 v[166:169], v199 offset0:16 offset1:17
	s_waitcnt vmcnt(20) lgkmcnt(2)
	v_fma_f64 v[120:121], -v[90:91], v[158:159], v[120:121]
	s_waitcnt vmcnt(19)
	v_fma_f64 v[88:89], -v[90:91], v[160:161], v[88:89]
	ds_read2_b64 v[158:161], v199 offset0:18 offset1:19
	s_waitcnt vmcnt(18) lgkmcnt(2)
	v_fma_f64 v[118:119], -v[90:91], v[162:163], v[118:119]
	s_waitcnt vmcnt(17)
	v_fma_f64 v[86:87], -v[90:91], v[164:165], v[86:87]
	;; [unrolled: 5-line block ×4, first 2 shown]
	s_waitcnt vmcnt(12) lgkmcnt(1)
	v_fma_f64 v[112:113], -v[90:91], v[162:163], v[112:113]
	ds_read2_b64 v[158:161], v199 offset0:24 offset1:25
	s_waitcnt vmcnt(11)
	v_fma_f64 v[80:81], -v[90:91], v[164:165], v[80:81]
	ds_read2_b64 v[162:165], v199 offset0:26 offset1:27
	s_waitcnt vmcnt(10) lgkmcnt(2)
	v_fma_f64 v[110:111], -v[90:91], v[166:167], v[110:111]
	s_waitcnt vmcnt(9)
	v_fma_f64 v[78:79], -v[90:91], v[168:169], v[78:79]
	s_waitcnt vmcnt(8) lgkmcnt(1)
	v_fma_f64 v[108:109], -v[90:91], v[158:159], v[108:109]
	s_waitcnt vmcnt(7)
	v_fma_f64 v[76:77], -v[90:91], v[160:161], v[76:77]
	ds_read2_b64 v[158:161], v199 offset0:28 offset1:29
	ds_read2_b64 v[166:169], v199 offset0:30 offset1:31
	s_waitcnt vmcnt(6) lgkmcnt(2)
	v_fma_f64 v[106:107], -v[90:91], v[162:163], v[106:107]
	ds_read_b64 v[162:163], v199 offset:256
	s_waitcnt vmcnt(5)
	v_fma_f64 v[74:75], -v[90:91], v[164:165], v[74:75]
	s_waitcnt vmcnt(4) lgkmcnt(2)
	v_fma_f64 v[104:105], -v[90:91], v[158:159], v[104:105]
	s_waitcnt vmcnt(3)
	v_fma_f64 v[72:73], -v[90:91], v[160:161], v[72:73]
	s_waitcnt vmcnt(2) lgkmcnt(1)
	v_fma_f64 v[102:103], -v[90:91], v[166:167], v[102:103]
	;; [unrolled: 4-line block ×3, first 2 shown]
.LBB65_61:
	s_or_b64 exec, exec, s[2:3]
	v_cmp_eq_u32_e32 vcc, 12, v200
	s_waitcnt lgkmcnt(0)
	s_barrier
	s_and_saveexec_b64 s[2:3], vcc
	s_cbranch_execz .LBB65_64
; %bb.62:
	s_waitcnt vmcnt(20)
	ds_write_b64 v198, v[120:121]
	s_waitcnt vmcnt(18)
	ds_write2_b64 v199, v[88:89], v[118:119] offset0:13 offset1:14
	s_waitcnt vmcnt(16)
	ds_write2_b64 v199, v[86:87], v[116:117] offset0:15 offset1:16
	;; [unrolled: 2-line block ×10, first 2 shown]
	ds_read_b64 v[158:159], v198
	s_waitcnt lgkmcnt(0)
	v_cmp_neq_f64_e32 vcc, 0, v[158:159]
	s_and_b64 exec, exec, vcc
	s_cbranch_execz .LBB65_64
; %bb.63:
	v_div_scale_f64 v[160:161], s[6:7], v[158:159], v[158:159], 1.0
	v_rcp_f64_e32 v[162:163], v[160:161]
	v_div_scale_f64 v[164:165], vcc, 1.0, v[158:159], 1.0
	v_fma_f64 v[166:167], -v[160:161], v[162:163], 1.0
	v_fmac_f64_e32 v[162:163], v[162:163], v[166:167]
	v_fma_f64 v[166:167], -v[160:161], v[162:163], 1.0
	v_fmac_f64_e32 v[162:163], v[162:163], v[166:167]
	v_mul_f64 v[166:167], v[164:165], v[162:163]
	v_fma_f64 v[160:161], -v[160:161], v[166:167], v[164:165]
	v_div_fmas_f64 v[160:161], v[160:161], v[162:163], v[166:167]
	v_div_fixup_f64 v[158:159], v[160:161], v[158:159], 1.0
	ds_write_b64 v198, v[158:159]
.LBB65_64:
	s_or_b64 exec, exec, s[2:3]
	s_waitcnt lgkmcnt(0)
	s_barrier
	ds_read_b64 v[158:159], v198
	v_cmp_lt_u32_e32 vcc, 12, v200
	s_and_saveexec_b64 s[2:3], vcc
	s_cbranch_execz .LBB65_66
; %bb.65:
	ds_read2_b64 v[160:163], v199 offset0:13 offset1:14
	ds_read2_b64 v[164:167], v199 offset0:15 offset1:16
	s_waitcnt vmcnt(20) lgkmcnt(2)
	v_mul_f64 v[120:121], v[158:159], v[120:121]
	ds_read2_b64 v[168:171], v199 offset0:17 offset1:18
	s_waitcnt vmcnt(19) lgkmcnt(2)
	v_fma_f64 v[88:89], -v[120:121], v[160:161], v[88:89]
	s_waitcnt vmcnt(18)
	v_fma_f64 v[118:119], -v[120:121], v[162:163], v[118:119]
	ds_read2_b64 v[160:163], v199 offset0:19 offset1:20
	s_waitcnt vmcnt(17) lgkmcnt(2)
	v_fma_f64 v[86:87], -v[120:121], v[164:165], v[86:87]
	s_waitcnt vmcnt(16)
	v_fma_f64 v[116:117], -v[120:121], v[166:167], v[116:117]
	s_waitcnt vmcnt(15) lgkmcnt(1)
	v_fma_f64 v[84:85], -v[120:121], v[168:169], v[84:85]
	ds_read2_b64 v[164:167], v199 offset0:21 offset1:22
	s_waitcnt vmcnt(14)
	v_fma_f64 v[114:115], -v[120:121], v[170:171], v[114:115]
	ds_read2_b64 v[168:171], v199 offset0:23 offset1:24
	s_waitcnt vmcnt(13) lgkmcnt(2)
	v_fma_f64 v[82:83], -v[120:121], v[160:161], v[82:83]
	s_waitcnt vmcnt(12)
	v_fma_f64 v[112:113], -v[120:121], v[162:163], v[112:113]
	ds_read2_b64 v[160:163], v199 offset0:25 offset1:26
	s_waitcnt vmcnt(11) lgkmcnt(2)
	v_fma_f64 v[80:81], -v[120:121], v[164:165], v[80:81]
	;; [unrolled: 5-line block ×3, first 2 shown]
	s_waitcnt vmcnt(8)
	v_fma_f64 v[108:109], -v[120:121], v[170:171], v[108:109]
	s_waitcnt vmcnt(7) lgkmcnt(1)
	v_fma_f64 v[76:77], -v[120:121], v[160:161], v[76:77]
	ds_read2_b64 v[168:171], v199 offset0:29 offset1:30
	s_waitcnt vmcnt(6)
	v_fma_f64 v[106:107], -v[120:121], v[162:163], v[106:107]
	ds_read2_b64 v[160:163], v199 offset0:31 offset1:32
	s_waitcnt vmcnt(5) lgkmcnt(2)
	v_fma_f64 v[74:75], -v[120:121], v[164:165], v[74:75]
	s_waitcnt vmcnt(4)
	v_fma_f64 v[104:105], -v[120:121], v[166:167], v[104:105]
	s_waitcnt vmcnt(3) lgkmcnt(1)
	v_fma_f64 v[72:73], -v[120:121], v[168:169], v[72:73]
	s_waitcnt vmcnt(2)
	v_fma_f64 v[102:103], -v[120:121], v[170:171], v[102:103]
	;; [unrolled: 4-line block ×3, first 2 shown]
.LBB65_66:
	s_or_b64 exec, exec, s[2:3]
	v_cmp_eq_u32_e32 vcc, 13, v200
	s_waitcnt lgkmcnt(0)
	s_barrier
	s_and_saveexec_b64 s[2:3], vcc
	s_cbranch_execz .LBB65_69
; %bb.67:
	s_waitcnt vmcnt(18)
	v_mov_b32_e32 v160, v118
	v_mov_b32_e32 v161, v119
	s_waitcnt vmcnt(17)
	v_mov_b32_e32 v162, v86
	v_mov_b32_e32 v163, v87
	ds_write_b64 v198, v[88:89]
	ds_write2_b64 v199, v[160:161], v[162:163] offset0:14 offset1:15
	s_waitcnt vmcnt(16)
	v_mov_b32_e32 v160, v116
	v_mov_b32_e32 v161, v117
	s_waitcnt vmcnt(15)
	v_mov_b32_e32 v162, v84
	v_mov_b32_e32 v163, v85
	ds_write2_b64 v199, v[160:161], v[162:163] offset0:16 offset1:17
	s_waitcnt vmcnt(14)
	v_mov_b32_e32 v160, v114
	v_mov_b32_e32 v161, v115
	s_waitcnt vmcnt(13)
	v_mov_b32_e32 v162, v82
	v_mov_b32_e32 v163, v83
	;; [unrolled: 7-line block ×8, first 2 shown]
	ds_write2_b64 v199, v[160:161], v[162:163] offset0:30 offset1:31
	s_waitcnt vmcnt(0)
	ds_write_b64 v199, v[132:133] offset:256
	ds_read_b64 v[160:161], v198
	s_waitcnt lgkmcnt(0)
	v_cmp_neq_f64_e32 vcc, 0, v[160:161]
	s_and_b64 exec, exec, vcc
	s_cbranch_execz .LBB65_69
; %bb.68:
	v_div_scale_f64 v[162:163], s[6:7], v[160:161], v[160:161], 1.0
	v_rcp_f64_e32 v[164:165], v[162:163]
	v_div_scale_f64 v[166:167], vcc, 1.0, v[160:161], 1.0
	v_fma_f64 v[168:169], -v[162:163], v[164:165], 1.0
	v_fmac_f64_e32 v[164:165], v[164:165], v[168:169]
	v_fma_f64 v[168:169], -v[162:163], v[164:165], 1.0
	v_fmac_f64_e32 v[164:165], v[164:165], v[168:169]
	v_mul_f64 v[168:169], v[166:167], v[164:165]
	v_fma_f64 v[162:163], -v[162:163], v[168:169], v[166:167]
	v_div_fmas_f64 v[162:163], v[162:163], v[164:165], v[168:169]
	v_div_fixup_f64 v[160:161], v[162:163], v[160:161], 1.0
	ds_write_b64 v198, v[160:161]
.LBB65_69:
	s_or_b64 exec, exec, s[2:3]
	s_waitcnt lgkmcnt(0)
	s_barrier
	ds_read_b64 v[160:161], v198
	v_cmp_lt_u32_e32 vcc, 13, v200
	s_and_saveexec_b64 s[2:3], vcc
	s_cbranch_execz .LBB65_71
; %bb.70:
	ds_read2_b64 v[162:165], v199 offset0:14 offset1:15
	ds_read2_b64 v[166:169], v199 offset0:16 offset1:17
	s_waitcnt vmcnt(19) lgkmcnt(2)
	v_mul_f64 v[88:89], v[160:161], v[88:89]
	ds_read2_b64 v[170:173], v199 offset0:18 offset1:19
	s_waitcnt vmcnt(18) lgkmcnt(2)
	v_fma_f64 v[118:119], -v[88:89], v[162:163], v[118:119]
	s_waitcnt vmcnt(17)
	v_fma_f64 v[86:87], -v[88:89], v[164:165], v[86:87]
	ds_read2_b64 v[162:165], v199 offset0:20 offset1:21
	s_waitcnt vmcnt(16) lgkmcnt(2)
	v_fma_f64 v[116:117], -v[88:89], v[166:167], v[116:117]
	s_waitcnt vmcnt(15)
	v_fma_f64 v[84:85], -v[88:89], v[168:169], v[84:85]
	s_waitcnt vmcnt(14) lgkmcnt(1)
	v_fma_f64 v[114:115], -v[88:89], v[170:171], v[114:115]
	ds_read2_b64 v[166:169], v199 offset0:22 offset1:23
	s_waitcnt vmcnt(13)
	v_fma_f64 v[82:83], -v[88:89], v[172:173], v[82:83]
	ds_read2_b64 v[170:173], v199 offset0:24 offset1:25
	s_waitcnt vmcnt(12) lgkmcnt(2)
	v_fma_f64 v[112:113], -v[88:89], v[162:163], v[112:113]
	s_waitcnt vmcnt(11)
	v_fma_f64 v[80:81], -v[88:89], v[164:165], v[80:81]
	ds_read2_b64 v[162:165], v199 offset0:26 offset1:27
	s_waitcnt vmcnt(10) lgkmcnt(2)
	v_fma_f64 v[110:111], -v[88:89], v[166:167], v[110:111]
	;; [unrolled: 5-line block ×3, first 2 shown]
	s_waitcnt vmcnt(7)
	v_fma_f64 v[76:77], -v[88:89], v[172:173], v[76:77]
	s_waitcnt vmcnt(6) lgkmcnt(1)
	v_fma_f64 v[106:107], -v[88:89], v[162:163], v[106:107]
	ds_read2_b64 v[170:173], v199 offset0:30 offset1:31
	ds_read_b64 v[162:163], v199 offset:256
	s_waitcnt vmcnt(5)
	v_fma_f64 v[74:75], -v[88:89], v[164:165], v[74:75]
	s_waitcnt vmcnt(4) lgkmcnt(2)
	v_fma_f64 v[104:105], -v[88:89], v[166:167], v[104:105]
	s_waitcnt vmcnt(3)
	v_fma_f64 v[72:73], -v[88:89], v[168:169], v[72:73]
	s_waitcnt vmcnt(2) lgkmcnt(1)
	v_fma_f64 v[102:103], -v[88:89], v[170:171], v[102:103]
	;; [unrolled: 4-line block ×3, first 2 shown]
.LBB65_71:
	s_or_b64 exec, exec, s[2:3]
	v_cmp_eq_u32_e32 vcc, 14, v200
	s_waitcnt lgkmcnt(0)
	s_barrier
	s_and_saveexec_b64 s[2:3], vcc
	s_cbranch_execz .LBB65_74
; %bb.72:
	s_waitcnt vmcnt(18)
	ds_write_b64 v198, v[118:119]
	s_waitcnt vmcnt(16)
	ds_write2_b64 v199, v[86:87], v[116:117] offset0:15 offset1:16
	s_waitcnt vmcnt(14)
	ds_write2_b64 v199, v[84:85], v[114:115] offset0:17 offset1:18
	;; [unrolled: 2-line block ×9, first 2 shown]
	ds_read_b64 v[162:163], v198
	s_waitcnt lgkmcnt(0)
	v_cmp_neq_f64_e32 vcc, 0, v[162:163]
	s_and_b64 exec, exec, vcc
	s_cbranch_execz .LBB65_74
; %bb.73:
	v_div_scale_f64 v[164:165], s[6:7], v[162:163], v[162:163], 1.0
	v_rcp_f64_e32 v[166:167], v[164:165]
	v_div_scale_f64 v[168:169], vcc, 1.0, v[162:163], 1.0
	v_fma_f64 v[170:171], -v[164:165], v[166:167], 1.0
	v_fmac_f64_e32 v[166:167], v[166:167], v[170:171]
	v_fma_f64 v[170:171], -v[164:165], v[166:167], 1.0
	v_fmac_f64_e32 v[166:167], v[166:167], v[170:171]
	v_mul_f64 v[170:171], v[168:169], v[166:167]
	v_fma_f64 v[164:165], -v[164:165], v[170:171], v[168:169]
	v_div_fmas_f64 v[164:165], v[164:165], v[166:167], v[170:171]
	v_div_fixup_f64 v[162:163], v[164:165], v[162:163], 1.0
	ds_write_b64 v198, v[162:163]
.LBB65_74:
	s_or_b64 exec, exec, s[2:3]
	s_waitcnt lgkmcnt(0)
	s_barrier
	ds_read_b64 v[162:163], v198
	v_cmp_lt_u32_e32 vcc, 14, v200
	s_and_saveexec_b64 s[2:3], vcc
	s_cbranch_execz .LBB65_76
; %bb.75:
	ds_read2_b64 v[164:167], v199 offset0:15 offset1:16
	ds_read2_b64 v[168:171], v199 offset0:17 offset1:18
	;; [unrolled: 1-line block ×3, first 2 shown]
	s_waitcnt vmcnt(18) lgkmcnt(3)
	v_mul_f64 v[118:119], v[162:163], v[118:119]
	s_waitcnt vmcnt(17) lgkmcnt(2)
	v_fma_f64 v[86:87], -v[118:119], v[164:165], v[86:87]
	s_waitcnt vmcnt(16)
	v_fma_f64 v[116:117], -v[118:119], v[166:167], v[116:117]
	ds_read2_b64 v[164:167], v199 offset0:21 offset1:22
	s_waitcnt vmcnt(15) lgkmcnt(2)
	v_fma_f64 v[84:85], -v[118:119], v[168:169], v[84:85]
	s_waitcnt vmcnt(14)
	v_fma_f64 v[114:115], -v[118:119], v[170:171], v[114:115]
	s_waitcnt vmcnt(13) lgkmcnt(1)
	v_fma_f64 v[82:83], -v[118:119], v[172:173], v[82:83]
	ds_read2_b64 v[168:171], v199 offset0:23 offset1:24
	s_waitcnt vmcnt(12)
	v_fma_f64 v[112:113], -v[118:119], v[174:175], v[112:113]
	ds_read2_b64 v[172:175], v199 offset0:25 offset1:26
	s_waitcnt vmcnt(11) lgkmcnt(2)
	v_fma_f64 v[80:81], -v[118:119], v[164:165], v[80:81]
	s_waitcnt vmcnt(10)
	v_fma_f64 v[110:111], -v[118:119], v[166:167], v[110:111]
	s_waitcnt vmcnt(9) lgkmcnt(1)
	v_fma_f64 v[78:79], -v[118:119], v[168:169], v[78:79]
	s_waitcnt vmcnt(8)
	v_fma_f64 v[108:109], -v[118:119], v[170:171], v[108:109]
	ds_read2_b64 v[164:167], v199 offset0:27 offset1:28
	ds_read2_b64 v[168:171], v199 offset0:29 offset1:30
	s_waitcnt vmcnt(7) lgkmcnt(2)
	v_fma_f64 v[76:77], -v[118:119], v[172:173], v[76:77]
	s_waitcnt vmcnt(6)
	v_fma_f64 v[106:107], -v[118:119], v[174:175], v[106:107]
	ds_read2_b64 v[172:175], v199 offset0:31 offset1:32
	s_waitcnt vmcnt(5) lgkmcnt(2)
	v_fma_f64 v[74:75], -v[118:119], v[164:165], v[74:75]
	s_waitcnt vmcnt(4)
	v_fma_f64 v[104:105], -v[118:119], v[166:167], v[104:105]
	s_waitcnt vmcnt(3) lgkmcnt(1)
	v_fma_f64 v[72:73], -v[118:119], v[168:169], v[72:73]
	s_waitcnt vmcnt(2)
	v_fma_f64 v[102:103], -v[118:119], v[170:171], v[102:103]
	;; [unrolled: 4-line block ×3, first 2 shown]
.LBB65_76:
	s_or_b64 exec, exec, s[2:3]
	v_cmp_eq_u32_e32 vcc, 15, v200
	s_waitcnt lgkmcnt(0)
	s_barrier
	s_and_saveexec_b64 s[2:3], vcc
	s_cbranch_execz .LBB65_79
; %bb.77:
	s_waitcnt vmcnt(16)
	v_mov_b32_e32 v164, v116
	v_mov_b32_e32 v165, v117
	s_waitcnt vmcnt(15)
	v_mov_b32_e32 v166, v84
	v_mov_b32_e32 v167, v85
	ds_write_b64 v198, v[86:87]
	ds_write2_b64 v199, v[164:165], v[166:167] offset0:16 offset1:17
	s_waitcnt vmcnt(14)
	v_mov_b32_e32 v164, v114
	v_mov_b32_e32 v165, v115
	s_waitcnt vmcnt(13)
	v_mov_b32_e32 v166, v82
	v_mov_b32_e32 v167, v83
	ds_write2_b64 v199, v[164:165], v[166:167] offset0:18 offset1:19
	s_waitcnt vmcnt(12)
	v_mov_b32_e32 v164, v112
	v_mov_b32_e32 v165, v113
	s_waitcnt vmcnt(11)
	v_mov_b32_e32 v166, v80
	v_mov_b32_e32 v167, v81
	;; [unrolled: 7-line block ×7, first 2 shown]
	ds_write2_b64 v199, v[164:165], v[166:167] offset0:30 offset1:31
	s_waitcnt vmcnt(0)
	ds_write_b64 v199, v[132:133] offset:256
	ds_read_b64 v[164:165], v198
	s_waitcnt lgkmcnt(0)
	v_cmp_neq_f64_e32 vcc, 0, v[164:165]
	s_and_b64 exec, exec, vcc
	s_cbranch_execz .LBB65_79
; %bb.78:
	v_div_scale_f64 v[166:167], s[6:7], v[164:165], v[164:165], 1.0
	v_rcp_f64_e32 v[168:169], v[166:167]
	v_div_scale_f64 v[170:171], vcc, 1.0, v[164:165], 1.0
	v_fma_f64 v[172:173], -v[166:167], v[168:169], 1.0
	v_fmac_f64_e32 v[168:169], v[168:169], v[172:173]
	v_fma_f64 v[172:173], -v[166:167], v[168:169], 1.0
	v_fmac_f64_e32 v[168:169], v[168:169], v[172:173]
	v_mul_f64 v[172:173], v[170:171], v[168:169]
	v_fma_f64 v[166:167], -v[166:167], v[172:173], v[170:171]
	v_div_fmas_f64 v[166:167], v[166:167], v[168:169], v[172:173]
	v_div_fixup_f64 v[164:165], v[166:167], v[164:165], 1.0
	ds_write_b64 v198, v[164:165]
.LBB65_79:
	s_or_b64 exec, exec, s[2:3]
	s_waitcnt lgkmcnt(0)
	s_barrier
	ds_read_b64 v[164:165], v198
	v_cmp_lt_u32_e32 vcc, 15, v200
	s_and_saveexec_b64 s[2:3], vcc
	s_cbranch_execz .LBB65_81
; %bb.80:
	ds_read2_b64 v[166:169], v199 offset0:16 offset1:17
	ds_read2_b64 v[170:173], v199 offset0:18 offset1:19
	;; [unrolled: 1-line block ×3, first 2 shown]
	s_waitcnt vmcnt(17) lgkmcnt(3)
	v_mul_f64 v[86:87], v[164:165], v[86:87]
	s_waitcnt vmcnt(16) lgkmcnt(2)
	v_fma_f64 v[116:117], -v[86:87], v[166:167], v[116:117]
	s_waitcnt vmcnt(15)
	v_fma_f64 v[84:85], -v[86:87], v[168:169], v[84:85]
	ds_read2_b64 v[166:169], v199 offset0:22 offset1:23
	s_waitcnt vmcnt(14) lgkmcnt(2)
	v_fma_f64 v[114:115], -v[86:87], v[170:171], v[114:115]
	s_waitcnt vmcnt(13)
	v_fma_f64 v[82:83], -v[86:87], v[172:173], v[82:83]
	s_waitcnt vmcnt(12) lgkmcnt(1)
	v_fma_f64 v[112:113], -v[86:87], v[174:175], v[112:113]
	ds_read2_b64 v[170:173], v199 offset0:24 offset1:25
	s_waitcnt vmcnt(11)
	v_fma_f64 v[80:81], -v[86:87], v[176:177], v[80:81]
	ds_read2_b64 v[174:177], v199 offset0:26 offset1:27
	s_waitcnt vmcnt(10) lgkmcnt(2)
	v_fma_f64 v[110:111], -v[86:87], v[166:167], v[110:111]
	s_waitcnt vmcnt(9)
	v_fma_f64 v[78:79], -v[86:87], v[168:169], v[78:79]
	s_waitcnt vmcnt(8) lgkmcnt(1)
	v_fma_f64 v[108:109], -v[86:87], v[170:171], v[108:109]
	s_waitcnt vmcnt(7)
	v_fma_f64 v[76:77], -v[86:87], v[172:173], v[76:77]
	ds_read2_b64 v[166:169], v199 offset0:28 offset1:29
	ds_read2_b64 v[170:173], v199 offset0:30 offset1:31
	s_waitcnt vmcnt(6) lgkmcnt(2)
	v_fma_f64 v[106:107], -v[86:87], v[174:175], v[106:107]
	ds_read_b64 v[174:175], v199 offset:256
	s_waitcnt vmcnt(5)
	v_fma_f64 v[74:75], -v[86:87], v[176:177], v[74:75]
	s_waitcnt vmcnt(4) lgkmcnt(2)
	v_fma_f64 v[104:105], -v[86:87], v[166:167], v[104:105]
	s_waitcnt vmcnt(3)
	v_fma_f64 v[72:73], -v[86:87], v[168:169], v[72:73]
	s_waitcnt vmcnt(2) lgkmcnt(1)
	v_fma_f64 v[102:103], -v[86:87], v[170:171], v[102:103]
	;; [unrolled: 4-line block ×3, first 2 shown]
.LBB65_81:
	s_or_b64 exec, exec, s[2:3]
	v_cmp_eq_u32_e32 vcc, 16, v200
	s_waitcnt lgkmcnt(0)
	s_barrier
	s_and_saveexec_b64 s[2:3], vcc
	s_cbranch_execz .LBB65_84
; %bb.82:
	s_waitcnt vmcnt(16)
	ds_write_b64 v198, v[116:117]
	s_waitcnt vmcnt(14)
	ds_write2_b64 v199, v[84:85], v[114:115] offset0:17 offset1:18
	s_waitcnt vmcnt(12)
	ds_write2_b64 v199, v[82:83], v[112:113] offset0:19 offset1:20
	;; [unrolled: 2-line block ×8, first 2 shown]
	ds_read_b64 v[166:167], v198
	s_waitcnt lgkmcnt(0)
	v_cmp_neq_f64_e32 vcc, 0, v[166:167]
	s_and_b64 exec, exec, vcc
	s_cbranch_execz .LBB65_84
; %bb.83:
	v_div_scale_f64 v[168:169], s[6:7], v[166:167], v[166:167], 1.0
	v_rcp_f64_e32 v[170:171], v[168:169]
	v_div_scale_f64 v[172:173], vcc, 1.0, v[166:167], 1.0
	v_fma_f64 v[174:175], -v[168:169], v[170:171], 1.0
	v_fmac_f64_e32 v[170:171], v[170:171], v[174:175]
	v_fma_f64 v[174:175], -v[168:169], v[170:171], 1.0
	v_fmac_f64_e32 v[170:171], v[170:171], v[174:175]
	v_mul_f64 v[174:175], v[172:173], v[170:171]
	v_fma_f64 v[168:169], -v[168:169], v[174:175], v[172:173]
	v_div_fmas_f64 v[168:169], v[168:169], v[170:171], v[174:175]
	v_div_fixup_f64 v[166:167], v[168:169], v[166:167], 1.0
	ds_write_b64 v198, v[166:167]
.LBB65_84:
	s_or_b64 exec, exec, s[2:3]
	s_waitcnt lgkmcnt(0)
	s_barrier
	ds_read_b64 v[166:167], v198
	v_cmp_lt_u32_e32 vcc, 16, v200
	s_and_saveexec_b64 s[2:3], vcc
	s_cbranch_execz .LBB65_86
; %bb.85:
	ds_read2_b64 v[168:171], v199 offset0:17 offset1:18
	ds_read2_b64 v[172:175], v199 offset0:19 offset1:20
	s_waitcnt vmcnt(16) lgkmcnt(2)
	v_mul_f64 v[116:117], v[166:167], v[116:117]
	ds_read2_b64 v[176:179], v199 offset0:21 offset1:22
	s_waitcnt vmcnt(15) lgkmcnt(2)
	v_fma_f64 v[84:85], -v[116:117], v[168:169], v[84:85]
	s_waitcnt vmcnt(14)
	v_fma_f64 v[114:115], -v[116:117], v[170:171], v[114:115]
	ds_read2_b64 v[168:171], v199 offset0:23 offset1:24
	s_waitcnt vmcnt(13) lgkmcnt(2)
	v_fma_f64 v[82:83], -v[116:117], v[172:173], v[82:83]
	s_waitcnt vmcnt(12)
	v_fma_f64 v[112:113], -v[116:117], v[174:175], v[112:113]
	;; [unrolled: 5-line block ×3, first 2 shown]
	s_waitcnt vmcnt(9) lgkmcnt(1)
	v_fma_f64 v[78:79], -v[116:117], v[168:169], v[78:79]
	s_waitcnt vmcnt(8)
	v_fma_f64 v[108:109], -v[116:117], v[170:171], v[108:109]
	ds_read2_b64 v[168:171], v199 offset0:27 offset1:28
	s_waitcnt vmcnt(7) lgkmcnt(1)
	v_fma_f64 v[76:77], -v[116:117], v[172:173], v[76:77]
	ds_read2_b64 v[176:179], v199 offset0:29 offset1:30
	s_waitcnt vmcnt(6)
	v_fma_f64 v[106:107], -v[116:117], v[174:175], v[106:107]
	ds_read2_b64 v[172:175], v199 offset0:31 offset1:32
	s_waitcnt vmcnt(5) lgkmcnt(2)
	v_fma_f64 v[74:75], -v[116:117], v[168:169], v[74:75]
	s_waitcnt vmcnt(4)
	v_fma_f64 v[104:105], -v[116:117], v[170:171], v[104:105]
	s_waitcnt vmcnt(3) lgkmcnt(1)
	v_fma_f64 v[72:73], -v[116:117], v[176:177], v[72:73]
	s_waitcnt vmcnt(2)
	v_fma_f64 v[102:103], -v[116:117], v[178:179], v[102:103]
	;; [unrolled: 4-line block ×3, first 2 shown]
.LBB65_86:
	s_or_b64 exec, exec, s[2:3]
	v_cmp_eq_u32_e32 vcc, 17, v200
	s_waitcnt lgkmcnt(0)
	s_barrier
	s_and_saveexec_b64 s[2:3], vcc
	s_cbranch_execz .LBB65_89
; %bb.87:
	s_waitcnt vmcnt(14)
	v_mov_b32_e32 v168, v114
	v_mov_b32_e32 v169, v115
	s_waitcnt vmcnt(13)
	v_mov_b32_e32 v170, v82
	v_mov_b32_e32 v171, v83
	ds_write_b64 v198, v[84:85]
	ds_write2_b64 v199, v[168:169], v[170:171] offset0:18 offset1:19
	s_waitcnt vmcnt(12)
	v_mov_b32_e32 v168, v112
	v_mov_b32_e32 v169, v113
	s_waitcnt vmcnt(11)
	v_mov_b32_e32 v170, v80
	v_mov_b32_e32 v171, v81
	ds_write2_b64 v199, v[168:169], v[170:171] offset0:20 offset1:21
	s_waitcnt vmcnt(10)
	v_mov_b32_e32 v168, v110
	v_mov_b32_e32 v169, v111
	s_waitcnt vmcnt(9)
	v_mov_b32_e32 v170, v78
	v_mov_b32_e32 v171, v79
	;; [unrolled: 7-line block ×6, first 2 shown]
	ds_write2_b64 v199, v[168:169], v[170:171] offset0:30 offset1:31
	s_waitcnt vmcnt(0)
	ds_write_b64 v199, v[132:133] offset:256
	ds_read_b64 v[168:169], v198
	s_waitcnt lgkmcnt(0)
	v_cmp_neq_f64_e32 vcc, 0, v[168:169]
	s_and_b64 exec, exec, vcc
	s_cbranch_execz .LBB65_89
; %bb.88:
	v_div_scale_f64 v[170:171], s[6:7], v[168:169], v[168:169], 1.0
	v_rcp_f64_e32 v[172:173], v[170:171]
	v_div_scale_f64 v[174:175], vcc, 1.0, v[168:169], 1.0
	v_fma_f64 v[176:177], -v[170:171], v[172:173], 1.0
	v_fmac_f64_e32 v[172:173], v[172:173], v[176:177]
	v_fma_f64 v[176:177], -v[170:171], v[172:173], 1.0
	v_fmac_f64_e32 v[172:173], v[172:173], v[176:177]
	v_mul_f64 v[176:177], v[174:175], v[172:173]
	v_fma_f64 v[170:171], -v[170:171], v[176:177], v[174:175]
	v_div_fmas_f64 v[170:171], v[170:171], v[172:173], v[176:177]
	v_div_fixup_f64 v[168:169], v[170:171], v[168:169], 1.0
	ds_write_b64 v198, v[168:169]
.LBB65_89:
	s_or_b64 exec, exec, s[2:3]
	s_waitcnt lgkmcnt(0)
	s_barrier
	ds_read_b64 v[168:169], v198
	v_cmp_lt_u32_e32 vcc, 17, v200
	s_and_saveexec_b64 s[2:3], vcc
	s_cbranch_execz .LBB65_91
; %bb.90:
	ds_read2_b64 v[170:173], v199 offset0:18 offset1:19
	ds_read2_b64 v[174:177], v199 offset0:20 offset1:21
	s_waitcnt vmcnt(15) lgkmcnt(2)
	v_mul_f64 v[84:85], v[168:169], v[84:85]
	ds_read2_b64 v[178:181], v199 offset0:22 offset1:23
	s_waitcnt vmcnt(14) lgkmcnt(2)
	v_fma_f64 v[114:115], -v[84:85], v[170:171], v[114:115]
	s_waitcnt vmcnt(13)
	v_fma_f64 v[82:83], -v[84:85], v[172:173], v[82:83]
	ds_read2_b64 v[170:173], v199 offset0:24 offset1:25
	s_waitcnt vmcnt(12) lgkmcnt(2)
	v_fma_f64 v[112:113], -v[84:85], v[174:175], v[112:113]
	s_waitcnt vmcnt(11)
	v_fma_f64 v[80:81], -v[84:85], v[176:177], v[80:81]
	ds_read2_b64 v[174:177], v199 offset0:26 offset1:27
	s_waitcnt vmcnt(10) lgkmcnt(2)
	v_fma_f64 v[110:111], -v[84:85], v[178:179], v[110:111]
	s_waitcnt vmcnt(9)
	v_fma_f64 v[78:79], -v[84:85], v[180:181], v[78:79]
	s_waitcnt vmcnt(8) lgkmcnt(1)
	v_fma_f64 v[108:109], -v[84:85], v[170:171], v[108:109]
	s_waitcnt vmcnt(7)
	v_fma_f64 v[76:77], -v[84:85], v[172:173], v[76:77]
	ds_read2_b64 v[170:173], v199 offset0:28 offset1:29
	s_waitcnt vmcnt(6) lgkmcnt(1)
	v_fma_f64 v[106:107], -v[84:85], v[174:175], v[106:107]
	ds_read2_b64 v[178:181], v199 offset0:30 offset1:31
	ds_read_b64 v[174:175], v199 offset:256
	s_waitcnt vmcnt(5)
	v_fma_f64 v[74:75], -v[84:85], v[176:177], v[74:75]
	s_waitcnt vmcnt(4) lgkmcnt(2)
	v_fma_f64 v[104:105], -v[84:85], v[170:171], v[104:105]
	s_waitcnt vmcnt(3)
	v_fma_f64 v[72:73], -v[84:85], v[172:173], v[72:73]
	s_waitcnt vmcnt(2) lgkmcnt(1)
	v_fma_f64 v[102:103], -v[84:85], v[178:179], v[102:103]
	;; [unrolled: 4-line block ×3, first 2 shown]
.LBB65_91:
	s_or_b64 exec, exec, s[2:3]
	v_cmp_eq_u32_e32 vcc, 18, v200
	s_waitcnt lgkmcnt(0)
	s_barrier
	s_and_saveexec_b64 s[2:3], vcc
	s_cbranch_execz .LBB65_94
; %bb.92:
	s_waitcnt vmcnt(14)
	ds_write_b64 v198, v[114:115]
	s_waitcnt vmcnt(12)
	ds_write2_b64 v199, v[82:83], v[112:113] offset0:19 offset1:20
	s_waitcnt vmcnt(10)
	ds_write2_b64 v199, v[80:81], v[110:111] offset0:21 offset1:22
	s_waitcnt vmcnt(8)
	ds_write2_b64 v199, v[78:79], v[108:109] offset0:23 offset1:24
	s_waitcnt vmcnt(6)
	ds_write2_b64 v199, v[76:77], v[106:107] offset0:25 offset1:26
	s_waitcnt vmcnt(4)
	ds_write2_b64 v199, v[74:75], v[104:105] offset0:27 offset1:28
	s_waitcnt vmcnt(2)
	ds_write2_b64 v199, v[72:73], v[102:103] offset0:29 offset1:30
	s_waitcnt vmcnt(0)
	ds_write2_b64 v199, v[70:71], v[132:133] offset0:31 offset1:32
	ds_read_b64 v[170:171], v198
	s_waitcnt lgkmcnt(0)
	v_cmp_neq_f64_e32 vcc, 0, v[170:171]
	s_and_b64 exec, exec, vcc
	s_cbranch_execz .LBB65_94
; %bb.93:
	v_div_scale_f64 v[172:173], s[6:7], v[170:171], v[170:171], 1.0
	v_rcp_f64_e32 v[174:175], v[172:173]
	v_div_scale_f64 v[176:177], vcc, 1.0, v[170:171], 1.0
	v_fma_f64 v[178:179], -v[172:173], v[174:175], 1.0
	v_fmac_f64_e32 v[174:175], v[174:175], v[178:179]
	v_fma_f64 v[178:179], -v[172:173], v[174:175], 1.0
	v_fmac_f64_e32 v[174:175], v[174:175], v[178:179]
	v_mul_f64 v[178:179], v[176:177], v[174:175]
	v_fma_f64 v[172:173], -v[172:173], v[178:179], v[176:177]
	v_div_fmas_f64 v[172:173], v[172:173], v[174:175], v[178:179]
	v_div_fixup_f64 v[170:171], v[172:173], v[170:171], 1.0
	ds_write_b64 v198, v[170:171]
.LBB65_94:
	s_or_b64 exec, exec, s[2:3]
	s_waitcnt lgkmcnt(0)
	s_barrier
	ds_read_b64 v[170:171], v198
	v_cmp_lt_u32_e32 vcc, 18, v200
	s_and_saveexec_b64 s[2:3], vcc
	s_cbranch_execz .LBB65_96
; %bb.95:
	ds_read2_b64 v[172:175], v199 offset0:19 offset1:20
	ds_read2_b64 v[176:179], v199 offset0:21 offset1:22
	s_waitcnt vmcnt(14) lgkmcnt(2)
	v_mul_f64 v[114:115], v[170:171], v[114:115]
	ds_read2_b64 v[180:183], v199 offset0:23 offset1:24
	s_waitcnt vmcnt(13) lgkmcnt(2)
	v_fma_f64 v[82:83], -v[114:115], v[172:173], v[82:83]
	s_waitcnt vmcnt(12)
	v_fma_f64 v[112:113], -v[114:115], v[174:175], v[112:113]
	ds_read2_b64 v[172:175], v199 offset0:25 offset1:26
	s_waitcnt vmcnt(11) lgkmcnt(2)
	v_fma_f64 v[80:81], -v[114:115], v[176:177], v[80:81]
	s_waitcnt vmcnt(10)
	v_fma_f64 v[110:111], -v[114:115], v[178:179], v[110:111]
	s_waitcnt vmcnt(9) lgkmcnt(1)
	v_fma_f64 v[78:79], -v[114:115], v[180:181], v[78:79]
	s_waitcnt vmcnt(8)
	v_fma_f64 v[108:109], -v[114:115], v[182:183], v[108:109]
	ds_read2_b64 v[176:179], v199 offset0:27 offset1:28
	ds_read2_b64 v[180:183], v199 offset0:29 offset1:30
	s_waitcnt vmcnt(7) lgkmcnt(2)
	v_fma_f64 v[76:77], -v[114:115], v[172:173], v[76:77]
	s_waitcnt vmcnt(6)
	v_fma_f64 v[106:107], -v[114:115], v[174:175], v[106:107]
	ds_read2_b64 v[172:175], v199 offset0:31 offset1:32
	s_waitcnt vmcnt(5) lgkmcnt(2)
	v_fma_f64 v[74:75], -v[114:115], v[176:177], v[74:75]
	s_waitcnt vmcnt(4)
	v_fma_f64 v[104:105], -v[114:115], v[178:179], v[104:105]
	s_waitcnt vmcnt(3) lgkmcnt(1)
	v_fma_f64 v[72:73], -v[114:115], v[180:181], v[72:73]
	s_waitcnt vmcnt(2)
	v_fma_f64 v[102:103], -v[114:115], v[182:183], v[102:103]
	;; [unrolled: 4-line block ×3, first 2 shown]
.LBB65_96:
	s_or_b64 exec, exec, s[2:3]
	v_cmp_eq_u32_e32 vcc, 19, v200
	s_waitcnt lgkmcnt(0)
	s_barrier
	s_and_saveexec_b64 s[2:3], vcc
	s_cbranch_execz .LBB65_99
; %bb.97:
	s_waitcnt vmcnt(12)
	v_mov_b32_e32 v172, v112
	v_mov_b32_e32 v173, v113
	s_waitcnt vmcnt(11)
	v_mov_b32_e32 v174, v80
	v_mov_b32_e32 v175, v81
	ds_write_b64 v198, v[82:83]
	ds_write2_b64 v199, v[172:173], v[174:175] offset0:20 offset1:21
	s_waitcnt vmcnt(10)
	v_mov_b32_e32 v172, v110
	v_mov_b32_e32 v173, v111
	s_waitcnt vmcnt(9)
	v_mov_b32_e32 v174, v78
	v_mov_b32_e32 v175, v79
	ds_write2_b64 v199, v[172:173], v[174:175] offset0:22 offset1:23
	s_waitcnt vmcnt(8)
	v_mov_b32_e32 v172, v108
	v_mov_b32_e32 v173, v109
	s_waitcnt vmcnt(7)
	v_mov_b32_e32 v174, v76
	v_mov_b32_e32 v175, v77
	;; [unrolled: 7-line block ×5, first 2 shown]
	ds_write2_b64 v199, v[172:173], v[174:175] offset0:30 offset1:31
	s_waitcnt vmcnt(0)
	ds_write_b64 v199, v[132:133] offset:256
	ds_read_b64 v[172:173], v198
	s_waitcnt lgkmcnt(0)
	v_cmp_neq_f64_e32 vcc, 0, v[172:173]
	s_and_b64 exec, exec, vcc
	s_cbranch_execz .LBB65_99
; %bb.98:
	v_div_scale_f64 v[174:175], s[6:7], v[172:173], v[172:173], 1.0
	v_rcp_f64_e32 v[176:177], v[174:175]
	v_div_scale_f64 v[178:179], vcc, 1.0, v[172:173], 1.0
	v_fma_f64 v[180:181], -v[174:175], v[176:177], 1.0
	v_fmac_f64_e32 v[176:177], v[176:177], v[180:181]
	v_fma_f64 v[180:181], -v[174:175], v[176:177], 1.0
	v_fmac_f64_e32 v[176:177], v[176:177], v[180:181]
	v_mul_f64 v[180:181], v[178:179], v[176:177]
	v_fma_f64 v[174:175], -v[174:175], v[180:181], v[178:179]
	v_div_fmas_f64 v[174:175], v[174:175], v[176:177], v[180:181]
	v_div_fixup_f64 v[172:173], v[174:175], v[172:173], 1.0
	ds_write_b64 v198, v[172:173]
.LBB65_99:
	s_or_b64 exec, exec, s[2:3]
	s_waitcnt lgkmcnt(0)
	s_barrier
	ds_read_b64 v[172:173], v198
	v_cmp_lt_u32_e32 vcc, 19, v200
	s_and_saveexec_b64 s[2:3], vcc
	s_cbranch_execz .LBB65_101
; %bb.100:
	ds_read2_b64 v[174:177], v199 offset0:20 offset1:21
	ds_read2_b64 v[178:181], v199 offset0:22 offset1:23
	s_waitcnt vmcnt(13) lgkmcnt(2)
	v_mul_f64 v[82:83], v[172:173], v[82:83]
	ds_read2_b64 v[182:185], v199 offset0:24 offset1:25
	s_waitcnt vmcnt(12) lgkmcnt(2)
	v_fma_f64 v[112:113], -v[82:83], v[174:175], v[112:113]
	s_waitcnt vmcnt(11)
	v_fma_f64 v[80:81], -v[82:83], v[176:177], v[80:81]
	ds_read2_b64 v[174:177], v199 offset0:26 offset1:27
	s_waitcnt vmcnt(10) lgkmcnt(2)
	v_fma_f64 v[110:111], -v[82:83], v[178:179], v[110:111]
	s_waitcnt vmcnt(9)
	v_fma_f64 v[78:79], -v[82:83], v[180:181], v[78:79]
	s_waitcnt vmcnt(8) lgkmcnt(1)
	v_fma_f64 v[108:109], -v[82:83], v[182:183], v[108:109]
	s_waitcnt vmcnt(7)
	v_fma_f64 v[76:77], -v[82:83], v[184:185], v[76:77]
	ds_read2_b64 v[178:181], v199 offset0:28 offset1:29
	ds_read2_b64 v[182:185], v199 offset0:30 offset1:31
	s_waitcnt vmcnt(6) lgkmcnt(2)
	v_fma_f64 v[106:107], -v[82:83], v[174:175], v[106:107]
	ds_read_b64 v[174:175], v199 offset:256
	s_waitcnt vmcnt(5)
	v_fma_f64 v[74:75], -v[82:83], v[176:177], v[74:75]
	s_waitcnt vmcnt(4) lgkmcnt(2)
	v_fma_f64 v[104:105], -v[82:83], v[178:179], v[104:105]
	s_waitcnt vmcnt(3)
	v_fma_f64 v[72:73], -v[82:83], v[180:181], v[72:73]
	s_waitcnt vmcnt(2) lgkmcnt(1)
	v_fma_f64 v[102:103], -v[82:83], v[182:183], v[102:103]
	;; [unrolled: 4-line block ×3, first 2 shown]
.LBB65_101:
	s_or_b64 exec, exec, s[2:3]
	v_cmp_eq_u32_e32 vcc, 20, v200
	s_waitcnt lgkmcnt(0)
	s_barrier
	s_and_saveexec_b64 s[2:3], vcc
	s_cbranch_execz .LBB65_104
; %bb.102:
	s_waitcnt vmcnt(12)
	ds_write_b64 v198, v[112:113]
	s_waitcnt vmcnt(10)
	ds_write2_b64 v199, v[80:81], v[110:111] offset0:21 offset1:22
	s_waitcnt vmcnt(8)
	ds_write2_b64 v199, v[78:79], v[108:109] offset0:23 offset1:24
	;; [unrolled: 2-line block ×6, first 2 shown]
	ds_read_b64 v[174:175], v198
	s_waitcnt lgkmcnt(0)
	v_cmp_neq_f64_e32 vcc, 0, v[174:175]
	s_and_b64 exec, exec, vcc
	s_cbranch_execz .LBB65_104
; %bb.103:
	v_div_scale_f64 v[176:177], s[6:7], v[174:175], v[174:175], 1.0
	v_rcp_f64_e32 v[178:179], v[176:177]
	v_div_scale_f64 v[180:181], vcc, 1.0, v[174:175], 1.0
	v_fma_f64 v[182:183], -v[176:177], v[178:179], 1.0
	v_fmac_f64_e32 v[178:179], v[178:179], v[182:183]
	v_fma_f64 v[182:183], -v[176:177], v[178:179], 1.0
	v_fmac_f64_e32 v[178:179], v[178:179], v[182:183]
	v_mul_f64 v[182:183], v[180:181], v[178:179]
	v_fma_f64 v[176:177], -v[176:177], v[182:183], v[180:181]
	v_div_fmas_f64 v[176:177], v[176:177], v[178:179], v[182:183]
	v_div_fixup_f64 v[174:175], v[176:177], v[174:175], 1.0
	ds_write_b64 v198, v[174:175]
.LBB65_104:
	s_or_b64 exec, exec, s[2:3]
	s_waitcnt lgkmcnt(0)
	s_barrier
	ds_read_b64 v[174:175], v198
	v_cmp_lt_u32_e32 vcc, 20, v200
	s_and_saveexec_b64 s[2:3], vcc
	s_cbranch_execz .LBB65_106
; %bb.105:
	ds_read2_b64 v[176:179], v199 offset0:21 offset1:22
	ds_read2_b64 v[180:183], v199 offset0:23 offset1:24
	;; [unrolled: 1-line block ×3, first 2 shown]
	s_waitcnt vmcnt(12) lgkmcnt(3)
	v_mul_f64 v[112:113], v[174:175], v[112:113]
	s_waitcnt vmcnt(11) lgkmcnt(2)
	v_fma_f64 v[80:81], -v[112:113], v[176:177], v[80:81]
	s_waitcnt vmcnt(10)
	v_fma_f64 v[110:111], -v[112:113], v[178:179], v[110:111]
	ds_read2_b64 v[176:179], v199 offset0:27 offset1:28
	s_waitcnt vmcnt(9) lgkmcnt(2)
	v_fma_f64 v[78:79], -v[112:113], v[180:181], v[78:79]
	s_waitcnt vmcnt(8)
	v_fma_f64 v[108:109], -v[112:113], v[182:183], v[108:109]
	s_waitcnt vmcnt(7) lgkmcnt(1)
	v_fma_f64 v[76:77], -v[112:113], v[184:185], v[76:77]
	ds_read2_b64 v[180:183], v199 offset0:29 offset1:30
	s_waitcnt vmcnt(6)
	v_fma_f64 v[106:107], -v[112:113], v[186:187], v[106:107]
	ds_read2_b64 v[184:187], v199 offset0:31 offset1:32
	s_waitcnt vmcnt(5) lgkmcnt(2)
	v_fma_f64 v[74:75], -v[112:113], v[176:177], v[74:75]
	s_waitcnt vmcnt(4)
	v_fma_f64 v[104:105], -v[112:113], v[178:179], v[104:105]
	s_waitcnt vmcnt(3) lgkmcnt(1)
	v_fma_f64 v[72:73], -v[112:113], v[180:181], v[72:73]
	s_waitcnt vmcnt(2)
	v_fma_f64 v[102:103], -v[112:113], v[182:183], v[102:103]
	;; [unrolled: 4-line block ×3, first 2 shown]
.LBB65_106:
	s_or_b64 exec, exec, s[2:3]
	v_cmp_eq_u32_e32 vcc, 21, v200
	s_waitcnt lgkmcnt(0)
	s_barrier
	s_and_saveexec_b64 s[2:3], vcc
	s_cbranch_execz .LBB65_109
; %bb.107:
	s_waitcnt vmcnt(10)
	v_mov_b32_e32 v176, v110
	v_mov_b32_e32 v177, v111
	s_waitcnt vmcnt(9)
	v_mov_b32_e32 v178, v78
	v_mov_b32_e32 v179, v79
	ds_write_b64 v198, v[80:81]
	ds_write2_b64 v199, v[176:177], v[178:179] offset0:22 offset1:23
	s_waitcnt vmcnt(8)
	v_mov_b32_e32 v176, v108
	v_mov_b32_e32 v177, v109
	s_waitcnt vmcnt(7)
	v_mov_b32_e32 v178, v76
	v_mov_b32_e32 v179, v77
	ds_write2_b64 v199, v[176:177], v[178:179] offset0:24 offset1:25
	s_waitcnt vmcnt(6)
	v_mov_b32_e32 v176, v106
	v_mov_b32_e32 v177, v107
	s_waitcnt vmcnt(5)
	v_mov_b32_e32 v178, v74
	v_mov_b32_e32 v179, v75
	;; [unrolled: 7-line block ×4, first 2 shown]
	ds_write2_b64 v199, v[176:177], v[178:179] offset0:30 offset1:31
	s_waitcnt vmcnt(0)
	ds_write_b64 v199, v[132:133] offset:256
	ds_read_b64 v[176:177], v198
	s_waitcnt lgkmcnt(0)
	v_cmp_neq_f64_e32 vcc, 0, v[176:177]
	s_and_b64 exec, exec, vcc
	s_cbranch_execz .LBB65_109
; %bb.108:
	v_div_scale_f64 v[178:179], s[6:7], v[176:177], v[176:177], 1.0
	v_rcp_f64_e32 v[180:181], v[178:179]
	v_div_scale_f64 v[182:183], vcc, 1.0, v[176:177], 1.0
	v_fma_f64 v[184:185], -v[178:179], v[180:181], 1.0
	v_fmac_f64_e32 v[180:181], v[180:181], v[184:185]
	v_fma_f64 v[184:185], -v[178:179], v[180:181], 1.0
	v_fmac_f64_e32 v[180:181], v[180:181], v[184:185]
	v_mul_f64 v[184:185], v[182:183], v[180:181]
	v_fma_f64 v[178:179], -v[178:179], v[184:185], v[182:183]
	v_div_fmas_f64 v[178:179], v[178:179], v[180:181], v[184:185]
	v_div_fixup_f64 v[176:177], v[178:179], v[176:177], 1.0
	ds_write_b64 v198, v[176:177]
.LBB65_109:
	s_or_b64 exec, exec, s[2:3]
	s_waitcnt lgkmcnt(0)
	s_barrier
	ds_read_b64 v[176:177], v198
	v_cmp_lt_u32_e32 vcc, 21, v200
	s_and_saveexec_b64 s[2:3], vcc
	s_cbranch_execz .LBB65_111
; %bb.110:
	ds_read2_b64 v[178:181], v199 offset0:22 offset1:23
	ds_read2_b64 v[182:185], v199 offset0:24 offset1:25
	;; [unrolled: 1-line block ×3, first 2 shown]
	s_waitcnt vmcnt(11) lgkmcnt(3)
	v_mul_f64 v[80:81], v[176:177], v[80:81]
	s_waitcnt vmcnt(10) lgkmcnt(2)
	v_fma_f64 v[110:111], -v[80:81], v[178:179], v[110:111]
	s_waitcnt vmcnt(9)
	v_fma_f64 v[78:79], -v[80:81], v[180:181], v[78:79]
	ds_read2_b64 v[178:181], v199 offset0:28 offset1:29
	s_waitcnt vmcnt(8) lgkmcnt(2)
	v_fma_f64 v[108:109], -v[80:81], v[182:183], v[108:109]
	s_waitcnt vmcnt(7)
	v_fma_f64 v[76:77], -v[80:81], v[184:185], v[76:77]
	s_waitcnt vmcnt(6) lgkmcnt(1)
	v_fma_f64 v[106:107], -v[80:81], v[186:187], v[106:107]
	ds_read2_b64 v[182:185], v199 offset0:30 offset1:31
	ds_read_b64 v[186:187], v199 offset:256
	s_waitcnt vmcnt(5)
	v_fma_f64 v[74:75], -v[80:81], v[188:189], v[74:75]
	s_waitcnt vmcnt(4) lgkmcnt(2)
	v_fma_f64 v[104:105], -v[80:81], v[178:179], v[104:105]
	s_waitcnt vmcnt(3)
	v_fma_f64 v[72:73], -v[80:81], v[180:181], v[72:73]
	s_waitcnt vmcnt(2) lgkmcnt(1)
	v_fma_f64 v[102:103], -v[80:81], v[182:183], v[102:103]
	;; [unrolled: 4-line block ×3, first 2 shown]
.LBB65_111:
	s_or_b64 exec, exec, s[2:3]
	v_cmp_eq_u32_e32 vcc, 22, v200
	s_waitcnt lgkmcnt(0)
	s_barrier
	s_and_saveexec_b64 s[2:3], vcc
	s_cbranch_execz .LBB65_114
; %bb.112:
	s_waitcnt vmcnt(10)
	ds_write_b64 v198, v[110:111]
	s_waitcnt vmcnt(8)
	ds_write2_b64 v199, v[78:79], v[108:109] offset0:23 offset1:24
	s_waitcnt vmcnt(6)
	ds_write2_b64 v199, v[76:77], v[106:107] offset0:25 offset1:26
	;; [unrolled: 2-line block ×5, first 2 shown]
	ds_read_b64 v[178:179], v198
	s_waitcnt lgkmcnt(0)
	v_cmp_neq_f64_e32 vcc, 0, v[178:179]
	s_and_b64 exec, exec, vcc
	s_cbranch_execz .LBB65_114
; %bb.113:
	v_div_scale_f64 v[180:181], s[6:7], v[178:179], v[178:179], 1.0
	v_rcp_f64_e32 v[182:183], v[180:181]
	v_div_scale_f64 v[184:185], vcc, 1.0, v[178:179], 1.0
	v_fma_f64 v[186:187], -v[180:181], v[182:183], 1.0
	v_fmac_f64_e32 v[182:183], v[182:183], v[186:187]
	v_fma_f64 v[186:187], -v[180:181], v[182:183], 1.0
	v_fmac_f64_e32 v[182:183], v[182:183], v[186:187]
	v_mul_f64 v[186:187], v[184:185], v[182:183]
	v_fma_f64 v[180:181], -v[180:181], v[186:187], v[184:185]
	v_div_fmas_f64 v[180:181], v[180:181], v[182:183], v[186:187]
	v_div_fixup_f64 v[178:179], v[180:181], v[178:179], 1.0
	ds_write_b64 v198, v[178:179]
.LBB65_114:
	s_or_b64 exec, exec, s[2:3]
	s_waitcnt lgkmcnt(0)
	s_barrier
	ds_read_b64 v[178:179], v198
	v_cmp_lt_u32_e32 vcc, 22, v200
	s_and_saveexec_b64 s[2:3], vcc
	s_cbranch_execz .LBB65_116
; %bb.115:
	ds_read2_b64 v[180:183], v199 offset0:23 offset1:24
	ds_read2_b64 v[184:187], v199 offset0:25 offset1:26
	s_waitcnt vmcnt(10) lgkmcnt(2)
	v_mul_f64 v[110:111], v[178:179], v[110:111]
	ds_read2_b64 v[188:191], v199 offset0:29 offset1:30
	s_waitcnt vmcnt(9) lgkmcnt(2)
	v_fma_f64 v[78:79], -v[110:111], v[180:181], v[78:79]
	s_waitcnt vmcnt(8)
	v_fma_f64 v[108:109], -v[110:111], v[182:183], v[108:109]
	ds_read2_b64 v[180:183], v199 offset0:27 offset1:28
	s_waitcnt vmcnt(7) lgkmcnt(2)
	v_fma_f64 v[76:77], -v[110:111], v[184:185], v[76:77]
	s_waitcnt vmcnt(6)
	v_fma_f64 v[106:107], -v[110:111], v[186:187], v[106:107]
	ds_read2_b64 v[184:187], v199 offset0:31 offset1:32
	s_waitcnt vmcnt(3) lgkmcnt(2)
	v_fma_f64 v[72:73], -v[110:111], v[188:189], v[72:73]
	s_waitcnt lgkmcnt(1)
	v_fma_f64 v[74:75], -v[110:111], v[180:181], v[74:75]
	v_fma_f64 v[104:105], -v[110:111], v[182:183], v[104:105]
	s_waitcnt vmcnt(2)
	v_fma_f64 v[102:103], -v[110:111], v[190:191], v[102:103]
	s_waitcnt vmcnt(1) lgkmcnt(0)
	v_fma_f64 v[70:71], -v[110:111], v[184:185], v[70:71]
	s_waitcnt vmcnt(0)
	v_fma_f64 v[132:133], -v[110:111], v[186:187], v[132:133]
.LBB65_116:
	s_or_b64 exec, exec, s[2:3]
	v_cmp_eq_u32_e32 vcc, 23, v200
	s_waitcnt lgkmcnt(0)
	s_barrier
	s_and_saveexec_b64 s[2:3], vcc
	s_cbranch_execz .LBB65_119
; %bb.117:
	s_waitcnt vmcnt(8)
	v_mov_b32_e32 v180, v108
	v_mov_b32_e32 v181, v109
	s_waitcnt vmcnt(7)
	v_mov_b32_e32 v182, v76
	v_mov_b32_e32 v183, v77
	ds_write_b64 v198, v[78:79]
	ds_write2_b64 v199, v[180:181], v[182:183] offset0:24 offset1:25
	s_waitcnt vmcnt(6)
	v_mov_b32_e32 v180, v106
	v_mov_b32_e32 v181, v107
	s_waitcnt vmcnt(5)
	v_mov_b32_e32 v182, v74
	v_mov_b32_e32 v183, v75
	ds_write2_b64 v199, v[180:181], v[182:183] offset0:26 offset1:27
	s_waitcnt vmcnt(4)
	v_mov_b32_e32 v180, v104
	v_mov_b32_e32 v181, v105
	s_waitcnt vmcnt(3)
	v_mov_b32_e32 v182, v72
	v_mov_b32_e32 v183, v73
	;; [unrolled: 7-line block ×3, first 2 shown]
	ds_write2_b64 v199, v[180:181], v[182:183] offset0:30 offset1:31
	s_waitcnt vmcnt(0)
	ds_write_b64 v199, v[132:133] offset:256
	ds_read_b64 v[180:181], v198
	s_waitcnt lgkmcnt(0)
	v_cmp_neq_f64_e32 vcc, 0, v[180:181]
	s_and_b64 exec, exec, vcc
	s_cbranch_execz .LBB65_119
; %bb.118:
	v_div_scale_f64 v[182:183], s[6:7], v[180:181], v[180:181], 1.0
	v_rcp_f64_e32 v[184:185], v[182:183]
	v_div_scale_f64 v[186:187], vcc, 1.0, v[180:181], 1.0
	v_fma_f64 v[188:189], -v[182:183], v[184:185], 1.0
	v_fmac_f64_e32 v[184:185], v[184:185], v[188:189]
	v_fma_f64 v[188:189], -v[182:183], v[184:185], 1.0
	v_fmac_f64_e32 v[184:185], v[184:185], v[188:189]
	v_mul_f64 v[188:189], v[186:187], v[184:185]
	v_fma_f64 v[182:183], -v[182:183], v[188:189], v[186:187]
	v_div_fmas_f64 v[182:183], v[182:183], v[184:185], v[188:189]
	v_div_fixup_f64 v[180:181], v[182:183], v[180:181], 1.0
	ds_write_b64 v198, v[180:181]
.LBB65_119:
	s_or_b64 exec, exec, s[2:3]
	s_waitcnt lgkmcnt(0)
	s_barrier
	ds_read_b64 v[180:181], v198
	v_cmp_lt_u32_e32 vcc, 23, v200
	s_and_saveexec_b64 s[2:3], vcc
	s_cbranch_execz .LBB65_121
; %bb.120:
	ds_read2_b64 v[182:185], v199 offset0:24 offset1:25
	ds_read2_b64 v[186:189], v199 offset0:26 offset1:27
	s_waitcnt vmcnt(9) lgkmcnt(2)
	v_mul_f64 v[78:79], v[180:181], v[78:79]
	ds_read2_b64 v[190:193], v199 offset0:30 offset1:31
	s_waitcnt vmcnt(8) lgkmcnt(2)
	v_fma_f64 v[108:109], -v[78:79], v[182:183], v[108:109]
	s_waitcnt vmcnt(7)
	v_fma_f64 v[76:77], -v[78:79], v[184:185], v[76:77]
	ds_read2_b64 v[182:185], v199 offset0:28 offset1:29
	s_waitcnt vmcnt(6) lgkmcnt(2)
	v_fma_f64 v[106:107], -v[78:79], v[186:187], v[106:107]
	ds_read_b64 v[186:187], v199 offset:256
	s_waitcnt vmcnt(5)
	v_fma_f64 v[74:75], -v[78:79], v[188:189], v[74:75]
	s_waitcnt vmcnt(2) lgkmcnt(2)
	v_fma_f64 v[102:103], -v[78:79], v[190:191], v[102:103]
	s_waitcnt lgkmcnt(1)
	v_fma_f64 v[104:105], -v[78:79], v[182:183], v[104:105]
	v_fma_f64 v[72:73], -v[78:79], v[184:185], v[72:73]
	s_waitcnt vmcnt(1)
	v_fma_f64 v[70:71], -v[78:79], v[192:193], v[70:71]
	s_waitcnt vmcnt(0) lgkmcnt(0)
	v_fma_f64 v[132:133], -v[78:79], v[186:187], v[132:133]
.LBB65_121:
	s_or_b64 exec, exec, s[2:3]
	v_cmp_eq_u32_e32 vcc, 24, v200
	s_waitcnt lgkmcnt(0)
	s_barrier
	s_and_saveexec_b64 s[2:3], vcc
	s_cbranch_execz .LBB65_124
; %bb.122:
	s_waitcnt vmcnt(8)
	ds_write_b64 v198, v[108:109]
	s_waitcnt vmcnt(6)
	ds_write2_b64 v199, v[76:77], v[106:107] offset0:25 offset1:26
	s_waitcnt vmcnt(4)
	ds_write2_b64 v199, v[74:75], v[104:105] offset0:27 offset1:28
	;; [unrolled: 2-line block ×4, first 2 shown]
	ds_read_b64 v[182:183], v198
	s_waitcnt lgkmcnt(0)
	v_cmp_neq_f64_e32 vcc, 0, v[182:183]
	s_and_b64 exec, exec, vcc
	s_cbranch_execz .LBB65_124
; %bb.123:
	v_div_scale_f64 v[184:185], s[6:7], v[182:183], v[182:183], 1.0
	v_rcp_f64_e32 v[186:187], v[184:185]
	v_div_scale_f64 v[188:189], vcc, 1.0, v[182:183], 1.0
	v_fma_f64 v[190:191], -v[184:185], v[186:187], 1.0
	v_fmac_f64_e32 v[186:187], v[186:187], v[190:191]
	v_fma_f64 v[190:191], -v[184:185], v[186:187], 1.0
	v_fmac_f64_e32 v[186:187], v[186:187], v[190:191]
	v_mul_f64 v[190:191], v[188:189], v[186:187]
	v_fma_f64 v[184:185], -v[184:185], v[190:191], v[188:189]
	v_div_fmas_f64 v[184:185], v[184:185], v[186:187], v[190:191]
	v_div_fixup_f64 v[182:183], v[184:185], v[182:183], 1.0
	ds_write_b64 v198, v[182:183]
.LBB65_124:
	s_or_b64 exec, exec, s[2:3]
	s_waitcnt lgkmcnt(0)
	s_barrier
	ds_read_b64 v[182:183], v198
	v_cmp_lt_u32_e32 vcc, 24, v200
	s_and_saveexec_b64 s[2:3], vcc
	s_cbranch_execz .LBB65_126
; %bb.125:
	ds_read2_b64 v[184:187], v199 offset0:25 offset1:26
	ds_read2_b64 v[188:191], v199 offset0:27 offset1:28
	s_waitcnt vmcnt(8) lgkmcnt(2)
	v_mul_f64 v[108:109], v[182:183], v[108:109]
	ds_read2_b64 v[192:195], v199 offset0:29 offset1:30
	s_waitcnt vmcnt(7) lgkmcnt(2)
	v_fma_f64 v[76:77], -v[108:109], v[184:185], v[76:77]
	s_waitcnt vmcnt(6)
	v_fma_f64 v[106:107], -v[108:109], v[186:187], v[106:107]
	ds_read2_b64 v[184:187], v199 offset0:31 offset1:32
	s_waitcnt vmcnt(5) lgkmcnt(2)
	v_fma_f64 v[74:75], -v[108:109], v[188:189], v[74:75]
	s_waitcnt vmcnt(4)
	v_fma_f64 v[104:105], -v[108:109], v[190:191], v[104:105]
	s_waitcnt vmcnt(3) lgkmcnt(1)
	v_fma_f64 v[72:73], -v[108:109], v[192:193], v[72:73]
	s_waitcnt vmcnt(2)
	v_fma_f64 v[102:103], -v[108:109], v[194:195], v[102:103]
	s_waitcnt vmcnt(1) lgkmcnt(0)
	v_fma_f64 v[70:71], -v[108:109], v[184:185], v[70:71]
	s_waitcnt vmcnt(0)
	v_fma_f64 v[132:133], -v[108:109], v[186:187], v[132:133]
.LBB65_126:
	s_or_b64 exec, exec, s[2:3]
	v_cmp_eq_u32_e32 vcc, 25, v200
	s_waitcnt lgkmcnt(0)
	s_barrier
	s_and_saveexec_b64 s[2:3], vcc
	s_cbranch_execz .LBB65_129
; %bb.127:
	s_waitcnt vmcnt(6)
	v_mov_b32_e32 v184, v106
	v_mov_b32_e32 v185, v107
	s_waitcnt vmcnt(5)
	v_mov_b32_e32 v186, v74
	v_mov_b32_e32 v187, v75
	ds_write_b64 v198, v[76:77]
	ds_write2_b64 v199, v[184:185], v[186:187] offset0:26 offset1:27
	s_waitcnt vmcnt(4)
	v_mov_b32_e32 v184, v104
	v_mov_b32_e32 v185, v105
	s_waitcnt vmcnt(3)
	v_mov_b32_e32 v186, v72
	v_mov_b32_e32 v187, v73
	ds_write2_b64 v199, v[184:185], v[186:187] offset0:28 offset1:29
	s_waitcnt vmcnt(2)
	v_mov_b32_e32 v184, v102
	v_mov_b32_e32 v185, v103
	s_waitcnt vmcnt(1)
	v_mov_b32_e32 v186, v70
	v_mov_b32_e32 v187, v71
	ds_write2_b64 v199, v[184:185], v[186:187] offset0:30 offset1:31
	s_waitcnt vmcnt(0)
	ds_write_b64 v199, v[132:133] offset:256
	ds_read_b64 v[184:185], v198
	s_waitcnt lgkmcnt(0)
	v_cmp_neq_f64_e32 vcc, 0, v[184:185]
	s_and_b64 exec, exec, vcc
	s_cbranch_execz .LBB65_129
; %bb.128:
	v_div_scale_f64 v[186:187], s[6:7], v[184:185], v[184:185], 1.0
	v_rcp_f64_e32 v[188:189], v[186:187]
	v_div_scale_f64 v[190:191], vcc, 1.0, v[184:185], 1.0
	v_fma_f64 v[192:193], -v[186:187], v[188:189], 1.0
	v_fmac_f64_e32 v[188:189], v[188:189], v[192:193]
	v_fma_f64 v[192:193], -v[186:187], v[188:189], 1.0
	v_fmac_f64_e32 v[188:189], v[188:189], v[192:193]
	v_mul_f64 v[192:193], v[190:191], v[188:189]
	v_fma_f64 v[186:187], -v[186:187], v[192:193], v[190:191]
	v_div_fmas_f64 v[186:187], v[186:187], v[188:189], v[192:193]
	v_div_fixup_f64 v[184:185], v[186:187], v[184:185], 1.0
	ds_write_b64 v198, v[184:185]
.LBB65_129:
	s_or_b64 exec, exec, s[2:3]
	s_waitcnt lgkmcnt(0)
	s_barrier
	ds_read_b64 v[184:185], v198
	v_cmp_lt_u32_e32 vcc, 25, v200
	s_and_saveexec_b64 s[2:3], vcc
	s_cbranch_execz .LBB65_131
; %bb.130:
	ds_read2_b64 v[186:189], v199 offset0:26 offset1:27
	ds_read2_b64 v[190:193], v199 offset0:28 offset1:29
	s_waitcnt vmcnt(7) lgkmcnt(2)
	v_mul_f64 v[76:77], v[184:185], v[76:77]
	ds_read2_b64 v[194:197], v199 offset0:30 offset1:31
	s_waitcnt vmcnt(6) lgkmcnt(2)
	v_fma_f64 v[106:107], -v[76:77], v[186:187], v[106:107]
	ds_read_b64 v[186:187], v199 offset:256
	s_waitcnt vmcnt(5)
	v_fma_f64 v[74:75], -v[76:77], v[188:189], v[74:75]
	s_waitcnt vmcnt(4) lgkmcnt(2)
	v_fma_f64 v[104:105], -v[76:77], v[190:191], v[104:105]
	s_waitcnt vmcnt(3)
	v_fma_f64 v[72:73], -v[76:77], v[192:193], v[72:73]
	s_waitcnt vmcnt(2) lgkmcnt(1)
	v_fma_f64 v[102:103], -v[76:77], v[194:195], v[102:103]
	;; [unrolled: 4-line block ×3, first 2 shown]
.LBB65_131:
	s_or_b64 exec, exec, s[2:3]
	v_cmp_eq_u32_e32 vcc, 26, v200
	s_waitcnt lgkmcnt(0)
	s_barrier
	s_and_saveexec_b64 s[2:3], vcc
	s_cbranch_execz .LBB65_134
; %bb.132:
	s_waitcnt vmcnt(6)
	ds_write_b64 v198, v[106:107]
	s_waitcnt vmcnt(4)
	ds_write2_b64 v199, v[74:75], v[104:105] offset0:27 offset1:28
	s_waitcnt vmcnt(2)
	ds_write2_b64 v199, v[72:73], v[102:103] offset0:29 offset1:30
	;; [unrolled: 2-line block ×3, first 2 shown]
	ds_read_b64 v[186:187], v198
	s_waitcnt lgkmcnt(0)
	v_cmp_neq_f64_e32 vcc, 0, v[186:187]
	s_and_b64 exec, exec, vcc
	s_cbranch_execz .LBB65_134
; %bb.133:
	v_div_scale_f64 v[188:189], s[6:7], v[186:187], v[186:187], 1.0
	v_rcp_f64_e32 v[190:191], v[188:189]
	v_div_scale_f64 v[192:193], vcc, 1.0, v[186:187], 1.0
	v_fma_f64 v[194:195], -v[188:189], v[190:191], 1.0
	v_fmac_f64_e32 v[190:191], v[190:191], v[194:195]
	v_fma_f64 v[194:195], -v[188:189], v[190:191], 1.0
	v_fmac_f64_e32 v[190:191], v[190:191], v[194:195]
	v_mul_f64 v[194:195], v[192:193], v[190:191]
	v_fma_f64 v[188:189], -v[188:189], v[194:195], v[192:193]
	v_div_fmas_f64 v[188:189], v[188:189], v[190:191], v[194:195]
	v_div_fixup_f64 v[186:187], v[188:189], v[186:187], 1.0
	ds_write_b64 v198, v[186:187]
.LBB65_134:
	s_or_b64 exec, exec, s[2:3]
	s_waitcnt lgkmcnt(0)
	s_barrier
	ds_read_b64 v[186:187], v198
	v_cmp_lt_u32_e32 vcc, 26, v200
	s_and_saveexec_b64 s[2:3], vcc
	s_cbranch_execz .LBB65_136
; %bb.135:
	ds_read2_b64 v[188:191], v199 offset0:27 offset1:28
	ds_read2_b64 v[192:195], v199 offset0:29 offset1:30
	ds_read2_b64 v[202:205], v199 offset0:31 offset1:32
	s_waitcnt vmcnt(6) lgkmcnt(3)
	v_mul_f64 v[106:107], v[186:187], v[106:107]
	s_waitcnt vmcnt(5) lgkmcnt(2)
	v_fma_f64 v[74:75], -v[106:107], v[188:189], v[74:75]
	s_waitcnt vmcnt(4)
	v_fma_f64 v[104:105], -v[106:107], v[190:191], v[104:105]
	s_waitcnt vmcnt(3) lgkmcnt(1)
	v_fma_f64 v[72:73], -v[106:107], v[192:193], v[72:73]
	s_waitcnt vmcnt(2)
	v_fma_f64 v[102:103], -v[106:107], v[194:195], v[102:103]
	;; [unrolled: 4-line block ×3, first 2 shown]
.LBB65_136:
	s_or_b64 exec, exec, s[2:3]
	v_cmp_eq_u32_e32 vcc, 27, v200
	s_waitcnt lgkmcnt(0)
	s_barrier
	s_and_saveexec_b64 s[2:3], vcc
	s_cbranch_execz .LBB65_139
; %bb.137:
	s_waitcnt vmcnt(4)
	v_mov_b32_e32 v188, v104
	v_mov_b32_e32 v189, v105
	s_waitcnt vmcnt(3)
	v_mov_b32_e32 v190, v72
	v_mov_b32_e32 v191, v73
	ds_write_b64 v198, v[74:75]
	ds_write2_b64 v199, v[188:189], v[190:191] offset0:28 offset1:29
	s_waitcnt vmcnt(2)
	v_mov_b32_e32 v188, v102
	v_mov_b32_e32 v189, v103
	s_waitcnt vmcnt(1)
	v_mov_b32_e32 v190, v70
	v_mov_b32_e32 v191, v71
	ds_write2_b64 v199, v[188:189], v[190:191] offset0:30 offset1:31
	s_waitcnt vmcnt(0)
	ds_write_b64 v199, v[132:133] offset:256
	ds_read_b64 v[188:189], v198
	s_waitcnt lgkmcnt(0)
	v_cmp_neq_f64_e32 vcc, 0, v[188:189]
	s_and_b64 exec, exec, vcc
	s_cbranch_execz .LBB65_139
; %bb.138:
	v_div_scale_f64 v[190:191], s[6:7], v[188:189], v[188:189], 1.0
	v_rcp_f64_e32 v[192:193], v[190:191]
	v_div_scale_f64 v[194:195], vcc, 1.0, v[188:189], 1.0
	v_fma_f64 v[196:197], -v[190:191], v[192:193], 1.0
	v_fmac_f64_e32 v[192:193], v[192:193], v[196:197]
	v_fma_f64 v[196:197], -v[190:191], v[192:193], 1.0
	v_fmac_f64_e32 v[192:193], v[192:193], v[196:197]
	v_mul_f64 v[196:197], v[194:195], v[192:193]
	v_fma_f64 v[190:191], -v[190:191], v[196:197], v[194:195]
	v_div_fmas_f64 v[190:191], v[190:191], v[192:193], v[196:197]
	v_div_fixup_f64 v[188:189], v[190:191], v[188:189], 1.0
	ds_write_b64 v198, v[188:189]
.LBB65_139:
	s_or_b64 exec, exec, s[2:3]
	s_waitcnt lgkmcnt(0)
	s_barrier
	ds_read_b64 v[188:189], v198
	v_cmp_lt_u32_e32 vcc, 27, v200
	s_and_saveexec_b64 s[2:3], vcc
	s_cbranch_execz .LBB65_141
; %bb.140:
	ds_read2_b64 v[190:193], v199 offset0:28 offset1:29
	ds_read2_b64 v[194:197], v199 offset0:30 offset1:31
	ds_read_b64 v[202:203], v199 offset:256
	s_waitcnt vmcnt(5) lgkmcnt(3)
	v_mul_f64 v[74:75], v[188:189], v[74:75]
	s_waitcnt vmcnt(4) lgkmcnt(2)
	v_fma_f64 v[104:105], -v[74:75], v[190:191], v[104:105]
	s_waitcnt vmcnt(3)
	v_fma_f64 v[72:73], -v[74:75], v[192:193], v[72:73]
	s_waitcnt vmcnt(2) lgkmcnt(1)
	v_fma_f64 v[102:103], -v[74:75], v[194:195], v[102:103]
	s_waitcnt vmcnt(1)
	v_fma_f64 v[70:71], -v[74:75], v[196:197], v[70:71]
	s_waitcnt vmcnt(0) lgkmcnt(0)
	v_fma_f64 v[132:133], -v[74:75], v[202:203], v[132:133]
.LBB65_141:
	s_or_b64 exec, exec, s[2:3]
	v_cmp_eq_u32_e32 vcc, 28, v200
	s_waitcnt lgkmcnt(0)
	s_barrier
	s_and_saveexec_b64 s[2:3], vcc
	s_cbranch_execz .LBB65_144
; %bb.142:
	s_waitcnt vmcnt(4)
	ds_write_b64 v198, v[104:105]
	s_waitcnt vmcnt(2)
	ds_write2_b64 v199, v[72:73], v[102:103] offset0:29 offset1:30
	s_waitcnt vmcnt(0)
	ds_write2_b64 v199, v[70:71], v[132:133] offset0:31 offset1:32
	ds_read_b64 v[190:191], v198
	s_waitcnt lgkmcnt(0)
	v_cmp_neq_f64_e32 vcc, 0, v[190:191]
	s_and_b64 exec, exec, vcc
	s_cbranch_execz .LBB65_144
; %bb.143:
	v_div_scale_f64 v[192:193], s[6:7], v[190:191], v[190:191], 1.0
	v_rcp_f64_e32 v[194:195], v[192:193]
	v_div_scale_f64 v[196:197], vcc, 1.0, v[190:191], 1.0
	v_fma_f64 v[202:203], -v[192:193], v[194:195], 1.0
	v_fmac_f64_e32 v[194:195], v[194:195], v[202:203]
	v_fma_f64 v[202:203], -v[192:193], v[194:195], 1.0
	v_fmac_f64_e32 v[194:195], v[194:195], v[202:203]
	v_mul_f64 v[202:203], v[196:197], v[194:195]
	v_fma_f64 v[192:193], -v[192:193], v[202:203], v[196:197]
	v_div_fmas_f64 v[192:193], v[192:193], v[194:195], v[202:203]
	v_div_fixup_f64 v[190:191], v[192:193], v[190:191], 1.0
	ds_write_b64 v198, v[190:191]
.LBB65_144:
	s_or_b64 exec, exec, s[2:3]
	s_waitcnt lgkmcnt(0)
	s_barrier
	ds_read_b64 v[190:191], v198
	v_cmp_lt_u32_e32 vcc, 28, v200
	s_and_saveexec_b64 s[2:3], vcc
	s_cbranch_execz .LBB65_146
; %bb.145:
	ds_read2_b64 v[192:195], v199 offset0:29 offset1:30
	ds_read2_b64 v[202:205], v199 offset0:31 offset1:32
	s_waitcnt vmcnt(4) lgkmcnt(2)
	v_mul_f64 v[104:105], v[190:191], v[104:105]
	s_waitcnt vmcnt(3) lgkmcnt(1)
	v_fma_f64 v[72:73], -v[104:105], v[192:193], v[72:73]
	s_waitcnt vmcnt(2)
	v_fma_f64 v[102:103], -v[104:105], v[194:195], v[102:103]
	s_waitcnt vmcnt(1) lgkmcnt(0)
	v_fma_f64 v[70:71], -v[104:105], v[202:203], v[70:71]
	s_waitcnt vmcnt(0)
	v_fma_f64 v[132:133], -v[104:105], v[204:205], v[132:133]
.LBB65_146:
	s_or_b64 exec, exec, s[2:3]
	v_cmp_eq_u32_e32 vcc, 29, v200
	s_waitcnt lgkmcnt(0)
	s_barrier
	s_and_saveexec_b64 s[2:3], vcc
	s_cbranch_execz .LBB65_149
; %bb.147:
	s_waitcnt vmcnt(2)
	v_mov_b32_e32 v192, v102
	v_mov_b32_e32 v193, v103
	s_waitcnt vmcnt(1)
	v_mov_b32_e32 v194, v70
	v_mov_b32_e32 v195, v71
	ds_write_b64 v198, v[72:73]
	ds_write2_b64 v199, v[192:193], v[194:195] offset0:30 offset1:31
	s_waitcnt vmcnt(0)
	ds_write_b64 v199, v[132:133] offset:256
	ds_read_b64 v[192:193], v198
	s_waitcnt lgkmcnt(0)
	v_cmp_neq_f64_e32 vcc, 0, v[192:193]
	s_and_b64 exec, exec, vcc
	s_cbranch_execz .LBB65_149
; %bb.148:
	v_div_scale_f64 v[194:195], s[6:7], v[192:193], v[192:193], 1.0
	v_rcp_f64_e32 v[196:197], v[194:195]
	v_div_scale_f64 v[202:203], vcc, 1.0, v[192:193], 1.0
	v_fma_f64 v[204:205], -v[194:195], v[196:197], 1.0
	v_fmac_f64_e32 v[196:197], v[196:197], v[204:205]
	v_fma_f64 v[204:205], -v[194:195], v[196:197], 1.0
	v_fmac_f64_e32 v[196:197], v[196:197], v[204:205]
	v_mul_f64 v[204:205], v[202:203], v[196:197]
	v_fma_f64 v[194:195], -v[194:195], v[204:205], v[202:203]
	v_div_fmas_f64 v[194:195], v[194:195], v[196:197], v[204:205]
	v_div_fixup_f64 v[192:193], v[194:195], v[192:193], 1.0
	ds_write_b64 v198, v[192:193]
.LBB65_149:
	s_or_b64 exec, exec, s[2:3]
	s_waitcnt lgkmcnt(0)
	s_barrier
	ds_read_b64 v[192:193], v198
	v_cmp_lt_u32_e32 vcc, 29, v200
	s_and_saveexec_b64 s[2:3], vcc
	s_cbranch_execz .LBB65_151
; %bb.150:
	ds_read2_b64 v[194:197], v199 offset0:30 offset1:31
	ds_read_b64 v[202:203], v199 offset:256
	s_waitcnt vmcnt(3) lgkmcnt(2)
	v_mul_f64 v[72:73], v[192:193], v[72:73]
	s_waitcnt vmcnt(2) lgkmcnt(1)
	v_fma_f64 v[102:103], -v[72:73], v[194:195], v[102:103]
	s_waitcnt vmcnt(1)
	v_fma_f64 v[70:71], -v[72:73], v[196:197], v[70:71]
	s_waitcnt vmcnt(0) lgkmcnt(0)
	v_fma_f64 v[132:133], -v[72:73], v[202:203], v[132:133]
.LBB65_151:
	s_or_b64 exec, exec, s[2:3]
	v_cmp_eq_u32_e32 vcc, 30, v200
	s_waitcnt lgkmcnt(0)
	s_barrier
	s_and_saveexec_b64 s[2:3], vcc
	s_cbranch_execz .LBB65_154
; %bb.152:
	s_waitcnt vmcnt(2)
	ds_write_b64 v198, v[102:103]
	s_waitcnt vmcnt(0)
	ds_write2_b64 v199, v[70:71], v[132:133] offset0:31 offset1:32
	ds_read_b64 v[194:195], v198
	s_waitcnt lgkmcnt(0)
	v_cmp_neq_f64_e32 vcc, 0, v[194:195]
	s_and_b64 exec, exec, vcc
	s_cbranch_execz .LBB65_154
; %bb.153:
	v_div_scale_f64 v[196:197], s[6:7], v[194:195], v[194:195], 1.0
	v_rcp_f64_e32 v[202:203], v[196:197]
	v_div_scale_f64 v[204:205], vcc, 1.0, v[194:195], 1.0
	v_fma_f64 v[206:207], -v[196:197], v[202:203], 1.0
	v_fmac_f64_e32 v[202:203], v[202:203], v[206:207]
	v_fma_f64 v[206:207], -v[196:197], v[202:203], 1.0
	v_fmac_f64_e32 v[202:203], v[202:203], v[206:207]
	v_mul_f64 v[206:207], v[204:205], v[202:203]
	v_fma_f64 v[196:197], -v[196:197], v[206:207], v[204:205]
	v_div_fmas_f64 v[196:197], v[196:197], v[202:203], v[206:207]
	v_div_fixup_f64 v[194:195], v[196:197], v[194:195], 1.0
	ds_write_b64 v198, v[194:195]
.LBB65_154:
	s_or_b64 exec, exec, s[2:3]
	s_waitcnt lgkmcnt(0)
	s_barrier
	ds_read_b64 v[194:195], v198
	v_cmp_lt_u32_e32 vcc, 30, v200
	s_and_saveexec_b64 s[2:3], vcc
	s_cbranch_execz .LBB65_156
; %bb.155:
	ds_read2_b64 v[202:205], v199 offset0:31 offset1:32
	s_waitcnt vmcnt(2) lgkmcnt(1)
	v_mul_f64 v[102:103], v[194:195], v[102:103]
	s_waitcnt vmcnt(1) lgkmcnt(0)
	v_fma_f64 v[70:71], -v[102:103], v[202:203], v[70:71]
	s_waitcnt vmcnt(0)
	v_fma_f64 v[132:133], -v[102:103], v[204:205], v[132:133]
.LBB65_156:
	s_or_b64 exec, exec, s[2:3]
	v_cmp_eq_u32_e32 vcc, 31, v200
	s_waitcnt lgkmcnt(0)
	s_barrier
	s_and_saveexec_b64 s[2:3], vcc
	s_cbranch_execz .LBB65_159
; %bb.157:
	s_waitcnt vmcnt(1)
	ds_write_b64 v198, v[70:71]
	s_waitcnt vmcnt(0)
	ds_write_b64 v199, v[132:133] offset:256
	ds_read_b64 v[196:197], v198
	s_waitcnt lgkmcnt(0)
	v_cmp_neq_f64_e32 vcc, 0, v[196:197]
	s_and_b64 exec, exec, vcc
	s_cbranch_execz .LBB65_159
; %bb.158:
	v_div_scale_f64 v[202:203], s[6:7], v[196:197], v[196:197], 1.0
	v_rcp_f64_e32 v[204:205], v[202:203]
	v_div_scale_f64 v[206:207], vcc, 1.0, v[196:197], 1.0
	v_fma_f64 v[208:209], -v[202:203], v[204:205], 1.0
	v_fmac_f64_e32 v[204:205], v[204:205], v[208:209]
	v_fma_f64 v[208:209], -v[202:203], v[204:205], 1.0
	v_fmac_f64_e32 v[204:205], v[204:205], v[208:209]
	v_mul_f64 v[208:209], v[206:207], v[204:205]
	v_fma_f64 v[202:203], -v[202:203], v[208:209], v[206:207]
	v_div_fmas_f64 v[202:203], v[202:203], v[204:205], v[208:209]
	v_div_fixup_f64 v[196:197], v[202:203], v[196:197], 1.0
	ds_write_b64 v198, v[196:197]
.LBB65_159:
	s_or_b64 exec, exec, s[2:3]
	s_waitcnt lgkmcnt(0)
	s_barrier
	ds_read_b64 v[196:197], v198
	v_cmp_lt_u32_e32 vcc, 31, v200
	s_and_saveexec_b64 s[2:3], vcc
	s_cbranch_execz .LBB65_161
; %bb.160:
	ds_read_b64 v[202:203], v199 offset:256
	s_waitcnt vmcnt(1) lgkmcnt(1)
	v_mul_f64 v[70:71], v[196:197], v[70:71]
	s_waitcnt vmcnt(0) lgkmcnt(0)
	v_fma_f64 v[132:133], -v[70:71], v[202:203], v[132:133]
.LBB65_161:
	s_or_b64 exec, exec, s[2:3]
	v_cmp_eq_u32_e32 vcc, 32, v200
	s_waitcnt lgkmcnt(0)
	s_barrier
	s_and_saveexec_b64 s[2:3], vcc
	s_cbranch_execz .LBB65_164
; %bb.162:
	s_waitcnt vmcnt(0)
	v_cmp_neq_f64_e32 vcc, 0, v[132:133]
	ds_write_b64 v198, v[132:133]
	s_and_b64 exec, exec, vcc
	s_cbranch_execz .LBB65_164
; %bb.163:
	v_div_scale_f64 v[202:203], s[6:7], v[132:133], v[132:133], 1.0
	v_rcp_f64_e32 v[204:205], v[202:203]
	v_div_scale_f64 v[206:207], vcc, 1.0, v[132:133], 1.0
	v_fma_f64 v[208:209], -v[202:203], v[204:205], 1.0
	v_fmac_f64_e32 v[204:205], v[204:205], v[208:209]
	v_fma_f64 v[208:209], -v[202:203], v[204:205], 1.0
	v_fmac_f64_e32 v[204:205], v[204:205], v[208:209]
	v_mul_f64 v[208:209], v[206:207], v[204:205]
	v_fma_f64 v[202:203], -v[202:203], v[208:209], v[206:207]
	v_div_fmas_f64 v[202:203], v[202:203], v[204:205], v[208:209]
	v_div_fixup_f64 v[202:203], v[202:203], v[132:133], 1.0
	ds_write_b64 v198, v[202:203]
.LBB65_164:
	s_or_b64 exec, exec, s[2:3]
	s_waitcnt lgkmcnt(0)
	s_barrier
	ds_read_b64 v[198:199], v198
	s_waitcnt lgkmcnt(0)
	s_barrier
	s_and_saveexec_b64 s[2:3], s[0:1]
	s_cbranch_execz .LBB65_167
; %bb.165:
	v_cmp_eq_f64_e32 vcc, 0, v[134:135]
	v_cmp_neq_f64_e64 s[0:1], 0, v[136:137]
	v_cndmask_b32_e64 v134, 0, 1, vcc
	s_or_b64 vcc, s[0:1], vcc
	v_cndmask_b32_e32 v134, 2, v134, vcc
	v_cmp_eq_f64_e32 vcc, 0, v[138:139]
	v_cmp_eq_u32_e64 s[0:1], 0, v134
	s_and_b64 s[0:1], vcc, s[0:1]
	v_cndmask_b32_e64 v134, v134, 3, s[0:1]
	v_cmp_eq_f64_e32 vcc, 0, v[140:141]
	v_cmp_eq_u32_e64 s[0:1], 0, v134
	s_and_b64 s[0:1], vcc, s[0:1]
	v_cndmask_b32_e64 v134, v134, 4, s[0:1]
	;; [unrolled: 4-line block ×9, first 2 shown]
	v_cmp_eq_f64_e32 vcc, 0, v[156:157]
	v_cmp_eq_u32_e64 s[0:1], 0, v134
	s_load_dwordx2 s[4:5], s[4:5], 0x28
	s_and_b64 s[0:1], vcc, s[0:1]
	v_cndmask_b32_e64 v134, v134, 12, s[0:1]
	v_cmp_eq_f64_e32 vcc, 0, v[158:159]
	v_cmp_eq_u32_e64 s[0:1], 0, v134
	s_and_b64 s[0:1], vcc, s[0:1]
	v_lshlrev_b64 v[2:3], 2, v[2:3]
	v_cndmask_b32_e64 v134, v134, 13, s[0:1]
	s_waitcnt lgkmcnt(0)
	v_mov_b32_e32 v135, s5
	v_add_co_u32_e64 v2, s[0:1], s4, v2
	v_addc_co_u32_e64 v3, s[0:1], v135, v3, s[0:1]
	global_load_dword v135, v[2:3], off
	v_cmp_eq_f64_e32 vcc, 0, v[160:161]
	v_cmp_eq_u32_e64 s[0:1], 0, v134
	s_and_b64 s[0:1], vcc, s[0:1]
	v_cndmask_b32_e64 v134, v134, 14, s[0:1]
	v_cmp_eq_f64_e32 vcc, 0, v[162:163]
	v_cmp_eq_u32_e64 s[0:1], 0, v134
	s_and_b64 s[0:1], vcc, s[0:1]
	v_cndmask_b32_e64 v134, v134, 15, s[0:1]
	;; [unrolled: 4-line block ×20, first 2 shown]
	s_waitcnt vmcnt(0)
	v_cmp_eq_u32_e32 vcc, 0, v135
	v_cmp_ne_u32_e64 s[0:1], 0, v134
	s_and_b64 s[0:1], vcc, s[0:1]
	s_and_b64 exec, exec, s[0:1]
	s_cbranch_execz .LBB65_167
; %bb.166:
	v_add_u32_e32 v134, s9, v134
	global_store_dword v[2:3], v134, off
.LBB65_167:
	s_or_b64 exec, exec, s[2:3]
	s_waitcnt vmcnt(0)
	v_mul_f64 v[2:3], v[198:199], v[132:133]
	v_cmp_lt_u32_e32 vcc, 32, v200
	v_cndmask_b32_e32 v3, v133, v3, vcc
	v_cndmask_b32_e32 v2, v132, v2, vcc
	global_store_dwordx2 v[64:65], v[68:69], off
	global_store_dwordx2 v[66:67], v[100:101], off
	;; [unrolled: 1-line block ×33, first 2 shown]
.LBB65_168:
	s_endpgm
	.section	.rodata,"a",@progbits
	.p2align	6, 0x0
	.amdhsa_kernel _ZN9rocsolver6v33100L23getf2_npvt_small_kernelILi33EdiiPKPdEEvT1_T3_lS5_lPT2_S5_S5_
		.amdhsa_group_segment_fixed_size 0
		.amdhsa_private_segment_fixed_size 0
		.amdhsa_kernarg_size 312
		.amdhsa_user_sgpr_count 6
		.amdhsa_user_sgpr_private_segment_buffer 1
		.amdhsa_user_sgpr_dispatch_ptr 0
		.amdhsa_user_sgpr_queue_ptr 0
		.amdhsa_user_sgpr_kernarg_segment_ptr 1
		.amdhsa_user_sgpr_dispatch_id 0
		.amdhsa_user_sgpr_flat_scratch_init 0
		.amdhsa_user_sgpr_kernarg_preload_length 0
		.amdhsa_user_sgpr_kernarg_preload_offset 0
		.amdhsa_user_sgpr_private_segment_size 0
		.amdhsa_uses_dynamic_stack 0
		.amdhsa_system_sgpr_private_segment_wavefront_offset 0
		.amdhsa_system_sgpr_workgroup_id_x 1
		.amdhsa_system_sgpr_workgroup_id_y 1
		.amdhsa_system_sgpr_workgroup_id_z 0
		.amdhsa_system_sgpr_workgroup_info 0
		.amdhsa_system_vgpr_workitem_id 1
		.amdhsa_next_free_vgpr 210
		.amdhsa_next_free_sgpr 16
		.amdhsa_accum_offset 212
		.amdhsa_reserve_vcc 1
		.amdhsa_reserve_flat_scratch 0
		.amdhsa_float_round_mode_32 0
		.amdhsa_float_round_mode_16_64 0
		.amdhsa_float_denorm_mode_32 3
		.amdhsa_float_denorm_mode_16_64 3
		.amdhsa_dx10_clamp 1
		.amdhsa_ieee_mode 1
		.amdhsa_fp16_overflow 0
		.amdhsa_tg_split 0
		.amdhsa_exception_fp_ieee_invalid_op 0
		.amdhsa_exception_fp_denorm_src 0
		.amdhsa_exception_fp_ieee_div_zero 0
		.amdhsa_exception_fp_ieee_overflow 0
		.amdhsa_exception_fp_ieee_underflow 0
		.amdhsa_exception_fp_ieee_inexact 0
		.amdhsa_exception_int_div_zero 0
	.end_amdhsa_kernel
	.section	.text._ZN9rocsolver6v33100L23getf2_npvt_small_kernelILi33EdiiPKPdEEvT1_T3_lS5_lPT2_S5_S5_,"axG",@progbits,_ZN9rocsolver6v33100L23getf2_npvt_small_kernelILi33EdiiPKPdEEvT1_T3_lS5_lPT2_S5_S5_,comdat
.Lfunc_end65:
	.size	_ZN9rocsolver6v33100L23getf2_npvt_small_kernelILi33EdiiPKPdEEvT1_T3_lS5_lPT2_S5_S5_, .Lfunc_end65-_ZN9rocsolver6v33100L23getf2_npvt_small_kernelILi33EdiiPKPdEEvT1_T3_lS5_lPT2_S5_S5_
                                        ; -- End function
	.section	.AMDGPU.csdata,"",@progbits
; Kernel info:
; codeLenInByte = 22648
; NumSgprs: 20
; NumVgprs: 210
; NumAgprs: 0
; TotalNumVgprs: 210
; ScratchSize: 0
; MemoryBound: 0
; FloatMode: 240
; IeeeMode: 1
; LDSByteSize: 0 bytes/workgroup (compile time only)
; SGPRBlocks: 2
; VGPRBlocks: 26
; NumSGPRsForWavesPerEU: 20
; NumVGPRsForWavesPerEU: 210
; AccumOffset: 212
; Occupancy: 2
; WaveLimiterHint : 1
; COMPUTE_PGM_RSRC2:SCRATCH_EN: 0
; COMPUTE_PGM_RSRC2:USER_SGPR: 6
; COMPUTE_PGM_RSRC2:TRAP_HANDLER: 0
; COMPUTE_PGM_RSRC2:TGID_X_EN: 1
; COMPUTE_PGM_RSRC2:TGID_Y_EN: 1
; COMPUTE_PGM_RSRC2:TGID_Z_EN: 0
; COMPUTE_PGM_RSRC2:TIDIG_COMP_CNT: 1
; COMPUTE_PGM_RSRC3_GFX90A:ACCUM_OFFSET: 52
; COMPUTE_PGM_RSRC3_GFX90A:TG_SPLIT: 0
	.section	.text._ZN9rocsolver6v33100L18getf2_small_kernelILi34EdiiPKPdEEvT1_T3_lS5_lPS5_llPT2_S5_S5_S7_l,"axG",@progbits,_ZN9rocsolver6v33100L18getf2_small_kernelILi34EdiiPKPdEEvT1_T3_lS5_lPS5_llPT2_S5_S5_S7_l,comdat
	.globl	_ZN9rocsolver6v33100L18getf2_small_kernelILi34EdiiPKPdEEvT1_T3_lS5_lPS5_llPT2_S5_S5_S7_l ; -- Begin function _ZN9rocsolver6v33100L18getf2_small_kernelILi34EdiiPKPdEEvT1_T3_lS5_lPS5_llPT2_S5_S5_S7_l
	.p2align	8
	.type	_ZN9rocsolver6v33100L18getf2_small_kernelILi34EdiiPKPdEEvT1_T3_lS5_lPS5_llPT2_S5_S5_S7_l,@function
_ZN9rocsolver6v33100L18getf2_small_kernelILi34EdiiPKPdEEvT1_T3_lS5_lPS5_llPT2_S5_S5_S7_l: ; @_ZN9rocsolver6v33100L18getf2_small_kernelILi34EdiiPKPdEEvT1_T3_lS5_lPS5_llPT2_S5_S5_S7_l
; %bb.0:
	s_load_dword s0, s[4:5], 0x6c
	s_load_dwordx2 s[12:13], s[4:5], 0x48
	v_bfe_u32 v72, v0, 10, 10
	s_waitcnt lgkmcnt(0)
	s_lshr_b32 s0, s0, 16
	s_mul_i32 s7, s7, s0
	v_add_u32_e32 v2, s7, v72
	v_cmp_gt_i32_e32 vcc, s12, v2
	s_and_saveexec_b64 s[0:1], vcc
	s_cbranch_execz .LBB66_575
; %bb.1:
	s_load_dwordx4 s[0:3], s[4:5], 0x8
	s_load_dwordx4 s[8:11], s[4:5], 0x50
	v_ashrrev_i32_e32 v3, 31, v2
	v_lshlrev_b64 v[4:5], 3, v[2:3]
	s_waitcnt lgkmcnt(0)
	v_mov_b32_e32 v1, s1
	v_add_co_u32_e32 v4, vcc, s0, v4
	v_addc_co_u32_e32 v5, vcc, v1, v5, vcc
	global_load_dwordx2 v[6:7], v[4:5], off
	s_cmp_eq_u64 s[8:9], 0
	s_cselect_b64 s[6:7], -1, 0
	s_and_b64 vcc, exec, s[6:7]
	v_pk_mov_b32 v[4:5], 0, 0
	s_cbranch_vccnz .LBB66_3
; %bb.2:
	v_mul_lo_u32 v1, v3, s10
	v_mul_lo_u32 v8, v2, s11
	v_mad_u64_u32 v[4:5], s[0:1], v2, s10, 0
	v_add3_u32 v5, v5, v8, v1
	v_lshlrev_b64 v[4:5], 2, v[4:5]
	v_mov_b32_e32 v1, s9
	v_add_co_u32_e32 v4, vcc, s8, v4
	v_addc_co_u32_e32 v5, vcc, v1, v5, vcc
.LBB66_3:
	s_load_dword s8, s[4:5], 0x18
	s_load_dword s18, s[4:5], 0x0
	s_lshl_b64 s[0:1], s[2:3], 3
	v_and_b32_e32 v80, 0x3ff, v0
	v_mov_b32_e32 v1, s1
	s_waitcnt lgkmcnt(0)
	s_add_i32 s12, s8, s8
	s_waitcnt vmcnt(0)
	v_add_co_u32_e32 v78, vcc, s0, v6
	v_add_u32_e32 v0, s12, v80
	v_addc_co_u32_e32 v79, vcc, v7, v1, vcc
	v_ashrrev_i32_e32 v1, 31, v0
	v_lshlrev_b64 v[6:7], 3, v[0:1]
	v_add_u32_e32 v0, s8, v0
	v_add_co_u32_e32 v6, vcc, v78, v6
	v_ashrrev_i32_e32 v1, 31, v0
	v_addc_co_u32_e32 v7, vcc, v79, v7, vcc
	v_lshlrev_b64 v[8:9], 3, v[0:1]
	v_add_u32_e32 v0, s8, v0
	v_add_co_u32_e32 v8, vcc, v78, v8
	v_ashrrev_i32_e32 v1, 31, v0
	v_addc_co_u32_e32 v9, vcc, v79, v9, vcc
	;; [unrolled: 5-line block ×31, first 2 shown]
	v_lshlrev_b64 v[0:1], 3, v[0:1]
	v_add_co_u32_e32 v112, vcc, v78, v0
	v_addc_co_u32_e32 v113, vcc, v79, v1, vcc
	v_lshlrev_b32_e32 v73, 3, v80
	v_add_co_u32_e32 v0, vcc, v78, v73
	s_ashr_i32 s9, s8, 31
	v_addc_co_u32_e32 v1, vcc, 0, v79, vcc
	s_lshl_b64 s[10:11], s[8:9], 3
	v_mov_b32_e32 v33, s11
	v_add_co_u32_e32 v32, vcc, s10, v0
	v_addc_co_u32_e32 v33, vcc, v1, v33, vcc
	global_load_dwordx2 v[68:69], v[0:1], off
	global_load_dwordx2 v[66:67], v[32:33], off
	;; [unrolled: 1-line block ×15, first 2 shown]
                                        ; kill: killed $vgpr22 killed $vgpr23
                                        ; kill: killed $vgpr26 killed $vgpr27
                                        ; kill: killed $vgpr30 killed $vgpr31
                                        ; kill: killed $vgpr8 killed $vgpr9
                                        ; kill: killed $vgpr12 killed $vgpr13
                                        ; kill: killed $vgpr16 killed $vgpr17
                                        ; kill: killed $vgpr20 killed $vgpr21
                                        ; kill: killed $vgpr24 killed $vgpr25
                                        ; kill: killed $vgpr28 killed $vgpr29
                                        ; kill: killed $vgpr0 killed $vgpr1
                                        ; kill: killed $vgpr6 killed $vgpr7
                                        ; kill: killed $vgpr32 killed $vgpr33
                                        ; kill: killed $vgpr10 killed $vgpr11
                                        ; kill: killed $vgpr14 killed $vgpr15
                                        ; kill: killed $vgpr18 killed $vgpr19
	global_load_dwordx2 v[40:41], v[70:71], off
	global_load_dwordx2 v[36:37], v[74:75], off
	global_load_dwordx2 v[34:35], v[76:77], off
	global_load_dwordx2 v[32:33], v[82:83], off
	s_nop 0
	global_load_dwordx2 v[30:31], v[84:85], off
	global_load_dwordx2 v[28:29], v[86:87], off
	;; [unrolled: 1-line block ×11, first 2 shown]
                                        ; kill: killed $vgpr100 killed $vgpr101
                                        ; kill: killed $vgpr104 killed $vgpr105
                                        ; kill: killed $vgpr74 killed $vgpr75
                                        ; kill: killed $vgpr82 killed $vgpr83
                                        ; kill: killed $vgpr86 killed $vgpr87
                                        ; kill: killed $vgpr90 killed $vgpr91
                                        ; kill: killed $vgpr94 killed $vgpr95
                                        ; kill: killed $vgpr98 killed $vgpr99
                                        ; kill: killed $vgpr102 killed $vgpr103
                                        ; kill: killed $vgpr70 killed $vgpr71
                                        ; kill: killed $vgpr76 killed $vgpr77
                                        ; kill: killed $vgpr84 killed $vgpr85
                                        ; kill: killed $vgpr88 killed $vgpr89
                                        ; kill: killed $vgpr92 killed $vgpr93
                                        ; kill: killed $vgpr96 killed $vgpr97
	global_load_dwordx2 v[10:11], v[106:107], off
	global_load_dwordx2 v[6:7], v[108:109], off
	;; [unrolled: 1-line block ×4, first 2 shown]
	s_max_i32 s0, s18, 34
	v_mul_lo_u32 v74, s0, v72
	v_lshl_add_u32 v76, v74, 3, 0
	v_add_u32_e32 v72, v76, v73
	s_cmp_lt_i32 s18, 2
	v_lshlrev_b32_e32 v81, 3, v74
	v_mov_b32_e32 v74, 0
	s_waitcnt vmcnt(33)
	ds_write_b64 v72, v[68:69]
	s_waitcnt lgkmcnt(0)
	s_barrier
	ds_read_b64 v[72:73], v76
	s_cbranch_scc1 .LBB66_6
; %bb.4:
	v_add3_u32 v75, v81, 0, 8
	s_mov_b32 s0, 1
	v_mov_b32_e32 v74, 0
.LBB66_5:                               ; =>This Inner Loop Header: Depth=1
	ds_read_b64 v[82:83], v75
	v_mov_b32_e32 v77, s0
	s_add_i32 s0, s0, 1
	v_add_u32_e32 v75, 8, v75
	s_cmp_eq_u32 s18, s0
	s_waitcnt lgkmcnt(0)
	v_cmp_lt_f64_e64 vcc, |v[72:73]|, |v[82:83]|
	v_cndmask_b32_e32 v73, v73, v83, vcc
	v_cndmask_b32_e32 v72, v72, v82, vcc
	;; [unrolled: 1-line block ×3, first 2 shown]
	s_cbranch_scc0 .LBB66_5
.LBB66_6:
	v_cmp_ne_u32_e32 vcc, v80, v74
                                        ; implicit-def: $vgpr77
	s_and_saveexec_b64 s[0:1], vcc
	s_xor_b64 s[0:1], exec, s[0:1]
	s_cbranch_execz .LBB66_12
; %bb.7:
	v_cmp_eq_u32_e32 vcc, 0, v80
	s_and_saveexec_b64 s[2:3], vcc
	s_cbranch_execz .LBB66_11
; %bb.8:
	v_cmp_ne_u32_e32 vcc, 0, v74
	s_xor_b64 s[14:15], s[6:7], -1
	s_and_b64 s[16:17], s[14:15], vcc
	s_and_saveexec_b64 s[14:15], s[16:17]
	s_cbranch_execz .LBB66_10
; %bb.9:
	v_ashrrev_i32_e32 v75, 31, v74
	v_lshlrev_b64 v[82:83], 2, v[74:75]
	v_add_co_u32_e32 v82, vcc, v4, v82
	v_addc_co_u32_e32 v83, vcc, v5, v83, vcc
	flat_load_dword v75, v[82:83]
	flat_load_dword v77, v[4:5]
	s_waitcnt vmcnt(0) lgkmcnt(0)
	flat_store_dword v[4:5], v75
	flat_store_dword v[82:83], v77
.LBB66_10:
	s_or_b64 exec, exec, s[14:15]
	v_mov_b32_e32 v80, v74
.LBB66_11:
	s_or_b64 exec, exec, s[2:3]
	v_mov_b32_e32 v77, v80
                                        ; implicit-def: $vgpr80
.LBB66_12:
	s_or_saveexec_b64 s[0:1], s[0:1]
	v_mov_b32_e32 v75, v77
	s_xor_b64 exec, exec, s[0:1]
	s_cbranch_execz .LBB66_14
; %bb.13:
	v_mov_b32_e32 v77, 0
	v_mov_b32_e32 v75, v80
	s_waitcnt vmcnt(0)
	ds_write2_b64 v76, v[66:67], v[64:65] offset0:1 offset1:2
	ds_write2_b64 v76, v[62:63], v[60:61] offset0:3 offset1:4
	;; [unrolled: 1-line block ×16, first 2 shown]
	ds_write_b64 v76, v[70:71] offset:264
.LBB66_14:
	s_or_b64 exec, exec, s[0:1]
	s_waitcnt lgkmcnt(0)
	v_cmp_eq_f64_e64 s[0:1], 0, v[72:73]
	v_cmp_lt_i32_e32 vcc, 0, v77
	s_barrier
	s_and_saveexec_b64 s[2:3], vcc
	s_cbranch_execz .LBB66_16
; %bb.15:
	v_div_scale_f64 v[82:83], s[14:15], v[72:73], v[72:73], 1.0
	v_rcp_f64_e32 v[84:85], v[82:83]
	v_div_scale_f64 v[86:87], vcc, 1.0, v[72:73], 1.0
	ds_read2_b64 v[90:93], v76 offset0:5 offset1:6
	v_fma_f64 v[88:89], -v[82:83], v[84:85], 1.0
	v_fmac_f64_e32 v[84:85], v[84:85], v[88:89]
	v_fma_f64 v[88:89], -v[82:83], v[84:85], 1.0
	v_fmac_f64_e32 v[84:85], v[84:85], v[88:89]
	v_mul_f64 v[88:89], v[86:87], v[84:85]
	v_fma_f64 v[82:83], -v[82:83], v[88:89], v[86:87]
	v_div_fmas_f64 v[82:83], v[82:83], v[84:85], v[88:89]
	v_div_fixup_f64 v[86:87], v[82:83], v[72:73], 1.0
	ds_read2_b64 v[82:85], v76 offset0:1 offset1:2
	v_cndmask_b32_e64 v73, v87, v73, s[0:1]
	v_cndmask_b32_e64 v72, v86, v72, s[0:1]
	ds_read2_b64 v[86:89], v76 offset0:3 offset1:4
	v_mul_f64 v[68:69], v[72:73], v[68:69]
	s_waitcnt vmcnt(0) lgkmcnt(0)
	v_fma_f64 v[66:67], -v[68:69], v[82:83], v[66:67]
	v_fma_f64 v[64:65], -v[68:69], v[84:85], v[64:65]
	ds_read2_b64 v[82:85], v76 offset0:7 offset1:8
	v_fma_f64 v[62:63], -v[68:69], v[86:87], v[62:63]
	v_fma_f64 v[60:61], -v[68:69], v[88:89], v[60:61]
	;; [unrolled: 1-line block ×3, first 2 shown]
	ds_read2_b64 v[86:89], v76 offset0:9 offset1:10
	v_fma_f64 v[56:57], -v[68:69], v[92:93], v[56:57]
	ds_read2_b64 v[90:93], v76 offset0:11 offset1:12
	s_waitcnt lgkmcnt(2)
	v_fma_f64 v[54:55], -v[68:69], v[82:83], v[54:55]
	v_fma_f64 v[52:53], -v[68:69], v[84:85], v[52:53]
	ds_read2_b64 v[82:85], v76 offset0:13 offset1:14
	s_waitcnt lgkmcnt(2)
	v_fma_f64 v[50:51], -v[68:69], v[86:87], v[50:51]
	;; [unrolled: 4-line block ×3, first 2 shown]
	v_fma_f64 v[44:45], -v[68:69], v[92:93], v[44:45]
	s_waitcnt lgkmcnt(1)
	v_fma_f64 v[42:43], -v[68:69], v[82:83], v[42:43]
	ds_read2_b64 v[90:93], v76 offset0:17 offset1:18
	v_fma_f64 v[38:39], -v[68:69], v[84:85], v[38:39]
	ds_read2_b64 v[82:85], v76 offset0:19 offset1:20
	s_waitcnt lgkmcnt(2)
	v_fma_f64 v[40:41], -v[68:69], v[86:87], v[40:41]
	v_fma_f64 v[36:37], -v[68:69], v[88:89], v[36:37]
	s_waitcnt lgkmcnt(1)
	v_fma_f64 v[34:35], -v[68:69], v[90:91], v[34:35]
	ds_read2_b64 v[86:89], v76 offset0:21 offset1:22
	v_fma_f64 v[32:33], -v[68:69], v[92:93], v[32:33]
	ds_read2_b64 v[90:93], v76 offset0:23 offset1:24
	s_waitcnt lgkmcnt(2)
	v_fma_f64 v[30:31], -v[68:69], v[82:83], v[30:31]
	v_fma_f64 v[28:29], -v[68:69], v[84:85], v[28:29]
	ds_read2_b64 v[82:85], v76 offset0:25 offset1:26
	s_waitcnt lgkmcnt(2)
	v_fma_f64 v[26:27], -v[68:69], v[86:87], v[26:27]
	;; [unrolled: 4-line block ×3, first 2 shown]
	v_fma_f64 v[20:21], -v[68:69], v[92:93], v[20:21]
	s_waitcnt lgkmcnt(1)
	v_fma_f64 v[18:19], -v[68:69], v[82:83], v[18:19]
	v_fma_f64 v[16:17], -v[68:69], v[84:85], v[16:17]
	ds_read2_b64 v[82:85], v76 offset0:29 offset1:30
	ds_read2_b64 v[90:93], v76 offset0:31 offset1:32
	ds_read_b64 v[72:73], v76 offset:264
	s_waitcnt lgkmcnt(3)
	v_fma_f64 v[14:15], -v[68:69], v[86:87], v[14:15]
	v_fma_f64 v[12:13], -v[68:69], v[88:89], v[12:13]
	s_waitcnt lgkmcnt(2)
	v_fma_f64 v[8:9], -v[68:69], v[82:83], v[8:9]
	v_fma_f64 v[10:11], -v[68:69], v[84:85], v[10:11]
	;; [unrolled: 3-line block ×3, first 2 shown]
	s_waitcnt lgkmcnt(0)
	v_fma_f64 v[70:71], -v[68:69], v[72:73], v[70:71]
.LBB66_16:
	s_or_b64 exec, exec, s[2:3]
	v_lshl_add_u32 v72, v77, 3, v76
	s_barrier
	s_waitcnt vmcnt(0)
	ds_write_b64 v72, v[66:67]
	s_waitcnt lgkmcnt(0)
	s_barrier
	ds_read_b64 v[72:73], v76 offset:8
	s_cmp_lt_i32 s18, 3
	v_mov_b32_e32 v74, 1
	s_cbranch_scc1 .LBB66_19
; %bb.17:
	v_add3_u32 v80, v81, 0, 16
	s_mov_b32 s2, 2
	v_mov_b32_e32 v74, 1
.LBB66_18:                              ; =>This Inner Loop Header: Depth=1
	ds_read_b64 v[82:83], v80
	v_mov_b32_e32 v84, s2
	s_add_i32 s2, s2, 1
	v_add_u32_e32 v80, 8, v80
	s_cmp_lg_u32 s18, s2
	s_waitcnt lgkmcnt(0)
	v_cmp_lt_f64_e64 vcc, |v[72:73]|, |v[82:83]|
	v_cndmask_b32_e32 v73, v73, v83, vcc
	v_cndmask_b32_e32 v72, v72, v82, vcc
	;; [unrolled: 1-line block ×3, first 2 shown]
	s_cbranch_scc1 .LBB66_18
.LBB66_19:
	v_cmp_ne_u32_e32 vcc, v77, v74
	s_and_saveexec_b64 s[2:3], vcc
	s_xor_b64 s[2:3], exec, s[2:3]
	s_cbranch_execz .LBB66_25
; %bb.20:
	v_cmp_eq_u32_e32 vcc, 1, v77
	s_and_saveexec_b64 s[14:15], vcc
	s_cbranch_execz .LBB66_24
; %bb.21:
	v_cmp_ne_u32_e32 vcc, 1, v74
	s_xor_b64 s[16:17], s[6:7], -1
	s_and_b64 s[20:21], s[16:17], vcc
	s_and_saveexec_b64 s[16:17], s[20:21]
	s_cbranch_execz .LBB66_23
; %bb.22:
	v_ashrrev_i32_e32 v75, 31, v74
	v_lshlrev_b64 v[82:83], 2, v[74:75]
	v_add_co_u32_e32 v82, vcc, v4, v82
	v_addc_co_u32_e32 v83, vcc, v5, v83, vcc
	flat_load_dword v75, v[82:83]
	flat_load_dword v77, v[4:5] offset:4
	s_waitcnt vmcnt(0) lgkmcnt(0)
	flat_store_dword v[4:5], v75 offset:4
	flat_store_dword v[82:83], v77
.LBB66_23:
	s_or_b64 exec, exec, s[16:17]
	v_mov_b32_e32 v75, v74
	v_mov_b32_e32 v77, v74
.LBB66_24:
	s_or_b64 exec, exec, s[14:15]
.LBB66_25:
	s_andn2_saveexec_b64 s[2:3], s[2:3]
	s_cbranch_execz .LBB66_27
; %bb.26:
	v_mov_b32_e32 v82, v64
	v_mov_b32_e32 v83, v65
	v_mov_b32_e32 v84, v62
	v_mov_b32_e32 v85, v63
	ds_write2_b64 v76, v[82:83], v[84:85] offset0:2 offset1:3
	v_mov_b32_e32 v82, v60
	v_mov_b32_e32 v83, v61
	v_mov_b32_e32 v84, v58
	v_mov_b32_e32 v85, v59
	ds_write2_b64 v76, v[82:83], v[84:85] offset0:4 offset1:5
	;; [unrolled: 5-line block ×15, first 2 shown]
	v_mov_b32_e32 v82, v0
	v_mov_b32_e32 v83, v1
	;; [unrolled: 1-line block ×3, first 2 shown]
	ds_write2_b64 v76, v[82:83], v[70:71] offset0:32 offset1:33
.LBB66_27:
	s_or_b64 exec, exec, s[2:3]
	s_waitcnt lgkmcnt(0)
	v_cmp_neq_f64_e64 s[2:3], 0, v[72:73]
	v_cmp_lt_i32_e32 vcc, 1, v77
	s_barrier
	s_and_saveexec_b64 s[14:15], vcc
	s_cbranch_execz .LBB66_29
; %bb.28:
	v_div_scale_f64 v[82:83], s[16:17], v[72:73], v[72:73], 1.0
	v_rcp_f64_e32 v[84:85], v[82:83]
	v_div_scale_f64 v[86:87], vcc, 1.0, v[72:73], 1.0
	ds_read2_b64 v[90:93], v76 offset0:6 offset1:7
	v_fma_f64 v[88:89], -v[82:83], v[84:85], 1.0
	v_fmac_f64_e32 v[84:85], v[84:85], v[88:89]
	v_fma_f64 v[88:89], -v[82:83], v[84:85], 1.0
	v_fmac_f64_e32 v[84:85], v[84:85], v[88:89]
	v_mul_f64 v[88:89], v[86:87], v[84:85]
	v_fma_f64 v[82:83], -v[82:83], v[88:89], v[86:87]
	v_div_fmas_f64 v[82:83], v[82:83], v[84:85], v[88:89]
	v_div_fixup_f64 v[86:87], v[82:83], v[72:73], 1.0
	ds_read2_b64 v[82:85], v76 offset0:2 offset1:3
	v_cndmask_b32_e64 v73, v73, v87, s[2:3]
	v_cndmask_b32_e64 v72, v72, v86, s[2:3]
	ds_read2_b64 v[86:89], v76 offset0:4 offset1:5
	v_mul_f64 v[66:67], v[72:73], v[66:67]
	s_waitcnt lgkmcnt(0)
	v_fma_f64 v[64:65], -v[66:67], v[82:83], v[64:65]
	v_fma_f64 v[62:63], -v[66:67], v[84:85], v[62:63]
	ds_read2_b64 v[82:85], v76 offset0:8 offset1:9
	v_fma_f64 v[60:61], -v[66:67], v[86:87], v[60:61]
	v_fma_f64 v[58:59], -v[66:67], v[88:89], v[58:59]
	;; [unrolled: 1-line block ×3, first 2 shown]
	ds_read2_b64 v[86:89], v76 offset0:10 offset1:11
	v_fma_f64 v[54:55], -v[66:67], v[92:93], v[54:55]
	ds_read2_b64 v[90:93], v76 offset0:12 offset1:13
	s_waitcnt lgkmcnt(0)
	v_fma_f64 v[52:53], -v[66:67], v[82:83], v[52:53]
	v_fma_f64 v[50:51], -v[66:67], v[84:85], v[50:51]
	ds_read2_b64 v[82:85], v76 offset0:14 offset1:15
	v_fma_f64 v[48:49], -v[66:67], v[86:87], v[48:49]
	v_fma_f64 v[46:47], -v[66:67], v[88:89], v[46:47]
	ds_read2_b64 v[86:89], v76 offset0:16 offset1:17
	v_fma_f64 v[44:45], -v[66:67], v[90:91], v[44:45]
	v_fma_f64 v[42:43], -v[66:67], v[92:93], v[42:43]
	s_waitcnt lgkmcnt(0)
	v_fma_f64 v[38:39], -v[66:67], v[82:83], v[38:39]
	ds_read2_b64 v[90:93], v76 offset0:18 offset1:19
	v_fma_f64 v[40:41], -v[66:67], v[84:85], v[40:41]
	ds_read2_b64 v[82:85], v76 offset0:20 offset1:21
	v_fma_f64 v[36:37], -v[66:67], v[86:87], v[36:37]
	v_fma_f64 v[34:35], -v[66:67], v[88:89], v[34:35]
	s_waitcnt lgkmcnt(0)
	v_fma_f64 v[32:33], -v[66:67], v[90:91], v[32:33]
	ds_read2_b64 v[86:89], v76 offset0:22 offset1:23
	v_fma_f64 v[30:31], -v[66:67], v[92:93], v[30:31]
	ds_read2_b64 v[90:93], v76 offset0:24 offset1:25
	v_fma_f64 v[28:29], -v[66:67], v[82:83], v[28:29]
	v_fma_f64 v[26:27], -v[66:67], v[84:85], v[26:27]
	ds_read2_b64 v[82:85], v76 offset0:26 offset1:27
	s_waitcnt lgkmcnt(0)
	v_fma_f64 v[24:25], -v[66:67], v[86:87], v[24:25]
	v_fma_f64 v[22:23], -v[66:67], v[88:89], v[22:23]
	ds_read2_b64 v[86:89], v76 offset0:28 offset1:29
	v_fma_f64 v[20:21], -v[66:67], v[90:91], v[20:21]
	v_fma_f64 v[18:19], -v[66:67], v[92:93], v[18:19]
	;; [unrolled: 1-line block ×3, first 2 shown]
	ds_read2_b64 v[90:93], v76 offset0:30 offset1:31
	v_fma_f64 v[14:15], -v[66:67], v[84:85], v[14:15]
	ds_read2_b64 v[82:85], v76 offset0:32 offset1:33
	s_waitcnt lgkmcnt(0)
	v_fma_f64 v[12:13], -v[66:67], v[86:87], v[12:13]
	v_fma_f64 v[8:9], -v[66:67], v[88:89], v[8:9]
	;; [unrolled: 1-line block ×6, first 2 shown]
.LBB66_29:
	s_or_b64 exec, exec, s[14:15]
	v_lshl_add_u32 v72, v77, 3, v76
	s_barrier
	ds_write_b64 v72, v[64:65]
	s_waitcnt lgkmcnt(0)
	s_barrier
	ds_read_b64 v[72:73], v76 offset:16
	s_mov_b32 s9, 3
	s_cmp_lt_i32 s18, 4
	v_mov_b32_e32 v74, 2
	s_cbranch_scc1 .LBB66_32
; %bb.30:
	v_add3_u32 v80, v81, 0, 24
	v_mov_b32_e32 v74, 2
.LBB66_31:                              ; =>This Inner Loop Header: Depth=1
	ds_read_b64 v[82:83], v80
	v_mov_b32_e32 v84, s9
	s_add_i32 s9, s9, 1
	v_add_u32_e32 v80, 8, v80
	s_cmp_lg_u32 s18, s9
	s_waitcnt lgkmcnt(0)
	v_cmp_lt_f64_e64 vcc, |v[72:73]|, |v[82:83]|
	v_cndmask_b32_e32 v73, v73, v83, vcc
	v_cndmask_b32_e32 v72, v72, v82, vcc
	;; [unrolled: 1-line block ×3, first 2 shown]
	s_cbranch_scc1 .LBB66_31
.LBB66_32:
	v_cndmask_b32_e64 v80, 2, 1, s[0:1]
	v_cndmask_b32_e64 v82, 0, 1, s[0:1]
	v_cndmask_b32_e64 v80, v80, v82, s[2:3]
	s_waitcnt lgkmcnt(0)
	v_cmp_eq_f64_e32 vcc, 0, v[72:73]
	s_and_saveexec_b64 s[0:1], vcc
	s_xor_b64 s[0:1], exec, s[0:1]
; %bb.33:
	v_cmp_ne_u32_e32 vcc, 0, v80
	v_cndmask_b32_e32 v80, 3, v80, vcc
; %bb.34:
	s_andn2_saveexec_b64 s[0:1], s[0:1]
; %bb.35:
	v_div_scale_f64 v[82:83], s[2:3], v[72:73], v[72:73], 1.0
	v_rcp_f64_e32 v[84:85], v[82:83]
	v_div_scale_f64 v[86:87], vcc, 1.0, v[72:73], 1.0
	v_fma_f64 v[88:89], -v[82:83], v[84:85], 1.0
	v_fmac_f64_e32 v[84:85], v[84:85], v[88:89]
	v_fma_f64 v[88:89], -v[82:83], v[84:85], 1.0
	v_fmac_f64_e32 v[84:85], v[84:85], v[88:89]
	v_mul_f64 v[88:89], v[86:87], v[84:85]
	v_fma_f64 v[82:83], -v[82:83], v[88:89], v[86:87]
	v_div_fmas_f64 v[82:83], v[82:83], v[84:85], v[88:89]
	v_div_fixup_f64 v[72:73], v[82:83], v[72:73], 1.0
; %bb.36:
	s_or_b64 exec, exec, s[0:1]
	v_cmp_ne_u32_e32 vcc, v77, v74
	s_and_saveexec_b64 s[0:1], vcc
	s_xor_b64 s[0:1], exec, s[0:1]
	s_cbranch_execz .LBB66_42
; %bb.37:
	v_cmp_eq_u32_e32 vcc, 2, v77
	s_and_saveexec_b64 s[2:3], vcc
	s_cbranch_execz .LBB66_41
; %bb.38:
	v_cmp_ne_u32_e32 vcc, 2, v74
	s_xor_b64 s[14:15], s[6:7], -1
	s_and_b64 s[16:17], s[14:15], vcc
	s_and_saveexec_b64 s[14:15], s[16:17]
	s_cbranch_execz .LBB66_40
; %bb.39:
	v_ashrrev_i32_e32 v75, 31, v74
	v_lshlrev_b64 v[82:83], 2, v[74:75]
	v_add_co_u32_e32 v82, vcc, v4, v82
	v_addc_co_u32_e32 v83, vcc, v5, v83, vcc
	flat_load_dword v75, v[82:83]
	flat_load_dword v77, v[4:5] offset:8
	s_waitcnt vmcnt(0) lgkmcnt(0)
	flat_store_dword v[4:5], v75 offset:8
	flat_store_dword v[82:83], v77
.LBB66_40:
	s_or_b64 exec, exec, s[14:15]
	v_mov_b32_e32 v75, v74
	v_mov_b32_e32 v77, v74
.LBB66_41:
	s_or_b64 exec, exec, s[2:3]
.LBB66_42:
	s_andn2_saveexec_b64 s[0:1], s[0:1]
	s_cbranch_execz .LBB66_44
; %bb.43:
	v_mov_b32_e32 v77, 2
	ds_write2_b64 v76, v[62:63], v[60:61] offset0:3 offset1:4
	ds_write2_b64 v76, v[58:59], v[56:57] offset0:5 offset1:6
	;; [unrolled: 1-line block ×15, first 2 shown]
	ds_write_b64 v76, v[70:71] offset:264
.LBB66_44:
	s_or_b64 exec, exec, s[0:1]
	v_cmp_lt_i32_e32 vcc, 2, v77
	s_waitcnt lgkmcnt(0)
	s_barrier
	s_and_saveexec_b64 s[0:1], vcc
	s_cbranch_execz .LBB66_46
; %bb.45:
	ds_read2_b64 v[82:85], v76 offset0:3 offset1:4
	ds_read2_b64 v[86:89], v76 offset0:5 offset1:6
	;; [unrolled: 1-line block ×3, first 2 shown]
	v_mul_f64 v[64:65], v[72:73], v[64:65]
	ds_read_b64 v[72:73], v76 offset:264
	s_waitcnt lgkmcnt(0)
	v_fma_f64 v[62:63], -v[64:65], v[82:83], v[62:63]
	v_fma_f64 v[60:61], -v[64:65], v[84:85], v[60:61]
	ds_read2_b64 v[82:85], v76 offset0:9 offset1:10
	v_fma_f64 v[58:59], -v[64:65], v[86:87], v[58:59]
	v_fma_f64 v[56:57], -v[64:65], v[88:89], v[56:57]
	;; [unrolled: 1-line block ×3, first 2 shown]
	ds_read2_b64 v[86:89], v76 offset0:11 offset1:12
	v_fma_f64 v[52:53], -v[64:65], v[92:93], v[52:53]
	ds_read2_b64 v[90:93], v76 offset0:13 offset1:14
	s_waitcnt lgkmcnt(0)
	v_fma_f64 v[50:51], -v[64:65], v[82:83], v[50:51]
	v_fma_f64 v[48:49], -v[64:65], v[84:85], v[48:49]
	v_fma_f64 v[46:47], -v[64:65], v[86:87], v[46:47]
	ds_read2_b64 v[82:85], v76 offset0:15 offset1:16
	v_fma_f64 v[44:45], -v[64:65], v[88:89], v[44:45]
	ds_read2_b64 v[86:89], v76 offset0:17 offset1:18
	v_fma_f64 v[42:43], -v[64:65], v[90:91], v[42:43]
	v_fma_f64 v[38:39], -v[64:65], v[92:93], v[38:39]
	ds_read2_b64 v[90:93], v76 offset0:19 offset1:20
	s_waitcnt lgkmcnt(0)
	v_fma_f64 v[40:41], -v[64:65], v[82:83], v[40:41]
	v_fma_f64 v[36:37], -v[64:65], v[84:85], v[36:37]
	ds_read2_b64 v[82:85], v76 offset0:21 offset1:22
	v_fma_f64 v[34:35], -v[64:65], v[86:87], v[34:35]
	v_fma_f64 v[32:33], -v[64:65], v[88:89], v[32:33]
	;; [unrolled: 1-line block ×3, first 2 shown]
	ds_read2_b64 v[86:89], v76 offset0:23 offset1:24
	v_fma_f64 v[28:29], -v[64:65], v[92:93], v[28:29]
	ds_read2_b64 v[90:93], v76 offset0:25 offset1:26
	s_waitcnt lgkmcnt(0)
	v_fma_f64 v[26:27], -v[64:65], v[82:83], v[26:27]
	v_fma_f64 v[24:25], -v[64:65], v[84:85], v[24:25]
	;; [unrolled: 1-line block ×3, first 2 shown]
	ds_read2_b64 v[82:85], v76 offset0:27 offset1:28
	v_fma_f64 v[20:21], -v[64:65], v[88:89], v[20:21]
	ds_read2_b64 v[86:89], v76 offset0:29 offset1:30
	v_fma_f64 v[18:19], -v[64:65], v[90:91], v[18:19]
	v_fma_f64 v[16:17], -v[64:65], v[92:93], v[16:17]
	ds_read2_b64 v[90:93], v76 offset0:31 offset1:32
	s_waitcnt lgkmcnt(0)
	v_fma_f64 v[14:15], -v[64:65], v[82:83], v[14:15]
	v_fma_f64 v[12:13], -v[64:65], v[84:85], v[12:13]
	;; [unrolled: 1-line block ×7, first 2 shown]
.LBB66_46:
	s_or_b64 exec, exec, s[0:1]
	v_lshl_add_u32 v72, v77, 3, v76
	s_barrier
	ds_write_b64 v72, v[62:63]
	s_waitcnt lgkmcnt(0)
	s_barrier
	ds_read_b64 v[72:73], v76 offset:24
	s_cmp_lt_i32 s18, 5
	v_mov_b32_e32 v74, 3
	s_cbranch_scc1 .LBB66_49
; %bb.47:
	v_add3_u32 v82, v81, 0, 32
	s_mov_b32 s0, 4
	v_mov_b32_e32 v74, 3
.LBB66_48:                              ; =>This Inner Loop Header: Depth=1
	ds_read_b64 v[84:85], v82
	v_mov_b32_e32 v83, s0
	s_add_i32 s0, s0, 1
	v_add_u32_e32 v82, 8, v82
	s_cmp_lg_u32 s18, s0
	s_waitcnt lgkmcnt(0)
	v_cmp_lt_f64_e64 vcc, |v[72:73]|, |v[84:85]|
	v_cndmask_b32_e32 v73, v73, v85, vcc
	v_cndmask_b32_e32 v72, v72, v84, vcc
	;; [unrolled: 1-line block ×3, first 2 shown]
	s_cbranch_scc1 .LBB66_48
.LBB66_49:
	s_waitcnt lgkmcnt(0)
	v_cmp_eq_f64_e32 vcc, 0, v[72:73]
	s_and_saveexec_b64 s[0:1], vcc
	s_xor_b64 s[0:1], exec, s[0:1]
; %bb.50:
	v_cmp_ne_u32_e32 vcc, 0, v80
	v_cndmask_b32_e32 v80, 4, v80, vcc
; %bb.51:
	s_andn2_saveexec_b64 s[0:1], s[0:1]
; %bb.52:
	v_div_scale_f64 v[82:83], s[2:3], v[72:73], v[72:73], 1.0
	v_rcp_f64_e32 v[84:85], v[82:83]
	v_div_scale_f64 v[86:87], vcc, 1.0, v[72:73], 1.0
	v_fma_f64 v[88:89], -v[82:83], v[84:85], 1.0
	v_fmac_f64_e32 v[84:85], v[84:85], v[88:89]
	v_fma_f64 v[88:89], -v[82:83], v[84:85], 1.0
	v_fmac_f64_e32 v[84:85], v[84:85], v[88:89]
	v_mul_f64 v[88:89], v[86:87], v[84:85]
	v_fma_f64 v[82:83], -v[82:83], v[88:89], v[86:87]
	v_div_fmas_f64 v[82:83], v[82:83], v[84:85], v[88:89]
	v_div_fixup_f64 v[72:73], v[82:83], v[72:73], 1.0
; %bb.53:
	s_or_b64 exec, exec, s[0:1]
	v_cmp_ne_u32_e32 vcc, v77, v74
	s_and_saveexec_b64 s[0:1], vcc
	s_xor_b64 s[0:1], exec, s[0:1]
	s_cbranch_execz .LBB66_59
; %bb.54:
	v_cmp_eq_u32_e32 vcc, 3, v77
	s_and_saveexec_b64 s[2:3], vcc
	s_cbranch_execz .LBB66_58
; %bb.55:
	v_cmp_ne_u32_e32 vcc, 3, v74
	s_xor_b64 s[14:15], s[6:7], -1
	s_and_b64 s[16:17], s[14:15], vcc
	s_and_saveexec_b64 s[14:15], s[16:17]
	s_cbranch_execz .LBB66_57
; %bb.56:
	v_ashrrev_i32_e32 v75, 31, v74
	v_lshlrev_b64 v[82:83], 2, v[74:75]
	v_add_co_u32_e32 v82, vcc, v4, v82
	v_addc_co_u32_e32 v83, vcc, v5, v83, vcc
	flat_load_dword v75, v[82:83]
	flat_load_dword v77, v[4:5] offset:12
	s_waitcnt vmcnt(0) lgkmcnt(0)
	flat_store_dword v[4:5], v75 offset:12
	flat_store_dword v[82:83], v77
.LBB66_57:
	s_or_b64 exec, exec, s[14:15]
	v_mov_b32_e32 v75, v74
	v_mov_b32_e32 v77, v74
.LBB66_58:
	s_or_b64 exec, exec, s[2:3]
.LBB66_59:
	s_andn2_saveexec_b64 s[0:1], s[0:1]
	s_cbranch_execz .LBB66_61
; %bb.60:
	v_mov_b32_e32 v82, v60
	v_mov_b32_e32 v83, v61
	v_mov_b32_e32 v84, v58
	v_mov_b32_e32 v85, v59
	ds_write2_b64 v76, v[82:83], v[84:85] offset0:4 offset1:5
	v_mov_b32_e32 v82, v56
	v_mov_b32_e32 v83, v57
	v_mov_b32_e32 v84, v54
	v_mov_b32_e32 v85, v55
	ds_write2_b64 v76, v[82:83], v[84:85] offset0:6 offset1:7
	v_mov_b32_e32 v82, v52
	v_mov_b32_e32 v83, v53
	v_mov_b32_e32 v84, v50
	v_mov_b32_e32 v85, v51
	ds_write2_b64 v76, v[82:83], v[84:85] offset0:8 offset1:9
	v_mov_b32_e32 v82, v48
	v_mov_b32_e32 v83, v49
	v_mov_b32_e32 v84, v46
	v_mov_b32_e32 v85, v47
	ds_write2_b64 v76, v[82:83], v[84:85] offset0:10 offset1:11
	v_mov_b32_e32 v82, v44
	v_mov_b32_e32 v83, v45
	v_mov_b32_e32 v84, v42
	v_mov_b32_e32 v85, v43
	ds_write2_b64 v76, v[82:83], v[84:85] offset0:12 offset1:13
	v_mov_b32_e32 v82, v38
	v_mov_b32_e32 v83, v39
	v_mov_b32_e32 v84, v40
	v_mov_b32_e32 v85, v41
	ds_write2_b64 v76, v[82:83], v[84:85] offset0:14 offset1:15
	v_mov_b32_e32 v82, v36
	v_mov_b32_e32 v83, v37
	v_mov_b32_e32 v84, v34
	v_mov_b32_e32 v85, v35
	ds_write2_b64 v76, v[82:83], v[84:85] offset0:16 offset1:17
	v_mov_b32_e32 v82, v32
	v_mov_b32_e32 v83, v33
	v_mov_b32_e32 v84, v30
	v_mov_b32_e32 v85, v31
	ds_write2_b64 v76, v[82:83], v[84:85] offset0:18 offset1:19
	v_mov_b32_e32 v82, v28
	v_mov_b32_e32 v83, v29
	v_mov_b32_e32 v84, v26
	v_mov_b32_e32 v85, v27
	ds_write2_b64 v76, v[82:83], v[84:85] offset0:20 offset1:21
	v_mov_b32_e32 v82, v24
	v_mov_b32_e32 v83, v25
	v_mov_b32_e32 v84, v22
	v_mov_b32_e32 v85, v23
	ds_write2_b64 v76, v[82:83], v[84:85] offset0:22 offset1:23
	v_mov_b32_e32 v82, v20
	v_mov_b32_e32 v83, v21
	v_mov_b32_e32 v84, v18
	v_mov_b32_e32 v85, v19
	ds_write2_b64 v76, v[82:83], v[84:85] offset0:24 offset1:25
	v_mov_b32_e32 v82, v16
	v_mov_b32_e32 v83, v17
	v_mov_b32_e32 v84, v14
	v_mov_b32_e32 v85, v15
	ds_write2_b64 v76, v[82:83], v[84:85] offset0:26 offset1:27
	v_mov_b32_e32 v82, v12
	v_mov_b32_e32 v83, v13
	v_mov_b32_e32 v84, v8
	v_mov_b32_e32 v85, v9
	ds_write2_b64 v76, v[82:83], v[84:85] offset0:28 offset1:29
	v_mov_b32_e32 v82, v10
	v_mov_b32_e32 v83, v11
	v_mov_b32_e32 v84, v6
	v_mov_b32_e32 v85, v7
	ds_write2_b64 v76, v[82:83], v[84:85] offset0:30 offset1:31
	v_mov_b32_e32 v82, v0
	v_mov_b32_e32 v83, v1
	;; [unrolled: 1-line block ×3, first 2 shown]
	ds_write2_b64 v76, v[82:83], v[70:71] offset0:32 offset1:33
.LBB66_61:
	s_or_b64 exec, exec, s[0:1]
	v_cmp_lt_i32_e32 vcc, 3, v77
	s_waitcnt lgkmcnt(0)
	s_barrier
	s_and_saveexec_b64 s[0:1], vcc
	s_cbranch_execz .LBB66_63
; %bb.62:
	ds_read2_b64 v[82:85], v76 offset0:4 offset1:5
	ds_read2_b64 v[86:89], v76 offset0:6 offset1:7
	;; [unrolled: 1-line block ×3, first 2 shown]
	v_mul_f64 v[62:63], v[72:73], v[62:63]
	s_waitcnt lgkmcnt(0)
	v_fma_f64 v[60:61], -v[62:63], v[82:83], v[60:61]
	v_fma_f64 v[58:59], -v[62:63], v[84:85], v[58:59]
	ds_read2_b64 v[82:85], v76 offset0:10 offset1:11
	v_fma_f64 v[56:57], -v[62:63], v[86:87], v[56:57]
	v_fma_f64 v[54:55], -v[62:63], v[88:89], v[54:55]
	v_fma_f64 v[52:53], -v[62:63], v[90:91], v[52:53]
	ds_read2_b64 v[86:89], v76 offset0:12 offset1:13
	v_fma_f64 v[50:51], -v[62:63], v[92:93], v[50:51]
	ds_read2_b64 v[90:93], v76 offset0:14 offset1:15
	s_waitcnt lgkmcnt(0)
	v_fma_f64 v[48:49], -v[62:63], v[82:83], v[48:49]
	v_fma_f64 v[46:47], -v[62:63], v[84:85], v[46:47]
	;; [unrolled: 1-line block ×3, first 2 shown]
	ds_read2_b64 v[82:85], v76 offset0:16 offset1:17
	v_fma_f64 v[42:43], -v[62:63], v[88:89], v[42:43]
	ds_read2_b64 v[86:89], v76 offset0:18 offset1:19
	v_fma_f64 v[38:39], -v[62:63], v[90:91], v[38:39]
	v_fma_f64 v[40:41], -v[62:63], v[92:93], v[40:41]
	ds_read2_b64 v[90:93], v76 offset0:20 offset1:21
	s_waitcnt lgkmcnt(0)
	v_fma_f64 v[36:37], -v[62:63], v[82:83], v[36:37]
	v_fma_f64 v[34:35], -v[62:63], v[84:85], v[34:35]
	ds_read2_b64 v[82:85], v76 offset0:22 offset1:23
	v_fma_f64 v[32:33], -v[62:63], v[86:87], v[32:33]
	v_fma_f64 v[30:31], -v[62:63], v[88:89], v[30:31]
	;; [unrolled: 1-line block ×3, first 2 shown]
	ds_read2_b64 v[86:89], v76 offset0:24 offset1:25
	v_fma_f64 v[26:27], -v[62:63], v[92:93], v[26:27]
	ds_read2_b64 v[90:93], v76 offset0:26 offset1:27
	s_waitcnt lgkmcnt(0)
	v_fma_f64 v[24:25], -v[62:63], v[82:83], v[24:25]
	v_fma_f64 v[22:23], -v[62:63], v[84:85], v[22:23]
	;; [unrolled: 1-line block ×4, first 2 shown]
	ds_read2_b64 v[82:85], v76 offset0:28 offset1:29
	ds_read2_b64 v[86:89], v76 offset0:30 offset1:31
	v_fma_f64 v[16:17], -v[62:63], v[90:91], v[16:17]
	v_fma_f64 v[14:15], -v[62:63], v[92:93], v[14:15]
	ds_read2_b64 v[90:93], v76 offset0:32 offset1:33
	s_waitcnt lgkmcnt(0)
	v_fma_f64 v[12:13], -v[62:63], v[82:83], v[12:13]
	v_fma_f64 v[8:9], -v[62:63], v[84:85], v[8:9]
	;; [unrolled: 1-line block ×6, first 2 shown]
.LBB66_63:
	s_or_b64 exec, exec, s[0:1]
	v_lshl_add_u32 v72, v77, 3, v76
	s_barrier
	ds_write_b64 v72, v[60:61]
	s_waitcnt lgkmcnt(0)
	s_barrier
	ds_read_b64 v[72:73], v76 offset:32
	s_cmp_lt_i32 s18, 6
	v_mov_b32_e32 v74, 4
	s_cbranch_scc1 .LBB66_66
; %bb.64:
	v_add3_u32 v82, v81, 0, 40
	s_mov_b32 s0, 5
	v_mov_b32_e32 v74, 4
.LBB66_65:                              ; =>This Inner Loop Header: Depth=1
	ds_read_b64 v[84:85], v82
	v_mov_b32_e32 v83, s0
	s_add_i32 s0, s0, 1
	v_add_u32_e32 v82, 8, v82
	s_cmp_lg_u32 s18, s0
	s_waitcnt lgkmcnt(0)
	v_cmp_lt_f64_e64 vcc, |v[72:73]|, |v[84:85]|
	v_cndmask_b32_e32 v73, v73, v85, vcc
	v_cndmask_b32_e32 v72, v72, v84, vcc
	;; [unrolled: 1-line block ×3, first 2 shown]
	s_cbranch_scc1 .LBB66_65
.LBB66_66:
	s_waitcnt lgkmcnt(0)
	v_cmp_eq_f64_e32 vcc, 0, v[72:73]
	s_and_saveexec_b64 s[0:1], vcc
	s_xor_b64 s[0:1], exec, s[0:1]
; %bb.67:
	v_cmp_ne_u32_e32 vcc, 0, v80
	v_cndmask_b32_e32 v80, 5, v80, vcc
; %bb.68:
	s_andn2_saveexec_b64 s[0:1], s[0:1]
; %bb.69:
	v_div_scale_f64 v[82:83], s[2:3], v[72:73], v[72:73], 1.0
	v_rcp_f64_e32 v[84:85], v[82:83]
	v_div_scale_f64 v[86:87], vcc, 1.0, v[72:73], 1.0
	v_fma_f64 v[88:89], -v[82:83], v[84:85], 1.0
	v_fmac_f64_e32 v[84:85], v[84:85], v[88:89]
	v_fma_f64 v[88:89], -v[82:83], v[84:85], 1.0
	v_fmac_f64_e32 v[84:85], v[84:85], v[88:89]
	v_mul_f64 v[88:89], v[86:87], v[84:85]
	v_fma_f64 v[82:83], -v[82:83], v[88:89], v[86:87]
	v_div_fmas_f64 v[82:83], v[82:83], v[84:85], v[88:89]
	v_div_fixup_f64 v[72:73], v[82:83], v[72:73], 1.0
; %bb.70:
	s_or_b64 exec, exec, s[0:1]
	v_cmp_ne_u32_e32 vcc, v77, v74
	s_and_saveexec_b64 s[0:1], vcc
	s_xor_b64 s[0:1], exec, s[0:1]
	s_cbranch_execz .LBB66_76
; %bb.71:
	v_cmp_eq_u32_e32 vcc, 4, v77
	s_and_saveexec_b64 s[2:3], vcc
	s_cbranch_execz .LBB66_75
; %bb.72:
	v_cmp_ne_u32_e32 vcc, 4, v74
	s_xor_b64 s[14:15], s[6:7], -1
	s_and_b64 s[16:17], s[14:15], vcc
	s_and_saveexec_b64 s[14:15], s[16:17]
	s_cbranch_execz .LBB66_74
; %bb.73:
	v_ashrrev_i32_e32 v75, 31, v74
	v_lshlrev_b64 v[82:83], 2, v[74:75]
	v_add_co_u32_e32 v82, vcc, v4, v82
	v_addc_co_u32_e32 v83, vcc, v5, v83, vcc
	flat_load_dword v75, v[82:83]
	flat_load_dword v77, v[4:5] offset:16
	s_waitcnt vmcnt(0) lgkmcnt(0)
	flat_store_dword v[4:5], v75 offset:16
	flat_store_dword v[82:83], v77
.LBB66_74:
	s_or_b64 exec, exec, s[14:15]
	v_mov_b32_e32 v75, v74
	v_mov_b32_e32 v77, v74
.LBB66_75:
	s_or_b64 exec, exec, s[2:3]
.LBB66_76:
	s_andn2_saveexec_b64 s[0:1], s[0:1]
	s_cbranch_execz .LBB66_78
; %bb.77:
	v_mov_b32_e32 v77, 4
	ds_write2_b64 v76, v[58:59], v[56:57] offset0:5 offset1:6
	ds_write2_b64 v76, v[54:55], v[52:53] offset0:7 offset1:8
	;; [unrolled: 1-line block ×14, first 2 shown]
	ds_write_b64 v76, v[70:71] offset:264
.LBB66_78:
	s_or_b64 exec, exec, s[0:1]
	v_cmp_lt_i32_e32 vcc, 4, v77
	s_waitcnt lgkmcnt(0)
	s_barrier
	s_and_saveexec_b64 s[0:1], vcc
	s_cbranch_execz .LBB66_80
; %bb.79:
	ds_read2_b64 v[82:85], v76 offset0:5 offset1:6
	ds_read2_b64 v[86:89], v76 offset0:7 offset1:8
	v_mul_f64 v[60:61], v[72:73], v[60:61]
	ds_read2_b64 v[90:93], v76 offset0:9 offset1:10
	ds_read_b64 v[72:73], v76 offset:264
	s_waitcnt lgkmcnt(0)
	v_fma_f64 v[58:59], -v[60:61], v[82:83], v[58:59]
	v_fma_f64 v[56:57], -v[60:61], v[84:85], v[56:57]
	ds_read2_b64 v[82:85], v76 offset0:11 offset1:12
	v_fma_f64 v[54:55], -v[60:61], v[86:87], v[54:55]
	v_fma_f64 v[52:53], -v[60:61], v[88:89], v[52:53]
	ds_read2_b64 v[86:89], v76 offset0:13 offset1:14
	;; [unrolled: 3-line block ×3, first 2 shown]
	s_waitcnt lgkmcnt(0)
	v_fma_f64 v[46:47], -v[60:61], v[82:83], v[46:47]
	v_fma_f64 v[44:45], -v[60:61], v[84:85], v[44:45]
	v_fma_f64 v[42:43], -v[60:61], v[86:87], v[42:43]
	ds_read2_b64 v[82:85], v76 offset0:17 offset1:18
	v_fma_f64 v[38:39], -v[60:61], v[88:89], v[38:39]
	ds_read2_b64 v[86:89], v76 offset0:19 offset1:20
	v_fma_f64 v[40:41], -v[60:61], v[90:91], v[40:41]
	v_fma_f64 v[36:37], -v[60:61], v[92:93], v[36:37]
	s_waitcnt lgkmcnt(0)
	v_fma_f64 v[34:35], -v[60:61], v[82:83], v[34:35]
	ds_read2_b64 v[90:93], v76 offset0:21 offset1:22
	v_fma_f64 v[32:33], -v[60:61], v[84:85], v[32:33]
	ds_read2_b64 v[82:85], v76 offset0:23 offset1:24
	v_fma_f64 v[30:31], -v[60:61], v[86:87], v[30:31]
	v_fma_f64 v[28:29], -v[60:61], v[88:89], v[28:29]
	ds_read2_b64 v[86:89], v76 offset0:25 offset1:26
	s_waitcnt lgkmcnt(0)
	v_fma_f64 v[26:27], -v[60:61], v[90:91], v[26:27]
	v_fma_f64 v[24:25], -v[60:61], v[92:93], v[24:25]
	ds_read2_b64 v[90:93], v76 offset0:27 offset1:28
	v_fma_f64 v[22:23], -v[60:61], v[82:83], v[22:23]
	v_fma_f64 v[20:21], -v[60:61], v[84:85], v[20:21]
	;; [unrolled: 1-line block ×4, first 2 shown]
	ds_read2_b64 v[82:85], v76 offset0:29 offset1:30
	ds_read2_b64 v[86:89], v76 offset0:31 offset1:32
	s_waitcnt lgkmcnt(0)
	v_fma_f64 v[14:15], -v[60:61], v[90:91], v[14:15]
	v_fma_f64 v[12:13], -v[60:61], v[92:93], v[12:13]
	v_fma_f64 v[70:71], -v[60:61], v[72:73], v[70:71]
	v_fma_f64 v[8:9], -v[60:61], v[82:83], v[8:9]
	v_fma_f64 v[10:11], -v[60:61], v[84:85], v[10:11]
	v_fma_f64 v[6:7], -v[60:61], v[86:87], v[6:7]
	v_fma_f64 v[0:1], -v[60:61], v[88:89], v[0:1]
.LBB66_80:
	s_or_b64 exec, exec, s[0:1]
	v_lshl_add_u32 v72, v77, 3, v76
	s_barrier
	ds_write_b64 v72, v[58:59]
	s_waitcnt lgkmcnt(0)
	s_barrier
	ds_read_b64 v[72:73], v76 offset:40
	s_cmp_lt_i32 s18, 7
	v_mov_b32_e32 v74, 5
	s_cbranch_scc1 .LBB66_83
; %bb.81:
	v_add3_u32 v82, v81, 0, 48
	s_mov_b32 s0, 6
	v_mov_b32_e32 v74, 5
.LBB66_82:                              ; =>This Inner Loop Header: Depth=1
	ds_read_b64 v[84:85], v82
	v_mov_b32_e32 v83, s0
	s_add_i32 s0, s0, 1
	v_add_u32_e32 v82, 8, v82
	s_cmp_lg_u32 s18, s0
	s_waitcnt lgkmcnt(0)
	v_cmp_lt_f64_e64 vcc, |v[72:73]|, |v[84:85]|
	v_cndmask_b32_e32 v73, v73, v85, vcc
	v_cndmask_b32_e32 v72, v72, v84, vcc
	;; [unrolled: 1-line block ×3, first 2 shown]
	s_cbranch_scc1 .LBB66_82
.LBB66_83:
	s_waitcnt lgkmcnt(0)
	v_cmp_eq_f64_e32 vcc, 0, v[72:73]
	s_and_saveexec_b64 s[0:1], vcc
	s_xor_b64 s[0:1], exec, s[0:1]
; %bb.84:
	v_cmp_ne_u32_e32 vcc, 0, v80
	v_cndmask_b32_e32 v80, 6, v80, vcc
; %bb.85:
	s_andn2_saveexec_b64 s[0:1], s[0:1]
; %bb.86:
	v_div_scale_f64 v[82:83], s[2:3], v[72:73], v[72:73], 1.0
	v_rcp_f64_e32 v[84:85], v[82:83]
	v_div_scale_f64 v[86:87], vcc, 1.0, v[72:73], 1.0
	v_fma_f64 v[88:89], -v[82:83], v[84:85], 1.0
	v_fmac_f64_e32 v[84:85], v[84:85], v[88:89]
	v_fma_f64 v[88:89], -v[82:83], v[84:85], 1.0
	v_fmac_f64_e32 v[84:85], v[84:85], v[88:89]
	v_mul_f64 v[88:89], v[86:87], v[84:85]
	v_fma_f64 v[82:83], -v[82:83], v[88:89], v[86:87]
	v_div_fmas_f64 v[82:83], v[82:83], v[84:85], v[88:89]
	v_div_fixup_f64 v[72:73], v[82:83], v[72:73], 1.0
; %bb.87:
	s_or_b64 exec, exec, s[0:1]
	v_cmp_ne_u32_e32 vcc, v77, v74
	s_and_saveexec_b64 s[0:1], vcc
	s_xor_b64 s[0:1], exec, s[0:1]
	s_cbranch_execz .LBB66_93
; %bb.88:
	v_cmp_eq_u32_e32 vcc, 5, v77
	s_and_saveexec_b64 s[2:3], vcc
	s_cbranch_execz .LBB66_92
; %bb.89:
	v_cmp_ne_u32_e32 vcc, 5, v74
	s_xor_b64 s[14:15], s[6:7], -1
	s_and_b64 s[16:17], s[14:15], vcc
	s_and_saveexec_b64 s[14:15], s[16:17]
	s_cbranch_execz .LBB66_91
; %bb.90:
	v_ashrrev_i32_e32 v75, 31, v74
	v_lshlrev_b64 v[82:83], 2, v[74:75]
	v_add_co_u32_e32 v82, vcc, v4, v82
	v_addc_co_u32_e32 v83, vcc, v5, v83, vcc
	flat_load_dword v75, v[82:83]
	flat_load_dword v77, v[4:5] offset:20
	s_waitcnt vmcnt(0) lgkmcnt(0)
	flat_store_dword v[4:5], v75 offset:20
	flat_store_dword v[82:83], v77
.LBB66_91:
	s_or_b64 exec, exec, s[14:15]
	v_mov_b32_e32 v75, v74
	v_mov_b32_e32 v77, v74
.LBB66_92:
	s_or_b64 exec, exec, s[2:3]
.LBB66_93:
	s_andn2_saveexec_b64 s[0:1], s[0:1]
	s_cbranch_execz .LBB66_95
; %bb.94:
	v_mov_b32_e32 v82, v56
	v_mov_b32_e32 v83, v57
	v_mov_b32_e32 v84, v54
	v_mov_b32_e32 v85, v55
	ds_write2_b64 v76, v[82:83], v[84:85] offset0:6 offset1:7
	v_mov_b32_e32 v82, v52
	v_mov_b32_e32 v83, v53
	v_mov_b32_e32 v84, v50
	v_mov_b32_e32 v85, v51
	ds_write2_b64 v76, v[82:83], v[84:85] offset0:8 offset1:9
	;; [unrolled: 5-line block ×13, first 2 shown]
	v_mov_b32_e32 v82, v0
	v_mov_b32_e32 v83, v1
	;; [unrolled: 1-line block ×3, first 2 shown]
	ds_write2_b64 v76, v[82:83], v[70:71] offset0:32 offset1:33
.LBB66_95:
	s_or_b64 exec, exec, s[0:1]
	v_cmp_lt_i32_e32 vcc, 5, v77
	s_waitcnt lgkmcnt(0)
	s_barrier
	s_and_saveexec_b64 s[0:1], vcc
	s_cbranch_execz .LBB66_97
; %bb.96:
	ds_read2_b64 v[82:85], v76 offset0:6 offset1:7
	ds_read2_b64 v[86:89], v76 offset0:8 offset1:9
	v_mul_f64 v[58:59], v[72:73], v[58:59]
	ds_read2_b64 v[90:93], v76 offset0:10 offset1:11
	s_waitcnt lgkmcnt(0)
	v_fma_f64 v[56:57], -v[58:59], v[82:83], v[56:57]
	v_fma_f64 v[54:55], -v[58:59], v[84:85], v[54:55]
	ds_read2_b64 v[82:85], v76 offset0:12 offset1:13
	v_fma_f64 v[52:53], -v[58:59], v[86:87], v[52:53]
	v_fma_f64 v[50:51], -v[58:59], v[88:89], v[50:51]
	ds_read2_b64 v[86:89], v76 offset0:14 offset1:15
	;; [unrolled: 3-line block ×3, first 2 shown]
	s_waitcnt lgkmcnt(0)
	v_fma_f64 v[44:45], -v[58:59], v[82:83], v[44:45]
	v_fma_f64 v[42:43], -v[58:59], v[84:85], v[42:43]
	;; [unrolled: 1-line block ×3, first 2 shown]
	ds_read2_b64 v[82:85], v76 offset0:18 offset1:19
	v_fma_f64 v[40:41], -v[58:59], v[88:89], v[40:41]
	ds_read2_b64 v[86:89], v76 offset0:20 offset1:21
	v_fma_f64 v[36:37], -v[58:59], v[90:91], v[36:37]
	v_fma_f64 v[34:35], -v[58:59], v[92:93], v[34:35]
	s_waitcnt lgkmcnt(0)
	v_fma_f64 v[32:33], -v[58:59], v[82:83], v[32:33]
	ds_read2_b64 v[90:93], v76 offset0:22 offset1:23
	v_fma_f64 v[30:31], -v[58:59], v[84:85], v[30:31]
	ds_read2_b64 v[82:85], v76 offset0:24 offset1:25
	v_fma_f64 v[28:29], -v[58:59], v[86:87], v[28:29]
	v_fma_f64 v[26:27], -v[58:59], v[88:89], v[26:27]
	ds_read2_b64 v[86:89], v76 offset0:26 offset1:27
	s_waitcnt lgkmcnt(0)
	v_fma_f64 v[24:25], -v[58:59], v[90:91], v[24:25]
	v_fma_f64 v[22:23], -v[58:59], v[92:93], v[22:23]
	;; [unrolled: 1-line block ×4, first 2 shown]
	ds_read2_b64 v[82:85], v76 offset0:28 offset1:29
	v_fma_f64 v[16:17], -v[58:59], v[86:87], v[16:17]
	ds_read2_b64 v[90:93], v76 offset0:30 offset1:31
	v_fma_f64 v[14:15], -v[58:59], v[88:89], v[14:15]
	ds_read2_b64 v[86:89], v76 offset0:32 offset1:33
	s_waitcnt lgkmcnt(0)
	v_fma_f64 v[12:13], -v[58:59], v[82:83], v[12:13]
	v_fma_f64 v[8:9], -v[58:59], v[84:85], v[8:9]
	;; [unrolled: 1-line block ×6, first 2 shown]
.LBB66_97:
	s_or_b64 exec, exec, s[0:1]
	v_lshl_add_u32 v72, v77, 3, v76
	s_barrier
	ds_write_b64 v72, v[56:57]
	s_waitcnt lgkmcnt(0)
	s_barrier
	ds_read_b64 v[72:73], v76 offset:48
	s_cmp_lt_i32 s18, 8
	v_mov_b32_e32 v74, 6
	s_cbranch_scc1 .LBB66_100
; %bb.98:
	v_add3_u32 v82, v81, 0, 56
	s_mov_b32 s0, 7
	v_mov_b32_e32 v74, 6
.LBB66_99:                              ; =>This Inner Loop Header: Depth=1
	ds_read_b64 v[84:85], v82
	v_mov_b32_e32 v83, s0
	s_add_i32 s0, s0, 1
	v_add_u32_e32 v82, 8, v82
	s_cmp_lg_u32 s18, s0
	s_waitcnt lgkmcnt(0)
	v_cmp_lt_f64_e64 vcc, |v[72:73]|, |v[84:85]|
	v_cndmask_b32_e32 v73, v73, v85, vcc
	v_cndmask_b32_e32 v72, v72, v84, vcc
	;; [unrolled: 1-line block ×3, first 2 shown]
	s_cbranch_scc1 .LBB66_99
.LBB66_100:
	s_waitcnt lgkmcnt(0)
	v_cmp_eq_f64_e32 vcc, 0, v[72:73]
	s_and_saveexec_b64 s[0:1], vcc
	s_xor_b64 s[0:1], exec, s[0:1]
; %bb.101:
	v_cmp_ne_u32_e32 vcc, 0, v80
	v_cndmask_b32_e32 v80, 7, v80, vcc
; %bb.102:
	s_andn2_saveexec_b64 s[0:1], s[0:1]
; %bb.103:
	v_div_scale_f64 v[82:83], s[2:3], v[72:73], v[72:73], 1.0
	v_rcp_f64_e32 v[84:85], v[82:83]
	v_div_scale_f64 v[86:87], vcc, 1.0, v[72:73], 1.0
	v_fma_f64 v[88:89], -v[82:83], v[84:85], 1.0
	v_fmac_f64_e32 v[84:85], v[84:85], v[88:89]
	v_fma_f64 v[88:89], -v[82:83], v[84:85], 1.0
	v_fmac_f64_e32 v[84:85], v[84:85], v[88:89]
	v_mul_f64 v[88:89], v[86:87], v[84:85]
	v_fma_f64 v[82:83], -v[82:83], v[88:89], v[86:87]
	v_div_fmas_f64 v[82:83], v[82:83], v[84:85], v[88:89]
	v_div_fixup_f64 v[72:73], v[82:83], v[72:73], 1.0
; %bb.104:
	s_or_b64 exec, exec, s[0:1]
	v_cmp_ne_u32_e32 vcc, v77, v74
	s_and_saveexec_b64 s[0:1], vcc
	s_xor_b64 s[0:1], exec, s[0:1]
	s_cbranch_execz .LBB66_110
; %bb.105:
	v_cmp_eq_u32_e32 vcc, 6, v77
	s_and_saveexec_b64 s[2:3], vcc
	s_cbranch_execz .LBB66_109
; %bb.106:
	v_cmp_ne_u32_e32 vcc, 6, v74
	s_xor_b64 s[14:15], s[6:7], -1
	s_and_b64 s[16:17], s[14:15], vcc
	s_and_saveexec_b64 s[14:15], s[16:17]
	s_cbranch_execz .LBB66_108
; %bb.107:
	v_ashrrev_i32_e32 v75, 31, v74
	v_lshlrev_b64 v[82:83], 2, v[74:75]
	v_add_co_u32_e32 v82, vcc, v4, v82
	v_addc_co_u32_e32 v83, vcc, v5, v83, vcc
	flat_load_dword v75, v[82:83]
	flat_load_dword v77, v[4:5] offset:24
	s_waitcnt vmcnt(0) lgkmcnt(0)
	flat_store_dword v[4:5], v75 offset:24
	flat_store_dword v[82:83], v77
.LBB66_108:
	s_or_b64 exec, exec, s[14:15]
	v_mov_b32_e32 v75, v74
	v_mov_b32_e32 v77, v74
.LBB66_109:
	s_or_b64 exec, exec, s[2:3]
.LBB66_110:
	s_andn2_saveexec_b64 s[0:1], s[0:1]
	s_cbranch_execz .LBB66_112
; %bb.111:
	v_mov_b32_e32 v77, 6
	ds_write2_b64 v76, v[54:55], v[52:53] offset0:7 offset1:8
	ds_write2_b64 v76, v[50:51], v[48:49] offset0:9 offset1:10
	ds_write2_b64 v76, v[46:47], v[44:45] offset0:11 offset1:12
	ds_write2_b64 v76, v[42:43], v[38:39] offset0:13 offset1:14
	ds_write2_b64 v76, v[40:41], v[36:37] offset0:15 offset1:16
	ds_write2_b64 v76, v[34:35], v[32:33] offset0:17 offset1:18
	ds_write2_b64 v76, v[30:31], v[28:29] offset0:19 offset1:20
	ds_write2_b64 v76, v[26:27], v[24:25] offset0:21 offset1:22
	ds_write2_b64 v76, v[22:23], v[20:21] offset0:23 offset1:24
	ds_write2_b64 v76, v[18:19], v[16:17] offset0:25 offset1:26
	ds_write2_b64 v76, v[14:15], v[12:13] offset0:27 offset1:28
	ds_write2_b64 v76, v[8:9], v[10:11] offset0:29 offset1:30
	ds_write2_b64 v76, v[6:7], v[0:1] offset0:31 offset1:32
	ds_write_b64 v76, v[70:71] offset:264
.LBB66_112:
	s_or_b64 exec, exec, s[0:1]
	v_cmp_lt_i32_e32 vcc, 6, v77
	s_waitcnt lgkmcnt(0)
	s_barrier
	s_and_saveexec_b64 s[0:1], vcc
	s_cbranch_execz .LBB66_114
; %bb.113:
	ds_read2_b64 v[82:85], v76 offset0:7 offset1:8
	ds_read2_b64 v[86:89], v76 offset0:9 offset1:10
	v_mul_f64 v[56:57], v[72:73], v[56:57]
	ds_read2_b64 v[90:93], v76 offset0:11 offset1:12
	ds_read_b64 v[72:73], v76 offset:264
	s_waitcnt lgkmcnt(0)
	v_fma_f64 v[54:55], -v[56:57], v[82:83], v[54:55]
	v_fma_f64 v[52:53], -v[56:57], v[84:85], v[52:53]
	ds_read2_b64 v[82:85], v76 offset0:13 offset1:14
	v_fma_f64 v[50:51], -v[56:57], v[86:87], v[50:51]
	v_fma_f64 v[48:49], -v[56:57], v[88:89], v[48:49]
	;; [unrolled: 1-line block ×3, first 2 shown]
	ds_read2_b64 v[86:89], v76 offset0:15 offset1:16
	v_fma_f64 v[44:45], -v[56:57], v[92:93], v[44:45]
	ds_read2_b64 v[90:93], v76 offset0:17 offset1:18
	s_waitcnt lgkmcnt(0)
	v_fma_f64 v[42:43], -v[56:57], v[82:83], v[42:43]
	v_fma_f64 v[38:39], -v[56:57], v[84:85], v[38:39]
	ds_read2_b64 v[82:85], v76 offset0:19 offset1:20
	v_fma_f64 v[40:41], -v[56:57], v[86:87], v[40:41]
	v_fma_f64 v[36:37], -v[56:57], v[88:89], v[36:37]
	ds_read2_b64 v[86:89], v76 offset0:21 offset1:22
	v_fma_f64 v[34:35], -v[56:57], v[90:91], v[34:35]
	v_fma_f64 v[32:33], -v[56:57], v[92:93], v[32:33]
	s_waitcnt lgkmcnt(0)
	v_fma_f64 v[30:31], -v[56:57], v[82:83], v[30:31]
	ds_read2_b64 v[90:93], v76 offset0:23 offset1:24
	v_fma_f64 v[28:29], -v[56:57], v[84:85], v[28:29]
	ds_read2_b64 v[82:85], v76 offset0:25 offset1:26
	v_fma_f64 v[26:27], -v[56:57], v[86:87], v[26:27]
	v_fma_f64 v[24:25], -v[56:57], v[88:89], v[24:25]
	s_waitcnt lgkmcnt(0)
	v_fma_f64 v[22:23], -v[56:57], v[90:91], v[22:23]
	ds_read2_b64 v[86:89], v76 offset0:27 offset1:28
	v_fma_f64 v[20:21], -v[56:57], v[92:93], v[20:21]
	v_fma_f64 v[18:19], -v[56:57], v[82:83], v[18:19]
	;; [unrolled: 1-line block ×3, first 2 shown]
	ds_read2_b64 v[82:85], v76 offset0:29 offset1:30
	ds_read2_b64 v[90:93], v76 offset0:31 offset1:32
	s_waitcnt lgkmcnt(0)
	v_fma_f64 v[14:15], -v[56:57], v[86:87], v[14:15]
	v_fma_f64 v[12:13], -v[56:57], v[88:89], v[12:13]
	;; [unrolled: 1-line block ×7, first 2 shown]
.LBB66_114:
	s_or_b64 exec, exec, s[0:1]
	v_lshl_add_u32 v72, v77, 3, v76
	s_barrier
	ds_write_b64 v72, v[54:55]
	s_waitcnt lgkmcnt(0)
	s_barrier
	ds_read_b64 v[72:73], v76 offset:56
	s_cmp_lt_i32 s18, 9
	v_mov_b32_e32 v74, 7
	s_cbranch_scc1 .LBB66_117
; %bb.115:
	v_add3_u32 v81, v81, 0, 64
	s_mov_b32 s0, 8
	v_mov_b32_e32 v74, 7
.LBB66_116:                             ; =>This Inner Loop Header: Depth=1
	ds_read_b64 v[82:83], v81
	v_mov_b32_e32 v84, s0
	s_add_i32 s0, s0, 1
	v_add_u32_e32 v81, 8, v81
	s_cmp_lg_u32 s18, s0
	s_waitcnt lgkmcnt(0)
	v_cmp_lt_f64_e64 vcc, |v[72:73]|, |v[82:83]|
	v_cndmask_b32_e32 v73, v73, v83, vcc
	v_cndmask_b32_e32 v72, v72, v82, vcc
	;; [unrolled: 1-line block ×3, first 2 shown]
	s_cbranch_scc1 .LBB66_116
.LBB66_117:
	s_waitcnt lgkmcnt(0)
	v_cmp_eq_f64_e32 vcc, 0, v[72:73]
	s_and_saveexec_b64 s[0:1], vcc
	s_xor_b64 s[0:1], exec, s[0:1]
; %bb.118:
	v_cmp_ne_u32_e32 vcc, 0, v80
	v_cndmask_b32_e32 v80, 8, v80, vcc
; %bb.119:
	s_andn2_saveexec_b64 s[0:1], s[0:1]
; %bb.120:
	v_div_scale_f64 v[82:83], s[2:3], v[72:73], v[72:73], 1.0
	v_rcp_f64_e32 v[84:85], v[82:83]
	v_div_scale_f64 v[86:87], vcc, 1.0, v[72:73], 1.0
	v_fma_f64 v[88:89], -v[82:83], v[84:85], 1.0
	v_fmac_f64_e32 v[84:85], v[84:85], v[88:89]
	v_fma_f64 v[88:89], -v[82:83], v[84:85], 1.0
	v_fmac_f64_e32 v[84:85], v[84:85], v[88:89]
	v_mul_f64 v[88:89], v[86:87], v[84:85]
	v_fma_f64 v[82:83], -v[82:83], v[88:89], v[86:87]
	v_div_fmas_f64 v[82:83], v[82:83], v[84:85], v[88:89]
	v_div_fixup_f64 v[72:73], v[82:83], v[72:73], 1.0
; %bb.121:
	s_or_b64 exec, exec, s[0:1]
	v_cmp_ne_u32_e32 vcc, v77, v74
	s_and_saveexec_b64 s[0:1], vcc
	s_xor_b64 s[0:1], exec, s[0:1]
	s_cbranch_execz .LBB66_127
; %bb.122:
	v_cmp_eq_u32_e32 vcc, 7, v77
	s_and_saveexec_b64 s[2:3], vcc
	s_cbranch_execz .LBB66_126
; %bb.123:
	v_cmp_ne_u32_e32 vcc, 7, v74
	s_xor_b64 s[14:15], s[6:7], -1
	s_and_b64 s[16:17], s[14:15], vcc
	s_and_saveexec_b64 s[14:15], s[16:17]
	s_cbranch_execz .LBB66_125
; %bb.124:
	v_ashrrev_i32_e32 v75, 31, v74
	v_lshlrev_b64 v[82:83], 2, v[74:75]
	v_add_co_u32_e32 v82, vcc, v4, v82
	v_addc_co_u32_e32 v83, vcc, v5, v83, vcc
	flat_load_dword v75, v[82:83]
	flat_load_dword v77, v[4:5] offset:28
	s_waitcnt vmcnt(0) lgkmcnt(0)
	flat_store_dword v[4:5], v75 offset:28
	flat_store_dword v[82:83], v77
.LBB66_125:
	s_or_b64 exec, exec, s[14:15]
	v_mov_b32_e32 v75, v74
	v_mov_b32_e32 v77, v74
.LBB66_126:
	s_or_b64 exec, exec, s[2:3]
.LBB66_127:
	s_andn2_saveexec_b64 s[0:1], s[0:1]
	s_cbranch_execz .LBB66_129
; %bb.128:
	v_mov_b32_e32 v82, v52
	v_mov_b32_e32 v83, v53
	v_mov_b32_e32 v84, v50
	v_mov_b32_e32 v85, v51
	ds_write2_b64 v76, v[82:83], v[84:85] offset0:8 offset1:9
	v_mov_b32_e32 v82, v48
	v_mov_b32_e32 v83, v49
	v_mov_b32_e32 v84, v46
	v_mov_b32_e32 v85, v47
	ds_write2_b64 v76, v[82:83], v[84:85] offset0:10 offset1:11
	;; [unrolled: 5-line block ×12, first 2 shown]
	v_mov_b32_e32 v82, v0
	v_mov_b32_e32 v83, v1
	;; [unrolled: 1-line block ×3, first 2 shown]
	ds_write2_b64 v76, v[82:83], v[70:71] offset0:32 offset1:33
.LBB66_129:
	s_or_b64 exec, exec, s[0:1]
	v_cmp_lt_i32_e32 vcc, 7, v77
	s_waitcnt lgkmcnt(0)
	s_barrier
	s_and_saveexec_b64 s[0:1], vcc
	s_cbranch_execz .LBB66_131
; %bb.130:
	ds_read2_b64 v[82:85], v76 offset0:8 offset1:9
	ds_read2_b64 v[86:89], v76 offset0:10 offset1:11
	v_mul_f64 v[54:55], v[72:73], v[54:55]
	ds_read2_b64 v[90:93], v76 offset0:12 offset1:13
	s_waitcnt lgkmcnt(0)
	v_fma_f64 v[52:53], -v[54:55], v[82:83], v[52:53]
	v_fma_f64 v[50:51], -v[54:55], v[84:85], v[50:51]
	ds_read2_b64 v[82:85], v76 offset0:14 offset1:15
	v_fma_f64 v[48:49], -v[54:55], v[86:87], v[48:49]
	v_fma_f64 v[46:47], -v[54:55], v[88:89], v[46:47]
	;; [unrolled: 1-line block ×3, first 2 shown]
	ds_read2_b64 v[86:89], v76 offset0:16 offset1:17
	v_fma_f64 v[42:43], -v[54:55], v[92:93], v[42:43]
	ds_read2_b64 v[90:93], v76 offset0:18 offset1:19
	s_waitcnt lgkmcnt(0)
	v_fma_f64 v[38:39], -v[54:55], v[82:83], v[38:39]
	v_fma_f64 v[40:41], -v[54:55], v[84:85], v[40:41]
	ds_read2_b64 v[82:85], v76 offset0:20 offset1:21
	v_fma_f64 v[36:37], -v[54:55], v[86:87], v[36:37]
	v_fma_f64 v[34:35], -v[54:55], v[88:89], v[34:35]
	ds_read2_b64 v[86:89], v76 offset0:22 offset1:23
	v_fma_f64 v[32:33], -v[54:55], v[90:91], v[32:33]
	v_fma_f64 v[30:31], -v[54:55], v[92:93], v[30:31]
	s_waitcnt lgkmcnt(0)
	v_fma_f64 v[28:29], -v[54:55], v[82:83], v[28:29]
	ds_read2_b64 v[90:93], v76 offset0:24 offset1:25
	v_fma_f64 v[26:27], -v[54:55], v[84:85], v[26:27]
	ds_read2_b64 v[82:85], v76 offset0:26 offset1:27
	v_fma_f64 v[24:25], -v[54:55], v[86:87], v[24:25]
	v_fma_f64 v[22:23], -v[54:55], v[88:89], v[22:23]
	s_waitcnt lgkmcnt(0)
	v_fma_f64 v[20:21], -v[54:55], v[90:91], v[20:21]
	v_fma_f64 v[18:19], -v[54:55], v[92:93], v[18:19]
	ds_read2_b64 v[86:89], v76 offset0:28 offset1:29
	ds_read2_b64 v[90:93], v76 offset0:30 offset1:31
	v_fma_f64 v[16:17], -v[54:55], v[82:83], v[16:17]
	v_fma_f64 v[14:15], -v[54:55], v[84:85], v[14:15]
	ds_read2_b64 v[82:85], v76 offset0:32 offset1:33
	s_waitcnt lgkmcnt(0)
	v_fma_f64 v[12:13], -v[54:55], v[86:87], v[12:13]
	v_fma_f64 v[8:9], -v[54:55], v[88:89], v[8:9]
	;; [unrolled: 1-line block ×6, first 2 shown]
.LBB66_131:
	s_or_b64 exec, exec, s[0:1]
	v_lshl_add_u32 v72, v77, 3, v76
	s_barrier
	ds_write_b64 v72, v[52:53]
	s_waitcnt lgkmcnt(0)
	s_barrier
	ds_read_b64 v[72:73], v76 offset:64
	s_cmp_lt_i32 s18, 10
	v_mov_b32_e32 v74, 8
	s_cbranch_scc1 .LBB66_134
; %bb.132:
	v_add_u32_e32 v81, 0x48, v76
	s_mov_b32 s0, 9
	v_mov_b32_e32 v74, 8
.LBB66_133:                             ; =>This Inner Loop Header: Depth=1
	ds_read_b64 v[82:83], v81
	v_mov_b32_e32 v84, s0
	s_add_i32 s0, s0, 1
	v_add_u32_e32 v81, 8, v81
	s_cmp_lg_u32 s18, s0
	s_waitcnt lgkmcnt(0)
	v_cmp_lt_f64_e64 vcc, |v[72:73]|, |v[82:83]|
	v_cndmask_b32_e32 v73, v73, v83, vcc
	v_cndmask_b32_e32 v72, v72, v82, vcc
	;; [unrolled: 1-line block ×3, first 2 shown]
	s_cbranch_scc1 .LBB66_133
.LBB66_134:
	s_waitcnt lgkmcnt(0)
	v_cmp_eq_f64_e32 vcc, 0, v[72:73]
	s_and_saveexec_b64 s[0:1], vcc
	s_xor_b64 s[0:1], exec, s[0:1]
; %bb.135:
	v_cmp_ne_u32_e32 vcc, 0, v80
	v_cndmask_b32_e32 v80, 9, v80, vcc
; %bb.136:
	s_andn2_saveexec_b64 s[0:1], s[0:1]
; %bb.137:
	v_div_scale_f64 v[82:83], s[2:3], v[72:73], v[72:73], 1.0
	v_rcp_f64_e32 v[84:85], v[82:83]
	v_div_scale_f64 v[86:87], vcc, 1.0, v[72:73], 1.0
	v_fma_f64 v[88:89], -v[82:83], v[84:85], 1.0
	v_fmac_f64_e32 v[84:85], v[84:85], v[88:89]
	v_fma_f64 v[88:89], -v[82:83], v[84:85], 1.0
	v_fmac_f64_e32 v[84:85], v[84:85], v[88:89]
	v_mul_f64 v[88:89], v[86:87], v[84:85]
	v_fma_f64 v[82:83], -v[82:83], v[88:89], v[86:87]
	v_div_fmas_f64 v[82:83], v[82:83], v[84:85], v[88:89]
	v_div_fixup_f64 v[72:73], v[82:83], v[72:73], 1.0
; %bb.138:
	s_or_b64 exec, exec, s[0:1]
	v_cmp_ne_u32_e32 vcc, v77, v74
	s_and_saveexec_b64 s[0:1], vcc
	s_xor_b64 s[0:1], exec, s[0:1]
	s_cbranch_execz .LBB66_144
; %bb.139:
	v_cmp_eq_u32_e32 vcc, 8, v77
	s_and_saveexec_b64 s[2:3], vcc
	s_cbranch_execz .LBB66_143
; %bb.140:
	v_cmp_ne_u32_e32 vcc, 8, v74
	s_xor_b64 s[14:15], s[6:7], -1
	s_and_b64 s[16:17], s[14:15], vcc
	s_and_saveexec_b64 s[14:15], s[16:17]
	s_cbranch_execz .LBB66_142
; %bb.141:
	v_ashrrev_i32_e32 v75, 31, v74
	v_lshlrev_b64 v[82:83], 2, v[74:75]
	v_add_co_u32_e32 v82, vcc, v4, v82
	v_addc_co_u32_e32 v83, vcc, v5, v83, vcc
	flat_load_dword v75, v[82:83]
	flat_load_dword v77, v[4:5] offset:32
	s_waitcnt vmcnt(0) lgkmcnt(0)
	flat_store_dword v[4:5], v75 offset:32
	flat_store_dword v[82:83], v77
.LBB66_142:
	s_or_b64 exec, exec, s[14:15]
	v_mov_b32_e32 v75, v74
	v_mov_b32_e32 v77, v74
.LBB66_143:
	s_or_b64 exec, exec, s[2:3]
.LBB66_144:
	s_andn2_saveexec_b64 s[0:1], s[0:1]
	s_cbranch_execz .LBB66_146
; %bb.145:
	v_mov_b32_e32 v77, 8
	ds_write2_b64 v76, v[50:51], v[48:49] offset0:9 offset1:10
	ds_write2_b64 v76, v[46:47], v[44:45] offset0:11 offset1:12
	;; [unrolled: 1-line block ×12, first 2 shown]
	ds_write_b64 v76, v[70:71] offset:264
.LBB66_146:
	s_or_b64 exec, exec, s[0:1]
	v_cmp_lt_i32_e32 vcc, 8, v77
	s_waitcnt lgkmcnt(0)
	s_barrier
	s_and_saveexec_b64 s[0:1], vcc
	s_cbranch_execz .LBB66_148
; %bb.147:
	ds_read2_b64 v[82:85], v76 offset0:9 offset1:10
	ds_read2_b64 v[86:89], v76 offset0:11 offset1:12
	;; [unrolled: 1-line block ×3, first 2 shown]
	v_mul_f64 v[52:53], v[72:73], v[52:53]
	ds_read_b64 v[72:73], v76 offset:264
	s_waitcnt lgkmcnt(0)
	v_fma_f64 v[50:51], -v[52:53], v[82:83], v[50:51]
	v_fma_f64 v[48:49], -v[52:53], v[84:85], v[48:49]
	ds_read2_b64 v[82:85], v76 offset0:15 offset1:16
	v_fma_f64 v[46:47], -v[52:53], v[86:87], v[46:47]
	v_fma_f64 v[44:45], -v[52:53], v[88:89], v[44:45]
	;; [unrolled: 1-line block ×3, first 2 shown]
	ds_read2_b64 v[86:89], v76 offset0:17 offset1:18
	v_fma_f64 v[38:39], -v[52:53], v[92:93], v[38:39]
	ds_read2_b64 v[90:93], v76 offset0:19 offset1:20
	s_waitcnt lgkmcnt(0)
	v_fma_f64 v[40:41], -v[52:53], v[82:83], v[40:41]
	v_fma_f64 v[36:37], -v[52:53], v[84:85], v[36:37]
	;; [unrolled: 1-line block ×3, first 2 shown]
	ds_read2_b64 v[82:85], v76 offset0:21 offset1:22
	v_fma_f64 v[32:33], -v[52:53], v[88:89], v[32:33]
	ds_read2_b64 v[86:89], v76 offset0:23 offset1:24
	v_fma_f64 v[30:31], -v[52:53], v[90:91], v[30:31]
	v_fma_f64 v[28:29], -v[52:53], v[92:93], v[28:29]
	ds_read2_b64 v[90:93], v76 offset0:25 offset1:26
	s_waitcnt lgkmcnt(0)
	v_fma_f64 v[26:27], -v[52:53], v[82:83], v[26:27]
	v_fma_f64 v[24:25], -v[52:53], v[84:85], v[24:25]
	ds_read2_b64 v[82:85], v76 offset0:27 offset1:28
	v_fma_f64 v[22:23], -v[52:53], v[86:87], v[22:23]
	v_fma_f64 v[20:21], -v[52:53], v[88:89], v[20:21]
	;; [unrolled: 1-line block ×4, first 2 shown]
	ds_read2_b64 v[86:89], v76 offset0:29 offset1:30
	ds_read2_b64 v[90:93], v76 offset0:31 offset1:32
	s_waitcnt lgkmcnt(0)
	v_fma_f64 v[14:15], -v[52:53], v[82:83], v[14:15]
	v_fma_f64 v[12:13], -v[52:53], v[84:85], v[12:13]
	;; [unrolled: 1-line block ×7, first 2 shown]
.LBB66_148:
	s_or_b64 exec, exec, s[0:1]
	v_lshl_add_u32 v72, v77, 3, v76
	s_barrier
	ds_write_b64 v72, v[50:51]
	s_waitcnt lgkmcnt(0)
	s_barrier
	ds_read_b64 v[72:73], v76 offset:72
	s_cmp_lt_i32 s18, 11
	v_mov_b32_e32 v74, 9
	s_cbranch_scc1 .LBB66_151
; %bb.149:
	v_add_u32_e32 v81, 0x50, v76
	s_mov_b32 s0, 10
	v_mov_b32_e32 v74, 9
.LBB66_150:                             ; =>This Inner Loop Header: Depth=1
	ds_read_b64 v[82:83], v81
	v_mov_b32_e32 v84, s0
	s_add_i32 s0, s0, 1
	v_add_u32_e32 v81, 8, v81
	s_cmp_lg_u32 s18, s0
	s_waitcnt lgkmcnt(0)
	v_cmp_lt_f64_e64 vcc, |v[72:73]|, |v[82:83]|
	v_cndmask_b32_e32 v73, v73, v83, vcc
	v_cndmask_b32_e32 v72, v72, v82, vcc
	;; [unrolled: 1-line block ×3, first 2 shown]
	s_cbranch_scc1 .LBB66_150
.LBB66_151:
	s_waitcnt lgkmcnt(0)
	v_cmp_eq_f64_e32 vcc, 0, v[72:73]
	s_and_saveexec_b64 s[0:1], vcc
	s_xor_b64 s[0:1], exec, s[0:1]
; %bb.152:
	v_cmp_ne_u32_e32 vcc, 0, v80
	v_cndmask_b32_e32 v80, 10, v80, vcc
; %bb.153:
	s_andn2_saveexec_b64 s[0:1], s[0:1]
; %bb.154:
	v_div_scale_f64 v[82:83], s[2:3], v[72:73], v[72:73], 1.0
	v_rcp_f64_e32 v[84:85], v[82:83]
	v_div_scale_f64 v[86:87], vcc, 1.0, v[72:73], 1.0
	v_fma_f64 v[88:89], -v[82:83], v[84:85], 1.0
	v_fmac_f64_e32 v[84:85], v[84:85], v[88:89]
	v_fma_f64 v[88:89], -v[82:83], v[84:85], 1.0
	v_fmac_f64_e32 v[84:85], v[84:85], v[88:89]
	v_mul_f64 v[88:89], v[86:87], v[84:85]
	v_fma_f64 v[82:83], -v[82:83], v[88:89], v[86:87]
	v_div_fmas_f64 v[82:83], v[82:83], v[84:85], v[88:89]
	v_div_fixup_f64 v[72:73], v[82:83], v[72:73], 1.0
; %bb.155:
	s_or_b64 exec, exec, s[0:1]
	v_cmp_ne_u32_e32 vcc, v77, v74
	s_and_saveexec_b64 s[0:1], vcc
	s_xor_b64 s[0:1], exec, s[0:1]
	s_cbranch_execz .LBB66_161
; %bb.156:
	v_cmp_eq_u32_e32 vcc, 9, v77
	s_and_saveexec_b64 s[2:3], vcc
	s_cbranch_execz .LBB66_160
; %bb.157:
	v_cmp_ne_u32_e32 vcc, 9, v74
	s_xor_b64 s[14:15], s[6:7], -1
	s_and_b64 s[16:17], s[14:15], vcc
	s_and_saveexec_b64 s[14:15], s[16:17]
	s_cbranch_execz .LBB66_159
; %bb.158:
	v_ashrrev_i32_e32 v75, 31, v74
	v_lshlrev_b64 v[82:83], 2, v[74:75]
	v_add_co_u32_e32 v82, vcc, v4, v82
	v_addc_co_u32_e32 v83, vcc, v5, v83, vcc
	flat_load_dword v75, v[82:83]
	flat_load_dword v77, v[4:5] offset:36
	s_waitcnt vmcnt(0) lgkmcnt(0)
	flat_store_dword v[4:5], v75 offset:36
	flat_store_dword v[82:83], v77
.LBB66_159:
	s_or_b64 exec, exec, s[14:15]
	v_mov_b32_e32 v75, v74
	v_mov_b32_e32 v77, v74
.LBB66_160:
	s_or_b64 exec, exec, s[2:3]
.LBB66_161:
	s_andn2_saveexec_b64 s[0:1], s[0:1]
	s_cbranch_execz .LBB66_163
; %bb.162:
	v_mov_b32_e32 v82, v48
	v_mov_b32_e32 v83, v49
	v_mov_b32_e32 v84, v46
	v_mov_b32_e32 v85, v47
	ds_write2_b64 v76, v[82:83], v[84:85] offset0:10 offset1:11
	v_mov_b32_e32 v82, v44
	v_mov_b32_e32 v83, v45
	v_mov_b32_e32 v84, v42
	v_mov_b32_e32 v85, v43
	ds_write2_b64 v76, v[82:83], v[84:85] offset0:12 offset1:13
	;; [unrolled: 5-line block ×11, first 2 shown]
	v_mov_b32_e32 v82, v0
	v_mov_b32_e32 v83, v1
	;; [unrolled: 1-line block ×3, first 2 shown]
	ds_write2_b64 v76, v[82:83], v[70:71] offset0:32 offset1:33
.LBB66_163:
	s_or_b64 exec, exec, s[0:1]
	v_cmp_lt_i32_e32 vcc, 9, v77
	s_waitcnt lgkmcnt(0)
	s_barrier
	s_and_saveexec_b64 s[0:1], vcc
	s_cbranch_execz .LBB66_165
; %bb.164:
	ds_read2_b64 v[82:85], v76 offset0:10 offset1:11
	ds_read2_b64 v[86:89], v76 offset0:12 offset1:13
	;; [unrolled: 1-line block ×3, first 2 shown]
	v_mul_f64 v[50:51], v[72:73], v[50:51]
	s_waitcnt lgkmcnt(0)
	v_fma_f64 v[48:49], -v[50:51], v[82:83], v[48:49]
	v_fma_f64 v[46:47], -v[50:51], v[84:85], v[46:47]
	ds_read2_b64 v[82:85], v76 offset0:16 offset1:17
	v_fma_f64 v[44:45], -v[50:51], v[86:87], v[44:45]
	v_fma_f64 v[42:43], -v[50:51], v[88:89], v[42:43]
	;; [unrolled: 1-line block ×3, first 2 shown]
	ds_read2_b64 v[86:89], v76 offset0:18 offset1:19
	v_fma_f64 v[40:41], -v[50:51], v[92:93], v[40:41]
	ds_read2_b64 v[90:93], v76 offset0:20 offset1:21
	s_waitcnt lgkmcnt(0)
	v_fma_f64 v[36:37], -v[50:51], v[82:83], v[36:37]
	v_fma_f64 v[34:35], -v[50:51], v[84:85], v[34:35]
	;; [unrolled: 1-line block ×3, first 2 shown]
	ds_read2_b64 v[82:85], v76 offset0:22 offset1:23
	v_fma_f64 v[30:31], -v[50:51], v[88:89], v[30:31]
	ds_read2_b64 v[86:89], v76 offset0:24 offset1:25
	v_fma_f64 v[28:29], -v[50:51], v[90:91], v[28:29]
	v_fma_f64 v[26:27], -v[50:51], v[92:93], v[26:27]
	ds_read2_b64 v[90:93], v76 offset0:26 offset1:27
	s_waitcnt lgkmcnt(0)
	v_fma_f64 v[24:25], -v[50:51], v[82:83], v[24:25]
	v_fma_f64 v[22:23], -v[50:51], v[84:85], v[22:23]
	ds_read2_b64 v[82:85], v76 offset0:28 offset1:29
	v_fma_f64 v[20:21], -v[50:51], v[86:87], v[20:21]
	v_fma_f64 v[18:19], -v[50:51], v[88:89], v[18:19]
	;; [unrolled: 1-line block ×3, first 2 shown]
	ds_read2_b64 v[86:89], v76 offset0:30 offset1:31
	v_fma_f64 v[14:15], -v[50:51], v[92:93], v[14:15]
	ds_read2_b64 v[90:93], v76 offset0:32 offset1:33
	s_waitcnt lgkmcnt(0)
	v_fma_f64 v[12:13], -v[50:51], v[82:83], v[12:13]
	v_fma_f64 v[8:9], -v[50:51], v[84:85], v[8:9]
	;; [unrolled: 1-line block ×6, first 2 shown]
.LBB66_165:
	s_or_b64 exec, exec, s[0:1]
	v_lshl_add_u32 v72, v77, 3, v76
	s_barrier
	ds_write_b64 v72, v[48:49]
	s_waitcnt lgkmcnt(0)
	s_barrier
	ds_read_b64 v[72:73], v76 offset:80
	s_cmp_lt_i32 s18, 12
	v_mov_b32_e32 v74, 10
	s_cbranch_scc1 .LBB66_168
; %bb.166:
	v_add_u32_e32 v81, 0x58, v76
	s_mov_b32 s0, 11
	v_mov_b32_e32 v74, 10
.LBB66_167:                             ; =>This Inner Loop Header: Depth=1
	ds_read_b64 v[82:83], v81
	v_mov_b32_e32 v84, s0
	s_add_i32 s0, s0, 1
	v_add_u32_e32 v81, 8, v81
	s_cmp_lg_u32 s18, s0
	s_waitcnt lgkmcnt(0)
	v_cmp_lt_f64_e64 vcc, |v[72:73]|, |v[82:83]|
	v_cndmask_b32_e32 v73, v73, v83, vcc
	v_cndmask_b32_e32 v72, v72, v82, vcc
	;; [unrolled: 1-line block ×3, first 2 shown]
	s_cbranch_scc1 .LBB66_167
.LBB66_168:
	s_waitcnt lgkmcnt(0)
	v_cmp_eq_f64_e32 vcc, 0, v[72:73]
	s_and_saveexec_b64 s[0:1], vcc
	s_xor_b64 s[0:1], exec, s[0:1]
; %bb.169:
	v_cmp_ne_u32_e32 vcc, 0, v80
	v_cndmask_b32_e32 v80, 11, v80, vcc
; %bb.170:
	s_andn2_saveexec_b64 s[0:1], s[0:1]
; %bb.171:
	v_div_scale_f64 v[82:83], s[2:3], v[72:73], v[72:73], 1.0
	v_rcp_f64_e32 v[84:85], v[82:83]
	v_div_scale_f64 v[86:87], vcc, 1.0, v[72:73], 1.0
	v_fma_f64 v[88:89], -v[82:83], v[84:85], 1.0
	v_fmac_f64_e32 v[84:85], v[84:85], v[88:89]
	v_fma_f64 v[88:89], -v[82:83], v[84:85], 1.0
	v_fmac_f64_e32 v[84:85], v[84:85], v[88:89]
	v_mul_f64 v[88:89], v[86:87], v[84:85]
	v_fma_f64 v[82:83], -v[82:83], v[88:89], v[86:87]
	v_div_fmas_f64 v[82:83], v[82:83], v[84:85], v[88:89]
	v_div_fixup_f64 v[72:73], v[82:83], v[72:73], 1.0
; %bb.172:
	s_or_b64 exec, exec, s[0:1]
	v_cmp_ne_u32_e32 vcc, v77, v74
	s_and_saveexec_b64 s[0:1], vcc
	s_xor_b64 s[0:1], exec, s[0:1]
	s_cbranch_execz .LBB66_178
; %bb.173:
	v_cmp_eq_u32_e32 vcc, 10, v77
	s_and_saveexec_b64 s[2:3], vcc
	s_cbranch_execz .LBB66_177
; %bb.174:
	v_cmp_ne_u32_e32 vcc, 10, v74
	s_xor_b64 s[14:15], s[6:7], -1
	s_and_b64 s[16:17], s[14:15], vcc
	s_and_saveexec_b64 s[14:15], s[16:17]
	s_cbranch_execz .LBB66_176
; %bb.175:
	v_ashrrev_i32_e32 v75, 31, v74
	v_lshlrev_b64 v[82:83], 2, v[74:75]
	v_add_co_u32_e32 v82, vcc, v4, v82
	v_addc_co_u32_e32 v83, vcc, v5, v83, vcc
	flat_load_dword v75, v[82:83]
	flat_load_dword v77, v[4:5] offset:40
	s_waitcnt vmcnt(0) lgkmcnt(0)
	flat_store_dword v[4:5], v75 offset:40
	flat_store_dword v[82:83], v77
.LBB66_176:
	s_or_b64 exec, exec, s[14:15]
	v_mov_b32_e32 v75, v74
	v_mov_b32_e32 v77, v74
.LBB66_177:
	s_or_b64 exec, exec, s[2:3]
.LBB66_178:
	s_andn2_saveexec_b64 s[0:1], s[0:1]
	s_cbranch_execz .LBB66_180
; %bb.179:
	v_mov_b32_e32 v77, 10
	ds_write2_b64 v76, v[46:47], v[44:45] offset0:11 offset1:12
	ds_write2_b64 v76, v[42:43], v[38:39] offset0:13 offset1:14
	;; [unrolled: 1-line block ×11, first 2 shown]
	ds_write_b64 v76, v[70:71] offset:264
.LBB66_180:
	s_or_b64 exec, exec, s[0:1]
	v_cmp_lt_i32_e32 vcc, 10, v77
	s_waitcnt lgkmcnt(0)
	s_barrier
	s_and_saveexec_b64 s[0:1], vcc
	s_cbranch_execz .LBB66_182
; %bb.181:
	ds_read2_b64 v[82:85], v76 offset0:11 offset1:12
	ds_read2_b64 v[86:89], v76 offset0:13 offset1:14
	v_mul_f64 v[48:49], v[72:73], v[48:49]
	ds_read2_b64 v[90:93], v76 offset0:15 offset1:16
	ds_read_b64 v[72:73], v76 offset:264
	s_waitcnt lgkmcnt(0)
	v_fma_f64 v[46:47], -v[48:49], v[82:83], v[46:47]
	v_fma_f64 v[44:45], -v[48:49], v[84:85], v[44:45]
	ds_read2_b64 v[82:85], v76 offset0:17 offset1:18
	v_fma_f64 v[42:43], -v[48:49], v[86:87], v[42:43]
	v_fma_f64 v[38:39], -v[48:49], v[88:89], v[38:39]
	ds_read2_b64 v[86:89], v76 offset0:19 offset1:20
	;; [unrolled: 3-line block ×3, first 2 shown]
	s_waitcnt lgkmcnt(0)
	v_fma_f64 v[34:35], -v[48:49], v[82:83], v[34:35]
	v_fma_f64 v[32:33], -v[48:49], v[84:85], v[32:33]
	;; [unrolled: 1-line block ×3, first 2 shown]
	ds_read2_b64 v[82:85], v76 offset0:23 offset1:24
	v_fma_f64 v[28:29], -v[48:49], v[88:89], v[28:29]
	ds_read2_b64 v[86:89], v76 offset0:25 offset1:26
	v_fma_f64 v[26:27], -v[48:49], v[90:91], v[26:27]
	v_fma_f64 v[24:25], -v[48:49], v[92:93], v[24:25]
	s_waitcnt lgkmcnt(0)
	v_fma_f64 v[22:23], -v[48:49], v[82:83], v[22:23]
	ds_read2_b64 v[90:93], v76 offset0:27 offset1:28
	v_fma_f64 v[20:21], -v[48:49], v[84:85], v[20:21]
	ds_read2_b64 v[82:85], v76 offset0:29 offset1:30
	v_fma_f64 v[18:19], -v[48:49], v[86:87], v[18:19]
	v_fma_f64 v[16:17], -v[48:49], v[88:89], v[16:17]
	ds_read2_b64 v[86:89], v76 offset0:31 offset1:32
	s_waitcnt lgkmcnt(0)
	v_fma_f64 v[14:15], -v[48:49], v[90:91], v[14:15]
	v_fma_f64 v[12:13], -v[48:49], v[92:93], v[12:13]
	;; [unrolled: 1-line block ×7, first 2 shown]
.LBB66_182:
	s_or_b64 exec, exec, s[0:1]
	v_lshl_add_u32 v72, v77, 3, v76
	s_barrier
	ds_write_b64 v72, v[46:47]
	s_waitcnt lgkmcnt(0)
	s_barrier
	ds_read_b64 v[72:73], v76 offset:88
	s_cmp_lt_i32 s18, 13
	v_mov_b32_e32 v74, 11
	s_cbranch_scc1 .LBB66_185
; %bb.183:
	v_add_u32_e32 v81, 0x60, v76
	s_mov_b32 s0, 12
	v_mov_b32_e32 v74, 11
.LBB66_184:                             ; =>This Inner Loop Header: Depth=1
	ds_read_b64 v[82:83], v81
	v_mov_b32_e32 v84, s0
	s_add_i32 s0, s0, 1
	v_add_u32_e32 v81, 8, v81
	s_cmp_lg_u32 s18, s0
	s_waitcnt lgkmcnt(0)
	v_cmp_lt_f64_e64 vcc, |v[72:73]|, |v[82:83]|
	v_cndmask_b32_e32 v73, v73, v83, vcc
	v_cndmask_b32_e32 v72, v72, v82, vcc
	;; [unrolled: 1-line block ×3, first 2 shown]
	s_cbranch_scc1 .LBB66_184
.LBB66_185:
	s_waitcnt lgkmcnt(0)
	v_cmp_eq_f64_e32 vcc, 0, v[72:73]
	s_and_saveexec_b64 s[0:1], vcc
	s_xor_b64 s[0:1], exec, s[0:1]
; %bb.186:
	v_cmp_ne_u32_e32 vcc, 0, v80
	v_cndmask_b32_e32 v80, 12, v80, vcc
; %bb.187:
	s_andn2_saveexec_b64 s[0:1], s[0:1]
; %bb.188:
	v_div_scale_f64 v[82:83], s[2:3], v[72:73], v[72:73], 1.0
	v_rcp_f64_e32 v[84:85], v[82:83]
	v_div_scale_f64 v[86:87], vcc, 1.0, v[72:73], 1.0
	v_fma_f64 v[88:89], -v[82:83], v[84:85], 1.0
	v_fmac_f64_e32 v[84:85], v[84:85], v[88:89]
	v_fma_f64 v[88:89], -v[82:83], v[84:85], 1.0
	v_fmac_f64_e32 v[84:85], v[84:85], v[88:89]
	v_mul_f64 v[88:89], v[86:87], v[84:85]
	v_fma_f64 v[82:83], -v[82:83], v[88:89], v[86:87]
	v_div_fmas_f64 v[82:83], v[82:83], v[84:85], v[88:89]
	v_div_fixup_f64 v[72:73], v[82:83], v[72:73], 1.0
; %bb.189:
	s_or_b64 exec, exec, s[0:1]
	v_cmp_ne_u32_e32 vcc, v77, v74
	s_and_saveexec_b64 s[0:1], vcc
	s_xor_b64 s[0:1], exec, s[0:1]
	s_cbranch_execz .LBB66_195
; %bb.190:
	v_cmp_eq_u32_e32 vcc, 11, v77
	s_and_saveexec_b64 s[2:3], vcc
	s_cbranch_execz .LBB66_194
; %bb.191:
	v_cmp_ne_u32_e32 vcc, 11, v74
	s_xor_b64 s[14:15], s[6:7], -1
	s_and_b64 s[16:17], s[14:15], vcc
	s_and_saveexec_b64 s[14:15], s[16:17]
	s_cbranch_execz .LBB66_193
; %bb.192:
	v_ashrrev_i32_e32 v75, 31, v74
	v_lshlrev_b64 v[82:83], 2, v[74:75]
	v_add_co_u32_e32 v82, vcc, v4, v82
	v_addc_co_u32_e32 v83, vcc, v5, v83, vcc
	flat_load_dword v75, v[82:83]
	flat_load_dword v77, v[4:5] offset:44
	s_waitcnt vmcnt(0) lgkmcnt(0)
	flat_store_dword v[4:5], v75 offset:44
	flat_store_dword v[82:83], v77
.LBB66_193:
	s_or_b64 exec, exec, s[14:15]
	v_mov_b32_e32 v75, v74
	v_mov_b32_e32 v77, v74
.LBB66_194:
	s_or_b64 exec, exec, s[2:3]
.LBB66_195:
	s_andn2_saveexec_b64 s[0:1], s[0:1]
	s_cbranch_execz .LBB66_197
; %bb.196:
	v_mov_b32_e32 v82, v44
	v_mov_b32_e32 v83, v45
	v_mov_b32_e32 v84, v42
	v_mov_b32_e32 v85, v43
	ds_write2_b64 v76, v[82:83], v[84:85] offset0:12 offset1:13
	v_mov_b32_e32 v82, v38
	v_mov_b32_e32 v83, v39
	v_mov_b32_e32 v84, v40
	v_mov_b32_e32 v85, v41
	ds_write2_b64 v76, v[82:83], v[84:85] offset0:14 offset1:15
	;; [unrolled: 5-line block ×10, first 2 shown]
	v_mov_b32_e32 v82, v0
	v_mov_b32_e32 v83, v1
	;; [unrolled: 1-line block ×3, first 2 shown]
	ds_write2_b64 v76, v[82:83], v[70:71] offset0:32 offset1:33
.LBB66_197:
	s_or_b64 exec, exec, s[0:1]
	v_cmp_lt_i32_e32 vcc, 11, v77
	s_waitcnt lgkmcnt(0)
	s_barrier
	s_and_saveexec_b64 s[0:1], vcc
	s_cbranch_execz .LBB66_199
; %bb.198:
	ds_read2_b64 v[82:85], v76 offset0:12 offset1:13
	ds_read2_b64 v[86:89], v76 offset0:14 offset1:15
	v_mul_f64 v[46:47], v[72:73], v[46:47]
	ds_read2_b64 v[90:93], v76 offset0:16 offset1:17
	s_waitcnt lgkmcnt(0)
	v_fma_f64 v[44:45], -v[46:47], v[82:83], v[44:45]
	v_fma_f64 v[42:43], -v[46:47], v[84:85], v[42:43]
	ds_read2_b64 v[82:85], v76 offset0:18 offset1:19
	v_fma_f64 v[38:39], -v[46:47], v[86:87], v[38:39]
	v_fma_f64 v[40:41], -v[46:47], v[88:89], v[40:41]
	ds_read2_b64 v[86:89], v76 offset0:20 offset1:21
	;; [unrolled: 3-line block ×3, first 2 shown]
	s_waitcnt lgkmcnt(0)
	v_fma_f64 v[32:33], -v[46:47], v[82:83], v[32:33]
	v_fma_f64 v[30:31], -v[46:47], v[84:85], v[30:31]
	;; [unrolled: 1-line block ×3, first 2 shown]
	ds_read2_b64 v[82:85], v76 offset0:24 offset1:25
	v_fma_f64 v[26:27], -v[46:47], v[88:89], v[26:27]
	ds_read2_b64 v[86:89], v76 offset0:26 offset1:27
	v_fma_f64 v[24:25], -v[46:47], v[90:91], v[24:25]
	v_fma_f64 v[22:23], -v[46:47], v[92:93], v[22:23]
	s_waitcnt lgkmcnt(0)
	v_fma_f64 v[20:21], -v[46:47], v[82:83], v[20:21]
	v_fma_f64 v[18:19], -v[46:47], v[84:85], v[18:19]
	ds_read2_b64 v[82:85], v76 offset0:28 offset1:29
	ds_read2_b64 v[90:93], v76 offset0:30 offset1:31
	v_fma_f64 v[16:17], -v[46:47], v[86:87], v[16:17]
	v_fma_f64 v[14:15], -v[46:47], v[88:89], v[14:15]
	ds_read2_b64 v[86:89], v76 offset0:32 offset1:33
	s_waitcnt lgkmcnt(0)
	v_fma_f64 v[12:13], -v[46:47], v[82:83], v[12:13]
	v_fma_f64 v[8:9], -v[46:47], v[84:85], v[8:9]
	;; [unrolled: 1-line block ×6, first 2 shown]
.LBB66_199:
	s_or_b64 exec, exec, s[0:1]
	v_lshl_add_u32 v72, v77, 3, v76
	s_barrier
	ds_write_b64 v72, v[44:45]
	s_waitcnt lgkmcnt(0)
	s_barrier
	ds_read_b64 v[72:73], v76 offset:96
	s_cmp_lt_i32 s18, 14
	v_mov_b32_e32 v74, 12
	s_cbranch_scc1 .LBB66_202
; %bb.200:
	v_add_u32_e32 v81, 0x68, v76
	s_mov_b32 s0, 13
	v_mov_b32_e32 v74, 12
.LBB66_201:                             ; =>This Inner Loop Header: Depth=1
	ds_read_b64 v[82:83], v81
	v_mov_b32_e32 v84, s0
	s_add_i32 s0, s0, 1
	v_add_u32_e32 v81, 8, v81
	s_cmp_lg_u32 s18, s0
	s_waitcnt lgkmcnt(0)
	v_cmp_lt_f64_e64 vcc, |v[72:73]|, |v[82:83]|
	v_cndmask_b32_e32 v73, v73, v83, vcc
	v_cndmask_b32_e32 v72, v72, v82, vcc
	;; [unrolled: 1-line block ×3, first 2 shown]
	s_cbranch_scc1 .LBB66_201
.LBB66_202:
	s_waitcnt lgkmcnt(0)
	v_cmp_eq_f64_e32 vcc, 0, v[72:73]
	s_and_saveexec_b64 s[0:1], vcc
	s_xor_b64 s[0:1], exec, s[0:1]
; %bb.203:
	v_cmp_ne_u32_e32 vcc, 0, v80
	v_cndmask_b32_e32 v80, 13, v80, vcc
; %bb.204:
	s_andn2_saveexec_b64 s[0:1], s[0:1]
; %bb.205:
	v_div_scale_f64 v[82:83], s[2:3], v[72:73], v[72:73], 1.0
	v_rcp_f64_e32 v[84:85], v[82:83]
	v_div_scale_f64 v[86:87], vcc, 1.0, v[72:73], 1.0
	v_fma_f64 v[88:89], -v[82:83], v[84:85], 1.0
	v_fmac_f64_e32 v[84:85], v[84:85], v[88:89]
	v_fma_f64 v[88:89], -v[82:83], v[84:85], 1.0
	v_fmac_f64_e32 v[84:85], v[84:85], v[88:89]
	v_mul_f64 v[88:89], v[86:87], v[84:85]
	v_fma_f64 v[82:83], -v[82:83], v[88:89], v[86:87]
	v_div_fmas_f64 v[82:83], v[82:83], v[84:85], v[88:89]
	v_div_fixup_f64 v[72:73], v[82:83], v[72:73], 1.0
; %bb.206:
	s_or_b64 exec, exec, s[0:1]
	v_cmp_ne_u32_e32 vcc, v77, v74
	s_and_saveexec_b64 s[0:1], vcc
	s_xor_b64 s[0:1], exec, s[0:1]
	s_cbranch_execz .LBB66_212
; %bb.207:
	v_cmp_eq_u32_e32 vcc, 12, v77
	s_and_saveexec_b64 s[2:3], vcc
	s_cbranch_execz .LBB66_211
; %bb.208:
	v_cmp_ne_u32_e32 vcc, 12, v74
	s_xor_b64 s[14:15], s[6:7], -1
	s_and_b64 s[16:17], s[14:15], vcc
	s_and_saveexec_b64 s[14:15], s[16:17]
	s_cbranch_execz .LBB66_210
; %bb.209:
	v_ashrrev_i32_e32 v75, 31, v74
	v_lshlrev_b64 v[82:83], 2, v[74:75]
	v_add_co_u32_e32 v82, vcc, v4, v82
	v_addc_co_u32_e32 v83, vcc, v5, v83, vcc
	flat_load_dword v75, v[82:83]
	flat_load_dword v77, v[4:5] offset:48
	s_waitcnt vmcnt(0) lgkmcnt(0)
	flat_store_dword v[4:5], v75 offset:48
	flat_store_dword v[82:83], v77
.LBB66_210:
	s_or_b64 exec, exec, s[14:15]
	v_mov_b32_e32 v75, v74
	v_mov_b32_e32 v77, v74
.LBB66_211:
	s_or_b64 exec, exec, s[2:3]
.LBB66_212:
	s_andn2_saveexec_b64 s[0:1], s[0:1]
	s_cbranch_execz .LBB66_214
; %bb.213:
	v_mov_b32_e32 v77, 12
	ds_write2_b64 v76, v[42:43], v[38:39] offset0:13 offset1:14
	ds_write2_b64 v76, v[40:41], v[36:37] offset0:15 offset1:16
	;; [unrolled: 1-line block ×10, first 2 shown]
	ds_write_b64 v76, v[70:71] offset:264
.LBB66_214:
	s_or_b64 exec, exec, s[0:1]
	v_cmp_lt_i32_e32 vcc, 12, v77
	s_waitcnt lgkmcnt(0)
	s_barrier
	s_and_saveexec_b64 s[0:1], vcc
	s_cbranch_execz .LBB66_216
; %bb.215:
	ds_read2_b64 v[82:85], v76 offset0:13 offset1:14
	ds_read2_b64 v[86:89], v76 offset0:15 offset1:16
	v_mul_f64 v[44:45], v[72:73], v[44:45]
	ds_read2_b64 v[90:93], v76 offset0:17 offset1:18
	ds_read_b64 v[72:73], v76 offset:264
	s_waitcnt lgkmcnt(0)
	v_fma_f64 v[42:43], -v[44:45], v[82:83], v[42:43]
	v_fma_f64 v[38:39], -v[44:45], v[84:85], v[38:39]
	ds_read2_b64 v[82:85], v76 offset0:19 offset1:20
	v_fma_f64 v[40:41], -v[44:45], v[86:87], v[40:41]
	v_fma_f64 v[36:37], -v[44:45], v[88:89], v[36:37]
	;; [unrolled: 1-line block ×3, first 2 shown]
	ds_read2_b64 v[86:89], v76 offset0:21 offset1:22
	v_fma_f64 v[32:33], -v[44:45], v[92:93], v[32:33]
	ds_read2_b64 v[90:93], v76 offset0:23 offset1:24
	s_waitcnt lgkmcnt(0)
	v_fma_f64 v[30:31], -v[44:45], v[82:83], v[30:31]
	v_fma_f64 v[28:29], -v[44:45], v[84:85], v[28:29]
	ds_read2_b64 v[82:85], v76 offset0:25 offset1:26
	v_fma_f64 v[26:27], -v[44:45], v[86:87], v[26:27]
	v_fma_f64 v[24:25], -v[44:45], v[88:89], v[24:25]
	ds_read2_b64 v[86:89], v76 offset0:27 offset1:28
	v_fma_f64 v[22:23], -v[44:45], v[90:91], v[22:23]
	v_fma_f64 v[20:21], -v[44:45], v[92:93], v[20:21]
	s_waitcnt lgkmcnt(0)
	v_fma_f64 v[18:19], -v[44:45], v[82:83], v[18:19]
	v_fma_f64 v[16:17], -v[44:45], v[84:85], v[16:17]
	ds_read2_b64 v[82:85], v76 offset0:29 offset1:30
	ds_read2_b64 v[90:93], v76 offset0:31 offset1:32
	v_fma_f64 v[14:15], -v[44:45], v[86:87], v[14:15]
	v_fma_f64 v[12:13], -v[44:45], v[88:89], v[12:13]
	;; [unrolled: 1-line block ×3, first 2 shown]
	s_waitcnt lgkmcnt(0)
	v_fma_f64 v[8:9], -v[44:45], v[82:83], v[8:9]
	v_fma_f64 v[10:11], -v[44:45], v[84:85], v[10:11]
	;; [unrolled: 1-line block ×4, first 2 shown]
.LBB66_216:
	s_or_b64 exec, exec, s[0:1]
	v_lshl_add_u32 v72, v77, 3, v76
	s_barrier
	ds_write_b64 v72, v[42:43]
	s_waitcnt lgkmcnt(0)
	s_barrier
	ds_read_b64 v[72:73], v76 offset:104
	s_cmp_lt_i32 s18, 15
	v_mov_b32_e32 v74, 13
	s_cbranch_scc1 .LBB66_219
; %bb.217:
	v_add_u32_e32 v81, 0x70, v76
	s_mov_b32 s0, 14
	v_mov_b32_e32 v74, 13
.LBB66_218:                             ; =>This Inner Loop Header: Depth=1
	ds_read_b64 v[82:83], v81
	v_mov_b32_e32 v84, s0
	s_add_i32 s0, s0, 1
	v_add_u32_e32 v81, 8, v81
	s_cmp_lg_u32 s18, s0
	s_waitcnt lgkmcnt(0)
	v_cmp_lt_f64_e64 vcc, |v[72:73]|, |v[82:83]|
	v_cndmask_b32_e32 v73, v73, v83, vcc
	v_cndmask_b32_e32 v72, v72, v82, vcc
	;; [unrolled: 1-line block ×3, first 2 shown]
	s_cbranch_scc1 .LBB66_218
.LBB66_219:
	s_waitcnt lgkmcnt(0)
	v_cmp_eq_f64_e32 vcc, 0, v[72:73]
	s_and_saveexec_b64 s[0:1], vcc
	s_xor_b64 s[0:1], exec, s[0:1]
; %bb.220:
	v_cmp_ne_u32_e32 vcc, 0, v80
	v_cndmask_b32_e32 v80, 14, v80, vcc
; %bb.221:
	s_andn2_saveexec_b64 s[0:1], s[0:1]
; %bb.222:
	v_div_scale_f64 v[82:83], s[2:3], v[72:73], v[72:73], 1.0
	v_rcp_f64_e32 v[84:85], v[82:83]
	v_div_scale_f64 v[86:87], vcc, 1.0, v[72:73], 1.0
	v_fma_f64 v[88:89], -v[82:83], v[84:85], 1.0
	v_fmac_f64_e32 v[84:85], v[84:85], v[88:89]
	v_fma_f64 v[88:89], -v[82:83], v[84:85], 1.0
	v_fmac_f64_e32 v[84:85], v[84:85], v[88:89]
	v_mul_f64 v[88:89], v[86:87], v[84:85]
	v_fma_f64 v[82:83], -v[82:83], v[88:89], v[86:87]
	v_div_fmas_f64 v[82:83], v[82:83], v[84:85], v[88:89]
	v_div_fixup_f64 v[72:73], v[82:83], v[72:73], 1.0
; %bb.223:
	s_or_b64 exec, exec, s[0:1]
	v_cmp_ne_u32_e32 vcc, v77, v74
	s_and_saveexec_b64 s[0:1], vcc
	s_xor_b64 s[0:1], exec, s[0:1]
	s_cbranch_execz .LBB66_229
; %bb.224:
	v_cmp_eq_u32_e32 vcc, 13, v77
	s_and_saveexec_b64 s[2:3], vcc
	s_cbranch_execz .LBB66_228
; %bb.225:
	v_cmp_ne_u32_e32 vcc, 13, v74
	s_xor_b64 s[14:15], s[6:7], -1
	s_and_b64 s[16:17], s[14:15], vcc
	s_and_saveexec_b64 s[14:15], s[16:17]
	s_cbranch_execz .LBB66_227
; %bb.226:
	v_ashrrev_i32_e32 v75, 31, v74
	v_lshlrev_b64 v[82:83], 2, v[74:75]
	v_add_co_u32_e32 v82, vcc, v4, v82
	v_addc_co_u32_e32 v83, vcc, v5, v83, vcc
	flat_load_dword v75, v[82:83]
	flat_load_dword v77, v[4:5] offset:52
	s_waitcnt vmcnt(0) lgkmcnt(0)
	flat_store_dword v[4:5], v75 offset:52
	flat_store_dword v[82:83], v77
.LBB66_227:
	s_or_b64 exec, exec, s[14:15]
	v_mov_b32_e32 v75, v74
	v_mov_b32_e32 v77, v74
.LBB66_228:
	s_or_b64 exec, exec, s[2:3]
.LBB66_229:
	s_andn2_saveexec_b64 s[0:1], s[0:1]
	s_cbranch_execz .LBB66_231
; %bb.230:
	v_mov_b32_e32 v82, v38
	v_mov_b32_e32 v83, v39
	v_mov_b32_e32 v84, v40
	v_mov_b32_e32 v85, v41
	ds_write2_b64 v76, v[82:83], v[84:85] offset0:14 offset1:15
	v_mov_b32_e32 v82, v36
	v_mov_b32_e32 v83, v37
	v_mov_b32_e32 v84, v34
	v_mov_b32_e32 v85, v35
	ds_write2_b64 v76, v[82:83], v[84:85] offset0:16 offset1:17
	;; [unrolled: 5-line block ×9, first 2 shown]
	v_mov_b32_e32 v82, v0
	v_mov_b32_e32 v83, v1
	v_mov_b32_e32 v77, 13
	ds_write2_b64 v76, v[82:83], v[70:71] offset0:32 offset1:33
.LBB66_231:
	s_or_b64 exec, exec, s[0:1]
	v_cmp_lt_i32_e32 vcc, 13, v77
	s_waitcnt lgkmcnt(0)
	s_barrier
	s_and_saveexec_b64 s[0:1], vcc
	s_cbranch_execz .LBB66_233
; %bb.232:
	ds_read2_b64 v[82:85], v76 offset0:14 offset1:15
	ds_read2_b64 v[86:89], v76 offset0:16 offset1:17
	v_mul_f64 v[42:43], v[72:73], v[42:43]
	ds_read2_b64 v[90:93], v76 offset0:18 offset1:19
	s_waitcnt lgkmcnt(0)
	v_fma_f64 v[38:39], -v[42:43], v[82:83], v[38:39]
	v_fma_f64 v[40:41], -v[42:43], v[84:85], v[40:41]
	ds_read2_b64 v[82:85], v76 offset0:20 offset1:21
	v_fma_f64 v[36:37], -v[42:43], v[86:87], v[36:37]
	v_fma_f64 v[34:35], -v[42:43], v[88:89], v[34:35]
	;; [unrolled: 1-line block ×3, first 2 shown]
	ds_read2_b64 v[86:89], v76 offset0:22 offset1:23
	v_fma_f64 v[30:31], -v[42:43], v[92:93], v[30:31]
	ds_read2_b64 v[90:93], v76 offset0:24 offset1:25
	s_waitcnt lgkmcnt(0)
	v_fma_f64 v[28:29], -v[42:43], v[82:83], v[28:29]
	v_fma_f64 v[26:27], -v[42:43], v[84:85], v[26:27]
	ds_read2_b64 v[82:85], v76 offset0:26 offset1:27
	v_fma_f64 v[24:25], -v[42:43], v[86:87], v[24:25]
	v_fma_f64 v[22:23], -v[42:43], v[88:89], v[22:23]
	ds_read2_b64 v[86:89], v76 offset0:28 offset1:29
	v_fma_f64 v[20:21], -v[42:43], v[90:91], v[20:21]
	v_fma_f64 v[18:19], -v[42:43], v[92:93], v[18:19]
	s_waitcnt lgkmcnt(0)
	v_fma_f64 v[16:17], -v[42:43], v[82:83], v[16:17]
	ds_read2_b64 v[90:93], v76 offset0:30 offset1:31
	v_fma_f64 v[14:15], -v[42:43], v[84:85], v[14:15]
	ds_read2_b64 v[82:85], v76 offset0:32 offset1:33
	v_fma_f64 v[12:13], -v[42:43], v[86:87], v[12:13]
	v_fma_f64 v[8:9], -v[42:43], v[88:89], v[8:9]
	s_waitcnt lgkmcnt(0)
	v_fma_f64 v[10:11], -v[42:43], v[90:91], v[10:11]
	v_fma_f64 v[6:7], -v[42:43], v[92:93], v[6:7]
	;; [unrolled: 1-line block ×4, first 2 shown]
.LBB66_233:
	s_or_b64 exec, exec, s[0:1]
	v_lshl_add_u32 v72, v77, 3, v76
	s_barrier
	ds_write_b64 v72, v[38:39]
	s_waitcnt lgkmcnt(0)
	s_barrier
	ds_read_b64 v[72:73], v76 offset:112
	s_cmp_lt_i32 s18, 16
	v_mov_b32_e32 v74, 14
	s_cbranch_scc1 .LBB66_236
; %bb.234:
	v_add_u32_e32 v81, 0x78, v76
	s_mov_b32 s0, 15
	v_mov_b32_e32 v74, 14
.LBB66_235:                             ; =>This Inner Loop Header: Depth=1
	ds_read_b64 v[82:83], v81
	v_mov_b32_e32 v84, s0
	s_add_i32 s0, s0, 1
	v_add_u32_e32 v81, 8, v81
	s_cmp_lg_u32 s18, s0
	s_waitcnt lgkmcnt(0)
	v_cmp_lt_f64_e64 vcc, |v[72:73]|, |v[82:83]|
	v_cndmask_b32_e32 v73, v73, v83, vcc
	v_cndmask_b32_e32 v72, v72, v82, vcc
	;; [unrolled: 1-line block ×3, first 2 shown]
	s_cbranch_scc1 .LBB66_235
.LBB66_236:
	s_waitcnt lgkmcnt(0)
	v_cmp_eq_f64_e32 vcc, 0, v[72:73]
	s_and_saveexec_b64 s[0:1], vcc
	s_xor_b64 s[0:1], exec, s[0:1]
; %bb.237:
	v_cmp_ne_u32_e32 vcc, 0, v80
	v_cndmask_b32_e32 v80, 15, v80, vcc
; %bb.238:
	s_andn2_saveexec_b64 s[0:1], s[0:1]
; %bb.239:
	v_div_scale_f64 v[82:83], s[2:3], v[72:73], v[72:73], 1.0
	v_rcp_f64_e32 v[84:85], v[82:83]
	v_div_scale_f64 v[86:87], vcc, 1.0, v[72:73], 1.0
	v_fma_f64 v[88:89], -v[82:83], v[84:85], 1.0
	v_fmac_f64_e32 v[84:85], v[84:85], v[88:89]
	v_fma_f64 v[88:89], -v[82:83], v[84:85], 1.0
	v_fmac_f64_e32 v[84:85], v[84:85], v[88:89]
	v_mul_f64 v[88:89], v[86:87], v[84:85]
	v_fma_f64 v[82:83], -v[82:83], v[88:89], v[86:87]
	v_div_fmas_f64 v[82:83], v[82:83], v[84:85], v[88:89]
	v_div_fixup_f64 v[72:73], v[82:83], v[72:73], 1.0
; %bb.240:
	s_or_b64 exec, exec, s[0:1]
	v_cmp_ne_u32_e32 vcc, v77, v74
	s_and_saveexec_b64 s[0:1], vcc
	s_xor_b64 s[0:1], exec, s[0:1]
	s_cbranch_execz .LBB66_246
; %bb.241:
	v_cmp_eq_u32_e32 vcc, 14, v77
	s_and_saveexec_b64 s[2:3], vcc
	s_cbranch_execz .LBB66_245
; %bb.242:
	v_cmp_ne_u32_e32 vcc, 14, v74
	s_xor_b64 s[14:15], s[6:7], -1
	s_and_b64 s[16:17], s[14:15], vcc
	s_and_saveexec_b64 s[14:15], s[16:17]
	s_cbranch_execz .LBB66_244
; %bb.243:
	v_ashrrev_i32_e32 v75, 31, v74
	v_lshlrev_b64 v[82:83], 2, v[74:75]
	v_add_co_u32_e32 v82, vcc, v4, v82
	v_addc_co_u32_e32 v83, vcc, v5, v83, vcc
	flat_load_dword v75, v[82:83]
	flat_load_dword v77, v[4:5] offset:56
	s_waitcnt vmcnt(0) lgkmcnt(0)
	flat_store_dword v[4:5], v75 offset:56
	flat_store_dword v[82:83], v77
.LBB66_244:
	s_or_b64 exec, exec, s[14:15]
	v_mov_b32_e32 v75, v74
	v_mov_b32_e32 v77, v74
.LBB66_245:
	s_or_b64 exec, exec, s[2:3]
.LBB66_246:
	s_andn2_saveexec_b64 s[0:1], s[0:1]
	s_cbranch_execz .LBB66_248
; %bb.247:
	v_mov_b32_e32 v77, 14
	ds_write2_b64 v76, v[40:41], v[36:37] offset0:15 offset1:16
	ds_write2_b64 v76, v[34:35], v[32:33] offset0:17 offset1:18
	;; [unrolled: 1-line block ×9, first 2 shown]
	ds_write_b64 v76, v[70:71] offset:264
.LBB66_248:
	s_or_b64 exec, exec, s[0:1]
	v_cmp_lt_i32_e32 vcc, 14, v77
	s_waitcnt lgkmcnt(0)
	s_barrier
	s_and_saveexec_b64 s[0:1], vcc
	s_cbranch_execz .LBB66_250
; %bb.249:
	ds_read2_b64 v[82:85], v76 offset0:15 offset1:16
	ds_read2_b64 v[86:89], v76 offset0:17 offset1:18
	ds_read2_b64 v[90:93], v76 offset0:19 offset1:20
	v_mul_f64 v[38:39], v[72:73], v[38:39]
	ds_read_b64 v[72:73], v76 offset:264
	s_waitcnt lgkmcnt(0)
	v_fma_f64 v[40:41], -v[38:39], v[82:83], v[40:41]
	v_fma_f64 v[36:37], -v[38:39], v[84:85], v[36:37]
	ds_read2_b64 v[82:85], v76 offset0:21 offset1:22
	v_fma_f64 v[34:35], -v[38:39], v[86:87], v[34:35]
	v_fma_f64 v[32:33], -v[38:39], v[88:89], v[32:33]
	;; [unrolled: 1-line block ×3, first 2 shown]
	ds_read2_b64 v[86:89], v76 offset0:23 offset1:24
	v_fma_f64 v[28:29], -v[38:39], v[92:93], v[28:29]
	ds_read2_b64 v[90:93], v76 offset0:25 offset1:26
	s_waitcnt lgkmcnt(0)
	v_fma_f64 v[26:27], -v[38:39], v[82:83], v[26:27]
	v_fma_f64 v[24:25], -v[38:39], v[84:85], v[24:25]
	;; [unrolled: 1-line block ×3, first 2 shown]
	ds_read2_b64 v[82:85], v76 offset0:27 offset1:28
	v_fma_f64 v[20:21], -v[38:39], v[88:89], v[20:21]
	ds_read2_b64 v[86:89], v76 offset0:29 offset1:30
	v_fma_f64 v[18:19], -v[38:39], v[90:91], v[18:19]
	v_fma_f64 v[16:17], -v[38:39], v[92:93], v[16:17]
	ds_read2_b64 v[90:93], v76 offset0:31 offset1:32
	s_waitcnt lgkmcnt(0)
	v_fma_f64 v[14:15], -v[38:39], v[82:83], v[14:15]
	v_fma_f64 v[12:13], -v[38:39], v[84:85], v[12:13]
	;; [unrolled: 1-line block ×7, first 2 shown]
.LBB66_250:
	s_or_b64 exec, exec, s[0:1]
	v_lshl_add_u32 v72, v77, 3, v76
	s_barrier
	ds_write_b64 v72, v[40:41]
	s_waitcnt lgkmcnt(0)
	s_barrier
	ds_read_b64 v[72:73], v76 offset:120
	s_cmp_lt_i32 s18, 17
	v_mov_b32_e32 v74, 15
	s_cbranch_scc1 .LBB66_253
; %bb.251:
	v_add_u32_e32 v81, 0x80, v76
	s_mov_b32 s0, 16
	v_mov_b32_e32 v74, 15
.LBB66_252:                             ; =>This Inner Loop Header: Depth=1
	ds_read_b64 v[82:83], v81
	v_mov_b32_e32 v84, s0
	s_add_i32 s0, s0, 1
	v_add_u32_e32 v81, 8, v81
	s_cmp_lg_u32 s18, s0
	s_waitcnt lgkmcnt(0)
	v_cmp_lt_f64_e64 vcc, |v[72:73]|, |v[82:83]|
	v_cndmask_b32_e32 v73, v73, v83, vcc
	v_cndmask_b32_e32 v72, v72, v82, vcc
	;; [unrolled: 1-line block ×3, first 2 shown]
	s_cbranch_scc1 .LBB66_252
.LBB66_253:
	s_waitcnt lgkmcnt(0)
	v_cmp_eq_f64_e32 vcc, 0, v[72:73]
	s_and_saveexec_b64 s[0:1], vcc
	s_xor_b64 s[0:1], exec, s[0:1]
; %bb.254:
	v_cmp_ne_u32_e32 vcc, 0, v80
	v_cndmask_b32_e32 v80, 16, v80, vcc
; %bb.255:
	s_andn2_saveexec_b64 s[0:1], s[0:1]
; %bb.256:
	v_div_scale_f64 v[82:83], s[2:3], v[72:73], v[72:73], 1.0
	v_rcp_f64_e32 v[84:85], v[82:83]
	v_div_scale_f64 v[86:87], vcc, 1.0, v[72:73], 1.0
	v_fma_f64 v[88:89], -v[82:83], v[84:85], 1.0
	v_fmac_f64_e32 v[84:85], v[84:85], v[88:89]
	v_fma_f64 v[88:89], -v[82:83], v[84:85], 1.0
	v_fmac_f64_e32 v[84:85], v[84:85], v[88:89]
	v_mul_f64 v[88:89], v[86:87], v[84:85]
	v_fma_f64 v[82:83], -v[82:83], v[88:89], v[86:87]
	v_div_fmas_f64 v[82:83], v[82:83], v[84:85], v[88:89]
	v_div_fixup_f64 v[72:73], v[82:83], v[72:73], 1.0
; %bb.257:
	s_or_b64 exec, exec, s[0:1]
	v_cmp_ne_u32_e32 vcc, v77, v74
	s_and_saveexec_b64 s[0:1], vcc
	s_xor_b64 s[0:1], exec, s[0:1]
	s_cbranch_execz .LBB66_263
; %bb.258:
	v_cmp_eq_u32_e32 vcc, 15, v77
	s_and_saveexec_b64 s[2:3], vcc
	s_cbranch_execz .LBB66_262
; %bb.259:
	v_cmp_ne_u32_e32 vcc, 15, v74
	s_xor_b64 s[14:15], s[6:7], -1
	s_and_b64 s[16:17], s[14:15], vcc
	s_and_saveexec_b64 s[14:15], s[16:17]
	s_cbranch_execz .LBB66_261
; %bb.260:
	v_ashrrev_i32_e32 v75, 31, v74
	v_lshlrev_b64 v[82:83], 2, v[74:75]
	v_add_co_u32_e32 v82, vcc, v4, v82
	v_addc_co_u32_e32 v83, vcc, v5, v83, vcc
	flat_load_dword v75, v[82:83]
	flat_load_dword v77, v[4:5] offset:60
	s_waitcnt vmcnt(0) lgkmcnt(0)
	flat_store_dword v[4:5], v75 offset:60
	flat_store_dword v[82:83], v77
.LBB66_261:
	s_or_b64 exec, exec, s[14:15]
	v_mov_b32_e32 v75, v74
	v_mov_b32_e32 v77, v74
.LBB66_262:
	s_or_b64 exec, exec, s[2:3]
.LBB66_263:
	s_andn2_saveexec_b64 s[0:1], s[0:1]
	s_cbranch_execz .LBB66_265
; %bb.264:
	v_mov_b32_e32 v82, v36
	v_mov_b32_e32 v83, v37
	v_mov_b32_e32 v84, v34
	v_mov_b32_e32 v85, v35
	ds_write2_b64 v76, v[82:83], v[84:85] offset0:16 offset1:17
	v_mov_b32_e32 v82, v32
	v_mov_b32_e32 v83, v33
	v_mov_b32_e32 v84, v30
	v_mov_b32_e32 v85, v31
	ds_write2_b64 v76, v[82:83], v[84:85] offset0:18 offset1:19
	v_mov_b32_e32 v82, v28
	v_mov_b32_e32 v83, v29
	v_mov_b32_e32 v84, v26
	v_mov_b32_e32 v85, v27
	ds_write2_b64 v76, v[82:83], v[84:85] offset0:20 offset1:21
	v_mov_b32_e32 v82, v24
	v_mov_b32_e32 v83, v25
	v_mov_b32_e32 v84, v22
	v_mov_b32_e32 v85, v23
	ds_write2_b64 v76, v[82:83], v[84:85] offset0:22 offset1:23
	v_mov_b32_e32 v82, v20
	v_mov_b32_e32 v83, v21
	v_mov_b32_e32 v84, v18
	v_mov_b32_e32 v85, v19
	ds_write2_b64 v76, v[82:83], v[84:85] offset0:24 offset1:25
	v_mov_b32_e32 v82, v16
	v_mov_b32_e32 v83, v17
	v_mov_b32_e32 v84, v14
	v_mov_b32_e32 v85, v15
	ds_write2_b64 v76, v[82:83], v[84:85] offset0:26 offset1:27
	v_mov_b32_e32 v82, v12
	v_mov_b32_e32 v83, v13
	v_mov_b32_e32 v84, v8
	v_mov_b32_e32 v85, v9
	ds_write2_b64 v76, v[82:83], v[84:85] offset0:28 offset1:29
	v_mov_b32_e32 v82, v10
	v_mov_b32_e32 v83, v11
	v_mov_b32_e32 v84, v6
	v_mov_b32_e32 v85, v7
	ds_write2_b64 v76, v[82:83], v[84:85] offset0:30 offset1:31
	v_mov_b32_e32 v82, v0
	v_mov_b32_e32 v83, v1
	;; [unrolled: 1-line block ×3, first 2 shown]
	ds_write2_b64 v76, v[82:83], v[70:71] offset0:32 offset1:33
.LBB66_265:
	s_or_b64 exec, exec, s[0:1]
	v_cmp_lt_i32_e32 vcc, 15, v77
	s_waitcnt lgkmcnt(0)
	s_barrier
	s_and_saveexec_b64 s[0:1], vcc
	s_cbranch_execz .LBB66_267
; %bb.266:
	ds_read2_b64 v[82:85], v76 offset0:16 offset1:17
	ds_read2_b64 v[86:89], v76 offset0:18 offset1:19
	;; [unrolled: 1-line block ×3, first 2 shown]
	v_mul_f64 v[40:41], v[72:73], v[40:41]
	s_waitcnt lgkmcnt(0)
	v_fma_f64 v[36:37], -v[40:41], v[82:83], v[36:37]
	v_fma_f64 v[34:35], -v[40:41], v[84:85], v[34:35]
	ds_read2_b64 v[82:85], v76 offset0:22 offset1:23
	v_fma_f64 v[32:33], -v[40:41], v[86:87], v[32:33]
	v_fma_f64 v[30:31], -v[40:41], v[88:89], v[30:31]
	;; [unrolled: 1-line block ×3, first 2 shown]
	ds_read2_b64 v[86:89], v76 offset0:24 offset1:25
	v_fma_f64 v[26:27], -v[40:41], v[92:93], v[26:27]
	ds_read2_b64 v[90:93], v76 offset0:26 offset1:27
	s_waitcnt lgkmcnt(0)
	v_fma_f64 v[24:25], -v[40:41], v[82:83], v[24:25]
	v_fma_f64 v[22:23], -v[40:41], v[84:85], v[22:23]
	;; [unrolled: 1-line block ×4, first 2 shown]
	ds_read2_b64 v[82:85], v76 offset0:28 offset1:29
	ds_read2_b64 v[86:89], v76 offset0:30 offset1:31
	v_fma_f64 v[16:17], -v[40:41], v[90:91], v[16:17]
	v_fma_f64 v[14:15], -v[40:41], v[92:93], v[14:15]
	ds_read2_b64 v[90:93], v76 offset0:32 offset1:33
	s_waitcnt lgkmcnt(0)
	v_fma_f64 v[12:13], -v[40:41], v[82:83], v[12:13]
	v_fma_f64 v[8:9], -v[40:41], v[84:85], v[8:9]
	;; [unrolled: 1-line block ×6, first 2 shown]
.LBB66_267:
	s_or_b64 exec, exec, s[0:1]
	v_lshl_add_u32 v72, v77, 3, v76
	s_barrier
	ds_write_b64 v72, v[36:37]
	s_waitcnt lgkmcnt(0)
	s_barrier
	ds_read_b64 v[72:73], v76 offset:128
	s_cmp_lt_i32 s18, 18
	v_mov_b32_e32 v74, 16
	s_cbranch_scc1 .LBB66_270
; %bb.268:
	v_add_u32_e32 v81, 0x88, v76
	s_mov_b32 s0, 17
	v_mov_b32_e32 v74, 16
.LBB66_269:                             ; =>This Inner Loop Header: Depth=1
	ds_read_b64 v[82:83], v81
	v_mov_b32_e32 v84, s0
	s_add_i32 s0, s0, 1
	v_add_u32_e32 v81, 8, v81
	s_cmp_lg_u32 s18, s0
	s_waitcnt lgkmcnt(0)
	v_cmp_lt_f64_e64 vcc, |v[72:73]|, |v[82:83]|
	v_cndmask_b32_e32 v73, v73, v83, vcc
	v_cndmask_b32_e32 v72, v72, v82, vcc
	;; [unrolled: 1-line block ×3, first 2 shown]
	s_cbranch_scc1 .LBB66_269
.LBB66_270:
	s_waitcnt lgkmcnt(0)
	v_cmp_eq_f64_e32 vcc, 0, v[72:73]
	s_and_saveexec_b64 s[0:1], vcc
	s_xor_b64 s[0:1], exec, s[0:1]
; %bb.271:
	v_cmp_ne_u32_e32 vcc, 0, v80
	v_cndmask_b32_e32 v80, 17, v80, vcc
; %bb.272:
	s_andn2_saveexec_b64 s[0:1], s[0:1]
; %bb.273:
	v_div_scale_f64 v[82:83], s[2:3], v[72:73], v[72:73], 1.0
	v_rcp_f64_e32 v[84:85], v[82:83]
	v_div_scale_f64 v[86:87], vcc, 1.0, v[72:73], 1.0
	v_fma_f64 v[88:89], -v[82:83], v[84:85], 1.0
	v_fmac_f64_e32 v[84:85], v[84:85], v[88:89]
	v_fma_f64 v[88:89], -v[82:83], v[84:85], 1.0
	v_fmac_f64_e32 v[84:85], v[84:85], v[88:89]
	v_mul_f64 v[88:89], v[86:87], v[84:85]
	v_fma_f64 v[82:83], -v[82:83], v[88:89], v[86:87]
	v_div_fmas_f64 v[82:83], v[82:83], v[84:85], v[88:89]
	v_div_fixup_f64 v[72:73], v[82:83], v[72:73], 1.0
; %bb.274:
	s_or_b64 exec, exec, s[0:1]
	v_cmp_ne_u32_e32 vcc, v77, v74
	s_and_saveexec_b64 s[0:1], vcc
	s_xor_b64 s[0:1], exec, s[0:1]
	s_cbranch_execz .LBB66_280
; %bb.275:
	v_cmp_eq_u32_e32 vcc, 16, v77
	s_and_saveexec_b64 s[2:3], vcc
	s_cbranch_execz .LBB66_279
; %bb.276:
	v_cmp_ne_u32_e32 vcc, 16, v74
	s_xor_b64 s[14:15], s[6:7], -1
	s_and_b64 s[16:17], s[14:15], vcc
	s_and_saveexec_b64 s[14:15], s[16:17]
	s_cbranch_execz .LBB66_278
; %bb.277:
	v_ashrrev_i32_e32 v75, 31, v74
	v_lshlrev_b64 v[82:83], 2, v[74:75]
	v_add_co_u32_e32 v82, vcc, v4, v82
	v_addc_co_u32_e32 v83, vcc, v5, v83, vcc
	flat_load_dword v75, v[82:83]
	flat_load_dword v77, v[4:5] offset:64
	s_waitcnt vmcnt(0) lgkmcnt(0)
	flat_store_dword v[4:5], v75 offset:64
	flat_store_dword v[82:83], v77
.LBB66_278:
	s_or_b64 exec, exec, s[14:15]
	v_mov_b32_e32 v75, v74
	v_mov_b32_e32 v77, v74
.LBB66_279:
	s_or_b64 exec, exec, s[2:3]
.LBB66_280:
	s_andn2_saveexec_b64 s[0:1], s[0:1]
	s_cbranch_execz .LBB66_282
; %bb.281:
	v_mov_b32_e32 v77, 16
	ds_write2_b64 v76, v[34:35], v[32:33] offset0:17 offset1:18
	ds_write2_b64 v76, v[30:31], v[28:29] offset0:19 offset1:20
	;; [unrolled: 1-line block ×8, first 2 shown]
	ds_write_b64 v76, v[70:71] offset:264
.LBB66_282:
	s_or_b64 exec, exec, s[0:1]
	v_cmp_lt_i32_e32 vcc, 16, v77
	s_waitcnt lgkmcnt(0)
	s_barrier
	s_and_saveexec_b64 s[0:1], vcc
	s_cbranch_execz .LBB66_284
; %bb.283:
	ds_read2_b64 v[82:85], v76 offset0:17 offset1:18
	ds_read2_b64 v[86:89], v76 offset0:19 offset1:20
	v_mul_f64 v[36:37], v[72:73], v[36:37]
	ds_read2_b64 v[90:93], v76 offset0:21 offset1:22
	ds_read_b64 v[72:73], v76 offset:264
	s_waitcnt lgkmcnt(0)
	v_fma_f64 v[34:35], -v[36:37], v[82:83], v[34:35]
	v_fma_f64 v[32:33], -v[36:37], v[84:85], v[32:33]
	ds_read2_b64 v[82:85], v76 offset0:23 offset1:24
	v_fma_f64 v[30:31], -v[36:37], v[86:87], v[30:31]
	v_fma_f64 v[28:29], -v[36:37], v[88:89], v[28:29]
	ds_read2_b64 v[86:89], v76 offset0:25 offset1:26
	;; [unrolled: 3-line block ×3, first 2 shown]
	s_waitcnt lgkmcnt(0)
	v_fma_f64 v[22:23], -v[36:37], v[82:83], v[22:23]
	v_fma_f64 v[20:21], -v[36:37], v[84:85], v[20:21]
	;; [unrolled: 1-line block ×4, first 2 shown]
	ds_read2_b64 v[82:85], v76 offset0:29 offset1:30
	ds_read2_b64 v[86:89], v76 offset0:31 offset1:32
	v_fma_f64 v[14:15], -v[36:37], v[90:91], v[14:15]
	v_fma_f64 v[12:13], -v[36:37], v[92:93], v[12:13]
	;; [unrolled: 1-line block ×3, first 2 shown]
	s_waitcnt lgkmcnt(0)
	v_fma_f64 v[8:9], -v[36:37], v[82:83], v[8:9]
	v_fma_f64 v[10:11], -v[36:37], v[84:85], v[10:11]
	;; [unrolled: 1-line block ×4, first 2 shown]
.LBB66_284:
	s_or_b64 exec, exec, s[0:1]
	v_lshl_add_u32 v72, v77, 3, v76
	s_barrier
	ds_write_b64 v72, v[34:35]
	s_waitcnt lgkmcnt(0)
	s_barrier
	ds_read_b64 v[72:73], v76 offset:136
	s_cmp_lt_i32 s18, 19
	v_mov_b32_e32 v74, 17
	s_cbranch_scc1 .LBB66_287
; %bb.285:
	v_add_u32_e32 v81, 0x90, v76
	s_mov_b32 s0, 18
	v_mov_b32_e32 v74, 17
.LBB66_286:                             ; =>This Inner Loop Header: Depth=1
	ds_read_b64 v[82:83], v81
	v_mov_b32_e32 v84, s0
	s_add_i32 s0, s0, 1
	v_add_u32_e32 v81, 8, v81
	s_cmp_lg_u32 s18, s0
	s_waitcnt lgkmcnt(0)
	v_cmp_lt_f64_e64 vcc, |v[72:73]|, |v[82:83]|
	v_cndmask_b32_e32 v73, v73, v83, vcc
	v_cndmask_b32_e32 v72, v72, v82, vcc
	;; [unrolled: 1-line block ×3, first 2 shown]
	s_cbranch_scc1 .LBB66_286
.LBB66_287:
	s_waitcnt lgkmcnt(0)
	v_cmp_eq_f64_e32 vcc, 0, v[72:73]
	s_and_saveexec_b64 s[0:1], vcc
	s_xor_b64 s[0:1], exec, s[0:1]
; %bb.288:
	v_cmp_ne_u32_e32 vcc, 0, v80
	v_cndmask_b32_e32 v80, 18, v80, vcc
; %bb.289:
	s_andn2_saveexec_b64 s[0:1], s[0:1]
; %bb.290:
	v_div_scale_f64 v[82:83], s[2:3], v[72:73], v[72:73], 1.0
	v_rcp_f64_e32 v[84:85], v[82:83]
	v_div_scale_f64 v[86:87], vcc, 1.0, v[72:73], 1.0
	v_fma_f64 v[88:89], -v[82:83], v[84:85], 1.0
	v_fmac_f64_e32 v[84:85], v[84:85], v[88:89]
	v_fma_f64 v[88:89], -v[82:83], v[84:85], 1.0
	v_fmac_f64_e32 v[84:85], v[84:85], v[88:89]
	v_mul_f64 v[88:89], v[86:87], v[84:85]
	v_fma_f64 v[82:83], -v[82:83], v[88:89], v[86:87]
	v_div_fmas_f64 v[82:83], v[82:83], v[84:85], v[88:89]
	v_div_fixup_f64 v[72:73], v[82:83], v[72:73], 1.0
; %bb.291:
	s_or_b64 exec, exec, s[0:1]
	v_cmp_ne_u32_e32 vcc, v77, v74
	s_and_saveexec_b64 s[0:1], vcc
	s_xor_b64 s[0:1], exec, s[0:1]
	s_cbranch_execz .LBB66_297
; %bb.292:
	v_cmp_eq_u32_e32 vcc, 17, v77
	s_and_saveexec_b64 s[2:3], vcc
	s_cbranch_execz .LBB66_296
; %bb.293:
	v_cmp_ne_u32_e32 vcc, 17, v74
	s_xor_b64 s[14:15], s[6:7], -1
	s_and_b64 s[16:17], s[14:15], vcc
	s_and_saveexec_b64 s[14:15], s[16:17]
	s_cbranch_execz .LBB66_295
; %bb.294:
	v_ashrrev_i32_e32 v75, 31, v74
	v_lshlrev_b64 v[82:83], 2, v[74:75]
	v_add_co_u32_e32 v82, vcc, v4, v82
	v_addc_co_u32_e32 v83, vcc, v5, v83, vcc
	flat_load_dword v75, v[82:83]
	flat_load_dword v77, v[4:5] offset:68
	s_waitcnt vmcnt(0) lgkmcnt(0)
	flat_store_dword v[4:5], v75 offset:68
	flat_store_dword v[82:83], v77
.LBB66_295:
	s_or_b64 exec, exec, s[14:15]
	v_mov_b32_e32 v75, v74
	v_mov_b32_e32 v77, v74
.LBB66_296:
	s_or_b64 exec, exec, s[2:3]
.LBB66_297:
	s_andn2_saveexec_b64 s[0:1], s[0:1]
	s_cbranch_execz .LBB66_299
; %bb.298:
	v_mov_b32_e32 v82, v32
	v_mov_b32_e32 v83, v33
	v_mov_b32_e32 v84, v30
	v_mov_b32_e32 v85, v31
	ds_write2_b64 v76, v[82:83], v[84:85] offset0:18 offset1:19
	v_mov_b32_e32 v82, v28
	v_mov_b32_e32 v83, v29
	v_mov_b32_e32 v84, v26
	v_mov_b32_e32 v85, v27
	ds_write2_b64 v76, v[82:83], v[84:85] offset0:20 offset1:21
	;; [unrolled: 5-line block ×7, first 2 shown]
	v_mov_b32_e32 v82, v0
	v_mov_b32_e32 v83, v1
	v_mov_b32_e32 v77, 17
	ds_write2_b64 v76, v[82:83], v[70:71] offset0:32 offset1:33
.LBB66_299:
	s_or_b64 exec, exec, s[0:1]
	v_cmp_lt_i32_e32 vcc, 17, v77
	s_waitcnt lgkmcnt(0)
	s_barrier
	s_and_saveexec_b64 s[0:1], vcc
	s_cbranch_execz .LBB66_301
; %bb.300:
	ds_read2_b64 v[82:85], v76 offset0:18 offset1:19
	ds_read2_b64 v[86:89], v76 offset0:20 offset1:21
	v_mul_f64 v[34:35], v[72:73], v[34:35]
	ds_read2_b64 v[90:93], v76 offset0:22 offset1:23
	s_waitcnt lgkmcnt(0)
	v_fma_f64 v[32:33], -v[34:35], v[82:83], v[32:33]
	v_fma_f64 v[30:31], -v[34:35], v[84:85], v[30:31]
	ds_read2_b64 v[82:85], v76 offset0:24 offset1:25
	v_fma_f64 v[28:29], -v[34:35], v[86:87], v[28:29]
	v_fma_f64 v[26:27], -v[34:35], v[88:89], v[26:27]
	ds_read2_b64 v[86:89], v76 offset0:26 offset1:27
	v_fma_f64 v[24:25], -v[34:35], v[90:91], v[24:25]
	v_fma_f64 v[22:23], -v[34:35], v[92:93], v[22:23]
	s_waitcnt lgkmcnt(0)
	v_fma_f64 v[20:21], -v[34:35], v[82:83], v[20:21]
	v_fma_f64 v[18:19], -v[34:35], v[84:85], v[18:19]
	ds_read2_b64 v[82:85], v76 offset0:28 offset1:29
	v_fma_f64 v[16:17], -v[34:35], v[86:87], v[16:17]
	ds_read2_b64 v[90:93], v76 offset0:30 offset1:31
	;; [unrolled: 2-line block ×3, first 2 shown]
	s_waitcnt lgkmcnt(0)
	v_fma_f64 v[12:13], -v[34:35], v[82:83], v[12:13]
	v_fma_f64 v[8:9], -v[34:35], v[84:85], v[8:9]
	;; [unrolled: 1-line block ×6, first 2 shown]
.LBB66_301:
	s_or_b64 exec, exec, s[0:1]
	v_lshl_add_u32 v72, v77, 3, v76
	s_barrier
	ds_write_b64 v72, v[32:33]
	s_waitcnt lgkmcnt(0)
	s_barrier
	ds_read_b64 v[72:73], v76 offset:144
	s_cmp_lt_i32 s18, 20
	v_mov_b32_e32 v74, 18
	s_cbranch_scc1 .LBB66_304
; %bb.302:
	v_add_u32_e32 v81, 0x98, v76
	s_mov_b32 s0, 19
	v_mov_b32_e32 v74, 18
.LBB66_303:                             ; =>This Inner Loop Header: Depth=1
	ds_read_b64 v[82:83], v81
	v_mov_b32_e32 v84, s0
	s_add_i32 s0, s0, 1
	v_add_u32_e32 v81, 8, v81
	s_cmp_lg_u32 s18, s0
	s_waitcnt lgkmcnt(0)
	v_cmp_lt_f64_e64 vcc, |v[72:73]|, |v[82:83]|
	v_cndmask_b32_e32 v73, v73, v83, vcc
	v_cndmask_b32_e32 v72, v72, v82, vcc
	;; [unrolled: 1-line block ×3, first 2 shown]
	s_cbranch_scc1 .LBB66_303
.LBB66_304:
	s_waitcnt lgkmcnt(0)
	v_cmp_eq_f64_e32 vcc, 0, v[72:73]
	s_and_saveexec_b64 s[0:1], vcc
	s_xor_b64 s[0:1], exec, s[0:1]
; %bb.305:
	v_cmp_ne_u32_e32 vcc, 0, v80
	v_cndmask_b32_e32 v80, 19, v80, vcc
; %bb.306:
	s_andn2_saveexec_b64 s[0:1], s[0:1]
; %bb.307:
	v_div_scale_f64 v[82:83], s[2:3], v[72:73], v[72:73], 1.0
	v_rcp_f64_e32 v[84:85], v[82:83]
	v_div_scale_f64 v[86:87], vcc, 1.0, v[72:73], 1.0
	v_fma_f64 v[88:89], -v[82:83], v[84:85], 1.0
	v_fmac_f64_e32 v[84:85], v[84:85], v[88:89]
	v_fma_f64 v[88:89], -v[82:83], v[84:85], 1.0
	v_fmac_f64_e32 v[84:85], v[84:85], v[88:89]
	v_mul_f64 v[88:89], v[86:87], v[84:85]
	v_fma_f64 v[82:83], -v[82:83], v[88:89], v[86:87]
	v_div_fmas_f64 v[82:83], v[82:83], v[84:85], v[88:89]
	v_div_fixup_f64 v[72:73], v[82:83], v[72:73], 1.0
; %bb.308:
	s_or_b64 exec, exec, s[0:1]
	v_cmp_ne_u32_e32 vcc, v77, v74
	s_and_saveexec_b64 s[0:1], vcc
	s_xor_b64 s[0:1], exec, s[0:1]
	s_cbranch_execz .LBB66_314
; %bb.309:
	v_cmp_eq_u32_e32 vcc, 18, v77
	s_and_saveexec_b64 s[2:3], vcc
	s_cbranch_execz .LBB66_313
; %bb.310:
	v_cmp_ne_u32_e32 vcc, 18, v74
	s_xor_b64 s[14:15], s[6:7], -1
	s_and_b64 s[16:17], s[14:15], vcc
	s_and_saveexec_b64 s[14:15], s[16:17]
	s_cbranch_execz .LBB66_312
; %bb.311:
	v_ashrrev_i32_e32 v75, 31, v74
	v_lshlrev_b64 v[82:83], 2, v[74:75]
	v_add_co_u32_e32 v82, vcc, v4, v82
	v_addc_co_u32_e32 v83, vcc, v5, v83, vcc
	flat_load_dword v75, v[82:83]
	flat_load_dword v77, v[4:5] offset:72
	s_waitcnt vmcnt(0) lgkmcnt(0)
	flat_store_dword v[4:5], v75 offset:72
	flat_store_dword v[82:83], v77
.LBB66_312:
	s_or_b64 exec, exec, s[14:15]
	v_mov_b32_e32 v75, v74
	v_mov_b32_e32 v77, v74
.LBB66_313:
	s_or_b64 exec, exec, s[2:3]
.LBB66_314:
	s_andn2_saveexec_b64 s[0:1], s[0:1]
	s_cbranch_execz .LBB66_316
; %bb.315:
	v_mov_b32_e32 v77, 18
	ds_write2_b64 v76, v[30:31], v[28:29] offset0:19 offset1:20
	ds_write2_b64 v76, v[26:27], v[24:25] offset0:21 offset1:22
	;; [unrolled: 1-line block ×7, first 2 shown]
	ds_write_b64 v76, v[70:71] offset:264
.LBB66_316:
	s_or_b64 exec, exec, s[0:1]
	v_cmp_lt_i32_e32 vcc, 18, v77
	s_waitcnt lgkmcnt(0)
	s_barrier
	s_and_saveexec_b64 s[0:1], vcc
	s_cbranch_execz .LBB66_318
; %bb.317:
	ds_read2_b64 v[82:85], v76 offset0:19 offset1:20
	ds_read2_b64 v[86:89], v76 offset0:21 offset1:22
	v_mul_f64 v[32:33], v[72:73], v[32:33]
	ds_read2_b64 v[90:93], v76 offset0:23 offset1:24
	ds_read_b64 v[72:73], v76 offset:264
	s_waitcnt lgkmcnt(0)
	v_fma_f64 v[30:31], -v[32:33], v[82:83], v[30:31]
	v_fma_f64 v[28:29], -v[32:33], v[84:85], v[28:29]
	ds_read2_b64 v[82:85], v76 offset0:25 offset1:26
	v_fma_f64 v[26:27], -v[32:33], v[86:87], v[26:27]
	v_fma_f64 v[24:25], -v[32:33], v[88:89], v[24:25]
	;; [unrolled: 1-line block ×3, first 2 shown]
	ds_read2_b64 v[86:89], v76 offset0:27 offset1:28
	v_fma_f64 v[20:21], -v[32:33], v[92:93], v[20:21]
	s_waitcnt lgkmcnt(0)
	v_fma_f64 v[18:19], -v[32:33], v[82:83], v[18:19]
	v_fma_f64 v[16:17], -v[32:33], v[84:85], v[16:17]
	ds_read2_b64 v[82:85], v76 offset0:29 offset1:30
	ds_read2_b64 v[90:93], v76 offset0:31 offset1:32
	v_fma_f64 v[14:15], -v[32:33], v[86:87], v[14:15]
	v_fma_f64 v[12:13], -v[32:33], v[88:89], v[12:13]
	;; [unrolled: 1-line block ×3, first 2 shown]
	s_waitcnt lgkmcnt(0)
	v_fma_f64 v[8:9], -v[32:33], v[82:83], v[8:9]
	v_fma_f64 v[10:11], -v[32:33], v[84:85], v[10:11]
	;; [unrolled: 1-line block ×4, first 2 shown]
.LBB66_318:
	s_or_b64 exec, exec, s[0:1]
	v_lshl_add_u32 v72, v77, 3, v76
	s_barrier
	ds_write_b64 v72, v[30:31]
	s_waitcnt lgkmcnt(0)
	s_barrier
	ds_read_b64 v[72:73], v76 offset:152
	s_cmp_lt_i32 s18, 21
	v_mov_b32_e32 v74, 19
	s_cbranch_scc1 .LBB66_321
; %bb.319:
	v_add_u32_e32 v81, 0xa0, v76
	s_mov_b32 s0, 20
	v_mov_b32_e32 v74, 19
.LBB66_320:                             ; =>This Inner Loop Header: Depth=1
	ds_read_b64 v[82:83], v81
	v_mov_b32_e32 v84, s0
	s_add_i32 s0, s0, 1
	v_add_u32_e32 v81, 8, v81
	s_cmp_lg_u32 s18, s0
	s_waitcnt lgkmcnt(0)
	v_cmp_lt_f64_e64 vcc, |v[72:73]|, |v[82:83]|
	v_cndmask_b32_e32 v73, v73, v83, vcc
	v_cndmask_b32_e32 v72, v72, v82, vcc
	;; [unrolled: 1-line block ×3, first 2 shown]
	s_cbranch_scc1 .LBB66_320
.LBB66_321:
	s_waitcnt lgkmcnt(0)
	v_cmp_eq_f64_e32 vcc, 0, v[72:73]
	s_and_saveexec_b64 s[0:1], vcc
	s_xor_b64 s[0:1], exec, s[0:1]
; %bb.322:
	v_cmp_ne_u32_e32 vcc, 0, v80
	v_cndmask_b32_e32 v80, 20, v80, vcc
; %bb.323:
	s_andn2_saveexec_b64 s[0:1], s[0:1]
; %bb.324:
	v_div_scale_f64 v[82:83], s[2:3], v[72:73], v[72:73], 1.0
	v_rcp_f64_e32 v[84:85], v[82:83]
	v_div_scale_f64 v[86:87], vcc, 1.0, v[72:73], 1.0
	v_fma_f64 v[88:89], -v[82:83], v[84:85], 1.0
	v_fmac_f64_e32 v[84:85], v[84:85], v[88:89]
	v_fma_f64 v[88:89], -v[82:83], v[84:85], 1.0
	v_fmac_f64_e32 v[84:85], v[84:85], v[88:89]
	v_mul_f64 v[88:89], v[86:87], v[84:85]
	v_fma_f64 v[82:83], -v[82:83], v[88:89], v[86:87]
	v_div_fmas_f64 v[82:83], v[82:83], v[84:85], v[88:89]
	v_div_fixup_f64 v[72:73], v[82:83], v[72:73], 1.0
; %bb.325:
	s_or_b64 exec, exec, s[0:1]
	v_cmp_ne_u32_e32 vcc, v77, v74
	s_and_saveexec_b64 s[0:1], vcc
	s_xor_b64 s[0:1], exec, s[0:1]
	s_cbranch_execz .LBB66_331
; %bb.326:
	v_cmp_eq_u32_e32 vcc, 19, v77
	s_and_saveexec_b64 s[2:3], vcc
	s_cbranch_execz .LBB66_330
; %bb.327:
	v_cmp_ne_u32_e32 vcc, 19, v74
	s_xor_b64 s[14:15], s[6:7], -1
	s_and_b64 s[16:17], s[14:15], vcc
	s_and_saveexec_b64 s[14:15], s[16:17]
	s_cbranch_execz .LBB66_329
; %bb.328:
	v_ashrrev_i32_e32 v75, 31, v74
	v_lshlrev_b64 v[82:83], 2, v[74:75]
	v_add_co_u32_e32 v82, vcc, v4, v82
	v_addc_co_u32_e32 v83, vcc, v5, v83, vcc
	flat_load_dword v75, v[82:83]
	flat_load_dword v77, v[4:5] offset:76
	s_waitcnt vmcnt(0) lgkmcnt(0)
	flat_store_dword v[4:5], v75 offset:76
	flat_store_dword v[82:83], v77
.LBB66_329:
	s_or_b64 exec, exec, s[14:15]
	v_mov_b32_e32 v75, v74
	v_mov_b32_e32 v77, v74
.LBB66_330:
	s_or_b64 exec, exec, s[2:3]
.LBB66_331:
	s_andn2_saveexec_b64 s[0:1], s[0:1]
	s_cbranch_execz .LBB66_333
; %bb.332:
	v_mov_b32_e32 v82, v28
	v_mov_b32_e32 v83, v29
	v_mov_b32_e32 v84, v26
	v_mov_b32_e32 v85, v27
	ds_write2_b64 v76, v[82:83], v[84:85] offset0:20 offset1:21
	v_mov_b32_e32 v82, v24
	v_mov_b32_e32 v83, v25
	v_mov_b32_e32 v84, v22
	v_mov_b32_e32 v85, v23
	ds_write2_b64 v76, v[82:83], v[84:85] offset0:22 offset1:23
	v_mov_b32_e32 v82, v20
	v_mov_b32_e32 v83, v21
	v_mov_b32_e32 v84, v18
	v_mov_b32_e32 v85, v19
	ds_write2_b64 v76, v[82:83], v[84:85] offset0:24 offset1:25
	v_mov_b32_e32 v82, v16
	v_mov_b32_e32 v83, v17
	v_mov_b32_e32 v84, v14
	v_mov_b32_e32 v85, v15
	ds_write2_b64 v76, v[82:83], v[84:85] offset0:26 offset1:27
	v_mov_b32_e32 v82, v12
	v_mov_b32_e32 v83, v13
	v_mov_b32_e32 v84, v8
	v_mov_b32_e32 v85, v9
	ds_write2_b64 v76, v[82:83], v[84:85] offset0:28 offset1:29
	v_mov_b32_e32 v82, v10
	v_mov_b32_e32 v83, v11
	v_mov_b32_e32 v84, v6
	v_mov_b32_e32 v85, v7
	ds_write2_b64 v76, v[82:83], v[84:85] offset0:30 offset1:31
	v_mov_b32_e32 v82, v0
	v_mov_b32_e32 v83, v1
	;; [unrolled: 1-line block ×3, first 2 shown]
	ds_write2_b64 v76, v[82:83], v[70:71] offset0:32 offset1:33
.LBB66_333:
	s_or_b64 exec, exec, s[0:1]
	v_cmp_lt_i32_e32 vcc, 19, v77
	s_waitcnt lgkmcnt(0)
	s_barrier
	s_and_saveexec_b64 s[0:1], vcc
	s_cbranch_execz .LBB66_335
; %bb.334:
	ds_read2_b64 v[82:85], v76 offset0:20 offset1:21
	ds_read2_b64 v[86:89], v76 offset0:22 offset1:23
	v_mul_f64 v[30:31], v[72:73], v[30:31]
	ds_read2_b64 v[90:93], v76 offset0:24 offset1:25
	s_waitcnt lgkmcnt(0)
	v_fma_f64 v[28:29], -v[30:31], v[82:83], v[28:29]
	v_fma_f64 v[26:27], -v[30:31], v[84:85], v[26:27]
	ds_read2_b64 v[82:85], v76 offset0:26 offset1:27
	v_fma_f64 v[24:25], -v[30:31], v[86:87], v[24:25]
	v_fma_f64 v[22:23], -v[30:31], v[88:89], v[22:23]
	;; [unrolled: 1-line block ×4, first 2 shown]
	ds_read2_b64 v[86:89], v76 offset0:28 offset1:29
	ds_read2_b64 v[90:93], v76 offset0:30 offset1:31
	s_waitcnt lgkmcnt(0)
	v_fma_f64 v[16:17], -v[30:31], v[82:83], v[16:17]
	v_fma_f64 v[14:15], -v[30:31], v[84:85], v[14:15]
	ds_read2_b64 v[82:85], v76 offset0:32 offset1:33
	v_fma_f64 v[12:13], -v[30:31], v[86:87], v[12:13]
	v_fma_f64 v[8:9], -v[30:31], v[88:89], v[8:9]
	;; [unrolled: 1-line block ×4, first 2 shown]
	s_waitcnt lgkmcnt(0)
	v_fma_f64 v[0:1], -v[30:31], v[82:83], v[0:1]
	v_fma_f64 v[70:71], -v[30:31], v[84:85], v[70:71]
.LBB66_335:
	s_or_b64 exec, exec, s[0:1]
	v_lshl_add_u32 v72, v77, 3, v76
	s_barrier
	ds_write_b64 v72, v[28:29]
	s_waitcnt lgkmcnt(0)
	s_barrier
	ds_read_b64 v[72:73], v76 offset:160
	s_cmp_lt_i32 s18, 22
	v_mov_b32_e32 v74, 20
	s_cbranch_scc1 .LBB66_338
; %bb.336:
	v_add_u32_e32 v81, 0xa8, v76
	s_mov_b32 s0, 21
	v_mov_b32_e32 v74, 20
.LBB66_337:                             ; =>This Inner Loop Header: Depth=1
	ds_read_b64 v[82:83], v81
	v_mov_b32_e32 v84, s0
	s_add_i32 s0, s0, 1
	v_add_u32_e32 v81, 8, v81
	s_cmp_lg_u32 s18, s0
	s_waitcnt lgkmcnt(0)
	v_cmp_lt_f64_e64 vcc, |v[72:73]|, |v[82:83]|
	v_cndmask_b32_e32 v73, v73, v83, vcc
	v_cndmask_b32_e32 v72, v72, v82, vcc
	;; [unrolled: 1-line block ×3, first 2 shown]
	s_cbranch_scc1 .LBB66_337
.LBB66_338:
	s_waitcnt lgkmcnt(0)
	v_cmp_eq_f64_e32 vcc, 0, v[72:73]
	s_and_saveexec_b64 s[0:1], vcc
	s_xor_b64 s[0:1], exec, s[0:1]
; %bb.339:
	v_cmp_ne_u32_e32 vcc, 0, v80
	v_cndmask_b32_e32 v80, 21, v80, vcc
; %bb.340:
	s_andn2_saveexec_b64 s[0:1], s[0:1]
; %bb.341:
	v_div_scale_f64 v[82:83], s[2:3], v[72:73], v[72:73], 1.0
	v_rcp_f64_e32 v[84:85], v[82:83]
	v_div_scale_f64 v[86:87], vcc, 1.0, v[72:73], 1.0
	v_fma_f64 v[88:89], -v[82:83], v[84:85], 1.0
	v_fmac_f64_e32 v[84:85], v[84:85], v[88:89]
	v_fma_f64 v[88:89], -v[82:83], v[84:85], 1.0
	v_fmac_f64_e32 v[84:85], v[84:85], v[88:89]
	v_mul_f64 v[88:89], v[86:87], v[84:85]
	v_fma_f64 v[82:83], -v[82:83], v[88:89], v[86:87]
	v_div_fmas_f64 v[82:83], v[82:83], v[84:85], v[88:89]
	v_div_fixup_f64 v[72:73], v[82:83], v[72:73], 1.0
; %bb.342:
	s_or_b64 exec, exec, s[0:1]
	v_cmp_ne_u32_e32 vcc, v77, v74
	s_and_saveexec_b64 s[0:1], vcc
	s_xor_b64 s[0:1], exec, s[0:1]
	s_cbranch_execz .LBB66_348
; %bb.343:
	v_cmp_eq_u32_e32 vcc, 20, v77
	s_and_saveexec_b64 s[2:3], vcc
	s_cbranch_execz .LBB66_347
; %bb.344:
	v_cmp_ne_u32_e32 vcc, 20, v74
	s_xor_b64 s[14:15], s[6:7], -1
	s_and_b64 s[16:17], s[14:15], vcc
	s_and_saveexec_b64 s[14:15], s[16:17]
	s_cbranch_execz .LBB66_346
; %bb.345:
	v_ashrrev_i32_e32 v75, 31, v74
	v_lshlrev_b64 v[82:83], 2, v[74:75]
	v_add_co_u32_e32 v82, vcc, v4, v82
	v_addc_co_u32_e32 v83, vcc, v5, v83, vcc
	flat_load_dword v75, v[82:83]
	flat_load_dword v77, v[4:5] offset:80
	s_waitcnt vmcnt(0) lgkmcnt(0)
	flat_store_dword v[4:5], v75 offset:80
	flat_store_dword v[82:83], v77
.LBB66_346:
	s_or_b64 exec, exec, s[14:15]
	v_mov_b32_e32 v75, v74
	v_mov_b32_e32 v77, v74
.LBB66_347:
	s_or_b64 exec, exec, s[2:3]
.LBB66_348:
	s_andn2_saveexec_b64 s[0:1], s[0:1]
	s_cbranch_execz .LBB66_350
; %bb.349:
	v_mov_b32_e32 v77, 20
	ds_write2_b64 v76, v[26:27], v[24:25] offset0:21 offset1:22
	ds_write2_b64 v76, v[22:23], v[20:21] offset0:23 offset1:24
	;; [unrolled: 1-line block ×6, first 2 shown]
	ds_write_b64 v76, v[70:71] offset:264
.LBB66_350:
	s_or_b64 exec, exec, s[0:1]
	v_cmp_lt_i32_e32 vcc, 20, v77
	s_waitcnt lgkmcnt(0)
	s_barrier
	s_and_saveexec_b64 s[0:1], vcc
	s_cbranch_execz .LBB66_352
; %bb.351:
	ds_read2_b64 v[82:85], v76 offset0:21 offset1:22
	ds_read2_b64 v[86:89], v76 offset0:23 offset1:24
	;; [unrolled: 1-line block ×3, first 2 shown]
	v_mul_f64 v[28:29], v[72:73], v[28:29]
	ds_read_b64 v[72:73], v76 offset:264
	s_waitcnt lgkmcnt(0)
	v_fma_f64 v[26:27], -v[28:29], v[82:83], v[26:27]
	v_fma_f64 v[24:25], -v[28:29], v[84:85], v[24:25]
	ds_read2_b64 v[82:85], v76 offset0:27 offset1:28
	v_fma_f64 v[22:23], -v[28:29], v[86:87], v[22:23]
	v_fma_f64 v[20:21], -v[28:29], v[88:89], v[20:21]
	;; [unrolled: 1-line block ×4, first 2 shown]
	ds_read2_b64 v[86:89], v76 offset0:29 offset1:30
	ds_read2_b64 v[90:93], v76 offset0:31 offset1:32
	s_waitcnt lgkmcnt(0)
	v_fma_f64 v[14:15], -v[28:29], v[82:83], v[14:15]
	v_fma_f64 v[12:13], -v[28:29], v[84:85], v[12:13]
	;; [unrolled: 1-line block ×7, first 2 shown]
.LBB66_352:
	s_or_b64 exec, exec, s[0:1]
	v_lshl_add_u32 v72, v77, 3, v76
	s_barrier
	ds_write_b64 v72, v[26:27]
	s_waitcnt lgkmcnt(0)
	s_barrier
	ds_read_b64 v[72:73], v76 offset:168
	s_cmp_lt_i32 s18, 23
	v_mov_b32_e32 v74, 21
	s_cbranch_scc1 .LBB66_355
; %bb.353:
	v_add_u32_e32 v81, 0xb0, v76
	s_mov_b32 s0, 22
	v_mov_b32_e32 v74, 21
.LBB66_354:                             ; =>This Inner Loop Header: Depth=1
	ds_read_b64 v[82:83], v81
	v_mov_b32_e32 v84, s0
	s_add_i32 s0, s0, 1
	v_add_u32_e32 v81, 8, v81
	s_cmp_lg_u32 s18, s0
	s_waitcnt lgkmcnt(0)
	v_cmp_lt_f64_e64 vcc, |v[72:73]|, |v[82:83]|
	v_cndmask_b32_e32 v73, v73, v83, vcc
	v_cndmask_b32_e32 v72, v72, v82, vcc
	;; [unrolled: 1-line block ×3, first 2 shown]
	s_cbranch_scc1 .LBB66_354
.LBB66_355:
	s_waitcnt lgkmcnt(0)
	v_cmp_eq_f64_e32 vcc, 0, v[72:73]
	s_and_saveexec_b64 s[0:1], vcc
	s_xor_b64 s[0:1], exec, s[0:1]
; %bb.356:
	v_cmp_ne_u32_e32 vcc, 0, v80
	v_cndmask_b32_e32 v80, 22, v80, vcc
; %bb.357:
	s_andn2_saveexec_b64 s[0:1], s[0:1]
; %bb.358:
	v_div_scale_f64 v[82:83], s[2:3], v[72:73], v[72:73], 1.0
	v_rcp_f64_e32 v[84:85], v[82:83]
	v_div_scale_f64 v[86:87], vcc, 1.0, v[72:73], 1.0
	v_fma_f64 v[88:89], -v[82:83], v[84:85], 1.0
	v_fmac_f64_e32 v[84:85], v[84:85], v[88:89]
	v_fma_f64 v[88:89], -v[82:83], v[84:85], 1.0
	v_fmac_f64_e32 v[84:85], v[84:85], v[88:89]
	v_mul_f64 v[88:89], v[86:87], v[84:85]
	v_fma_f64 v[82:83], -v[82:83], v[88:89], v[86:87]
	v_div_fmas_f64 v[82:83], v[82:83], v[84:85], v[88:89]
	v_div_fixup_f64 v[72:73], v[82:83], v[72:73], 1.0
; %bb.359:
	s_or_b64 exec, exec, s[0:1]
	v_cmp_ne_u32_e32 vcc, v77, v74
	s_and_saveexec_b64 s[0:1], vcc
	s_xor_b64 s[0:1], exec, s[0:1]
	s_cbranch_execz .LBB66_365
; %bb.360:
	v_cmp_eq_u32_e32 vcc, 21, v77
	s_and_saveexec_b64 s[2:3], vcc
	s_cbranch_execz .LBB66_364
; %bb.361:
	v_cmp_ne_u32_e32 vcc, 21, v74
	s_xor_b64 s[14:15], s[6:7], -1
	s_and_b64 s[16:17], s[14:15], vcc
	s_and_saveexec_b64 s[14:15], s[16:17]
	s_cbranch_execz .LBB66_363
; %bb.362:
	v_ashrrev_i32_e32 v75, 31, v74
	v_lshlrev_b64 v[82:83], 2, v[74:75]
	v_add_co_u32_e32 v82, vcc, v4, v82
	v_addc_co_u32_e32 v83, vcc, v5, v83, vcc
	flat_load_dword v75, v[82:83]
	flat_load_dword v77, v[4:5] offset:84
	s_waitcnt vmcnt(0) lgkmcnt(0)
	flat_store_dword v[4:5], v75 offset:84
	flat_store_dword v[82:83], v77
.LBB66_363:
	s_or_b64 exec, exec, s[14:15]
	v_mov_b32_e32 v75, v74
	v_mov_b32_e32 v77, v74
.LBB66_364:
	s_or_b64 exec, exec, s[2:3]
.LBB66_365:
	s_andn2_saveexec_b64 s[0:1], s[0:1]
	s_cbranch_execz .LBB66_367
; %bb.366:
	v_mov_b32_e32 v82, v24
	v_mov_b32_e32 v83, v25
	v_mov_b32_e32 v84, v22
	v_mov_b32_e32 v85, v23
	ds_write2_b64 v76, v[82:83], v[84:85] offset0:22 offset1:23
	v_mov_b32_e32 v82, v20
	v_mov_b32_e32 v83, v21
	v_mov_b32_e32 v84, v18
	v_mov_b32_e32 v85, v19
	ds_write2_b64 v76, v[82:83], v[84:85] offset0:24 offset1:25
	;; [unrolled: 5-line block ×5, first 2 shown]
	v_mov_b32_e32 v82, v0
	v_mov_b32_e32 v83, v1
	v_mov_b32_e32 v77, 21
	ds_write2_b64 v76, v[82:83], v[70:71] offset0:32 offset1:33
.LBB66_367:
	s_or_b64 exec, exec, s[0:1]
	v_cmp_lt_i32_e32 vcc, 21, v77
	s_waitcnt lgkmcnt(0)
	s_barrier
	s_and_saveexec_b64 s[0:1], vcc
	s_cbranch_execz .LBB66_369
; %bb.368:
	ds_read2_b64 v[82:85], v76 offset0:22 offset1:23
	ds_read2_b64 v[86:89], v76 offset0:24 offset1:25
	ds_read2_b64 v[90:93], v76 offset0:26 offset1:27
	v_mul_f64 v[26:27], v[72:73], v[26:27]
	s_waitcnt lgkmcnt(0)
	v_fma_f64 v[24:25], -v[26:27], v[82:83], v[24:25]
	v_fma_f64 v[22:23], -v[26:27], v[84:85], v[22:23]
	ds_read2_b64 v[82:85], v76 offset0:28 offset1:29
	v_fma_f64 v[20:21], -v[26:27], v[86:87], v[20:21]
	v_fma_f64 v[18:19], -v[26:27], v[88:89], v[18:19]
	;; [unrolled: 1-line block ×3, first 2 shown]
	ds_read2_b64 v[86:89], v76 offset0:30 offset1:31
	v_fma_f64 v[14:15], -v[26:27], v[92:93], v[14:15]
	ds_read2_b64 v[90:93], v76 offset0:32 offset1:33
	s_waitcnt lgkmcnt(0)
	v_fma_f64 v[12:13], -v[26:27], v[82:83], v[12:13]
	v_fma_f64 v[8:9], -v[26:27], v[84:85], v[8:9]
	;; [unrolled: 1-line block ×6, first 2 shown]
.LBB66_369:
	s_or_b64 exec, exec, s[0:1]
	v_lshl_add_u32 v72, v77, 3, v76
	s_barrier
	ds_write_b64 v72, v[24:25]
	s_waitcnt lgkmcnt(0)
	s_barrier
	ds_read_b64 v[72:73], v76 offset:176
	s_cmp_lt_i32 s18, 24
	v_mov_b32_e32 v74, 22
	s_cbranch_scc1 .LBB66_372
; %bb.370:
	v_add_u32_e32 v81, 0xb8, v76
	s_mov_b32 s0, 23
	v_mov_b32_e32 v74, 22
.LBB66_371:                             ; =>This Inner Loop Header: Depth=1
	ds_read_b64 v[82:83], v81
	v_mov_b32_e32 v84, s0
	s_add_i32 s0, s0, 1
	v_add_u32_e32 v81, 8, v81
	s_cmp_lg_u32 s18, s0
	s_waitcnt lgkmcnt(0)
	v_cmp_lt_f64_e64 vcc, |v[72:73]|, |v[82:83]|
	v_cndmask_b32_e32 v73, v73, v83, vcc
	v_cndmask_b32_e32 v72, v72, v82, vcc
	;; [unrolled: 1-line block ×3, first 2 shown]
	s_cbranch_scc1 .LBB66_371
.LBB66_372:
	s_waitcnt lgkmcnt(0)
	v_cmp_eq_f64_e32 vcc, 0, v[72:73]
	s_and_saveexec_b64 s[0:1], vcc
	s_xor_b64 s[0:1], exec, s[0:1]
; %bb.373:
	v_cmp_ne_u32_e32 vcc, 0, v80
	v_cndmask_b32_e32 v80, 23, v80, vcc
; %bb.374:
	s_andn2_saveexec_b64 s[0:1], s[0:1]
; %bb.375:
	v_div_scale_f64 v[82:83], s[2:3], v[72:73], v[72:73], 1.0
	v_rcp_f64_e32 v[84:85], v[82:83]
	v_div_scale_f64 v[86:87], vcc, 1.0, v[72:73], 1.0
	v_fma_f64 v[88:89], -v[82:83], v[84:85], 1.0
	v_fmac_f64_e32 v[84:85], v[84:85], v[88:89]
	v_fma_f64 v[88:89], -v[82:83], v[84:85], 1.0
	v_fmac_f64_e32 v[84:85], v[84:85], v[88:89]
	v_mul_f64 v[88:89], v[86:87], v[84:85]
	v_fma_f64 v[82:83], -v[82:83], v[88:89], v[86:87]
	v_div_fmas_f64 v[82:83], v[82:83], v[84:85], v[88:89]
	v_div_fixup_f64 v[72:73], v[82:83], v[72:73], 1.0
; %bb.376:
	s_or_b64 exec, exec, s[0:1]
	v_cmp_ne_u32_e32 vcc, v77, v74
	s_and_saveexec_b64 s[0:1], vcc
	s_xor_b64 s[0:1], exec, s[0:1]
	s_cbranch_execz .LBB66_382
; %bb.377:
	v_cmp_eq_u32_e32 vcc, 22, v77
	s_and_saveexec_b64 s[2:3], vcc
	s_cbranch_execz .LBB66_381
; %bb.378:
	v_cmp_ne_u32_e32 vcc, 22, v74
	s_xor_b64 s[14:15], s[6:7], -1
	s_and_b64 s[16:17], s[14:15], vcc
	s_and_saveexec_b64 s[14:15], s[16:17]
	s_cbranch_execz .LBB66_380
; %bb.379:
	v_ashrrev_i32_e32 v75, 31, v74
	v_lshlrev_b64 v[82:83], 2, v[74:75]
	v_add_co_u32_e32 v82, vcc, v4, v82
	v_addc_co_u32_e32 v83, vcc, v5, v83, vcc
	flat_load_dword v75, v[82:83]
	flat_load_dword v77, v[4:5] offset:88
	s_waitcnt vmcnt(0) lgkmcnt(0)
	flat_store_dword v[4:5], v75 offset:88
	flat_store_dword v[82:83], v77
.LBB66_380:
	s_or_b64 exec, exec, s[14:15]
	v_mov_b32_e32 v75, v74
	v_mov_b32_e32 v77, v74
.LBB66_381:
	s_or_b64 exec, exec, s[2:3]
.LBB66_382:
	s_andn2_saveexec_b64 s[0:1], s[0:1]
	s_cbranch_execz .LBB66_384
; %bb.383:
	v_mov_b32_e32 v77, 22
	ds_write2_b64 v76, v[22:23], v[20:21] offset0:23 offset1:24
	ds_write2_b64 v76, v[18:19], v[16:17] offset0:25 offset1:26
	;; [unrolled: 1-line block ×5, first 2 shown]
	ds_write_b64 v76, v[70:71] offset:264
.LBB66_384:
	s_or_b64 exec, exec, s[0:1]
	v_cmp_lt_i32_e32 vcc, 22, v77
	s_waitcnt lgkmcnt(0)
	s_barrier
	s_and_saveexec_b64 s[0:1], vcc
	s_cbranch_execz .LBB66_386
; %bb.385:
	ds_read2_b64 v[82:85], v76 offset0:23 offset1:24
	ds_read2_b64 v[86:89], v76 offset0:25 offset1:26
	v_mul_f64 v[24:25], v[72:73], v[24:25]
	ds_read2_b64 v[90:93], v76 offset0:27 offset1:28
	ds_read_b64 v[72:73], v76 offset:264
	s_waitcnt lgkmcnt(0)
	v_fma_f64 v[22:23], -v[24:25], v[82:83], v[22:23]
	v_fma_f64 v[20:21], -v[24:25], v[84:85], v[20:21]
	ds_read2_b64 v[82:85], v76 offset0:29 offset1:30
	v_fma_f64 v[18:19], -v[24:25], v[86:87], v[18:19]
	v_fma_f64 v[16:17], -v[24:25], v[88:89], v[16:17]
	ds_read2_b64 v[86:89], v76 offset0:31 offset1:32
	v_fma_f64 v[14:15], -v[24:25], v[90:91], v[14:15]
	v_fma_f64 v[12:13], -v[24:25], v[92:93], v[12:13]
	s_waitcnt lgkmcnt(0)
	v_fma_f64 v[8:9], -v[24:25], v[82:83], v[8:9]
	v_fma_f64 v[10:11], -v[24:25], v[84:85], v[10:11]
	;; [unrolled: 1-line block ×5, first 2 shown]
.LBB66_386:
	s_or_b64 exec, exec, s[0:1]
	v_lshl_add_u32 v72, v77, 3, v76
	s_barrier
	ds_write_b64 v72, v[22:23]
	s_waitcnt lgkmcnt(0)
	s_barrier
	ds_read_b64 v[72:73], v76 offset:184
	s_cmp_lt_i32 s18, 25
	v_mov_b32_e32 v74, 23
	s_cbranch_scc1 .LBB66_389
; %bb.387:
	v_add_u32_e32 v81, 0xc0, v76
	s_mov_b32 s0, 24
	v_mov_b32_e32 v74, 23
.LBB66_388:                             ; =>This Inner Loop Header: Depth=1
	ds_read_b64 v[82:83], v81
	v_mov_b32_e32 v84, s0
	s_add_i32 s0, s0, 1
	v_add_u32_e32 v81, 8, v81
	s_cmp_lg_u32 s18, s0
	s_waitcnt lgkmcnt(0)
	v_cmp_lt_f64_e64 vcc, |v[72:73]|, |v[82:83]|
	v_cndmask_b32_e32 v73, v73, v83, vcc
	v_cndmask_b32_e32 v72, v72, v82, vcc
	;; [unrolled: 1-line block ×3, first 2 shown]
	s_cbranch_scc1 .LBB66_388
.LBB66_389:
	s_waitcnt lgkmcnt(0)
	v_cmp_eq_f64_e32 vcc, 0, v[72:73]
	s_and_saveexec_b64 s[0:1], vcc
	s_xor_b64 s[0:1], exec, s[0:1]
; %bb.390:
	v_cmp_ne_u32_e32 vcc, 0, v80
	v_cndmask_b32_e32 v80, 24, v80, vcc
; %bb.391:
	s_andn2_saveexec_b64 s[0:1], s[0:1]
; %bb.392:
	v_div_scale_f64 v[82:83], s[2:3], v[72:73], v[72:73], 1.0
	v_rcp_f64_e32 v[84:85], v[82:83]
	v_div_scale_f64 v[86:87], vcc, 1.0, v[72:73], 1.0
	v_fma_f64 v[88:89], -v[82:83], v[84:85], 1.0
	v_fmac_f64_e32 v[84:85], v[84:85], v[88:89]
	v_fma_f64 v[88:89], -v[82:83], v[84:85], 1.0
	v_fmac_f64_e32 v[84:85], v[84:85], v[88:89]
	v_mul_f64 v[88:89], v[86:87], v[84:85]
	v_fma_f64 v[82:83], -v[82:83], v[88:89], v[86:87]
	v_div_fmas_f64 v[82:83], v[82:83], v[84:85], v[88:89]
	v_div_fixup_f64 v[72:73], v[82:83], v[72:73], 1.0
; %bb.393:
	s_or_b64 exec, exec, s[0:1]
	v_cmp_ne_u32_e32 vcc, v77, v74
	s_and_saveexec_b64 s[0:1], vcc
	s_xor_b64 s[0:1], exec, s[0:1]
	s_cbranch_execz .LBB66_399
; %bb.394:
	v_cmp_eq_u32_e32 vcc, 23, v77
	s_and_saveexec_b64 s[2:3], vcc
	s_cbranch_execz .LBB66_398
; %bb.395:
	v_cmp_ne_u32_e32 vcc, 23, v74
	s_xor_b64 s[14:15], s[6:7], -1
	s_and_b64 s[16:17], s[14:15], vcc
	s_and_saveexec_b64 s[14:15], s[16:17]
	s_cbranch_execz .LBB66_397
; %bb.396:
	v_ashrrev_i32_e32 v75, 31, v74
	v_lshlrev_b64 v[82:83], 2, v[74:75]
	v_add_co_u32_e32 v82, vcc, v4, v82
	v_addc_co_u32_e32 v83, vcc, v5, v83, vcc
	flat_load_dword v75, v[82:83]
	flat_load_dword v77, v[4:5] offset:92
	s_waitcnt vmcnt(0) lgkmcnt(0)
	flat_store_dword v[4:5], v75 offset:92
	flat_store_dword v[82:83], v77
.LBB66_397:
	s_or_b64 exec, exec, s[14:15]
	v_mov_b32_e32 v75, v74
	v_mov_b32_e32 v77, v74
.LBB66_398:
	s_or_b64 exec, exec, s[2:3]
.LBB66_399:
	s_andn2_saveexec_b64 s[0:1], s[0:1]
	s_cbranch_execz .LBB66_401
; %bb.400:
	v_mov_b32_e32 v82, v20
	v_mov_b32_e32 v83, v21
	v_mov_b32_e32 v84, v18
	v_mov_b32_e32 v85, v19
	ds_write2_b64 v76, v[82:83], v[84:85] offset0:24 offset1:25
	v_mov_b32_e32 v82, v16
	v_mov_b32_e32 v83, v17
	v_mov_b32_e32 v84, v14
	v_mov_b32_e32 v85, v15
	ds_write2_b64 v76, v[82:83], v[84:85] offset0:26 offset1:27
	;; [unrolled: 5-line block ×4, first 2 shown]
	v_mov_b32_e32 v82, v0
	v_mov_b32_e32 v83, v1
	;; [unrolled: 1-line block ×3, first 2 shown]
	ds_write2_b64 v76, v[82:83], v[70:71] offset0:32 offset1:33
.LBB66_401:
	s_or_b64 exec, exec, s[0:1]
	v_cmp_lt_i32_e32 vcc, 23, v77
	s_waitcnt lgkmcnt(0)
	s_barrier
	s_and_saveexec_b64 s[0:1], vcc
	s_cbranch_execz .LBB66_403
; %bb.402:
	ds_read2_b64 v[82:85], v76 offset0:24 offset1:25
	ds_read2_b64 v[86:89], v76 offset0:26 offset1:27
	v_mul_f64 v[22:23], v[72:73], v[22:23]
	ds_read2_b64 v[90:93], v76 offset0:30 offset1:31
	s_waitcnt lgkmcnt(0)
	v_fma_f64 v[20:21], -v[22:23], v[82:83], v[20:21]
	v_fma_f64 v[18:19], -v[22:23], v[84:85], v[18:19]
	ds_read2_b64 v[82:85], v76 offset0:28 offset1:29
	v_fma_f64 v[16:17], -v[22:23], v[86:87], v[16:17]
	v_fma_f64 v[14:15], -v[22:23], v[88:89], v[14:15]
	ds_read2_b64 v[86:89], v76 offset0:32 offset1:33
	v_fma_f64 v[10:11], -v[22:23], v[90:91], v[10:11]
	s_waitcnt lgkmcnt(0)
	v_fma_f64 v[12:13], -v[22:23], v[82:83], v[12:13]
	v_fma_f64 v[8:9], -v[22:23], v[84:85], v[8:9]
	;; [unrolled: 1-line block ×5, first 2 shown]
.LBB66_403:
	s_or_b64 exec, exec, s[0:1]
	v_lshl_add_u32 v72, v77, 3, v76
	s_barrier
	ds_write_b64 v72, v[20:21]
	s_waitcnt lgkmcnt(0)
	s_barrier
	ds_read_b64 v[72:73], v76 offset:192
	s_cmp_lt_i32 s18, 26
	v_mov_b32_e32 v74, 24
	s_cbranch_scc1 .LBB66_406
; %bb.404:
	v_add_u32_e32 v81, 0xc8, v76
	s_mov_b32 s0, 25
	v_mov_b32_e32 v74, 24
.LBB66_405:                             ; =>This Inner Loop Header: Depth=1
	ds_read_b64 v[82:83], v81
	v_mov_b32_e32 v84, s0
	s_add_i32 s0, s0, 1
	v_add_u32_e32 v81, 8, v81
	s_cmp_lg_u32 s18, s0
	s_waitcnt lgkmcnt(0)
	v_cmp_lt_f64_e64 vcc, |v[72:73]|, |v[82:83]|
	v_cndmask_b32_e32 v73, v73, v83, vcc
	v_cndmask_b32_e32 v72, v72, v82, vcc
	v_cndmask_b32_e32 v74, v74, v84, vcc
	s_cbranch_scc1 .LBB66_405
.LBB66_406:
	s_waitcnt lgkmcnt(0)
	v_cmp_eq_f64_e32 vcc, 0, v[72:73]
	s_and_saveexec_b64 s[0:1], vcc
	s_xor_b64 s[0:1], exec, s[0:1]
; %bb.407:
	v_cmp_ne_u32_e32 vcc, 0, v80
	v_cndmask_b32_e32 v80, 25, v80, vcc
; %bb.408:
	s_andn2_saveexec_b64 s[0:1], s[0:1]
; %bb.409:
	v_div_scale_f64 v[82:83], s[2:3], v[72:73], v[72:73], 1.0
	v_rcp_f64_e32 v[84:85], v[82:83]
	v_div_scale_f64 v[86:87], vcc, 1.0, v[72:73], 1.0
	v_fma_f64 v[88:89], -v[82:83], v[84:85], 1.0
	v_fmac_f64_e32 v[84:85], v[84:85], v[88:89]
	v_fma_f64 v[88:89], -v[82:83], v[84:85], 1.0
	v_fmac_f64_e32 v[84:85], v[84:85], v[88:89]
	v_mul_f64 v[88:89], v[86:87], v[84:85]
	v_fma_f64 v[82:83], -v[82:83], v[88:89], v[86:87]
	v_div_fmas_f64 v[82:83], v[82:83], v[84:85], v[88:89]
	v_div_fixup_f64 v[72:73], v[82:83], v[72:73], 1.0
; %bb.410:
	s_or_b64 exec, exec, s[0:1]
	v_cmp_ne_u32_e32 vcc, v77, v74
	s_and_saveexec_b64 s[0:1], vcc
	s_xor_b64 s[0:1], exec, s[0:1]
	s_cbranch_execz .LBB66_416
; %bb.411:
	v_cmp_eq_u32_e32 vcc, 24, v77
	s_and_saveexec_b64 s[2:3], vcc
	s_cbranch_execz .LBB66_415
; %bb.412:
	v_cmp_ne_u32_e32 vcc, 24, v74
	s_xor_b64 s[14:15], s[6:7], -1
	s_and_b64 s[16:17], s[14:15], vcc
	s_and_saveexec_b64 s[14:15], s[16:17]
	s_cbranch_execz .LBB66_414
; %bb.413:
	v_ashrrev_i32_e32 v75, 31, v74
	v_lshlrev_b64 v[82:83], 2, v[74:75]
	v_add_co_u32_e32 v82, vcc, v4, v82
	v_addc_co_u32_e32 v83, vcc, v5, v83, vcc
	flat_load_dword v75, v[82:83]
	flat_load_dword v77, v[4:5] offset:96
	s_waitcnt vmcnt(0) lgkmcnt(0)
	flat_store_dword v[4:5], v75 offset:96
	flat_store_dword v[82:83], v77
.LBB66_414:
	s_or_b64 exec, exec, s[14:15]
	v_mov_b32_e32 v75, v74
	v_mov_b32_e32 v77, v74
.LBB66_415:
	s_or_b64 exec, exec, s[2:3]
.LBB66_416:
	s_andn2_saveexec_b64 s[0:1], s[0:1]
	s_cbranch_execz .LBB66_418
; %bb.417:
	v_mov_b32_e32 v77, 24
	ds_write2_b64 v76, v[18:19], v[16:17] offset0:25 offset1:26
	ds_write2_b64 v76, v[14:15], v[12:13] offset0:27 offset1:28
	;; [unrolled: 1-line block ×4, first 2 shown]
	ds_write_b64 v76, v[70:71] offset:264
.LBB66_418:
	s_or_b64 exec, exec, s[0:1]
	v_cmp_lt_i32_e32 vcc, 24, v77
	s_waitcnt lgkmcnt(0)
	s_barrier
	s_and_saveexec_b64 s[0:1], vcc
	s_cbranch_execz .LBB66_420
; %bb.419:
	ds_read2_b64 v[82:85], v76 offset0:25 offset1:26
	ds_read2_b64 v[86:89], v76 offset0:27 offset1:28
	v_mul_f64 v[20:21], v[72:73], v[20:21]
	ds_read_b64 v[72:73], v76 offset:264
	ds_read2_b64 v[90:93], v76 offset0:31 offset1:32
	s_waitcnt lgkmcnt(0)
	v_fma_f64 v[18:19], -v[20:21], v[82:83], v[18:19]
	v_fma_f64 v[16:17], -v[20:21], v[84:85], v[16:17]
	ds_read2_b64 v[82:85], v76 offset0:29 offset1:30
	v_fma_f64 v[14:15], -v[20:21], v[86:87], v[14:15]
	v_fma_f64 v[12:13], -v[20:21], v[88:89], v[12:13]
	;; [unrolled: 1-line block ×4, first 2 shown]
	s_waitcnt lgkmcnt(0)
	v_fma_f64 v[8:9], -v[20:21], v[82:83], v[8:9]
	v_fma_f64 v[10:11], -v[20:21], v[84:85], v[10:11]
	v_fma_f64 v[70:71], -v[20:21], v[72:73], v[70:71]
.LBB66_420:
	s_or_b64 exec, exec, s[0:1]
	v_lshl_add_u32 v72, v77, 3, v76
	s_barrier
	ds_write_b64 v72, v[18:19]
	s_waitcnt lgkmcnt(0)
	s_barrier
	ds_read_b64 v[72:73], v76 offset:200
	s_cmp_lt_i32 s18, 27
	v_mov_b32_e32 v74, 25
	s_cbranch_scc1 .LBB66_423
; %bb.421:
	v_add_u32_e32 v81, 0xd0, v76
	s_mov_b32 s0, 26
	v_mov_b32_e32 v74, 25
.LBB66_422:                             ; =>This Inner Loop Header: Depth=1
	ds_read_b64 v[82:83], v81
	v_mov_b32_e32 v84, s0
	s_add_i32 s0, s0, 1
	v_add_u32_e32 v81, 8, v81
	s_cmp_lg_u32 s18, s0
	s_waitcnt lgkmcnt(0)
	v_cmp_lt_f64_e64 vcc, |v[72:73]|, |v[82:83]|
	v_cndmask_b32_e32 v73, v73, v83, vcc
	v_cndmask_b32_e32 v72, v72, v82, vcc
	;; [unrolled: 1-line block ×3, first 2 shown]
	s_cbranch_scc1 .LBB66_422
.LBB66_423:
	s_waitcnt lgkmcnt(0)
	v_cmp_eq_f64_e32 vcc, 0, v[72:73]
	s_and_saveexec_b64 s[0:1], vcc
	s_xor_b64 s[0:1], exec, s[0:1]
; %bb.424:
	v_cmp_ne_u32_e32 vcc, 0, v80
	v_cndmask_b32_e32 v80, 26, v80, vcc
; %bb.425:
	s_andn2_saveexec_b64 s[0:1], s[0:1]
; %bb.426:
	v_div_scale_f64 v[82:83], s[2:3], v[72:73], v[72:73], 1.0
	v_rcp_f64_e32 v[84:85], v[82:83]
	v_div_scale_f64 v[86:87], vcc, 1.0, v[72:73], 1.0
	v_fma_f64 v[88:89], -v[82:83], v[84:85], 1.0
	v_fmac_f64_e32 v[84:85], v[84:85], v[88:89]
	v_fma_f64 v[88:89], -v[82:83], v[84:85], 1.0
	v_fmac_f64_e32 v[84:85], v[84:85], v[88:89]
	v_mul_f64 v[88:89], v[86:87], v[84:85]
	v_fma_f64 v[82:83], -v[82:83], v[88:89], v[86:87]
	v_div_fmas_f64 v[82:83], v[82:83], v[84:85], v[88:89]
	v_div_fixup_f64 v[72:73], v[82:83], v[72:73], 1.0
; %bb.427:
	s_or_b64 exec, exec, s[0:1]
	v_cmp_ne_u32_e32 vcc, v77, v74
	s_and_saveexec_b64 s[0:1], vcc
	s_xor_b64 s[0:1], exec, s[0:1]
	s_cbranch_execz .LBB66_433
; %bb.428:
	v_cmp_eq_u32_e32 vcc, 25, v77
	s_and_saveexec_b64 s[2:3], vcc
	s_cbranch_execz .LBB66_432
; %bb.429:
	v_cmp_ne_u32_e32 vcc, 25, v74
	s_xor_b64 s[14:15], s[6:7], -1
	s_and_b64 s[16:17], s[14:15], vcc
	s_and_saveexec_b64 s[14:15], s[16:17]
	s_cbranch_execz .LBB66_431
; %bb.430:
	v_ashrrev_i32_e32 v75, 31, v74
	v_lshlrev_b64 v[82:83], 2, v[74:75]
	v_add_co_u32_e32 v82, vcc, v4, v82
	v_addc_co_u32_e32 v83, vcc, v5, v83, vcc
	flat_load_dword v75, v[82:83]
	flat_load_dword v77, v[4:5] offset:100
	s_waitcnt vmcnt(0) lgkmcnt(0)
	flat_store_dword v[4:5], v75 offset:100
	flat_store_dword v[82:83], v77
.LBB66_431:
	s_or_b64 exec, exec, s[14:15]
	v_mov_b32_e32 v75, v74
	v_mov_b32_e32 v77, v74
.LBB66_432:
	s_or_b64 exec, exec, s[2:3]
.LBB66_433:
	s_andn2_saveexec_b64 s[0:1], s[0:1]
	s_cbranch_execz .LBB66_435
; %bb.434:
	v_mov_b32_e32 v82, v16
	v_mov_b32_e32 v83, v17
	v_mov_b32_e32 v84, v14
	v_mov_b32_e32 v85, v15
	ds_write2_b64 v76, v[82:83], v[84:85] offset0:26 offset1:27
	v_mov_b32_e32 v82, v12
	v_mov_b32_e32 v83, v13
	v_mov_b32_e32 v84, v8
	v_mov_b32_e32 v85, v9
	ds_write2_b64 v76, v[82:83], v[84:85] offset0:28 offset1:29
	;; [unrolled: 5-line block ×3, first 2 shown]
	v_mov_b32_e32 v82, v0
	v_mov_b32_e32 v83, v1
	;; [unrolled: 1-line block ×3, first 2 shown]
	ds_write2_b64 v76, v[82:83], v[70:71] offset0:32 offset1:33
.LBB66_435:
	s_or_b64 exec, exec, s[0:1]
	v_cmp_lt_i32_e32 vcc, 25, v77
	s_waitcnt lgkmcnt(0)
	s_barrier
	s_and_saveexec_b64 s[0:1], vcc
	s_cbranch_execz .LBB66_437
; %bb.436:
	ds_read2_b64 v[82:85], v76 offset0:26 offset1:27
	ds_read2_b64 v[86:89], v76 offset0:28 offset1:29
	v_mul_f64 v[18:19], v[72:73], v[18:19]
	ds_read2_b64 v[90:93], v76 offset0:30 offset1:31
	s_waitcnt lgkmcnt(0)
	v_fma_f64 v[16:17], -v[18:19], v[82:83], v[16:17]
	v_fma_f64 v[14:15], -v[18:19], v[84:85], v[14:15]
	ds_read2_b64 v[82:85], v76 offset0:32 offset1:33
	v_fma_f64 v[12:13], -v[18:19], v[86:87], v[12:13]
	v_fma_f64 v[8:9], -v[18:19], v[88:89], v[8:9]
	;; [unrolled: 1-line block ×4, first 2 shown]
	s_waitcnt lgkmcnt(0)
	v_fma_f64 v[0:1], -v[18:19], v[82:83], v[0:1]
	v_fma_f64 v[70:71], -v[18:19], v[84:85], v[70:71]
.LBB66_437:
	s_or_b64 exec, exec, s[0:1]
	v_lshl_add_u32 v72, v77, 3, v76
	s_barrier
	ds_write_b64 v72, v[16:17]
	s_waitcnt lgkmcnt(0)
	s_barrier
	ds_read_b64 v[72:73], v76 offset:208
	s_cmp_lt_i32 s18, 28
	v_mov_b32_e32 v74, 26
	s_cbranch_scc1 .LBB66_440
; %bb.438:
	v_add_u32_e32 v81, 0xd8, v76
	s_mov_b32 s0, 27
	v_mov_b32_e32 v74, 26
.LBB66_439:                             ; =>This Inner Loop Header: Depth=1
	ds_read_b64 v[82:83], v81
	v_mov_b32_e32 v84, s0
	s_add_i32 s0, s0, 1
	v_add_u32_e32 v81, 8, v81
	s_cmp_lg_u32 s18, s0
	s_waitcnt lgkmcnt(0)
	v_cmp_lt_f64_e64 vcc, |v[72:73]|, |v[82:83]|
	v_cndmask_b32_e32 v73, v73, v83, vcc
	v_cndmask_b32_e32 v72, v72, v82, vcc
	;; [unrolled: 1-line block ×3, first 2 shown]
	s_cbranch_scc1 .LBB66_439
.LBB66_440:
	s_waitcnt lgkmcnt(0)
	v_cmp_eq_f64_e32 vcc, 0, v[72:73]
	s_and_saveexec_b64 s[0:1], vcc
	s_xor_b64 s[0:1], exec, s[0:1]
; %bb.441:
	v_cmp_ne_u32_e32 vcc, 0, v80
	v_cndmask_b32_e32 v80, 27, v80, vcc
; %bb.442:
	s_andn2_saveexec_b64 s[0:1], s[0:1]
; %bb.443:
	v_div_scale_f64 v[82:83], s[2:3], v[72:73], v[72:73], 1.0
	v_rcp_f64_e32 v[84:85], v[82:83]
	v_div_scale_f64 v[86:87], vcc, 1.0, v[72:73], 1.0
	v_fma_f64 v[88:89], -v[82:83], v[84:85], 1.0
	v_fmac_f64_e32 v[84:85], v[84:85], v[88:89]
	v_fma_f64 v[88:89], -v[82:83], v[84:85], 1.0
	v_fmac_f64_e32 v[84:85], v[84:85], v[88:89]
	v_mul_f64 v[88:89], v[86:87], v[84:85]
	v_fma_f64 v[82:83], -v[82:83], v[88:89], v[86:87]
	v_div_fmas_f64 v[82:83], v[82:83], v[84:85], v[88:89]
	v_div_fixup_f64 v[72:73], v[82:83], v[72:73], 1.0
; %bb.444:
	s_or_b64 exec, exec, s[0:1]
	v_cmp_ne_u32_e32 vcc, v77, v74
	s_and_saveexec_b64 s[0:1], vcc
	s_xor_b64 s[0:1], exec, s[0:1]
	s_cbranch_execz .LBB66_450
; %bb.445:
	v_cmp_eq_u32_e32 vcc, 26, v77
	s_and_saveexec_b64 s[2:3], vcc
	s_cbranch_execz .LBB66_449
; %bb.446:
	v_cmp_ne_u32_e32 vcc, 26, v74
	s_xor_b64 s[14:15], s[6:7], -1
	s_and_b64 s[16:17], s[14:15], vcc
	s_and_saveexec_b64 s[14:15], s[16:17]
	s_cbranch_execz .LBB66_448
; %bb.447:
	v_ashrrev_i32_e32 v75, 31, v74
	v_lshlrev_b64 v[82:83], 2, v[74:75]
	v_add_co_u32_e32 v82, vcc, v4, v82
	v_addc_co_u32_e32 v83, vcc, v5, v83, vcc
	flat_load_dword v75, v[82:83]
	flat_load_dword v77, v[4:5] offset:104
	s_waitcnt vmcnt(0) lgkmcnt(0)
	flat_store_dword v[4:5], v75 offset:104
	flat_store_dword v[82:83], v77
.LBB66_448:
	s_or_b64 exec, exec, s[14:15]
	v_mov_b32_e32 v75, v74
	v_mov_b32_e32 v77, v74
.LBB66_449:
	s_or_b64 exec, exec, s[2:3]
.LBB66_450:
	s_andn2_saveexec_b64 s[0:1], s[0:1]
	s_cbranch_execz .LBB66_452
; %bb.451:
	v_mov_b32_e32 v77, 26
	ds_write2_b64 v76, v[14:15], v[12:13] offset0:27 offset1:28
	ds_write2_b64 v76, v[8:9], v[10:11] offset0:29 offset1:30
	;; [unrolled: 1-line block ×3, first 2 shown]
	ds_write_b64 v76, v[70:71] offset:264
.LBB66_452:
	s_or_b64 exec, exec, s[0:1]
	v_cmp_lt_i32_e32 vcc, 26, v77
	s_waitcnt lgkmcnt(0)
	s_barrier
	s_and_saveexec_b64 s[0:1], vcc
	s_cbranch_execz .LBB66_454
; %bb.453:
	ds_read2_b64 v[82:85], v76 offset0:27 offset1:28
	ds_read2_b64 v[86:89], v76 offset0:29 offset1:30
	v_mul_f64 v[16:17], v[72:73], v[16:17]
	ds_read2_b64 v[90:93], v76 offset0:31 offset1:32
	ds_read_b64 v[72:73], v76 offset:264
	s_waitcnt lgkmcnt(0)
	v_fma_f64 v[14:15], -v[16:17], v[82:83], v[14:15]
	v_fma_f64 v[12:13], -v[16:17], v[84:85], v[12:13]
	;; [unrolled: 1-line block ×7, first 2 shown]
.LBB66_454:
	s_or_b64 exec, exec, s[0:1]
	v_lshl_add_u32 v72, v77, 3, v76
	s_barrier
	ds_write_b64 v72, v[14:15]
	s_waitcnt lgkmcnt(0)
	s_barrier
	ds_read_b64 v[72:73], v76 offset:216
	s_cmp_lt_i32 s18, 29
	v_mov_b32_e32 v74, 27
	s_cbranch_scc1 .LBB66_457
; %bb.455:
	v_add_u32_e32 v81, 0xe0, v76
	s_mov_b32 s0, 28
	v_mov_b32_e32 v74, 27
.LBB66_456:                             ; =>This Inner Loop Header: Depth=1
	ds_read_b64 v[82:83], v81
	v_mov_b32_e32 v84, s0
	s_add_i32 s0, s0, 1
	v_add_u32_e32 v81, 8, v81
	s_cmp_lg_u32 s18, s0
	s_waitcnt lgkmcnt(0)
	v_cmp_lt_f64_e64 vcc, |v[72:73]|, |v[82:83]|
	v_cndmask_b32_e32 v73, v73, v83, vcc
	v_cndmask_b32_e32 v72, v72, v82, vcc
	;; [unrolled: 1-line block ×3, first 2 shown]
	s_cbranch_scc1 .LBB66_456
.LBB66_457:
	s_waitcnt lgkmcnt(0)
	v_cmp_eq_f64_e32 vcc, 0, v[72:73]
	s_and_saveexec_b64 s[0:1], vcc
	s_xor_b64 s[0:1], exec, s[0:1]
; %bb.458:
	v_cmp_ne_u32_e32 vcc, 0, v80
	v_cndmask_b32_e32 v80, 28, v80, vcc
; %bb.459:
	s_andn2_saveexec_b64 s[0:1], s[0:1]
; %bb.460:
	v_div_scale_f64 v[82:83], s[2:3], v[72:73], v[72:73], 1.0
	v_rcp_f64_e32 v[84:85], v[82:83]
	v_div_scale_f64 v[86:87], vcc, 1.0, v[72:73], 1.0
	v_fma_f64 v[88:89], -v[82:83], v[84:85], 1.0
	v_fmac_f64_e32 v[84:85], v[84:85], v[88:89]
	v_fma_f64 v[88:89], -v[82:83], v[84:85], 1.0
	v_fmac_f64_e32 v[84:85], v[84:85], v[88:89]
	v_mul_f64 v[88:89], v[86:87], v[84:85]
	v_fma_f64 v[82:83], -v[82:83], v[88:89], v[86:87]
	v_div_fmas_f64 v[82:83], v[82:83], v[84:85], v[88:89]
	v_div_fixup_f64 v[72:73], v[82:83], v[72:73], 1.0
; %bb.461:
	s_or_b64 exec, exec, s[0:1]
	v_cmp_ne_u32_e32 vcc, v77, v74
	s_and_saveexec_b64 s[0:1], vcc
	s_xor_b64 s[0:1], exec, s[0:1]
	s_cbranch_execz .LBB66_467
; %bb.462:
	v_cmp_eq_u32_e32 vcc, 27, v77
	s_and_saveexec_b64 s[2:3], vcc
	s_cbranch_execz .LBB66_466
; %bb.463:
	v_cmp_ne_u32_e32 vcc, 27, v74
	s_xor_b64 s[14:15], s[6:7], -1
	s_and_b64 s[16:17], s[14:15], vcc
	s_and_saveexec_b64 s[14:15], s[16:17]
	s_cbranch_execz .LBB66_465
; %bb.464:
	v_ashrrev_i32_e32 v75, 31, v74
	v_lshlrev_b64 v[82:83], 2, v[74:75]
	v_add_co_u32_e32 v82, vcc, v4, v82
	v_addc_co_u32_e32 v83, vcc, v5, v83, vcc
	flat_load_dword v75, v[82:83]
	flat_load_dword v77, v[4:5] offset:108
	s_waitcnt vmcnt(0) lgkmcnt(0)
	flat_store_dword v[4:5], v75 offset:108
	flat_store_dword v[82:83], v77
.LBB66_465:
	s_or_b64 exec, exec, s[14:15]
	v_mov_b32_e32 v75, v74
	v_mov_b32_e32 v77, v74
.LBB66_466:
	s_or_b64 exec, exec, s[2:3]
.LBB66_467:
	s_andn2_saveexec_b64 s[0:1], s[0:1]
	s_cbranch_execz .LBB66_469
; %bb.468:
	v_mov_b32_e32 v82, v12
	v_mov_b32_e32 v83, v13
	;; [unrolled: 1-line block ×4, first 2 shown]
	ds_write2_b64 v76, v[82:83], v[84:85] offset0:28 offset1:29
	v_mov_b32_e32 v82, v10
	v_mov_b32_e32 v83, v11
	;; [unrolled: 1-line block ×4, first 2 shown]
	ds_write2_b64 v76, v[82:83], v[84:85] offset0:30 offset1:31
	v_mov_b32_e32 v82, v0
	v_mov_b32_e32 v83, v1
	;; [unrolled: 1-line block ×3, first 2 shown]
	ds_write2_b64 v76, v[82:83], v[70:71] offset0:32 offset1:33
.LBB66_469:
	s_or_b64 exec, exec, s[0:1]
	v_cmp_lt_i32_e32 vcc, 27, v77
	s_waitcnt lgkmcnt(0)
	s_barrier
	s_and_saveexec_b64 s[0:1], vcc
	s_cbranch_execz .LBB66_471
; %bb.470:
	ds_read2_b64 v[82:85], v76 offset0:28 offset1:29
	ds_read2_b64 v[86:89], v76 offset0:30 offset1:31
	;; [unrolled: 1-line block ×3, first 2 shown]
	v_mul_f64 v[14:15], v[72:73], v[14:15]
	s_waitcnt lgkmcnt(0)
	v_fma_f64 v[12:13], -v[14:15], v[82:83], v[12:13]
	v_fma_f64 v[8:9], -v[14:15], v[84:85], v[8:9]
	;; [unrolled: 1-line block ×6, first 2 shown]
.LBB66_471:
	s_or_b64 exec, exec, s[0:1]
	v_lshl_add_u32 v72, v77, 3, v76
	s_barrier
	ds_write_b64 v72, v[12:13]
	s_waitcnt lgkmcnt(0)
	s_barrier
	ds_read_b64 v[72:73], v76 offset:224
	s_cmp_lt_i32 s18, 30
	v_mov_b32_e32 v74, 28
	s_cbranch_scc1 .LBB66_474
; %bb.472:
	v_add_u32_e32 v81, 0xe8, v76
	s_mov_b32 s0, 29
	v_mov_b32_e32 v74, 28
.LBB66_473:                             ; =>This Inner Loop Header: Depth=1
	ds_read_b64 v[82:83], v81
	v_mov_b32_e32 v84, s0
	s_add_i32 s0, s0, 1
	v_add_u32_e32 v81, 8, v81
	s_cmp_lg_u32 s18, s0
	s_waitcnt lgkmcnt(0)
	v_cmp_lt_f64_e64 vcc, |v[72:73]|, |v[82:83]|
	v_cndmask_b32_e32 v73, v73, v83, vcc
	v_cndmask_b32_e32 v72, v72, v82, vcc
	;; [unrolled: 1-line block ×3, first 2 shown]
	s_cbranch_scc1 .LBB66_473
.LBB66_474:
	s_waitcnt lgkmcnt(0)
	v_cmp_eq_f64_e32 vcc, 0, v[72:73]
	s_and_saveexec_b64 s[0:1], vcc
	s_xor_b64 s[0:1], exec, s[0:1]
; %bb.475:
	v_cmp_ne_u32_e32 vcc, 0, v80
	v_cndmask_b32_e32 v80, 29, v80, vcc
; %bb.476:
	s_andn2_saveexec_b64 s[0:1], s[0:1]
; %bb.477:
	v_div_scale_f64 v[82:83], s[2:3], v[72:73], v[72:73], 1.0
	v_rcp_f64_e32 v[84:85], v[82:83]
	v_div_scale_f64 v[86:87], vcc, 1.0, v[72:73], 1.0
	v_fma_f64 v[88:89], -v[82:83], v[84:85], 1.0
	v_fmac_f64_e32 v[84:85], v[84:85], v[88:89]
	v_fma_f64 v[88:89], -v[82:83], v[84:85], 1.0
	v_fmac_f64_e32 v[84:85], v[84:85], v[88:89]
	v_mul_f64 v[88:89], v[86:87], v[84:85]
	v_fma_f64 v[82:83], -v[82:83], v[88:89], v[86:87]
	v_div_fmas_f64 v[82:83], v[82:83], v[84:85], v[88:89]
	v_div_fixup_f64 v[72:73], v[82:83], v[72:73], 1.0
; %bb.478:
	s_or_b64 exec, exec, s[0:1]
	v_cmp_ne_u32_e32 vcc, v77, v74
	s_and_saveexec_b64 s[0:1], vcc
	s_xor_b64 s[0:1], exec, s[0:1]
	s_cbranch_execz .LBB66_484
; %bb.479:
	v_cmp_eq_u32_e32 vcc, 28, v77
	s_and_saveexec_b64 s[2:3], vcc
	s_cbranch_execz .LBB66_483
; %bb.480:
	v_cmp_ne_u32_e32 vcc, 28, v74
	s_xor_b64 s[14:15], s[6:7], -1
	s_and_b64 s[16:17], s[14:15], vcc
	s_and_saveexec_b64 s[14:15], s[16:17]
	s_cbranch_execz .LBB66_482
; %bb.481:
	v_ashrrev_i32_e32 v75, 31, v74
	v_lshlrev_b64 v[82:83], 2, v[74:75]
	v_add_co_u32_e32 v82, vcc, v4, v82
	v_addc_co_u32_e32 v83, vcc, v5, v83, vcc
	flat_load_dword v75, v[82:83]
	flat_load_dword v77, v[4:5] offset:112
	s_waitcnt vmcnt(0) lgkmcnt(0)
	flat_store_dword v[4:5], v75 offset:112
	flat_store_dword v[82:83], v77
.LBB66_482:
	s_or_b64 exec, exec, s[14:15]
	v_mov_b32_e32 v75, v74
	v_mov_b32_e32 v77, v74
.LBB66_483:
	s_or_b64 exec, exec, s[2:3]
.LBB66_484:
	s_andn2_saveexec_b64 s[0:1], s[0:1]
	s_cbranch_execz .LBB66_486
; %bb.485:
	v_mov_b32_e32 v77, 28
	ds_write2_b64 v76, v[8:9], v[10:11] offset0:29 offset1:30
	ds_write2_b64 v76, v[6:7], v[0:1] offset0:31 offset1:32
	ds_write_b64 v76, v[70:71] offset:264
.LBB66_486:
	s_or_b64 exec, exec, s[0:1]
	v_cmp_lt_i32_e32 vcc, 28, v77
	s_waitcnt lgkmcnt(0)
	s_barrier
	s_and_saveexec_b64 s[0:1], vcc
	s_cbranch_execz .LBB66_488
; %bb.487:
	ds_read2_b64 v[82:85], v76 offset0:29 offset1:30
	ds_read2_b64 v[86:89], v76 offset0:31 offset1:32
	v_mul_f64 v[12:13], v[72:73], v[12:13]
	ds_read_b64 v[72:73], v76 offset:264
	s_waitcnt lgkmcnt(0)
	v_fma_f64 v[8:9], -v[12:13], v[82:83], v[8:9]
	v_fma_f64 v[10:11], -v[12:13], v[84:85], v[10:11]
	;; [unrolled: 1-line block ×5, first 2 shown]
.LBB66_488:
	s_or_b64 exec, exec, s[0:1]
	v_lshl_add_u32 v72, v77, 3, v76
	s_barrier
	ds_write_b64 v72, v[8:9]
	s_waitcnt lgkmcnt(0)
	s_barrier
	ds_read_b64 v[72:73], v76 offset:232
	s_cmp_lt_i32 s18, 31
	v_mov_b32_e32 v74, 29
	s_cbranch_scc1 .LBB66_491
; %bb.489:
	v_add_u32_e32 v81, 0xf0, v76
	s_mov_b32 s0, 30
	v_mov_b32_e32 v74, 29
.LBB66_490:                             ; =>This Inner Loop Header: Depth=1
	ds_read_b64 v[82:83], v81
	v_mov_b32_e32 v84, s0
	s_add_i32 s0, s0, 1
	v_add_u32_e32 v81, 8, v81
	s_cmp_lg_u32 s18, s0
	s_waitcnt lgkmcnt(0)
	v_cmp_lt_f64_e64 vcc, |v[72:73]|, |v[82:83]|
	v_cndmask_b32_e32 v73, v73, v83, vcc
	v_cndmask_b32_e32 v72, v72, v82, vcc
	;; [unrolled: 1-line block ×3, first 2 shown]
	s_cbranch_scc1 .LBB66_490
.LBB66_491:
	s_waitcnt lgkmcnt(0)
	v_cmp_eq_f64_e32 vcc, 0, v[72:73]
	s_and_saveexec_b64 s[0:1], vcc
	s_xor_b64 s[0:1], exec, s[0:1]
; %bb.492:
	v_cmp_ne_u32_e32 vcc, 0, v80
	v_cndmask_b32_e32 v80, 30, v80, vcc
; %bb.493:
	s_andn2_saveexec_b64 s[0:1], s[0:1]
; %bb.494:
	v_div_scale_f64 v[82:83], s[2:3], v[72:73], v[72:73], 1.0
	v_rcp_f64_e32 v[84:85], v[82:83]
	v_div_scale_f64 v[86:87], vcc, 1.0, v[72:73], 1.0
	v_fma_f64 v[88:89], -v[82:83], v[84:85], 1.0
	v_fmac_f64_e32 v[84:85], v[84:85], v[88:89]
	v_fma_f64 v[88:89], -v[82:83], v[84:85], 1.0
	v_fmac_f64_e32 v[84:85], v[84:85], v[88:89]
	v_mul_f64 v[88:89], v[86:87], v[84:85]
	v_fma_f64 v[82:83], -v[82:83], v[88:89], v[86:87]
	v_div_fmas_f64 v[82:83], v[82:83], v[84:85], v[88:89]
	v_div_fixup_f64 v[72:73], v[82:83], v[72:73], 1.0
; %bb.495:
	s_or_b64 exec, exec, s[0:1]
	v_cmp_ne_u32_e32 vcc, v77, v74
	s_and_saveexec_b64 s[0:1], vcc
	s_xor_b64 s[0:1], exec, s[0:1]
	s_cbranch_execz .LBB66_501
; %bb.496:
	v_cmp_eq_u32_e32 vcc, 29, v77
	s_and_saveexec_b64 s[2:3], vcc
	s_cbranch_execz .LBB66_500
; %bb.497:
	v_cmp_ne_u32_e32 vcc, 29, v74
	s_xor_b64 s[14:15], s[6:7], -1
	s_and_b64 s[16:17], s[14:15], vcc
	s_and_saveexec_b64 s[14:15], s[16:17]
	s_cbranch_execz .LBB66_499
; %bb.498:
	v_ashrrev_i32_e32 v75, 31, v74
	v_lshlrev_b64 v[82:83], 2, v[74:75]
	v_add_co_u32_e32 v82, vcc, v4, v82
	v_addc_co_u32_e32 v83, vcc, v5, v83, vcc
	flat_load_dword v75, v[82:83]
	flat_load_dword v77, v[4:5] offset:116
	s_waitcnt vmcnt(0) lgkmcnt(0)
	flat_store_dword v[4:5], v75 offset:116
	flat_store_dword v[82:83], v77
.LBB66_499:
	s_or_b64 exec, exec, s[14:15]
	v_mov_b32_e32 v75, v74
	v_mov_b32_e32 v77, v74
.LBB66_500:
	s_or_b64 exec, exec, s[2:3]
.LBB66_501:
	s_andn2_saveexec_b64 s[0:1], s[0:1]
	s_cbranch_execz .LBB66_503
; %bb.502:
	v_mov_b32_e32 v82, v10
	v_mov_b32_e32 v83, v11
	;; [unrolled: 1-line block ×4, first 2 shown]
	ds_write2_b64 v76, v[82:83], v[84:85] offset0:30 offset1:31
	v_mov_b32_e32 v82, v0
	v_mov_b32_e32 v83, v1
	v_mov_b32_e32 v77, 29
	ds_write2_b64 v76, v[82:83], v[70:71] offset0:32 offset1:33
.LBB66_503:
	s_or_b64 exec, exec, s[0:1]
	v_cmp_lt_i32_e32 vcc, 29, v77
	s_waitcnt lgkmcnt(0)
	s_barrier
	s_and_saveexec_b64 s[0:1], vcc
	s_cbranch_execz .LBB66_505
; %bb.504:
	ds_read2_b64 v[82:85], v76 offset0:30 offset1:31
	ds_read2_b64 v[86:89], v76 offset0:32 offset1:33
	v_mul_f64 v[8:9], v[72:73], v[8:9]
	s_waitcnt lgkmcnt(0)
	v_fma_f64 v[10:11], -v[8:9], v[82:83], v[10:11]
	v_fma_f64 v[6:7], -v[8:9], v[84:85], v[6:7]
	;; [unrolled: 1-line block ×4, first 2 shown]
.LBB66_505:
	s_or_b64 exec, exec, s[0:1]
	v_lshl_add_u32 v72, v77, 3, v76
	s_barrier
	ds_write_b64 v72, v[10:11]
	s_waitcnt lgkmcnt(0)
	s_barrier
	ds_read_b64 v[72:73], v76 offset:240
	s_cmp_lt_i32 s18, 32
	v_mov_b32_e32 v74, 30
	s_cbranch_scc1 .LBB66_508
; %bb.506:
	v_add_u32_e32 v81, 0xf8, v76
	s_mov_b32 s0, 31
	v_mov_b32_e32 v74, 30
.LBB66_507:                             ; =>This Inner Loop Header: Depth=1
	ds_read_b64 v[82:83], v81
	v_mov_b32_e32 v84, s0
	s_add_i32 s0, s0, 1
	v_add_u32_e32 v81, 8, v81
	s_cmp_lg_u32 s18, s0
	s_waitcnt lgkmcnt(0)
	v_cmp_lt_f64_e64 vcc, |v[72:73]|, |v[82:83]|
	v_cndmask_b32_e32 v73, v73, v83, vcc
	v_cndmask_b32_e32 v72, v72, v82, vcc
	;; [unrolled: 1-line block ×3, first 2 shown]
	s_cbranch_scc1 .LBB66_507
.LBB66_508:
	s_waitcnt lgkmcnt(0)
	v_cmp_eq_f64_e32 vcc, 0, v[72:73]
	s_and_saveexec_b64 s[0:1], vcc
	s_xor_b64 s[0:1], exec, s[0:1]
; %bb.509:
	v_cmp_ne_u32_e32 vcc, 0, v80
	v_cndmask_b32_e32 v80, 31, v80, vcc
; %bb.510:
	s_andn2_saveexec_b64 s[0:1], s[0:1]
; %bb.511:
	v_div_scale_f64 v[82:83], s[2:3], v[72:73], v[72:73], 1.0
	v_rcp_f64_e32 v[84:85], v[82:83]
	v_div_scale_f64 v[86:87], vcc, 1.0, v[72:73], 1.0
	v_fma_f64 v[88:89], -v[82:83], v[84:85], 1.0
	v_fmac_f64_e32 v[84:85], v[84:85], v[88:89]
	v_fma_f64 v[88:89], -v[82:83], v[84:85], 1.0
	v_fmac_f64_e32 v[84:85], v[84:85], v[88:89]
	v_mul_f64 v[88:89], v[86:87], v[84:85]
	v_fma_f64 v[82:83], -v[82:83], v[88:89], v[86:87]
	v_div_fmas_f64 v[82:83], v[82:83], v[84:85], v[88:89]
	v_div_fixup_f64 v[72:73], v[82:83], v[72:73], 1.0
; %bb.512:
	s_or_b64 exec, exec, s[0:1]
	v_cmp_ne_u32_e32 vcc, v77, v74
	s_and_saveexec_b64 s[0:1], vcc
	s_xor_b64 s[0:1], exec, s[0:1]
	s_cbranch_execz .LBB66_518
; %bb.513:
	v_cmp_eq_u32_e32 vcc, 30, v77
	s_and_saveexec_b64 s[2:3], vcc
	s_cbranch_execz .LBB66_517
; %bb.514:
	v_cmp_ne_u32_e32 vcc, 30, v74
	s_xor_b64 s[14:15], s[6:7], -1
	s_and_b64 s[16:17], s[14:15], vcc
	s_and_saveexec_b64 s[14:15], s[16:17]
	s_cbranch_execz .LBB66_516
; %bb.515:
	v_ashrrev_i32_e32 v75, 31, v74
	v_lshlrev_b64 v[82:83], 2, v[74:75]
	v_add_co_u32_e32 v82, vcc, v4, v82
	v_addc_co_u32_e32 v83, vcc, v5, v83, vcc
	flat_load_dword v75, v[82:83]
	flat_load_dword v77, v[4:5] offset:120
	s_waitcnt vmcnt(0) lgkmcnt(0)
	flat_store_dword v[4:5], v75 offset:120
	flat_store_dword v[82:83], v77
.LBB66_516:
	s_or_b64 exec, exec, s[14:15]
	v_mov_b32_e32 v75, v74
	v_mov_b32_e32 v77, v74
.LBB66_517:
	s_or_b64 exec, exec, s[2:3]
.LBB66_518:
	s_andn2_saveexec_b64 s[0:1], s[0:1]
	s_cbranch_execz .LBB66_520
; %bb.519:
	v_mov_b32_e32 v77, 30
	ds_write2_b64 v76, v[6:7], v[0:1] offset0:31 offset1:32
	ds_write_b64 v76, v[70:71] offset:264
.LBB66_520:
	s_or_b64 exec, exec, s[0:1]
	v_cmp_lt_i32_e32 vcc, 30, v77
	s_waitcnt lgkmcnt(0)
	s_barrier
	s_and_saveexec_b64 s[0:1], vcc
	s_cbranch_execz .LBB66_522
; %bb.521:
	ds_read2_b64 v[82:85], v76 offset0:31 offset1:32
	ds_read_b64 v[86:87], v76 offset:264
	v_mul_f64 v[10:11], v[72:73], v[10:11]
	s_waitcnt lgkmcnt(0)
	v_fma_f64 v[6:7], -v[10:11], v[82:83], v[6:7]
	v_fma_f64 v[0:1], -v[10:11], v[84:85], v[0:1]
	;; [unrolled: 1-line block ×3, first 2 shown]
.LBB66_522:
	s_or_b64 exec, exec, s[0:1]
	v_lshl_add_u32 v72, v77, 3, v76
	s_barrier
	ds_write_b64 v72, v[6:7]
	s_waitcnt lgkmcnt(0)
	s_barrier
	ds_read_b64 v[72:73], v76 offset:248
	s_cmp_lt_i32 s18, 33
	v_mov_b32_e32 v74, 31
	s_cbranch_scc1 .LBB66_525
; %bb.523:
	v_add_u32_e32 v81, 0x100, v76
	s_mov_b32 s0, 32
	v_mov_b32_e32 v74, 31
.LBB66_524:                             ; =>This Inner Loop Header: Depth=1
	ds_read_b64 v[82:83], v81
	v_mov_b32_e32 v84, s0
	s_add_i32 s0, s0, 1
	v_add_u32_e32 v81, 8, v81
	s_cmp_lg_u32 s18, s0
	s_waitcnt lgkmcnt(0)
	v_cmp_lt_f64_e64 vcc, |v[72:73]|, |v[82:83]|
	v_cndmask_b32_e32 v73, v73, v83, vcc
	v_cndmask_b32_e32 v72, v72, v82, vcc
	;; [unrolled: 1-line block ×3, first 2 shown]
	s_cbranch_scc1 .LBB66_524
.LBB66_525:
	s_waitcnt lgkmcnt(0)
	v_cmp_eq_f64_e32 vcc, 0, v[72:73]
	s_and_saveexec_b64 s[0:1], vcc
	s_xor_b64 s[0:1], exec, s[0:1]
; %bb.526:
	v_cmp_ne_u32_e32 vcc, 0, v80
	v_cndmask_b32_e32 v80, 32, v80, vcc
; %bb.527:
	s_andn2_saveexec_b64 s[0:1], s[0:1]
; %bb.528:
	v_div_scale_f64 v[82:83], s[2:3], v[72:73], v[72:73], 1.0
	v_rcp_f64_e32 v[84:85], v[82:83]
	v_div_scale_f64 v[86:87], vcc, 1.0, v[72:73], 1.0
	v_fma_f64 v[88:89], -v[82:83], v[84:85], 1.0
	v_fmac_f64_e32 v[84:85], v[84:85], v[88:89]
	v_fma_f64 v[88:89], -v[82:83], v[84:85], 1.0
	v_fmac_f64_e32 v[84:85], v[84:85], v[88:89]
	v_mul_f64 v[88:89], v[86:87], v[84:85]
	v_fma_f64 v[82:83], -v[82:83], v[88:89], v[86:87]
	v_div_fmas_f64 v[82:83], v[82:83], v[84:85], v[88:89]
	v_div_fixup_f64 v[72:73], v[82:83], v[72:73], 1.0
; %bb.529:
	s_or_b64 exec, exec, s[0:1]
	v_cmp_ne_u32_e32 vcc, v77, v74
	s_and_saveexec_b64 s[0:1], vcc
	s_xor_b64 s[0:1], exec, s[0:1]
	s_cbranch_execz .LBB66_535
; %bb.530:
	v_cmp_eq_u32_e32 vcc, 31, v77
	s_and_saveexec_b64 s[2:3], vcc
	s_cbranch_execz .LBB66_534
; %bb.531:
	v_cmp_ne_u32_e32 vcc, 31, v74
	s_xor_b64 s[14:15], s[6:7], -1
	s_and_b64 s[16:17], s[14:15], vcc
	s_and_saveexec_b64 s[14:15], s[16:17]
	s_cbranch_execz .LBB66_533
; %bb.532:
	v_ashrrev_i32_e32 v75, 31, v74
	v_lshlrev_b64 v[82:83], 2, v[74:75]
	v_add_co_u32_e32 v82, vcc, v4, v82
	v_addc_co_u32_e32 v83, vcc, v5, v83, vcc
	flat_load_dword v75, v[82:83]
	flat_load_dword v77, v[4:5] offset:124
	s_waitcnt vmcnt(0) lgkmcnt(0)
	flat_store_dword v[4:5], v75 offset:124
	flat_store_dword v[82:83], v77
.LBB66_533:
	s_or_b64 exec, exec, s[14:15]
	v_mov_b32_e32 v75, v74
	v_mov_b32_e32 v77, v74
.LBB66_534:
	s_or_b64 exec, exec, s[2:3]
.LBB66_535:
	s_andn2_saveexec_b64 s[0:1], s[0:1]
	s_cbranch_execz .LBB66_537
; %bb.536:
	v_mov_b32_e32 v82, v0
	v_mov_b32_e32 v83, v1
	;; [unrolled: 1-line block ×3, first 2 shown]
	ds_write2_b64 v76, v[82:83], v[70:71] offset0:32 offset1:33
.LBB66_537:
	s_or_b64 exec, exec, s[0:1]
	v_cmp_lt_i32_e32 vcc, 31, v77
	s_waitcnt lgkmcnt(0)
	s_barrier
	s_and_saveexec_b64 s[0:1], vcc
	s_cbranch_execz .LBB66_539
; %bb.538:
	ds_read2_b64 v[82:85], v76 offset0:32 offset1:33
	v_mul_f64 v[6:7], v[72:73], v[6:7]
	s_waitcnt lgkmcnt(0)
	v_fma_f64 v[0:1], -v[6:7], v[82:83], v[0:1]
	v_fma_f64 v[70:71], -v[6:7], v[84:85], v[70:71]
.LBB66_539:
	s_or_b64 exec, exec, s[0:1]
	v_lshl_add_u32 v72, v77, 3, v76
	s_barrier
	ds_write_b64 v72, v[0:1]
	s_waitcnt lgkmcnt(0)
	s_barrier
	ds_read_b64 v[72:73], v76 offset:256
	s_cmp_lt_i32 s18, 34
	v_mov_b32_e32 v74, 32
	s_cbranch_scc1 .LBB66_542
; %bb.540:
	v_add_u32_e32 v81, 0x108, v76
	s_mov_b32 s0, 33
	v_mov_b32_e32 v74, 32
.LBB66_541:                             ; =>This Inner Loop Header: Depth=1
	ds_read_b64 v[82:83], v81
	v_mov_b32_e32 v84, s0
	s_add_i32 s0, s0, 1
	v_add_u32_e32 v81, 8, v81
	s_cmp_lg_u32 s18, s0
	s_waitcnt lgkmcnt(0)
	v_cmp_lt_f64_e64 vcc, |v[72:73]|, |v[82:83]|
	v_cndmask_b32_e32 v73, v73, v83, vcc
	v_cndmask_b32_e32 v72, v72, v82, vcc
	;; [unrolled: 1-line block ×3, first 2 shown]
	s_cbranch_scc1 .LBB66_541
.LBB66_542:
	s_waitcnt lgkmcnt(0)
	v_cmp_eq_f64_e32 vcc, 0, v[72:73]
	s_and_saveexec_b64 s[0:1], vcc
	s_xor_b64 s[0:1], exec, s[0:1]
; %bb.543:
	v_cmp_ne_u32_e32 vcc, 0, v80
	v_cndmask_b32_e32 v80, 33, v80, vcc
; %bb.544:
	s_andn2_saveexec_b64 s[0:1], s[0:1]
; %bb.545:
	v_div_scale_f64 v[82:83], s[2:3], v[72:73], v[72:73], 1.0
	v_rcp_f64_e32 v[84:85], v[82:83]
	v_div_scale_f64 v[86:87], vcc, 1.0, v[72:73], 1.0
	v_fma_f64 v[88:89], -v[82:83], v[84:85], 1.0
	v_fmac_f64_e32 v[84:85], v[84:85], v[88:89]
	v_fma_f64 v[88:89], -v[82:83], v[84:85], 1.0
	v_fmac_f64_e32 v[84:85], v[84:85], v[88:89]
	v_mul_f64 v[88:89], v[86:87], v[84:85]
	v_fma_f64 v[82:83], -v[82:83], v[88:89], v[86:87]
	v_div_fmas_f64 v[82:83], v[82:83], v[84:85], v[88:89]
	v_div_fixup_f64 v[72:73], v[82:83], v[72:73], 1.0
; %bb.546:
	s_or_b64 exec, exec, s[0:1]
	v_cmp_ne_u32_e32 vcc, v77, v74
	s_and_saveexec_b64 s[0:1], vcc
	s_xor_b64 s[0:1], exec, s[0:1]
	s_cbranch_execz .LBB66_552
; %bb.547:
	v_cmp_eq_u32_e32 vcc, 32, v77
	s_and_saveexec_b64 s[2:3], vcc
	s_cbranch_execz .LBB66_551
; %bb.548:
	v_cmp_ne_u32_e32 vcc, 32, v74
	s_xor_b64 s[14:15], s[6:7], -1
	s_and_b64 s[16:17], s[14:15], vcc
	s_and_saveexec_b64 s[14:15], s[16:17]
	s_cbranch_execz .LBB66_550
; %bb.549:
	v_ashrrev_i32_e32 v75, 31, v74
	v_lshlrev_b64 v[82:83], 2, v[74:75]
	v_add_co_u32_e32 v82, vcc, v4, v82
	v_addc_co_u32_e32 v83, vcc, v5, v83, vcc
	flat_load_dword v75, v[82:83]
	flat_load_dword v77, v[4:5] offset:128
	s_waitcnt vmcnt(0) lgkmcnt(0)
	flat_store_dword v[4:5], v75 offset:128
	flat_store_dword v[82:83], v77
.LBB66_550:
	s_or_b64 exec, exec, s[14:15]
	v_mov_b32_e32 v75, v74
	v_mov_b32_e32 v77, v74
.LBB66_551:
	s_or_b64 exec, exec, s[2:3]
.LBB66_552:
	s_andn2_saveexec_b64 s[0:1], s[0:1]
	s_cbranch_execz .LBB66_554
; %bb.553:
	v_mov_b32_e32 v77, 32
	ds_write_b64 v76, v[70:71] offset:264
.LBB66_554:
	s_or_b64 exec, exec, s[0:1]
	v_cmp_lt_i32_e32 vcc, 32, v77
	s_waitcnt lgkmcnt(0)
	s_barrier
	s_and_saveexec_b64 s[0:1], vcc
	s_cbranch_execz .LBB66_556
; %bb.555:
	ds_read_b64 v[82:83], v76 offset:264
	v_mul_f64 v[0:1], v[72:73], v[0:1]
	s_waitcnt lgkmcnt(0)
	v_fma_f64 v[70:71], -v[0:1], v[82:83], v[70:71]
.LBB66_556:
	s_or_b64 exec, exec, s[0:1]
	v_lshl_add_u32 v72, v77, 3, v76
	s_barrier
	ds_write_b64 v72, v[70:71]
	s_waitcnt lgkmcnt(0)
	s_barrier
	ds_read_b64 v[72:73], v76 offset:264
	s_cmp_lt_i32 s18, 35
	v_mov_b32_e32 v74, 33
	s_cbranch_scc1 .LBB66_559
; %bb.557:
	v_add_u32_e32 v76, 0x110, v76
	s_mov_b32 s0, 34
	v_mov_b32_e32 v74, 33
.LBB66_558:                             ; =>This Inner Loop Header: Depth=1
	ds_read_b64 v[82:83], v76
	v_mov_b32_e32 v81, s0
	s_add_i32 s0, s0, 1
	v_add_u32_e32 v76, 8, v76
	s_cmp_lg_u32 s18, s0
	s_waitcnt lgkmcnt(0)
	v_cmp_lt_f64_e64 vcc, |v[72:73]|, |v[82:83]|
	v_cndmask_b32_e32 v73, v73, v83, vcc
	v_cndmask_b32_e32 v72, v72, v82, vcc
	;; [unrolled: 1-line block ×3, first 2 shown]
	s_cbranch_scc1 .LBB66_558
.LBB66_559:
	s_waitcnt lgkmcnt(0)
	v_cmp_eq_f64_e32 vcc, 0, v[72:73]
	s_and_saveexec_b64 s[0:1], vcc
	s_xor_b64 s[0:1], exec, s[0:1]
; %bb.560:
	v_cmp_ne_u32_e32 vcc, 0, v80
	v_cndmask_b32_e32 v80, 34, v80, vcc
; %bb.561:
	s_andn2_saveexec_b64 s[0:1], s[0:1]
; %bb.562:
	v_div_scale_f64 v[82:83], s[2:3], v[72:73], v[72:73], 1.0
	v_rcp_f64_e32 v[84:85], v[82:83]
	v_div_scale_f64 v[86:87], vcc, 1.0, v[72:73], 1.0
	v_fma_f64 v[88:89], -v[82:83], v[84:85], 1.0
	v_fmac_f64_e32 v[84:85], v[84:85], v[88:89]
	v_fma_f64 v[88:89], -v[82:83], v[84:85], 1.0
	v_fmac_f64_e32 v[84:85], v[84:85], v[88:89]
	v_mul_f64 v[88:89], v[86:87], v[84:85]
	v_fma_f64 v[82:83], -v[82:83], v[88:89], v[86:87]
	v_div_fmas_f64 v[82:83], v[82:83], v[84:85], v[88:89]
	v_div_fixup_f64 v[72:73], v[82:83], v[72:73], 1.0
; %bb.563:
	s_or_b64 exec, exec, s[0:1]
	v_cmp_ne_u32_e32 vcc, v77, v74
	v_mov_b32_e32 v76, 33
	s_and_saveexec_b64 s[0:1], vcc
	s_cbranch_execz .LBB66_569
; %bb.564:
	v_cmp_eq_u32_e32 vcc, 33, v77
	s_and_saveexec_b64 s[2:3], vcc
	s_cbranch_execz .LBB66_568
; %bb.565:
	v_cmp_ne_u32_e32 vcc, 33, v74
	s_xor_b64 s[6:7], s[6:7], -1
	s_and_b64 s[14:15], s[6:7], vcc
	s_and_saveexec_b64 s[6:7], s[14:15]
	s_cbranch_execz .LBB66_567
; %bb.566:
	v_ashrrev_i32_e32 v75, 31, v74
	v_lshlrev_b64 v[76:77], 2, v[74:75]
	v_add_co_u32_e32 v76, vcc, v4, v76
	v_addc_co_u32_e32 v77, vcc, v5, v77, vcc
	flat_load_dword v75, v[76:77]
	flat_load_dword v81, v[4:5] offset:132
	s_waitcnt vmcnt(0) lgkmcnt(0)
	flat_store_dword v[4:5], v75 offset:132
	flat_store_dword v[76:77], v81
.LBB66_567:
	s_or_b64 exec, exec, s[6:7]
	v_mov_b32_e32 v75, v74
	v_mov_b32_e32 v77, v74
.LBB66_568:
	s_or_b64 exec, exec, s[2:3]
	v_mov_b32_e32 v76, v77
.LBB66_569:
	s_or_b64 exec, exec, s[0:1]
	s_load_dwordx8 s[0:7], s[4:5], 0x28
	v_cmp_gt_i32_e32 vcc, 34, v76
	v_ashrrev_i32_e32 v77, 31, v76
	s_waitcnt lgkmcnt(0)
	s_barrier
	s_barrier
	s_and_saveexec_b64 s[14:15], vcc
	s_cbranch_execz .LBB66_571
; %bb.570:
	v_mul_lo_u32 v74, v3, s4
	v_mul_lo_u32 v81, v2, s5
	v_mad_u64_u32 v[4:5], s[4:5], v2, s4, 0
	s_lshl_b64 s[2:3], s[2:3], 2
	v_add3_u32 v5, v5, v81, v74
	s_add_u32 s0, s2, s0
	v_lshlrev_b64 v[4:5], 2, v[4:5]
	s_addc_u32 s1, s3, s1
	v_mov_b32_e32 v74, s1
	v_add_co_u32_e32 v81, vcc, s0, v4
	v_addc_co_u32_e32 v74, vcc, v74, v5, vcc
	v_lshlrev_b64 v[4:5], 2, v[76:77]
	v_add_co_u32_e32 v4, vcc, v81, v4
	v_addc_co_u32_e32 v5, vcc, v74, v5, vcc
	v_add3_u32 v74, v75, s13, 1
	global_store_dword v[4:5], v74, off
.LBB66_571:
	s_or_b64 exec, exec, s[14:15]
	v_cmp_eq_u32_e32 vcc, 0, v76
	s_and_saveexec_b64 s[2:3], vcc
	s_cbranch_execz .LBB66_574
; %bb.572:
	v_lshlrev_b64 v[2:3], 2, v[2:3]
	v_mov_b32_e32 v4, s7
	v_add_co_u32_e32 v2, vcc, s6, v2
	v_addc_co_u32_e32 v3, vcc, v4, v3, vcc
	global_load_dword v4, v[2:3], off
	v_cmp_lt_i32_e64 s[0:1], 0, v80
	s_waitcnt vmcnt(0)
	v_cmp_eq_u32_e32 vcc, 0, v4
	s_and_b64 s[0:1], vcc, s[0:1]
	s_and_b64 exec, exec, s[0:1]
	s_cbranch_execz .LBB66_574
; %bb.573:
	v_add_u32_e32 v4, s13, v80
	global_store_dword v[2:3], v4, off
.LBB66_574:
	s_or_b64 exec, exec, s[2:3]
	v_mul_f64 v[2:3], v[72:73], v[70:71]
	v_cmp_lt_i32_e32 vcc, 33, v76
	v_lshlrev_b64 v[4:5], 3, v[76:77]
	v_cndmask_b32_e32 v3, v71, v3, vcc
	v_cndmask_b32_e32 v2, v70, v2, vcc
	v_add_co_u32_e32 v4, vcc, v78, v4
	v_addc_co_u32_e32 v5, vcc, v79, v5, vcc
	global_store_dwordx2 v[4:5], v[68:69], off
	v_mov_b32_e32 v68, s11
	v_add_co_u32_e32 v4, vcc, s10, v4
	v_addc_co_u32_e32 v5, vcc, v5, v68, vcc
	global_store_dwordx2 v[4:5], v[66:67], off
	v_add_u32_e32 v4, s12, v76
	v_ashrrev_i32_e32 v5, 31, v4
	v_lshlrev_b64 v[66:67], 3, v[4:5]
	v_add_co_u32_e32 v66, vcc, v78, v66
	v_add_u32_e32 v4, s8, v4
	v_addc_co_u32_e32 v67, vcc, v79, v67, vcc
	v_ashrrev_i32_e32 v5, 31, v4
	global_store_dwordx2 v[66:67], v[64:65], off
	v_lshlrev_b64 v[64:65], 3, v[4:5]
	v_add_co_u32_e32 v64, vcc, v78, v64
	v_add_u32_e32 v4, s8, v4
	v_addc_co_u32_e32 v65, vcc, v79, v65, vcc
	v_ashrrev_i32_e32 v5, 31, v4
	global_store_dwordx2 v[64:65], v[62:63], off
	;; [unrolled: 6-line block ×30, first 2 shown]
	v_lshlrev_b64 v[6:7], 3, v[4:5]
	v_add_co_u32_e32 v6, vcc, v78, v6
	v_addc_co_u32_e32 v7, vcc, v79, v7, vcc
	global_store_dwordx2 v[6:7], v[0:1], off
	v_add_u32_e32 v0, s8, v4
	v_ashrrev_i32_e32 v1, 31, v0
	v_lshlrev_b64 v[0:1], 3, v[0:1]
	v_add_co_u32_e32 v0, vcc, v78, v0
	v_addc_co_u32_e32 v1, vcc, v79, v1, vcc
	global_store_dwordx2 v[0:1], v[2:3], off
.LBB66_575:
	s_endpgm
	.section	.rodata,"a",@progbits
	.p2align	6, 0x0
	.amdhsa_kernel _ZN9rocsolver6v33100L18getf2_small_kernelILi34EdiiPKPdEEvT1_T3_lS5_lPS5_llPT2_S5_S5_S7_l
		.amdhsa_group_segment_fixed_size 0
		.amdhsa_private_segment_fixed_size 0
		.amdhsa_kernarg_size 352
		.amdhsa_user_sgpr_count 6
		.amdhsa_user_sgpr_private_segment_buffer 1
		.amdhsa_user_sgpr_dispatch_ptr 0
		.amdhsa_user_sgpr_queue_ptr 0
		.amdhsa_user_sgpr_kernarg_segment_ptr 1
		.amdhsa_user_sgpr_dispatch_id 0
		.amdhsa_user_sgpr_flat_scratch_init 0
		.amdhsa_user_sgpr_kernarg_preload_length 0
		.amdhsa_user_sgpr_kernarg_preload_offset 0
		.amdhsa_user_sgpr_private_segment_size 0
		.amdhsa_uses_dynamic_stack 0
		.amdhsa_system_sgpr_private_segment_wavefront_offset 0
		.amdhsa_system_sgpr_workgroup_id_x 1
		.amdhsa_system_sgpr_workgroup_id_y 1
		.amdhsa_system_sgpr_workgroup_id_z 0
		.amdhsa_system_sgpr_workgroup_info 0
		.amdhsa_system_vgpr_workitem_id 1
		.amdhsa_next_free_vgpr 114
		.amdhsa_next_free_sgpr 22
		.amdhsa_accum_offset 116
		.amdhsa_reserve_vcc 1
		.amdhsa_reserve_flat_scratch 0
		.amdhsa_float_round_mode_32 0
		.amdhsa_float_round_mode_16_64 0
		.amdhsa_float_denorm_mode_32 3
		.amdhsa_float_denorm_mode_16_64 3
		.amdhsa_dx10_clamp 1
		.amdhsa_ieee_mode 1
		.amdhsa_fp16_overflow 0
		.amdhsa_tg_split 0
		.amdhsa_exception_fp_ieee_invalid_op 0
		.amdhsa_exception_fp_denorm_src 0
		.amdhsa_exception_fp_ieee_div_zero 0
		.amdhsa_exception_fp_ieee_overflow 0
		.amdhsa_exception_fp_ieee_underflow 0
		.amdhsa_exception_fp_ieee_inexact 0
		.amdhsa_exception_int_div_zero 0
	.end_amdhsa_kernel
	.section	.text._ZN9rocsolver6v33100L18getf2_small_kernelILi34EdiiPKPdEEvT1_T3_lS5_lPS5_llPT2_S5_S5_S7_l,"axG",@progbits,_ZN9rocsolver6v33100L18getf2_small_kernelILi34EdiiPKPdEEvT1_T3_lS5_lPS5_llPT2_S5_S5_S7_l,comdat
.Lfunc_end66:
	.size	_ZN9rocsolver6v33100L18getf2_small_kernelILi34EdiiPKPdEEvT1_T3_lS5_lPS5_llPT2_S5_S5_S7_l, .Lfunc_end66-_ZN9rocsolver6v33100L18getf2_small_kernelILi34EdiiPKPdEEvT1_T3_lS5_lPS5_llPT2_S5_S5_S7_l
                                        ; -- End function
	.section	.AMDGPU.csdata,"",@progbits
; Kernel info:
; codeLenInByte = 27564
; NumSgprs: 26
; NumVgprs: 114
; NumAgprs: 0
; TotalNumVgprs: 114
; ScratchSize: 0
; MemoryBound: 0
; FloatMode: 240
; IeeeMode: 1
; LDSByteSize: 0 bytes/workgroup (compile time only)
; SGPRBlocks: 3
; VGPRBlocks: 14
; NumSGPRsForWavesPerEU: 26
; NumVGPRsForWavesPerEU: 114
; AccumOffset: 116
; Occupancy: 4
; WaveLimiterHint : 1
; COMPUTE_PGM_RSRC2:SCRATCH_EN: 0
; COMPUTE_PGM_RSRC2:USER_SGPR: 6
; COMPUTE_PGM_RSRC2:TRAP_HANDLER: 0
; COMPUTE_PGM_RSRC2:TGID_X_EN: 1
; COMPUTE_PGM_RSRC2:TGID_Y_EN: 1
; COMPUTE_PGM_RSRC2:TGID_Z_EN: 0
; COMPUTE_PGM_RSRC2:TIDIG_COMP_CNT: 1
; COMPUTE_PGM_RSRC3_GFX90A:ACCUM_OFFSET: 28
; COMPUTE_PGM_RSRC3_GFX90A:TG_SPLIT: 0
	.section	.text._ZN9rocsolver6v33100L23getf2_npvt_small_kernelILi34EdiiPKPdEEvT1_T3_lS5_lPT2_S5_S5_,"axG",@progbits,_ZN9rocsolver6v33100L23getf2_npvt_small_kernelILi34EdiiPKPdEEvT1_T3_lS5_lPT2_S5_S5_,comdat
	.globl	_ZN9rocsolver6v33100L23getf2_npvt_small_kernelILi34EdiiPKPdEEvT1_T3_lS5_lPT2_S5_S5_ ; -- Begin function _ZN9rocsolver6v33100L23getf2_npvt_small_kernelILi34EdiiPKPdEEvT1_T3_lS5_lPT2_S5_S5_
	.p2align	8
	.type	_ZN9rocsolver6v33100L23getf2_npvt_small_kernelILi34EdiiPKPdEEvT1_T3_lS5_lPT2_S5_S5_,@function
_ZN9rocsolver6v33100L23getf2_npvt_small_kernelILi34EdiiPKPdEEvT1_T3_lS5_lPT2_S5_S5_: ; @_ZN9rocsolver6v33100L23getf2_npvt_small_kernelILi34EdiiPKPdEEvT1_T3_lS5_lPT2_S5_S5_
; %bb.0:
	s_load_dword s0, s[4:5], 0x44
	s_load_dwordx2 s[8:9], s[4:5], 0x30
	v_bfe_u32 v138, v0, 10, 10
	s_waitcnt lgkmcnt(0)
	s_lshr_b32 s6, s0, 16
	s_mul_i32 s7, s7, s6
	v_add_u32_e32 v2, s7, v138
	v_cmp_gt_i32_e32 vcc, s8, v2
	s_and_saveexec_b64 s[0:1], vcc
	s_cbranch_execz .LBB67_173
; %bb.1:
	s_load_dwordx4 s[12:15], s[4:5], 0x8
	s_load_dword s0, s[4:5], 0x18
	v_ashrrev_i32_e32 v3, 31, v2
	v_lshlrev_b64 v[4:5], 3, v[2:3]
	v_and_b32_e32 v206, 0x3ff, v0
	s_waitcnt lgkmcnt(0)
	v_mov_b32_e32 v1, s13
	v_add_co_u32_e32 v4, vcc, s12, v4
	v_addc_co_u32_e32 v5, vcc, v1, v5, vcc
	global_load_dwordx2 v[4:5], v[4:5], off
	s_add_i32 s1, s0, s0
	s_lshl_b64 s[2:3], s[14:15], 3
	v_add_u32_e32 v0, s1, v206
	v_mov_b32_e32 v25, s3
	v_ashrrev_i32_e32 v1, 31, v0
	v_add_u32_e32 v6, s0, v0
	v_lshlrev_b64 v[0:1], 3, v[0:1]
	v_ashrrev_i32_e32 v7, 31, v6
	v_add_u32_e32 v8, s0, v6
	v_lshlrev_b64 v[6:7], 3, v[6:7]
	;; [unrolled: 3-line block ×10, first 2 shown]
	v_add_u32_e32 v26, s0, v24
	v_ashrrev_i32_e32 v27, 31, v26
	v_add_u32_e32 v28, s0, v26
	v_ashrrev_i32_e32 v29, 31, v28
	;; [unrolled: 2-line block ×20, first 2 shown]
	v_lshlrev_b32_e32 v68, 3, v206
	s_ashr_i32 s1, s0, 31
	s_mulk_i32 s6, 0x110
	s_waitcnt vmcnt(0)
	v_add_co_u32_e32 v66, vcc, s2, v4
	v_addc_co_u32_e32 v67, vcc, v5, v25, vcc
	v_add_co_u32_e32 v0, vcc, v66, v0
	v_addc_co_u32_e32 v1, vcc, v67, v1, vcc
	;; [unrolled: 2-line block ×10, first 2 shown]
	v_add_co_u32_e32 v20, vcc, v66, v22
	v_ashrrev_i32_e32 v25, 31, v24
	v_addc_co_u32_e32 v21, vcc, v67, v23, vcc
	v_lshlrev_b64 v[22:23], 3, v[24:25]
	v_add_co_u32_e32 v22, vcc, v66, v22
	v_addc_co_u32_e32 v23, vcc, v67, v23, vcc
	v_lshlrev_b64 v[24:25], 3, v[26:27]
	v_add_co_u32_e32 v24, vcc, v66, v24
	;; [unrolled: 3-line block ×20, first 2 shown]
	v_addc_co_u32_e32 v61, vcc, v67, v61, vcc
	v_lshlrev_b64 v[62:63], 3, v[64:65]
	v_add_u32_e32 v64, s0, v64
	v_add_co_u32_e32 v62, vcc, v66, v62
	v_ashrrev_i32_e32 v65, 31, v64
	v_addc_co_u32_e32 v63, vcc, v67, v63, vcc
	v_lshlrev_b64 v[64:65], 3, v[64:65]
	v_add_co_u32_e32 v64, vcc, v66, v64
	v_addc_co_u32_e32 v65, vcc, v67, v65, vcc
	v_add_co_u32_e32 v66, vcc, v66, v68
	v_addc_co_u32_e32 v67, vcc, 0, v67, vcc
	s_lshl_b64 s[0:1], s[0:1], 3
	v_mov_b32_e32 v69, s1
	v_add_co_u32_e32 v68, vcc, s0, v66
	v_addc_co_u32_e32 v69, vcc, v67, v69, vcc
	global_load_dwordx2 v[70:71], v[66:67], off
	global_load_dwordx2 v[102:103], v[68:69], off
	;; [unrolled: 1-line block ×34, first 2 shown]
	s_movk_i32 s0, 0x110
	s_add_i32 s1, s6, 0
	v_mad_u32_u24 v205, v138, s0, 0
	v_lshl_add_u32 v204, v138, 3, s1
	v_cmp_ne_u32_e64 s[2:3], 0, v206
	v_cmp_eq_u32_e64 s[0:1], 0, v206
	s_and_saveexec_b64 s[6:7], s[0:1]
	s_cbranch_execz .LBB67_4
; %bb.2:
	s_waitcnt vmcnt(33)
	ds_write_b64 v204, v[70:71]
	s_waitcnt vmcnt(31)
	ds_write2_b64 v205, v[102:103], v[134:135] offset0:1 offset1:2
	s_waitcnt vmcnt(29)
	ds_write2_b64 v205, v[100:101], v[132:133] offset0:3 offset1:4
	;; [unrolled: 2-line block ×16, first 2 shown]
	s_waitcnt vmcnt(0)
	ds_write_b64 v205, v[136:137] offset:264
	ds_read_b64 v[138:139], v204
	s_waitcnt lgkmcnt(0)
	v_cmp_neq_f64_e32 vcc, 0, v[138:139]
	s_and_b64 exec, exec, vcc
	s_cbranch_execz .LBB67_4
; %bb.3:
	v_div_scale_f64 v[140:141], s[10:11], v[138:139], v[138:139], 1.0
	v_rcp_f64_e32 v[142:143], v[140:141]
	v_div_scale_f64 v[144:145], vcc, 1.0, v[138:139], 1.0
	v_fma_f64 v[146:147], -v[140:141], v[142:143], 1.0
	v_fmac_f64_e32 v[142:143], v[142:143], v[146:147]
	v_fma_f64 v[146:147], -v[140:141], v[142:143], 1.0
	v_fmac_f64_e32 v[142:143], v[142:143], v[146:147]
	v_mul_f64 v[146:147], v[144:145], v[142:143]
	v_fma_f64 v[140:141], -v[140:141], v[146:147], v[144:145]
	v_div_fmas_f64 v[140:141], v[140:141], v[142:143], v[146:147]
	v_div_fixup_f64 v[138:139], v[140:141], v[138:139], 1.0
	ds_write_b64 v204, v[138:139]
.LBB67_4:
	s_or_b64 exec, exec, s[6:7]
	s_waitcnt lgkmcnt(0)
	s_barrier
	ds_read_b64 v[138:139], v204
	s_and_saveexec_b64 s[6:7], s[2:3]
	s_cbranch_execz .LBB67_6
; %bb.5:
	ds_read2_b64 v[140:143], v205 offset0:1 offset1:2
	ds_read2_b64 v[144:147], v205 offset0:3 offset1:4
	s_waitcnt vmcnt(33) lgkmcnt(2)
	v_mul_f64 v[70:71], v[138:139], v[70:71]
	ds_read2_b64 v[148:151], v205 offset0:5 offset1:6
	s_waitcnt vmcnt(32) lgkmcnt(2)
	v_fma_f64 v[102:103], -v[70:71], v[140:141], v[102:103]
	s_waitcnt vmcnt(31)
	v_fma_f64 v[134:135], -v[70:71], v[142:143], v[134:135]
	ds_read2_b64 v[140:143], v205 offset0:7 offset1:8
	s_waitcnt vmcnt(30) lgkmcnt(2)
	v_fma_f64 v[100:101], -v[70:71], v[144:145], v[100:101]
	s_waitcnt vmcnt(29)
	v_fma_f64 v[132:133], -v[70:71], v[146:147], v[132:133]
	;; [unrolled: 5-line block ×4, first 2 shown]
	s_waitcnt vmcnt(24) lgkmcnt(1)
	v_fma_f64 v[94:95], -v[70:71], v[144:145], v[94:95]
	ds_read2_b64 v[140:143], v205 offset0:13 offset1:14
	s_waitcnt vmcnt(23)
	v_fma_f64 v[126:127], -v[70:71], v[146:147], v[126:127]
	ds_read2_b64 v[144:147], v205 offset0:15 offset1:16
	s_waitcnt vmcnt(22) lgkmcnt(2)
	v_fma_f64 v[92:93], -v[70:71], v[148:149], v[92:93]
	s_waitcnt vmcnt(21)
	v_fma_f64 v[124:125], -v[70:71], v[150:151], v[124:125]
	s_waitcnt vmcnt(20) lgkmcnt(1)
	v_fma_f64 v[90:91], -v[70:71], v[140:141], v[90:91]
	ds_read2_b64 v[148:151], v205 offset0:17 offset1:18
	s_waitcnt vmcnt(19)
	v_fma_f64 v[122:123], -v[70:71], v[142:143], v[122:123]
	ds_read2_b64 v[140:143], v205 offset0:19 offset1:20
	s_waitcnt vmcnt(18) lgkmcnt(2)
	v_fma_f64 v[88:89], -v[70:71], v[144:145], v[88:89]
	s_waitcnt vmcnt(17)
	v_fma_f64 v[120:121], -v[70:71], v[146:147], v[120:121]
	ds_read2_b64 v[144:147], v205 offset0:21 offset1:22
	s_waitcnt vmcnt(16) lgkmcnt(2)
	v_fma_f64 v[86:87], -v[70:71], v[148:149], v[86:87]
	s_waitcnt vmcnt(15)
	v_fma_f64 v[118:119], -v[70:71], v[150:151], v[118:119]
	ds_read2_b64 v[148:151], v205 offset0:23 offset1:24
	s_waitcnt vmcnt(14) lgkmcnt(2)
	v_fma_f64 v[84:85], -v[70:71], v[140:141], v[84:85]
	s_waitcnt vmcnt(13)
	v_fma_f64 v[116:117], -v[70:71], v[142:143], v[116:117]
	s_waitcnt vmcnt(12) lgkmcnt(1)
	v_fma_f64 v[82:83], -v[70:71], v[144:145], v[82:83]
	ds_read2_b64 v[140:143], v205 offset0:25 offset1:26
	s_waitcnt vmcnt(11)
	v_fma_f64 v[114:115], -v[70:71], v[146:147], v[114:115]
	ds_read2_b64 v[144:147], v205 offset0:27 offset1:28
	s_waitcnt vmcnt(10) lgkmcnt(2)
	v_fma_f64 v[80:81], -v[70:71], v[148:149], v[80:81]
	s_waitcnt vmcnt(9)
	v_fma_f64 v[112:113], -v[70:71], v[150:151], v[112:113]
	s_waitcnt vmcnt(8) lgkmcnt(1)
	v_fma_f64 v[78:79], -v[70:71], v[140:141], v[78:79]
	s_waitcnt vmcnt(7)
	v_fma_f64 v[110:111], -v[70:71], v[142:143], v[110:111]
	ds_read2_b64 v[140:143], v205 offset0:29 offset1:30
	ds_read2_b64 v[148:151], v205 offset0:31 offset1:32
	s_waitcnt vmcnt(6) lgkmcnt(2)
	v_fma_f64 v[76:77], -v[70:71], v[144:145], v[76:77]
	ds_read_b64 v[144:145], v205 offset:264
	s_waitcnt vmcnt(5)
	v_fma_f64 v[108:109], -v[70:71], v[146:147], v[108:109]
	s_waitcnt vmcnt(4) lgkmcnt(2)
	v_fma_f64 v[74:75], -v[70:71], v[140:141], v[74:75]
	s_waitcnt vmcnt(3)
	v_fma_f64 v[106:107], -v[70:71], v[142:143], v[106:107]
	s_waitcnt vmcnt(2) lgkmcnt(1)
	v_fma_f64 v[72:73], -v[70:71], v[148:149], v[72:73]
	;; [unrolled: 4-line block ×3, first 2 shown]
.LBB67_6:
	s_or_b64 exec, exec, s[6:7]
	v_cmp_eq_u32_e32 vcc, 1, v206
	s_waitcnt lgkmcnt(0)
	s_barrier
	s_and_saveexec_b64 s[2:3], vcc
	s_cbranch_execz .LBB67_9
; %bb.7:
	s_waitcnt vmcnt(31)
	v_mov_b32_e32 v140, v134
	v_mov_b32_e32 v141, v135
	s_waitcnt vmcnt(30)
	v_mov_b32_e32 v142, v100
	v_mov_b32_e32 v143, v101
	ds_write_b64 v204, v[102:103]
	ds_write2_b64 v205, v[140:141], v[142:143] offset0:2 offset1:3
	s_waitcnt vmcnt(29)
	v_mov_b32_e32 v140, v132
	v_mov_b32_e32 v141, v133
	s_waitcnt vmcnt(28)
	v_mov_b32_e32 v142, v98
	v_mov_b32_e32 v143, v99
	ds_write2_b64 v205, v[140:141], v[142:143] offset0:4 offset1:5
	s_waitcnt vmcnt(27)
	v_mov_b32_e32 v140, v130
	v_mov_b32_e32 v141, v131
	s_waitcnt vmcnt(26)
	v_mov_b32_e32 v142, v96
	v_mov_b32_e32 v143, v97
	;; [unrolled: 7-line block ×14, first 2 shown]
	ds_write2_b64 v205, v[140:141], v[142:143] offset0:30 offset1:31
	s_waitcnt vmcnt(1)
	v_mov_b32_e32 v140, v104
	v_mov_b32_e32 v141, v105
	s_waitcnt vmcnt(0)
	ds_write2_b64 v205, v[140:141], v[136:137] offset0:32 offset1:33
	ds_read_b64 v[140:141], v204
	s_waitcnt lgkmcnt(0)
	v_cmp_neq_f64_e32 vcc, 0, v[140:141]
	s_and_b64 exec, exec, vcc
	s_cbranch_execz .LBB67_9
; %bb.8:
	v_div_scale_f64 v[142:143], s[6:7], v[140:141], v[140:141], 1.0
	v_rcp_f64_e32 v[144:145], v[142:143]
	v_div_scale_f64 v[146:147], vcc, 1.0, v[140:141], 1.0
	v_fma_f64 v[148:149], -v[142:143], v[144:145], 1.0
	v_fmac_f64_e32 v[144:145], v[144:145], v[148:149]
	v_fma_f64 v[148:149], -v[142:143], v[144:145], 1.0
	v_fmac_f64_e32 v[144:145], v[144:145], v[148:149]
	v_mul_f64 v[148:149], v[146:147], v[144:145]
	v_fma_f64 v[142:143], -v[142:143], v[148:149], v[146:147]
	v_div_fmas_f64 v[142:143], v[142:143], v[144:145], v[148:149]
	v_div_fixup_f64 v[140:141], v[142:143], v[140:141], 1.0
	ds_write_b64 v204, v[140:141]
.LBB67_9:
	s_or_b64 exec, exec, s[2:3]
	s_waitcnt lgkmcnt(0)
	s_barrier
	ds_read_b64 v[140:141], v204
	v_cmp_lt_u32_e32 vcc, 1, v206
	s_and_saveexec_b64 s[2:3], vcc
	s_cbranch_execz .LBB67_11
; %bb.10:
	ds_read2_b64 v[142:145], v205 offset0:2 offset1:3
	ds_read2_b64 v[146:149], v205 offset0:4 offset1:5
	s_waitcnt vmcnt(32) lgkmcnt(2)
	v_mul_f64 v[102:103], v[140:141], v[102:103]
	ds_read2_b64 v[150:153], v205 offset0:6 offset1:7
	s_waitcnt vmcnt(31) lgkmcnt(2)
	v_fma_f64 v[134:135], -v[102:103], v[142:143], v[134:135]
	s_waitcnt vmcnt(30)
	v_fma_f64 v[100:101], -v[102:103], v[144:145], v[100:101]
	ds_read2_b64 v[142:145], v205 offset0:8 offset1:9
	s_waitcnt vmcnt(29) lgkmcnt(2)
	v_fma_f64 v[132:133], -v[102:103], v[146:147], v[132:133]
	s_waitcnt vmcnt(28)
	v_fma_f64 v[98:99], -v[102:103], v[148:149], v[98:99]
	s_waitcnt vmcnt(27) lgkmcnt(1)
	v_fma_f64 v[130:131], -v[102:103], v[150:151], v[130:131]
	ds_read2_b64 v[146:149], v205 offset0:10 offset1:11
	s_waitcnt vmcnt(26)
	v_fma_f64 v[96:97], -v[102:103], v[152:153], v[96:97]
	ds_read2_b64 v[150:153], v205 offset0:12 offset1:13
	s_waitcnt vmcnt(25) lgkmcnt(2)
	v_fma_f64 v[128:129], -v[102:103], v[142:143], v[128:129]
	s_waitcnt vmcnt(24)
	v_fma_f64 v[94:95], -v[102:103], v[144:145], v[94:95]
	ds_read2_b64 v[142:145], v205 offset0:14 offset1:15
	s_waitcnt vmcnt(23) lgkmcnt(2)
	v_fma_f64 v[126:127], -v[102:103], v[146:147], v[126:127]
	;; [unrolled: 5-line block ×3, first 2 shown]
	s_waitcnt vmcnt(20)
	v_fma_f64 v[90:91], -v[102:103], v[152:153], v[90:91]
	s_waitcnt vmcnt(19) lgkmcnt(1)
	v_fma_f64 v[122:123], -v[102:103], v[142:143], v[122:123]
	ds_read2_b64 v[150:153], v205 offset0:18 offset1:19
	s_waitcnt vmcnt(18)
	v_fma_f64 v[88:89], -v[102:103], v[144:145], v[88:89]
	ds_read2_b64 v[142:145], v205 offset0:20 offset1:21
	s_waitcnt vmcnt(17) lgkmcnt(2)
	v_fma_f64 v[120:121], -v[102:103], v[146:147], v[120:121]
	s_waitcnt vmcnt(16)
	v_fma_f64 v[86:87], -v[102:103], v[148:149], v[86:87]
	s_waitcnt vmcnt(15) lgkmcnt(1)
	v_fma_f64 v[118:119], -v[102:103], v[150:151], v[118:119]
	ds_read2_b64 v[146:149], v205 offset0:22 offset1:23
	s_waitcnt vmcnt(14)
	v_fma_f64 v[84:85], -v[102:103], v[152:153], v[84:85]
	ds_read2_b64 v[150:153], v205 offset0:24 offset1:25
	s_waitcnt vmcnt(13) lgkmcnt(2)
	v_fma_f64 v[116:117], -v[102:103], v[142:143], v[116:117]
	s_waitcnt vmcnt(12)
	v_fma_f64 v[82:83], -v[102:103], v[144:145], v[82:83]
	ds_read2_b64 v[142:145], v205 offset0:26 offset1:27
	s_waitcnt vmcnt(11) lgkmcnt(2)
	v_fma_f64 v[114:115], -v[102:103], v[146:147], v[114:115]
	;; [unrolled: 5-line block ×3, first 2 shown]
	s_waitcnt vmcnt(8)
	v_fma_f64 v[78:79], -v[102:103], v[152:153], v[78:79]
	s_waitcnt vmcnt(7) lgkmcnt(1)
	v_fma_f64 v[110:111], -v[102:103], v[142:143], v[110:111]
	ds_read2_b64 v[150:153], v205 offset0:30 offset1:31
	s_waitcnt vmcnt(6)
	v_fma_f64 v[76:77], -v[102:103], v[144:145], v[76:77]
	ds_read2_b64 v[142:145], v205 offset0:32 offset1:33
	s_waitcnt vmcnt(5) lgkmcnt(2)
	v_fma_f64 v[108:109], -v[102:103], v[146:147], v[108:109]
	s_waitcnt vmcnt(4)
	v_fma_f64 v[74:75], -v[102:103], v[148:149], v[74:75]
	s_waitcnt vmcnt(3) lgkmcnt(1)
	v_fma_f64 v[106:107], -v[102:103], v[150:151], v[106:107]
	s_waitcnt vmcnt(2)
	v_fma_f64 v[72:73], -v[102:103], v[152:153], v[72:73]
	;; [unrolled: 4-line block ×3, first 2 shown]
.LBB67_11:
	s_or_b64 exec, exec, s[2:3]
	v_cmp_eq_u32_e32 vcc, 2, v206
	s_waitcnt lgkmcnt(0)
	s_barrier
	s_and_saveexec_b64 s[2:3], vcc
	s_cbranch_execz .LBB67_14
; %bb.12:
	s_waitcnt vmcnt(31)
	ds_write_b64 v204, v[134:135]
	s_waitcnt vmcnt(29)
	ds_write2_b64 v205, v[100:101], v[132:133] offset0:3 offset1:4
	s_waitcnt vmcnt(27)
	ds_write2_b64 v205, v[98:99], v[130:131] offset0:5 offset1:6
	;; [unrolled: 2-line block ×15, first 2 shown]
	s_waitcnt vmcnt(0)
	ds_write_b64 v205, v[136:137] offset:264
	ds_read_b64 v[142:143], v204
	s_waitcnt lgkmcnt(0)
	v_cmp_neq_f64_e32 vcc, 0, v[142:143]
	s_and_b64 exec, exec, vcc
	s_cbranch_execz .LBB67_14
; %bb.13:
	v_div_scale_f64 v[144:145], s[6:7], v[142:143], v[142:143], 1.0
	v_rcp_f64_e32 v[146:147], v[144:145]
	v_div_scale_f64 v[148:149], vcc, 1.0, v[142:143], 1.0
	v_fma_f64 v[150:151], -v[144:145], v[146:147], 1.0
	v_fmac_f64_e32 v[146:147], v[146:147], v[150:151]
	v_fma_f64 v[150:151], -v[144:145], v[146:147], 1.0
	v_fmac_f64_e32 v[146:147], v[146:147], v[150:151]
	v_mul_f64 v[150:151], v[148:149], v[146:147]
	v_fma_f64 v[144:145], -v[144:145], v[150:151], v[148:149]
	v_div_fmas_f64 v[144:145], v[144:145], v[146:147], v[150:151]
	v_div_fixup_f64 v[142:143], v[144:145], v[142:143], 1.0
	ds_write_b64 v204, v[142:143]
.LBB67_14:
	s_or_b64 exec, exec, s[2:3]
	s_waitcnt lgkmcnt(0)
	s_barrier
	ds_read_b64 v[142:143], v204
	v_cmp_lt_u32_e32 vcc, 2, v206
	s_and_saveexec_b64 s[2:3], vcc
	s_cbranch_execz .LBB67_16
; %bb.15:
	ds_read2_b64 v[144:147], v205 offset0:3 offset1:4
	ds_read2_b64 v[148:151], v205 offset0:5 offset1:6
	s_waitcnt vmcnt(31) lgkmcnt(2)
	v_mul_f64 v[134:135], v[142:143], v[134:135]
	ds_read2_b64 v[152:155], v205 offset0:7 offset1:8
	s_waitcnt vmcnt(30) lgkmcnt(2)
	v_fma_f64 v[100:101], -v[134:135], v[144:145], v[100:101]
	s_waitcnt vmcnt(29)
	v_fma_f64 v[132:133], -v[134:135], v[146:147], v[132:133]
	ds_read2_b64 v[144:147], v205 offset0:9 offset1:10
	s_waitcnt vmcnt(28) lgkmcnt(2)
	v_fma_f64 v[98:99], -v[134:135], v[148:149], v[98:99]
	s_waitcnt vmcnt(27)
	v_fma_f64 v[130:131], -v[134:135], v[150:151], v[130:131]
	s_waitcnt vmcnt(26) lgkmcnt(1)
	v_fma_f64 v[96:97], -v[134:135], v[152:153], v[96:97]
	ds_read2_b64 v[148:151], v205 offset0:11 offset1:12
	s_waitcnt vmcnt(25)
	v_fma_f64 v[128:129], -v[134:135], v[154:155], v[128:129]
	ds_read2_b64 v[152:155], v205 offset0:13 offset1:14
	s_waitcnt vmcnt(24) lgkmcnt(2)
	v_fma_f64 v[94:95], -v[134:135], v[144:145], v[94:95]
	s_waitcnt vmcnt(23)
	v_fma_f64 v[126:127], -v[134:135], v[146:147], v[126:127]
	ds_read2_b64 v[144:147], v205 offset0:15 offset1:16
	s_waitcnt vmcnt(22) lgkmcnt(2)
	v_fma_f64 v[92:93], -v[134:135], v[148:149], v[92:93]
	;; [unrolled: 5-line block ×3, first 2 shown]
	s_waitcnt vmcnt(19)
	v_fma_f64 v[122:123], -v[134:135], v[154:155], v[122:123]
	s_waitcnt vmcnt(18) lgkmcnt(1)
	v_fma_f64 v[88:89], -v[134:135], v[144:145], v[88:89]
	ds_read2_b64 v[152:155], v205 offset0:19 offset1:20
	s_waitcnt vmcnt(17)
	v_fma_f64 v[120:121], -v[134:135], v[146:147], v[120:121]
	ds_read2_b64 v[144:147], v205 offset0:21 offset1:22
	s_waitcnt vmcnt(16) lgkmcnt(2)
	v_fma_f64 v[86:87], -v[134:135], v[148:149], v[86:87]
	s_waitcnt vmcnt(15)
	v_fma_f64 v[118:119], -v[134:135], v[150:151], v[118:119]
	s_waitcnt vmcnt(14) lgkmcnt(1)
	v_fma_f64 v[84:85], -v[134:135], v[152:153], v[84:85]
	ds_read2_b64 v[148:151], v205 offset0:23 offset1:24
	s_waitcnt vmcnt(13)
	v_fma_f64 v[116:117], -v[134:135], v[154:155], v[116:117]
	ds_read2_b64 v[152:155], v205 offset0:25 offset1:26
	s_waitcnt vmcnt(12) lgkmcnt(2)
	v_fma_f64 v[82:83], -v[134:135], v[144:145], v[82:83]
	s_waitcnt vmcnt(11)
	v_fma_f64 v[114:115], -v[134:135], v[146:147], v[114:115]
	ds_read2_b64 v[144:147], v205 offset0:27 offset1:28
	s_waitcnt vmcnt(10) lgkmcnt(2)
	v_fma_f64 v[80:81], -v[134:135], v[148:149], v[80:81]
	;; [unrolled: 5-line block ×3, first 2 shown]
	s_waitcnt vmcnt(7)
	v_fma_f64 v[110:111], -v[134:135], v[154:155], v[110:111]
	s_waitcnt vmcnt(6) lgkmcnt(1)
	v_fma_f64 v[76:77], -v[134:135], v[144:145], v[76:77]
	ds_read2_b64 v[152:155], v205 offset0:31 offset1:32
	ds_read_b64 v[144:145], v205 offset:264
	s_waitcnt vmcnt(5)
	v_fma_f64 v[108:109], -v[134:135], v[146:147], v[108:109]
	s_waitcnt vmcnt(4) lgkmcnt(2)
	v_fma_f64 v[74:75], -v[134:135], v[148:149], v[74:75]
	s_waitcnt vmcnt(3)
	v_fma_f64 v[106:107], -v[134:135], v[150:151], v[106:107]
	s_waitcnt vmcnt(2) lgkmcnt(1)
	v_fma_f64 v[72:73], -v[134:135], v[152:153], v[72:73]
	s_waitcnt vmcnt(1)
	v_fma_f64 v[104:105], -v[134:135], v[154:155], v[104:105]
	s_waitcnt vmcnt(0) lgkmcnt(0)
	v_fma_f64 v[136:137], -v[134:135], v[144:145], v[136:137]
.LBB67_16:
	s_or_b64 exec, exec, s[2:3]
	v_cmp_eq_u32_e32 vcc, 3, v206
	s_waitcnt lgkmcnt(0)
	s_barrier
	s_and_saveexec_b64 s[2:3], vcc
	s_cbranch_execz .LBB67_19
; %bb.17:
	s_waitcnt vmcnt(29)
	v_mov_b32_e32 v144, v132
	v_mov_b32_e32 v145, v133
	s_waitcnt vmcnt(28)
	v_mov_b32_e32 v146, v98
	v_mov_b32_e32 v147, v99
	ds_write_b64 v204, v[100:101]
	ds_write2_b64 v205, v[144:145], v[146:147] offset0:4 offset1:5
	s_waitcnt vmcnt(27)
	v_mov_b32_e32 v144, v130
	v_mov_b32_e32 v145, v131
	s_waitcnt vmcnt(26)
	v_mov_b32_e32 v146, v96
	v_mov_b32_e32 v147, v97
	ds_write2_b64 v205, v[144:145], v[146:147] offset0:6 offset1:7
	s_waitcnt vmcnt(25)
	v_mov_b32_e32 v144, v128
	v_mov_b32_e32 v145, v129
	s_waitcnt vmcnt(24)
	v_mov_b32_e32 v146, v94
	v_mov_b32_e32 v147, v95
	;; [unrolled: 7-line block ×13, first 2 shown]
	ds_write2_b64 v205, v[144:145], v[146:147] offset0:30 offset1:31
	s_waitcnt vmcnt(1)
	v_mov_b32_e32 v144, v104
	v_mov_b32_e32 v145, v105
	s_waitcnt vmcnt(0)
	ds_write2_b64 v205, v[144:145], v[136:137] offset0:32 offset1:33
	ds_read_b64 v[144:145], v204
	s_waitcnt lgkmcnt(0)
	v_cmp_neq_f64_e32 vcc, 0, v[144:145]
	s_and_b64 exec, exec, vcc
	s_cbranch_execz .LBB67_19
; %bb.18:
	v_div_scale_f64 v[146:147], s[6:7], v[144:145], v[144:145], 1.0
	v_rcp_f64_e32 v[148:149], v[146:147]
	v_div_scale_f64 v[150:151], vcc, 1.0, v[144:145], 1.0
	v_fma_f64 v[152:153], -v[146:147], v[148:149], 1.0
	v_fmac_f64_e32 v[148:149], v[148:149], v[152:153]
	v_fma_f64 v[152:153], -v[146:147], v[148:149], 1.0
	v_fmac_f64_e32 v[148:149], v[148:149], v[152:153]
	v_mul_f64 v[152:153], v[150:151], v[148:149]
	v_fma_f64 v[146:147], -v[146:147], v[152:153], v[150:151]
	v_div_fmas_f64 v[146:147], v[146:147], v[148:149], v[152:153]
	v_div_fixup_f64 v[144:145], v[146:147], v[144:145], 1.0
	ds_write_b64 v204, v[144:145]
.LBB67_19:
	s_or_b64 exec, exec, s[2:3]
	s_waitcnt lgkmcnt(0)
	s_barrier
	ds_read_b64 v[144:145], v204
	v_cmp_lt_u32_e32 vcc, 3, v206
	s_and_saveexec_b64 s[2:3], vcc
	s_cbranch_execz .LBB67_21
; %bb.20:
	ds_read2_b64 v[146:149], v205 offset0:4 offset1:5
	ds_read2_b64 v[150:153], v205 offset0:6 offset1:7
	;; [unrolled: 1-line block ×3, first 2 shown]
	s_waitcnt vmcnt(30) lgkmcnt(3)
	v_mul_f64 v[100:101], v[144:145], v[100:101]
	s_waitcnt vmcnt(29) lgkmcnt(2)
	v_fma_f64 v[132:133], -v[100:101], v[146:147], v[132:133]
	s_waitcnt vmcnt(28)
	v_fma_f64 v[98:99], -v[100:101], v[148:149], v[98:99]
	ds_read2_b64 v[146:149], v205 offset0:10 offset1:11
	s_waitcnt vmcnt(27) lgkmcnt(2)
	v_fma_f64 v[130:131], -v[100:101], v[150:151], v[130:131]
	s_waitcnt vmcnt(26)
	v_fma_f64 v[96:97], -v[100:101], v[152:153], v[96:97]
	s_waitcnt vmcnt(25) lgkmcnt(1)
	v_fma_f64 v[128:129], -v[100:101], v[154:155], v[128:129]
	ds_read2_b64 v[150:153], v205 offset0:12 offset1:13
	s_waitcnt vmcnt(24)
	v_fma_f64 v[94:95], -v[100:101], v[156:157], v[94:95]
	ds_read2_b64 v[154:157], v205 offset0:14 offset1:15
	s_waitcnt vmcnt(23) lgkmcnt(2)
	v_fma_f64 v[126:127], -v[100:101], v[146:147], v[126:127]
	s_waitcnt vmcnt(22)
	v_fma_f64 v[92:93], -v[100:101], v[148:149], v[92:93]
	s_waitcnt vmcnt(21) lgkmcnt(1)
	v_fma_f64 v[124:125], -v[100:101], v[150:151], v[124:125]
	ds_read2_b64 v[146:149], v205 offset0:16 offset1:17
	s_waitcnt vmcnt(20)
	v_fma_f64 v[90:91], -v[100:101], v[152:153], v[90:91]
	ds_read2_b64 v[150:153], v205 offset0:18 offset1:19
	s_waitcnt vmcnt(19) lgkmcnt(2)
	v_fma_f64 v[122:123], -v[100:101], v[154:155], v[122:123]
	s_waitcnt vmcnt(18)
	v_fma_f64 v[88:89], -v[100:101], v[156:157], v[88:89]
	ds_read2_b64 v[154:157], v205 offset0:20 offset1:21
	s_waitcnt vmcnt(17) lgkmcnt(2)
	v_fma_f64 v[120:121], -v[100:101], v[146:147], v[120:121]
	;; [unrolled: 5-line block ×3, first 2 shown]
	s_waitcnt vmcnt(14)
	v_fma_f64 v[84:85], -v[100:101], v[152:153], v[84:85]
	s_waitcnt vmcnt(13) lgkmcnt(1)
	v_fma_f64 v[116:117], -v[100:101], v[154:155], v[116:117]
	ds_read2_b64 v[150:153], v205 offset0:24 offset1:25
	s_waitcnt vmcnt(12)
	v_fma_f64 v[82:83], -v[100:101], v[156:157], v[82:83]
	ds_read2_b64 v[154:157], v205 offset0:26 offset1:27
	s_waitcnt vmcnt(11) lgkmcnt(2)
	v_fma_f64 v[114:115], -v[100:101], v[146:147], v[114:115]
	s_waitcnt vmcnt(10)
	v_fma_f64 v[80:81], -v[100:101], v[148:149], v[80:81]
	s_waitcnt vmcnt(9) lgkmcnt(1)
	v_fma_f64 v[112:113], -v[100:101], v[150:151], v[112:113]
	s_waitcnt vmcnt(8)
	v_fma_f64 v[78:79], -v[100:101], v[152:153], v[78:79]
	ds_read2_b64 v[146:149], v205 offset0:28 offset1:29
	ds_read2_b64 v[150:153], v205 offset0:30 offset1:31
	s_waitcnt vmcnt(7) lgkmcnt(2)
	v_fma_f64 v[110:111], -v[100:101], v[154:155], v[110:111]
	s_waitcnt vmcnt(6)
	v_fma_f64 v[76:77], -v[100:101], v[156:157], v[76:77]
	ds_read2_b64 v[154:157], v205 offset0:32 offset1:33
	s_waitcnt vmcnt(5) lgkmcnt(2)
	v_fma_f64 v[108:109], -v[100:101], v[146:147], v[108:109]
	s_waitcnt vmcnt(4)
	v_fma_f64 v[74:75], -v[100:101], v[148:149], v[74:75]
	s_waitcnt vmcnt(3) lgkmcnt(1)
	v_fma_f64 v[106:107], -v[100:101], v[150:151], v[106:107]
	s_waitcnt vmcnt(2)
	v_fma_f64 v[72:73], -v[100:101], v[152:153], v[72:73]
	;; [unrolled: 4-line block ×3, first 2 shown]
.LBB67_21:
	s_or_b64 exec, exec, s[2:3]
	v_cmp_eq_u32_e32 vcc, 4, v206
	s_waitcnt lgkmcnt(0)
	s_barrier
	s_and_saveexec_b64 s[2:3], vcc
	s_cbranch_execz .LBB67_24
; %bb.22:
	s_waitcnt vmcnt(29)
	ds_write_b64 v204, v[132:133]
	s_waitcnt vmcnt(27)
	ds_write2_b64 v205, v[98:99], v[130:131] offset0:5 offset1:6
	s_waitcnt vmcnt(25)
	ds_write2_b64 v205, v[96:97], v[128:129] offset0:7 offset1:8
	s_waitcnt vmcnt(23)
	ds_write2_b64 v205, v[94:95], v[126:127] offset0:9 offset1:10
	s_waitcnt vmcnt(21)
	ds_write2_b64 v205, v[92:93], v[124:125] offset0:11 offset1:12
	s_waitcnt vmcnt(19)
	ds_write2_b64 v205, v[90:91], v[122:123] offset0:13 offset1:14
	s_waitcnt vmcnt(17)
	ds_write2_b64 v205, v[88:89], v[120:121] offset0:15 offset1:16
	s_waitcnt vmcnt(15)
	ds_write2_b64 v205, v[86:87], v[118:119] offset0:17 offset1:18
	s_waitcnt vmcnt(13)
	ds_write2_b64 v205, v[84:85], v[116:117] offset0:19 offset1:20
	s_waitcnt vmcnt(11)
	ds_write2_b64 v205, v[82:83], v[114:115] offset0:21 offset1:22
	s_waitcnt vmcnt(9)
	ds_write2_b64 v205, v[80:81], v[112:113] offset0:23 offset1:24
	s_waitcnt vmcnt(7)
	ds_write2_b64 v205, v[78:79], v[110:111] offset0:25 offset1:26
	s_waitcnt vmcnt(5)
	ds_write2_b64 v205, v[76:77], v[108:109] offset0:27 offset1:28
	s_waitcnt vmcnt(3)
	ds_write2_b64 v205, v[74:75], v[106:107] offset0:29 offset1:30
	s_waitcnt vmcnt(1)
	ds_write2_b64 v205, v[72:73], v[104:105] offset0:31 offset1:32
	s_waitcnt vmcnt(0)
	ds_write_b64 v205, v[136:137] offset:264
	ds_read_b64 v[146:147], v204
	s_waitcnt lgkmcnt(0)
	v_cmp_neq_f64_e32 vcc, 0, v[146:147]
	s_and_b64 exec, exec, vcc
	s_cbranch_execz .LBB67_24
; %bb.23:
	v_div_scale_f64 v[148:149], s[6:7], v[146:147], v[146:147], 1.0
	v_rcp_f64_e32 v[150:151], v[148:149]
	v_div_scale_f64 v[152:153], vcc, 1.0, v[146:147], 1.0
	v_fma_f64 v[154:155], -v[148:149], v[150:151], 1.0
	v_fmac_f64_e32 v[150:151], v[150:151], v[154:155]
	v_fma_f64 v[154:155], -v[148:149], v[150:151], 1.0
	v_fmac_f64_e32 v[150:151], v[150:151], v[154:155]
	v_mul_f64 v[154:155], v[152:153], v[150:151]
	v_fma_f64 v[148:149], -v[148:149], v[154:155], v[152:153]
	v_div_fmas_f64 v[148:149], v[148:149], v[150:151], v[154:155]
	v_div_fixup_f64 v[146:147], v[148:149], v[146:147], 1.0
	ds_write_b64 v204, v[146:147]
.LBB67_24:
	s_or_b64 exec, exec, s[2:3]
	s_waitcnt lgkmcnt(0)
	s_barrier
	ds_read_b64 v[146:147], v204
	v_cmp_lt_u32_e32 vcc, 4, v206
	s_and_saveexec_b64 s[2:3], vcc
	s_cbranch_execz .LBB67_26
; %bb.25:
	ds_read2_b64 v[148:151], v205 offset0:5 offset1:6
	ds_read2_b64 v[152:155], v205 offset0:7 offset1:8
	;; [unrolled: 1-line block ×3, first 2 shown]
	s_waitcnt vmcnt(29) lgkmcnt(3)
	v_mul_f64 v[132:133], v[146:147], v[132:133]
	s_waitcnt vmcnt(28) lgkmcnt(2)
	v_fma_f64 v[98:99], -v[132:133], v[148:149], v[98:99]
	s_waitcnt vmcnt(27)
	v_fma_f64 v[130:131], -v[132:133], v[150:151], v[130:131]
	ds_read2_b64 v[148:151], v205 offset0:11 offset1:12
	s_waitcnt vmcnt(26) lgkmcnt(2)
	v_fma_f64 v[96:97], -v[132:133], v[152:153], v[96:97]
	s_waitcnt vmcnt(25)
	v_fma_f64 v[128:129], -v[132:133], v[154:155], v[128:129]
	s_waitcnt vmcnt(24) lgkmcnt(1)
	v_fma_f64 v[94:95], -v[132:133], v[156:157], v[94:95]
	ds_read2_b64 v[152:155], v205 offset0:13 offset1:14
	s_waitcnt vmcnt(23)
	v_fma_f64 v[126:127], -v[132:133], v[158:159], v[126:127]
	ds_read2_b64 v[156:159], v205 offset0:15 offset1:16
	s_waitcnt vmcnt(22) lgkmcnt(2)
	v_fma_f64 v[92:93], -v[132:133], v[148:149], v[92:93]
	s_waitcnt vmcnt(21)
	v_fma_f64 v[124:125], -v[132:133], v[150:151], v[124:125]
	s_waitcnt vmcnt(20) lgkmcnt(1)
	v_fma_f64 v[90:91], -v[132:133], v[152:153], v[90:91]
	ds_read2_b64 v[148:151], v205 offset0:17 offset1:18
	s_waitcnt vmcnt(19)
	v_fma_f64 v[122:123], -v[132:133], v[154:155], v[122:123]
	ds_read2_b64 v[152:155], v205 offset0:19 offset1:20
	s_waitcnt vmcnt(18) lgkmcnt(2)
	v_fma_f64 v[88:89], -v[132:133], v[156:157], v[88:89]
	s_waitcnt vmcnt(17)
	v_fma_f64 v[120:121], -v[132:133], v[158:159], v[120:121]
	ds_read2_b64 v[156:159], v205 offset0:21 offset1:22
	s_waitcnt vmcnt(16) lgkmcnt(2)
	v_fma_f64 v[86:87], -v[132:133], v[148:149], v[86:87]
	;; [unrolled: 5-line block ×3, first 2 shown]
	s_waitcnt vmcnt(13)
	v_fma_f64 v[116:117], -v[132:133], v[154:155], v[116:117]
	s_waitcnt vmcnt(12) lgkmcnt(1)
	v_fma_f64 v[82:83], -v[132:133], v[156:157], v[82:83]
	ds_read2_b64 v[152:155], v205 offset0:25 offset1:26
	s_waitcnt vmcnt(11)
	v_fma_f64 v[114:115], -v[132:133], v[158:159], v[114:115]
	ds_read2_b64 v[156:159], v205 offset0:27 offset1:28
	s_waitcnt vmcnt(10) lgkmcnt(2)
	v_fma_f64 v[80:81], -v[132:133], v[148:149], v[80:81]
	s_waitcnt vmcnt(9)
	v_fma_f64 v[112:113], -v[132:133], v[150:151], v[112:113]
	s_waitcnt vmcnt(8) lgkmcnt(1)
	v_fma_f64 v[78:79], -v[132:133], v[152:153], v[78:79]
	s_waitcnt vmcnt(7)
	v_fma_f64 v[110:111], -v[132:133], v[154:155], v[110:111]
	ds_read2_b64 v[148:151], v205 offset0:29 offset1:30
	ds_read2_b64 v[152:155], v205 offset0:31 offset1:32
	s_waitcnt vmcnt(6) lgkmcnt(2)
	v_fma_f64 v[76:77], -v[132:133], v[156:157], v[76:77]
	ds_read_b64 v[156:157], v205 offset:264
	s_waitcnt vmcnt(5)
	v_fma_f64 v[108:109], -v[132:133], v[158:159], v[108:109]
	s_waitcnt vmcnt(4) lgkmcnt(2)
	v_fma_f64 v[74:75], -v[132:133], v[148:149], v[74:75]
	s_waitcnt vmcnt(3)
	v_fma_f64 v[106:107], -v[132:133], v[150:151], v[106:107]
	s_waitcnt vmcnt(2) lgkmcnt(1)
	v_fma_f64 v[72:73], -v[132:133], v[152:153], v[72:73]
	;; [unrolled: 4-line block ×3, first 2 shown]
.LBB67_26:
	s_or_b64 exec, exec, s[2:3]
	v_cmp_eq_u32_e32 vcc, 5, v206
	s_waitcnt lgkmcnt(0)
	s_barrier
	s_and_saveexec_b64 s[2:3], vcc
	s_cbranch_execz .LBB67_29
; %bb.27:
	s_waitcnt vmcnt(27)
	v_mov_b32_e32 v148, v130
	v_mov_b32_e32 v149, v131
	s_waitcnt vmcnt(26)
	v_mov_b32_e32 v150, v96
	v_mov_b32_e32 v151, v97
	ds_write_b64 v204, v[98:99]
	ds_write2_b64 v205, v[148:149], v[150:151] offset0:6 offset1:7
	s_waitcnt vmcnt(25)
	v_mov_b32_e32 v148, v128
	v_mov_b32_e32 v149, v129
	s_waitcnt vmcnt(24)
	v_mov_b32_e32 v150, v94
	v_mov_b32_e32 v151, v95
	ds_write2_b64 v205, v[148:149], v[150:151] offset0:8 offset1:9
	s_waitcnt vmcnt(23)
	v_mov_b32_e32 v148, v126
	v_mov_b32_e32 v149, v127
	s_waitcnt vmcnt(22)
	v_mov_b32_e32 v150, v92
	v_mov_b32_e32 v151, v93
	;; [unrolled: 7-line block ×12, first 2 shown]
	ds_write2_b64 v205, v[148:149], v[150:151] offset0:30 offset1:31
	s_waitcnt vmcnt(1)
	v_mov_b32_e32 v148, v104
	v_mov_b32_e32 v149, v105
	s_waitcnt vmcnt(0)
	ds_write2_b64 v205, v[148:149], v[136:137] offset0:32 offset1:33
	ds_read_b64 v[148:149], v204
	s_waitcnt lgkmcnt(0)
	v_cmp_neq_f64_e32 vcc, 0, v[148:149]
	s_and_b64 exec, exec, vcc
	s_cbranch_execz .LBB67_29
; %bb.28:
	v_div_scale_f64 v[150:151], s[6:7], v[148:149], v[148:149], 1.0
	v_rcp_f64_e32 v[152:153], v[150:151]
	v_div_scale_f64 v[154:155], vcc, 1.0, v[148:149], 1.0
	v_fma_f64 v[156:157], -v[150:151], v[152:153], 1.0
	v_fmac_f64_e32 v[152:153], v[152:153], v[156:157]
	v_fma_f64 v[156:157], -v[150:151], v[152:153], 1.0
	v_fmac_f64_e32 v[152:153], v[152:153], v[156:157]
	v_mul_f64 v[156:157], v[154:155], v[152:153]
	v_fma_f64 v[150:151], -v[150:151], v[156:157], v[154:155]
	v_div_fmas_f64 v[150:151], v[150:151], v[152:153], v[156:157]
	v_div_fixup_f64 v[148:149], v[150:151], v[148:149], 1.0
	ds_write_b64 v204, v[148:149]
.LBB67_29:
	s_or_b64 exec, exec, s[2:3]
	s_waitcnt lgkmcnt(0)
	s_barrier
	ds_read_b64 v[148:149], v204
	v_cmp_lt_u32_e32 vcc, 5, v206
	s_and_saveexec_b64 s[2:3], vcc
	s_cbranch_execz .LBB67_31
; %bb.30:
	ds_read2_b64 v[150:153], v205 offset0:6 offset1:7
	ds_read2_b64 v[154:157], v205 offset0:8 offset1:9
	s_waitcnt vmcnt(28) lgkmcnt(2)
	v_mul_f64 v[98:99], v[148:149], v[98:99]
	ds_read2_b64 v[158:161], v205 offset0:10 offset1:11
	s_waitcnt vmcnt(27) lgkmcnt(2)
	v_fma_f64 v[130:131], -v[98:99], v[150:151], v[130:131]
	s_waitcnt vmcnt(26)
	v_fma_f64 v[96:97], -v[98:99], v[152:153], v[96:97]
	ds_read2_b64 v[150:153], v205 offset0:12 offset1:13
	s_waitcnt vmcnt(25) lgkmcnt(2)
	v_fma_f64 v[128:129], -v[98:99], v[154:155], v[128:129]
	s_waitcnt vmcnt(24)
	v_fma_f64 v[94:95], -v[98:99], v[156:157], v[94:95]
	;; [unrolled: 5-line block ×4, first 2 shown]
	s_waitcnt vmcnt(19) lgkmcnt(1)
	v_fma_f64 v[122:123], -v[98:99], v[154:155], v[122:123]
	ds_read2_b64 v[150:153], v205 offset0:18 offset1:19
	s_waitcnt vmcnt(18)
	v_fma_f64 v[88:89], -v[98:99], v[156:157], v[88:89]
	ds_read2_b64 v[154:157], v205 offset0:20 offset1:21
	s_waitcnt vmcnt(17) lgkmcnt(2)
	v_fma_f64 v[120:121], -v[98:99], v[158:159], v[120:121]
	s_waitcnt vmcnt(16)
	v_fma_f64 v[86:87], -v[98:99], v[160:161], v[86:87]
	s_waitcnt vmcnt(15) lgkmcnt(1)
	v_fma_f64 v[118:119], -v[98:99], v[150:151], v[118:119]
	ds_read2_b64 v[158:161], v205 offset0:22 offset1:23
	s_waitcnt vmcnt(14)
	v_fma_f64 v[84:85], -v[98:99], v[152:153], v[84:85]
	ds_read2_b64 v[150:153], v205 offset0:24 offset1:25
	s_waitcnt vmcnt(13) lgkmcnt(2)
	v_fma_f64 v[116:117], -v[98:99], v[154:155], v[116:117]
	s_waitcnt vmcnt(12)
	v_fma_f64 v[82:83], -v[98:99], v[156:157], v[82:83]
	ds_read2_b64 v[154:157], v205 offset0:26 offset1:27
	s_waitcnt vmcnt(11) lgkmcnt(2)
	v_fma_f64 v[114:115], -v[98:99], v[158:159], v[114:115]
	s_waitcnt vmcnt(10)
	v_fma_f64 v[80:81], -v[98:99], v[160:161], v[80:81]
	s_waitcnt vmcnt(9) lgkmcnt(1)
	v_fma_f64 v[112:113], -v[98:99], v[150:151], v[112:113]
	s_waitcnt vmcnt(8)
	v_fma_f64 v[78:79], -v[98:99], v[152:153], v[78:79]
	ds_read2_b64 v[150:153], v205 offset0:28 offset1:29
	s_waitcnt vmcnt(7) lgkmcnt(1)
	v_fma_f64 v[110:111], -v[98:99], v[154:155], v[110:111]
	ds_read2_b64 v[158:161], v205 offset0:30 offset1:31
	s_waitcnt vmcnt(6)
	v_fma_f64 v[76:77], -v[98:99], v[156:157], v[76:77]
	ds_read2_b64 v[154:157], v205 offset0:32 offset1:33
	s_waitcnt vmcnt(5) lgkmcnt(2)
	v_fma_f64 v[108:109], -v[98:99], v[150:151], v[108:109]
	s_waitcnt vmcnt(4)
	v_fma_f64 v[74:75], -v[98:99], v[152:153], v[74:75]
	s_waitcnt vmcnt(3) lgkmcnt(1)
	v_fma_f64 v[106:107], -v[98:99], v[158:159], v[106:107]
	s_waitcnt vmcnt(2)
	v_fma_f64 v[72:73], -v[98:99], v[160:161], v[72:73]
	;; [unrolled: 4-line block ×3, first 2 shown]
.LBB67_31:
	s_or_b64 exec, exec, s[2:3]
	v_cmp_eq_u32_e32 vcc, 6, v206
	s_waitcnt lgkmcnt(0)
	s_barrier
	s_and_saveexec_b64 s[2:3], vcc
	s_cbranch_execz .LBB67_34
; %bb.32:
	s_waitcnt vmcnt(27)
	ds_write_b64 v204, v[130:131]
	s_waitcnt vmcnt(25)
	ds_write2_b64 v205, v[96:97], v[128:129] offset0:7 offset1:8
	s_waitcnt vmcnt(23)
	ds_write2_b64 v205, v[94:95], v[126:127] offset0:9 offset1:10
	;; [unrolled: 2-line block ×13, first 2 shown]
	s_waitcnt vmcnt(0)
	ds_write_b64 v205, v[136:137] offset:264
	ds_read_b64 v[150:151], v204
	s_waitcnt lgkmcnt(0)
	v_cmp_neq_f64_e32 vcc, 0, v[150:151]
	s_and_b64 exec, exec, vcc
	s_cbranch_execz .LBB67_34
; %bb.33:
	v_div_scale_f64 v[152:153], s[6:7], v[150:151], v[150:151], 1.0
	v_rcp_f64_e32 v[154:155], v[152:153]
	v_div_scale_f64 v[156:157], vcc, 1.0, v[150:151], 1.0
	v_fma_f64 v[158:159], -v[152:153], v[154:155], 1.0
	v_fmac_f64_e32 v[154:155], v[154:155], v[158:159]
	v_fma_f64 v[158:159], -v[152:153], v[154:155], 1.0
	v_fmac_f64_e32 v[154:155], v[154:155], v[158:159]
	v_mul_f64 v[158:159], v[156:157], v[154:155]
	v_fma_f64 v[152:153], -v[152:153], v[158:159], v[156:157]
	v_div_fmas_f64 v[152:153], v[152:153], v[154:155], v[158:159]
	v_div_fixup_f64 v[150:151], v[152:153], v[150:151], 1.0
	ds_write_b64 v204, v[150:151]
.LBB67_34:
	s_or_b64 exec, exec, s[2:3]
	s_waitcnt lgkmcnt(0)
	s_barrier
	ds_read_b64 v[150:151], v204
	v_cmp_lt_u32_e32 vcc, 6, v206
	s_and_saveexec_b64 s[2:3], vcc
	s_cbranch_execz .LBB67_36
; %bb.35:
	ds_read2_b64 v[152:155], v205 offset0:7 offset1:8
	ds_read2_b64 v[156:159], v205 offset0:9 offset1:10
	s_waitcnt vmcnt(27) lgkmcnt(2)
	v_mul_f64 v[130:131], v[150:151], v[130:131]
	ds_read2_b64 v[160:163], v205 offset0:11 offset1:12
	s_waitcnt vmcnt(26) lgkmcnt(2)
	v_fma_f64 v[96:97], -v[130:131], v[152:153], v[96:97]
	s_waitcnt vmcnt(25)
	v_fma_f64 v[128:129], -v[130:131], v[154:155], v[128:129]
	ds_read2_b64 v[152:155], v205 offset0:13 offset1:14
	s_waitcnt vmcnt(24) lgkmcnt(2)
	v_fma_f64 v[94:95], -v[130:131], v[156:157], v[94:95]
	s_waitcnt vmcnt(23)
	v_fma_f64 v[126:127], -v[130:131], v[158:159], v[126:127]
	;; [unrolled: 5-line block ×4, first 2 shown]
	s_waitcnt vmcnt(18) lgkmcnt(1)
	v_fma_f64 v[88:89], -v[130:131], v[156:157], v[88:89]
	ds_read2_b64 v[152:155], v205 offset0:19 offset1:20
	s_waitcnt vmcnt(17)
	v_fma_f64 v[120:121], -v[130:131], v[158:159], v[120:121]
	ds_read2_b64 v[156:159], v205 offset0:21 offset1:22
	s_waitcnt vmcnt(16) lgkmcnt(2)
	v_fma_f64 v[86:87], -v[130:131], v[160:161], v[86:87]
	s_waitcnt vmcnt(15)
	v_fma_f64 v[118:119], -v[130:131], v[162:163], v[118:119]
	s_waitcnt vmcnt(14) lgkmcnt(1)
	v_fma_f64 v[84:85], -v[130:131], v[152:153], v[84:85]
	ds_read2_b64 v[160:163], v205 offset0:23 offset1:24
	s_waitcnt vmcnt(13)
	v_fma_f64 v[116:117], -v[130:131], v[154:155], v[116:117]
	ds_read2_b64 v[152:155], v205 offset0:25 offset1:26
	s_waitcnt vmcnt(12) lgkmcnt(2)
	v_fma_f64 v[82:83], -v[130:131], v[156:157], v[82:83]
	s_waitcnt vmcnt(11)
	v_fma_f64 v[114:115], -v[130:131], v[158:159], v[114:115]
	ds_read2_b64 v[156:159], v205 offset0:27 offset1:28
	s_waitcnt vmcnt(10) lgkmcnt(2)
	v_fma_f64 v[80:81], -v[130:131], v[160:161], v[80:81]
	s_waitcnt vmcnt(9)
	v_fma_f64 v[112:113], -v[130:131], v[162:163], v[112:113]
	s_waitcnt vmcnt(8) lgkmcnt(1)
	v_fma_f64 v[78:79], -v[130:131], v[152:153], v[78:79]
	s_waitcnt vmcnt(7)
	v_fma_f64 v[110:111], -v[130:131], v[154:155], v[110:111]
	ds_read2_b64 v[152:155], v205 offset0:29 offset1:30
	s_waitcnt vmcnt(6) lgkmcnt(1)
	v_fma_f64 v[76:77], -v[130:131], v[156:157], v[76:77]
	ds_read2_b64 v[160:163], v205 offset0:31 offset1:32
	ds_read_b64 v[156:157], v205 offset:264
	s_waitcnt vmcnt(5)
	v_fma_f64 v[108:109], -v[130:131], v[158:159], v[108:109]
	s_waitcnt vmcnt(4) lgkmcnt(2)
	v_fma_f64 v[74:75], -v[130:131], v[152:153], v[74:75]
	s_waitcnt vmcnt(3)
	v_fma_f64 v[106:107], -v[130:131], v[154:155], v[106:107]
	s_waitcnt vmcnt(2) lgkmcnt(1)
	v_fma_f64 v[72:73], -v[130:131], v[160:161], v[72:73]
	;; [unrolled: 4-line block ×3, first 2 shown]
.LBB67_36:
	s_or_b64 exec, exec, s[2:3]
	v_cmp_eq_u32_e32 vcc, 7, v206
	s_waitcnt lgkmcnt(0)
	s_barrier
	s_and_saveexec_b64 s[2:3], vcc
	s_cbranch_execz .LBB67_39
; %bb.37:
	s_waitcnt vmcnt(25)
	v_mov_b32_e32 v152, v128
	v_mov_b32_e32 v153, v129
	s_waitcnt vmcnt(24)
	v_mov_b32_e32 v154, v94
	v_mov_b32_e32 v155, v95
	ds_write_b64 v204, v[96:97]
	ds_write2_b64 v205, v[152:153], v[154:155] offset0:8 offset1:9
	s_waitcnt vmcnt(23)
	v_mov_b32_e32 v152, v126
	v_mov_b32_e32 v153, v127
	s_waitcnt vmcnt(22)
	v_mov_b32_e32 v154, v92
	v_mov_b32_e32 v155, v93
	ds_write2_b64 v205, v[152:153], v[154:155] offset0:10 offset1:11
	s_waitcnt vmcnt(21)
	v_mov_b32_e32 v152, v124
	v_mov_b32_e32 v153, v125
	s_waitcnt vmcnt(20)
	v_mov_b32_e32 v154, v90
	v_mov_b32_e32 v155, v91
	;; [unrolled: 7-line block ×11, first 2 shown]
	ds_write2_b64 v205, v[152:153], v[154:155] offset0:30 offset1:31
	s_waitcnt vmcnt(1)
	v_mov_b32_e32 v152, v104
	v_mov_b32_e32 v153, v105
	s_waitcnt vmcnt(0)
	ds_write2_b64 v205, v[152:153], v[136:137] offset0:32 offset1:33
	ds_read_b64 v[152:153], v204
	s_waitcnt lgkmcnt(0)
	v_cmp_neq_f64_e32 vcc, 0, v[152:153]
	s_and_b64 exec, exec, vcc
	s_cbranch_execz .LBB67_39
; %bb.38:
	v_div_scale_f64 v[154:155], s[6:7], v[152:153], v[152:153], 1.0
	v_rcp_f64_e32 v[156:157], v[154:155]
	v_div_scale_f64 v[158:159], vcc, 1.0, v[152:153], 1.0
	v_fma_f64 v[160:161], -v[154:155], v[156:157], 1.0
	v_fmac_f64_e32 v[156:157], v[156:157], v[160:161]
	v_fma_f64 v[160:161], -v[154:155], v[156:157], 1.0
	v_fmac_f64_e32 v[156:157], v[156:157], v[160:161]
	v_mul_f64 v[160:161], v[158:159], v[156:157]
	v_fma_f64 v[154:155], -v[154:155], v[160:161], v[158:159]
	v_div_fmas_f64 v[154:155], v[154:155], v[156:157], v[160:161]
	v_div_fixup_f64 v[152:153], v[154:155], v[152:153], 1.0
	ds_write_b64 v204, v[152:153]
.LBB67_39:
	s_or_b64 exec, exec, s[2:3]
	s_waitcnt lgkmcnt(0)
	s_barrier
	ds_read_b64 v[152:153], v204
	v_cmp_lt_u32_e32 vcc, 7, v206
	s_and_saveexec_b64 s[2:3], vcc
	s_cbranch_execz .LBB67_41
; %bb.40:
	ds_read2_b64 v[154:157], v205 offset0:8 offset1:9
	s_waitcnt vmcnt(26) lgkmcnt(1)
	v_mul_f64 v[96:97], v[152:153], v[96:97]
	s_waitcnt vmcnt(25) lgkmcnt(0)
	v_fma_f64 v[128:129], -v[96:97], v[154:155], v[128:129]
	s_waitcnt vmcnt(24)
	v_fma_f64 v[94:95], -v[96:97], v[156:157], v[94:95]
	ds_read2_b64 v[154:157], v205 offset0:10 offset1:11
	s_waitcnt vmcnt(23) lgkmcnt(0)
	v_fma_f64 v[126:127], -v[96:97], v[154:155], v[126:127]
	s_waitcnt vmcnt(22)
	v_fma_f64 v[92:93], -v[96:97], v[156:157], v[92:93]
	ds_read2_b64 v[154:157], v205 offset0:12 offset1:13
	;; [unrolled: 5-line block ×12, first 2 shown]
	s_waitcnt vmcnt(1) lgkmcnt(0)
	v_fma_f64 v[104:105], -v[96:97], v[154:155], v[104:105]
	s_waitcnt vmcnt(0)
	v_fma_f64 v[136:137], -v[96:97], v[156:157], v[136:137]
.LBB67_41:
	s_or_b64 exec, exec, s[2:3]
	v_cmp_eq_u32_e32 vcc, 8, v206
	s_waitcnt lgkmcnt(0)
	s_barrier
	s_and_saveexec_b64 s[2:3], vcc
	s_cbranch_execz .LBB67_44
; %bb.42:
	s_waitcnt vmcnt(25)
	ds_write_b64 v204, v[128:129]
	s_waitcnt vmcnt(23)
	ds_write2_b64 v205, v[94:95], v[126:127] offset0:9 offset1:10
	s_waitcnt vmcnt(21)
	ds_write2_b64 v205, v[92:93], v[124:125] offset0:11 offset1:12
	;; [unrolled: 2-line block ×12, first 2 shown]
	s_waitcnt vmcnt(0)
	ds_write_b64 v205, v[136:137] offset:264
	ds_read_b64 v[154:155], v204
	s_waitcnt lgkmcnt(0)
	v_cmp_neq_f64_e32 vcc, 0, v[154:155]
	s_and_b64 exec, exec, vcc
	s_cbranch_execz .LBB67_44
; %bb.43:
	v_div_scale_f64 v[156:157], s[6:7], v[154:155], v[154:155], 1.0
	v_rcp_f64_e32 v[158:159], v[156:157]
	v_div_scale_f64 v[160:161], vcc, 1.0, v[154:155], 1.0
	v_fma_f64 v[162:163], -v[156:157], v[158:159], 1.0
	v_fmac_f64_e32 v[158:159], v[158:159], v[162:163]
	v_fma_f64 v[162:163], -v[156:157], v[158:159], 1.0
	v_fmac_f64_e32 v[158:159], v[158:159], v[162:163]
	v_mul_f64 v[162:163], v[160:161], v[158:159]
	v_fma_f64 v[156:157], -v[156:157], v[162:163], v[160:161]
	v_div_fmas_f64 v[156:157], v[156:157], v[158:159], v[162:163]
	v_div_fixup_f64 v[154:155], v[156:157], v[154:155], 1.0
	ds_write_b64 v204, v[154:155]
.LBB67_44:
	s_or_b64 exec, exec, s[2:3]
	s_waitcnt lgkmcnt(0)
	s_barrier
	ds_read_b64 v[154:155], v204
	v_cmp_lt_u32_e32 vcc, 8, v206
	s_and_saveexec_b64 s[2:3], vcc
	s_cbranch_execz .LBB67_46
; %bb.45:
	ds_read2_b64 v[156:159], v205 offset0:9 offset1:10
	ds_read2_b64 v[160:163], v205 offset0:11 offset1:12
	s_waitcnt vmcnt(25) lgkmcnt(2)
	v_mul_f64 v[128:129], v[154:155], v[128:129]
	ds_read2_b64 v[164:167], v205 offset0:13 offset1:14
	s_waitcnt vmcnt(24) lgkmcnt(2)
	v_fma_f64 v[94:95], -v[128:129], v[156:157], v[94:95]
	s_waitcnt vmcnt(23)
	v_fma_f64 v[126:127], -v[128:129], v[158:159], v[126:127]
	ds_read2_b64 v[156:159], v205 offset0:15 offset1:16
	s_waitcnt vmcnt(22) lgkmcnt(2)
	v_fma_f64 v[92:93], -v[128:129], v[160:161], v[92:93]
	s_waitcnt vmcnt(21)
	v_fma_f64 v[124:125], -v[128:129], v[162:163], v[124:125]
	s_waitcnt vmcnt(20) lgkmcnt(1)
	v_fma_f64 v[90:91], -v[128:129], v[164:165], v[90:91]
	ds_read2_b64 v[160:163], v205 offset0:17 offset1:18
	s_waitcnt vmcnt(19)
	v_fma_f64 v[122:123], -v[128:129], v[166:167], v[122:123]
	ds_read2_b64 v[164:167], v205 offset0:19 offset1:20
	s_waitcnt vmcnt(18) lgkmcnt(2)
	v_fma_f64 v[88:89], -v[128:129], v[156:157], v[88:89]
	s_waitcnt vmcnt(17)
	v_fma_f64 v[120:121], -v[128:129], v[158:159], v[120:121]
	ds_read2_b64 v[156:159], v205 offset0:21 offset1:22
	s_waitcnt vmcnt(16) lgkmcnt(2)
	v_fma_f64 v[86:87], -v[128:129], v[160:161], v[86:87]
	;; [unrolled: 5-line block ×3, first 2 shown]
	s_waitcnt vmcnt(13)
	v_fma_f64 v[116:117], -v[128:129], v[166:167], v[116:117]
	s_waitcnt vmcnt(12) lgkmcnt(1)
	v_fma_f64 v[82:83], -v[128:129], v[156:157], v[82:83]
	ds_read2_b64 v[164:167], v205 offset0:25 offset1:26
	s_waitcnt vmcnt(11)
	v_fma_f64 v[114:115], -v[128:129], v[158:159], v[114:115]
	ds_read2_b64 v[156:159], v205 offset0:27 offset1:28
	s_waitcnt vmcnt(10) lgkmcnt(2)
	v_fma_f64 v[80:81], -v[128:129], v[160:161], v[80:81]
	s_waitcnt vmcnt(9)
	v_fma_f64 v[112:113], -v[128:129], v[162:163], v[112:113]
	s_waitcnt vmcnt(8) lgkmcnt(1)
	v_fma_f64 v[78:79], -v[128:129], v[164:165], v[78:79]
	s_waitcnt vmcnt(7)
	v_fma_f64 v[110:111], -v[128:129], v[166:167], v[110:111]
	ds_read2_b64 v[160:163], v205 offset0:29 offset1:30
	ds_read2_b64 v[164:167], v205 offset0:31 offset1:32
	s_waitcnt vmcnt(6) lgkmcnt(2)
	v_fma_f64 v[76:77], -v[128:129], v[156:157], v[76:77]
	ds_read_b64 v[156:157], v205 offset:264
	s_waitcnt vmcnt(5)
	v_fma_f64 v[108:109], -v[128:129], v[158:159], v[108:109]
	s_waitcnt vmcnt(4) lgkmcnt(2)
	v_fma_f64 v[74:75], -v[128:129], v[160:161], v[74:75]
	s_waitcnt vmcnt(3)
	v_fma_f64 v[106:107], -v[128:129], v[162:163], v[106:107]
	s_waitcnt vmcnt(2) lgkmcnt(1)
	v_fma_f64 v[72:73], -v[128:129], v[164:165], v[72:73]
	;; [unrolled: 4-line block ×3, first 2 shown]
.LBB67_46:
	s_or_b64 exec, exec, s[2:3]
	v_cmp_eq_u32_e32 vcc, 9, v206
	s_waitcnt lgkmcnt(0)
	s_barrier
	s_and_saveexec_b64 s[2:3], vcc
	s_cbranch_execz .LBB67_49
; %bb.47:
	s_waitcnt vmcnt(23)
	v_mov_b32_e32 v156, v126
	v_mov_b32_e32 v157, v127
	s_waitcnt vmcnt(22)
	v_mov_b32_e32 v158, v92
	v_mov_b32_e32 v159, v93
	ds_write_b64 v204, v[94:95]
	ds_write2_b64 v205, v[156:157], v[158:159] offset0:10 offset1:11
	s_waitcnt vmcnt(21)
	v_mov_b32_e32 v156, v124
	v_mov_b32_e32 v157, v125
	s_waitcnt vmcnt(20)
	v_mov_b32_e32 v158, v90
	v_mov_b32_e32 v159, v91
	ds_write2_b64 v205, v[156:157], v[158:159] offset0:12 offset1:13
	s_waitcnt vmcnt(19)
	v_mov_b32_e32 v156, v122
	v_mov_b32_e32 v157, v123
	s_waitcnt vmcnt(18)
	v_mov_b32_e32 v158, v88
	v_mov_b32_e32 v159, v89
	;; [unrolled: 7-line block ×10, first 2 shown]
	ds_write2_b64 v205, v[156:157], v[158:159] offset0:30 offset1:31
	s_waitcnt vmcnt(1)
	v_mov_b32_e32 v156, v104
	v_mov_b32_e32 v157, v105
	s_waitcnt vmcnt(0)
	ds_write2_b64 v205, v[156:157], v[136:137] offset0:32 offset1:33
	ds_read_b64 v[156:157], v204
	s_waitcnt lgkmcnt(0)
	v_cmp_neq_f64_e32 vcc, 0, v[156:157]
	s_and_b64 exec, exec, vcc
	s_cbranch_execz .LBB67_49
; %bb.48:
	v_div_scale_f64 v[158:159], s[6:7], v[156:157], v[156:157], 1.0
	v_rcp_f64_e32 v[160:161], v[158:159]
	v_div_scale_f64 v[162:163], vcc, 1.0, v[156:157], 1.0
	v_fma_f64 v[164:165], -v[158:159], v[160:161], 1.0
	v_fmac_f64_e32 v[160:161], v[160:161], v[164:165]
	v_fma_f64 v[164:165], -v[158:159], v[160:161], 1.0
	v_fmac_f64_e32 v[160:161], v[160:161], v[164:165]
	v_mul_f64 v[164:165], v[162:163], v[160:161]
	v_fma_f64 v[158:159], -v[158:159], v[164:165], v[162:163]
	v_div_fmas_f64 v[158:159], v[158:159], v[160:161], v[164:165]
	v_div_fixup_f64 v[156:157], v[158:159], v[156:157], 1.0
	ds_write_b64 v204, v[156:157]
.LBB67_49:
	s_or_b64 exec, exec, s[2:3]
	s_waitcnt lgkmcnt(0)
	s_barrier
	ds_read_b64 v[156:157], v204
	v_cmp_lt_u32_e32 vcc, 9, v206
	s_and_saveexec_b64 s[2:3], vcc
	s_cbranch_execz .LBB67_51
; %bb.50:
	ds_read2_b64 v[158:161], v205 offset0:10 offset1:11
	ds_read2_b64 v[162:165], v205 offset0:12 offset1:13
	;; [unrolled: 1-line block ×3, first 2 shown]
	s_waitcnt vmcnt(24) lgkmcnt(3)
	v_mul_f64 v[94:95], v[156:157], v[94:95]
	s_waitcnt vmcnt(23) lgkmcnt(2)
	v_fma_f64 v[126:127], -v[94:95], v[158:159], v[126:127]
	s_waitcnt vmcnt(22)
	v_fma_f64 v[92:93], -v[94:95], v[160:161], v[92:93]
	ds_read2_b64 v[158:161], v205 offset0:16 offset1:17
	s_waitcnt vmcnt(21) lgkmcnt(2)
	v_fma_f64 v[124:125], -v[94:95], v[162:163], v[124:125]
	s_waitcnt vmcnt(20)
	v_fma_f64 v[90:91], -v[94:95], v[164:165], v[90:91]
	s_waitcnt vmcnt(19) lgkmcnt(1)
	v_fma_f64 v[122:123], -v[94:95], v[166:167], v[122:123]
	ds_read2_b64 v[162:165], v205 offset0:18 offset1:19
	s_waitcnt vmcnt(18)
	v_fma_f64 v[88:89], -v[94:95], v[168:169], v[88:89]
	ds_read2_b64 v[166:169], v205 offset0:20 offset1:21
	s_waitcnt vmcnt(17) lgkmcnt(2)
	v_fma_f64 v[120:121], -v[94:95], v[158:159], v[120:121]
	s_waitcnt vmcnt(16)
	v_fma_f64 v[86:87], -v[94:95], v[160:161], v[86:87]
	s_waitcnt vmcnt(15) lgkmcnt(1)
	v_fma_f64 v[118:119], -v[94:95], v[162:163], v[118:119]
	ds_read2_b64 v[158:161], v205 offset0:22 offset1:23
	s_waitcnt vmcnt(14)
	v_fma_f64 v[84:85], -v[94:95], v[164:165], v[84:85]
	ds_read2_b64 v[162:165], v205 offset0:24 offset1:25
	s_waitcnt vmcnt(13) lgkmcnt(2)
	v_fma_f64 v[116:117], -v[94:95], v[166:167], v[116:117]
	s_waitcnt vmcnt(12)
	v_fma_f64 v[82:83], -v[94:95], v[168:169], v[82:83]
	ds_read2_b64 v[166:169], v205 offset0:26 offset1:27
	s_waitcnt vmcnt(11) lgkmcnt(2)
	v_fma_f64 v[114:115], -v[94:95], v[158:159], v[114:115]
	;; [unrolled: 5-line block ×3, first 2 shown]
	s_waitcnt vmcnt(8)
	v_fma_f64 v[78:79], -v[94:95], v[164:165], v[78:79]
	s_waitcnt vmcnt(7) lgkmcnt(1)
	v_fma_f64 v[110:111], -v[94:95], v[166:167], v[110:111]
	ds_read2_b64 v[162:165], v205 offset0:30 offset1:31
	s_waitcnt vmcnt(6)
	v_fma_f64 v[76:77], -v[94:95], v[168:169], v[76:77]
	ds_read2_b64 v[166:169], v205 offset0:32 offset1:33
	s_waitcnt vmcnt(5) lgkmcnt(2)
	v_fma_f64 v[108:109], -v[94:95], v[158:159], v[108:109]
	s_waitcnt vmcnt(4)
	v_fma_f64 v[74:75], -v[94:95], v[160:161], v[74:75]
	s_waitcnt vmcnt(3) lgkmcnt(1)
	v_fma_f64 v[106:107], -v[94:95], v[162:163], v[106:107]
	s_waitcnt vmcnt(2)
	v_fma_f64 v[72:73], -v[94:95], v[164:165], v[72:73]
	;; [unrolled: 4-line block ×3, first 2 shown]
.LBB67_51:
	s_or_b64 exec, exec, s[2:3]
	v_cmp_eq_u32_e32 vcc, 10, v206
	s_waitcnt lgkmcnt(0)
	s_barrier
	s_and_saveexec_b64 s[2:3], vcc
	s_cbranch_execz .LBB67_54
; %bb.52:
	s_waitcnt vmcnt(23)
	ds_write_b64 v204, v[126:127]
	s_waitcnt vmcnt(21)
	ds_write2_b64 v205, v[92:93], v[124:125] offset0:11 offset1:12
	s_waitcnt vmcnt(19)
	ds_write2_b64 v205, v[90:91], v[122:123] offset0:13 offset1:14
	;; [unrolled: 2-line block ×11, first 2 shown]
	s_waitcnt vmcnt(0)
	ds_write_b64 v205, v[136:137] offset:264
	ds_read_b64 v[158:159], v204
	s_waitcnt lgkmcnt(0)
	v_cmp_neq_f64_e32 vcc, 0, v[158:159]
	s_and_b64 exec, exec, vcc
	s_cbranch_execz .LBB67_54
; %bb.53:
	v_div_scale_f64 v[160:161], s[6:7], v[158:159], v[158:159], 1.0
	v_rcp_f64_e32 v[162:163], v[160:161]
	v_div_scale_f64 v[164:165], vcc, 1.0, v[158:159], 1.0
	v_fma_f64 v[166:167], -v[160:161], v[162:163], 1.0
	v_fmac_f64_e32 v[162:163], v[162:163], v[166:167]
	v_fma_f64 v[166:167], -v[160:161], v[162:163], 1.0
	v_fmac_f64_e32 v[162:163], v[162:163], v[166:167]
	v_mul_f64 v[166:167], v[164:165], v[162:163]
	v_fma_f64 v[160:161], -v[160:161], v[166:167], v[164:165]
	v_div_fmas_f64 v[160:161], v[160:161], v[162:163], v[166:167]
	v_div_fixup_f64 v[158:159], v[160:161], v[158:159], 1.0
	ds_write_b64 v204, v[158:159]
.LBB67_54:
	s_or_b64 exec, exec, s[2:3]
	s_waitcnt lgkmcnt(0)
	s_barrier
	ds_read_b64 v[158:159], v204
	v_cmp_lt_u32_e32 vcc, 10, v206
	s_and_saveexec_b64 s[2:3], vcc
	s_cbranch_execz .LBB67_56
; %bb.55:
	ds_read2_b64 v[160:163], v205 offset0:11 offset1:12
	ds_read2_b64 v[164:167], v205 offset0:13 offset1:14
	;; [unrolled: 1-line block ×3, first 2 shown]
	s_waitcnt vmcnt(23) lgkmcnt(3)
	v_mul_f64 v[126:127], v[158:159], v[126:127]
	s_waitcnt vmcnt(22) lgkmcnt(2)
	v_fma_f64 v[92:93], -v[126:127], v[160:161], v[92:93]
	s_waitcnt vmcnt(21)
	v_fma_f64 v[124:125], -v[126:127], v[162:163], v[124:125]
	ds_read2_b64 v[160:163], v205 offset0:17 offset1:18
	s_waitcnt vmcnt(20) lgkmcnt(2)
	v_fma_f64 v[90:91], -v[126:127], v[164:165], v[90:91]
	s_waitcnt vmcnt(19)
	v_fma_f64 v[122:123], -v[126:127], v[166:167], v[122:123]
	s_waitcnt vmcnt(18) lgkmcnt(1)
	v_fma_f64 v[88:89], -v[126:127], v[168:169], v[88:89]
	ds_read2_b64 v[164:167], v205 offset0:19 offset1:20
	s_waitcnt vmcnt(17)
	v_fma_f64 v[120:121], -v[126:127], v[170:171], v[120:121]
	ds_read2_b64 v[168:171], v205 offset0:21 offset1:22
	s_waitcnt vmcnt(16) lgkmcnt(2)
	v_fma_f64 v[86:87], -v[126:127], v[160:161], v[86:87]
	s_waitcnt vmcnt(15)
	v_fma_f64 v[118:119], -v[126:127], v[162:163], v[118:119]
	s_waitcnt vmcnt(14) lgkmcnt(1)
	v_fma_f64 v[84:85], -v[126:127], v[164:165], v[84:85]
	ds_read2_b64 v[160:163], v205 offset0:23 offset1:24
	s_waitcnt vmcnt(13)
	v_fma_f64 v[116:117], -v[126:127], v[166:167], v[116:117]
	ds_read2_b64 v[164:167], v205 offset0:25 offset1:26
	s_waitcnt vmcnt(12) lgkmcnt(2)
	v_fma_f64 v[82:83], -v[126:127], v[168:169], v[82:83]
	s_waitcnt vmcnt(11)
	v_fma_f64 v[114:115], -v[126:127], v[170:171], v[114:115]
	ds_read2_b64 v[168:171], v205 offset0:27 offset1:28
	s_waitcnt vmcnt(10) lgkmcnt(2)
	v_fma_f64 v[80:81], -v[126:127], v[160:161], v[80:81]
	;; [unrolled: 5-line block ×3, first 2 shown]
	s_waitcnt vmcnt(7)
	v_fma_f64 v[110:111], -v[126:127], v[166:167], v[110:111]
	s_waitcnt vmcnt(6) lgkmcnt(1)
	v_fma_f64 v[76:77], -v[126:127], v[168:169], v[76:77]
	ds_read2_b64 v[164:167], v205 offset0:31 offset1:32
	ds_read_b64 v[168:169], v205 offset:264
	s_waitcnt vmcnt(5)
	v_fma_f64 v[108:109], -v[126:127], v[170:171], v[108:109]
	s_waitcnt vmcnt(4) lgkmcnt(2)
	v_fma_f64 v[74:75], -v[126:127], v[160:161], v[74:75]
	s_waitcnt vmcnt(3)
	v_fma_f64 v[106:107], -v[126:127], v[162:163], v[106:107]
	s_waitcnt vmcnt(2) lgkmcnt(1)
	v_fma_f64 v[72:73], -v[126:127], v[164:165], v[72:73]
	;; [unrolled: 4-line block ×3, first 2 shown]
.LBB67_56:
	s_or_b64 exec, exec, s[2:3]
	v_cmp_eq_u32_e32 vcc, 11, v206
	s_waitcnt lgkmcnt(0)
	s_barrier
	s_and_saveexec_b64 s[2:3], vcc
	s_cbranch_execz .LBB67_59
; %bb.57:
	s_waitcnt vmcnt(21)
	v_mov_b32_e32 v160, v124
	v_mov_b32_e32 v161, v125
	s_waitcnt vmcnt(20)
	v_mov_b32_e32 v162, v90
	v_mov_b32_e32 v163, v91
	ds_write_b64 v204, v[92:93]
	ds_write2_b64 v205, v[160:161], v[162:163] offset0:12 offset1:13
	s_waitcnt vmcnt(19)
	v_mov_b32_e32 v160, v122
	v_mov_b32_e32 v161, v123
	s_waitcnt vmcnt(18)
	v_mov_b32_e32 v162, v88
	v_mov_b32_e32 v163, v89
	ds_write2_b64 v205, v[160:161], v[162:163] offset0:14 offset1:15
	s_waitcnt vmcnt(17)
	v_mov_b32_e32 v160, v120
	v_mov_b32_e32 v161, v121
	s_waitcnt vmcnt(16)
	v_mov_b32_e32 v162, v86
	v_mov_b32_e32 v163, v87
	;; [unrolled: 7-line block ×9, first 2 shown]
	ds_write2_b64 v205, v[160:161], v[162:163] offset0:30 offset1:31
	s_waitcnt vmcnt(1)
	v_mov_b32_e32 v160, v104
	v_mov_b32_e32 v161, v105
	s_waitcnt vmcnt(0)
	ds_write2_b64 v205, v[160:161], v[136:137] offset0:32 offset1:33
	ds_read_b64 v[160:161], v204
	s_waitcnt lgkmcnt(0)
	v_cmp_neq_f64_e32 vcc, 0, v[160:161]
	s_and_b64 exec, exec, vcc
	s_cbranch_execz .LBB67_59
; %bb.58:
	v_div_scale_f64 v[162:163], s[6:7], v[160:161], v[160:161], 1.0
	v_rcp_f64_e32 v[164:165], v[162:163]
	v_div_scale_f64 v[166:167], vcc, 1.0, v[160:161], 1.0
	v_fma_f64 v[168:169], -v[162:163], v[164:165], 1.0
	v_fmac_f64_e32 v[164:165], v[164:165], v[168:169]
	v_fma_f64 v[168:169], -v[162:163], v[164:165], 1.0
	v_fmac_f64_e32 v[164:165], v[164:165], v[168:169]
	v_mul_f64 v[168:169], v[166:167], v[164:165]
	v_fma_f64 v[162:163], -v[162:163], v[168:169], v[166:167]
	v_div_fmas_f64 v[162:163], v[162:163], v[164:165], v[168:169]
	v_div_fixup_f64 v[160:161], v[162:163], v[160:161], 1.0
	ds_write_b64 v204, v[160:161]
.LBB67_59:
	s_or_b64 exec, exec, s[2:3]
	s_waitcnt lgkmcnt(0)
	s_barrier
	ds_read_b64 v[160:161], v204
	v_cmp_lt_u32_e32 vcc, 11, v206
	s_and_saveexec_b64 s[2:3], vcc
	s_cbranch_execz .LBB67_61
; %bb.60:
	ds_read2_b64 v[162:165], v205 offset0:12 offset1:13
	ds_read2_b64 v[166:169], v205 offset0:14 offset1:15
	s_waitcnt vmcnt(22) lgkmcnt(2)
	v_mul_f64 v[92:93], v[160:161], v[92:93]
	ds_read2_b64 v[170:173], v205 offset0:16 offset1:17
	s_waitcnt vmcnt(21) lgkmcnt(2)
	v_fma_f64 v[124:125], -v[92:93], v[162:163], v[124:125]
	s_waitcnt vmcnt(20)
	v_fma_f64 v[90:91], -v[92:93], v[164:165], v[90:91]
	ds_read2_b64 v[162:165], v205 offset0:18 offset1:19
	s_waitcnt vmcnt(19) lgkmcnt(2)
	v_fma_f64 v[122:123], -v[92:93], v[166:167], v[122:123]
	s_waitcnt vmcnt(18)
	v_fma_f64 v[88:89], -v[92:93], v[168:169], v[88:89]
	ds_read2_b64 v[166:169], v205 offset0:20 offset1:21
	s_waitcnt vmcnt(17) lgkmcnt(2)
	v_fma_f64 v[120:121], -v[92:93], v[170:171], v[120:121]
	s_waitcnt vmcnt(16)
	v_fma_f64 v[86:87], -v[92:93], v[172:173], v[86:87]
	ds_read2_b64 v[170:173], v205 offset0:22 offset1:23
	s_waitcnt vmcnt(15) lgkmcnt(2)
	v_fma_f64 v[118:119], -v[92:93], v[162:163], v[118:119]
	s_waitcnt vmcnt(14)
	v_fma_f64 v[84:85], -v[92:93], v[164:165], v[84:85]
	s_waitcnt vmcnt(13) lgkmcnt(1)
	v_fma_f64 v[116:117], -v[92:93], v[166:167], v[116:117]
	ds_read2_b64 v[162:165], v205 offset0:24 offset1:25
	s_waitcnt vmcnt(12)
	v_fma_f64 v[82:83], -v[92:93], v[168:169], v[82:83]
	ds_read2_b64 v[166:169], v205 offset0:26 offset1:27
	s_waitcnt vmcnt(11) lgkmcnt(2)
	v_fma_f64 v[114:115], -v[92:93], v[170:171], v[114:115]
	s_waitcnt vmcnt(10)
	v_fma_f64 v[80:81], -v[92:93], v[172:173], v[80:81]
	s_waitcnt vmcnt(9) lgkmcnt(1)
	v_fma_f64 v[112:113], -v[92:93], v[162:163], v[112:113]
	s_waitcnt vmcnt(8)
	v_fma_f64 v[78:79], -v[92:93], v[164:165], v[78:79]
	ds_read2_b64 v[162:165], v205 offset0:28 offset1:29
	ds_read2_b64 v[170:173], v205 offset0:30 offset1:31
	s_waitcnt vmcnt(7) lgkmcnt(2)
	v_fma_f64 v[110:111], -v[92:93], v[166:167], v[110:111]
	s_waitcnt vmcnt(6)
	v_fma_f64 v[76:77], -v[92:93], v[168:169], v[76:77]
	ds_read2_b64 v[166:169], v205 offset0:32 offset1:33
	s_waitcnt vmcnt(5) lgkmcnt(2)
	v_fma_f64 v[108:109], -v[92:93], v[162:163], v[108:109]
	s_waitcnt vmcnt(4)
	v_fma_f64 v[74:75], -v[92:93], v[164:165], v[74:75]
	s_waitcnt vmcnt(3) lgkmcnt(1)
	v_fma_f64 v[106:107], -v[92:93], v[170:171], v[106:107]
	s_waitcnt vmcnt(2)
	v_fma_f64 v[72:73], -v[92:93], v[172:173], v[72:73]
	;; [unrolled: 4-line block ×3, first 2 shown]
.LBB67_61:
	s_or_b64 exec, exec, s[2:3]
	v_cmp_eq_u32_e32 vcc, 12, v206
	s_waitcnt lgkmcnt(0)
	s_barrier
	s_and_saveexec_b64 s[2:3], vcc
	s_cbranch_execz .LBB67_64
; %bb.62:
	s_waitcnt vmcnt(21)
	ds_write_b64 v204, v[124:125]
	s_waitcnt vmcnt(19)
	ds_write2_b64 v205, v[90:91], v[122:123] offset0:13 offset1:14
	s_waitcnt vmcnt(17)
	ds_write2_b64 v205, v[88:89], v[120:121] offset0:15 offset1:16
	;; [unrolled: 2-line block ×10, first 2 shown]
	s_waitcnt vmcnt(0)
	ds_write_b64 v205, v[136:137] offset:264
	ds_read_b64 v[162:163], v204
	s_waitcnt lgkmcnt(0)
	v_cmp_neq_f64_e32 vcc, 0, v[162:163]
	s_and_b64 exec, exec, vcc
	s_cbranch_execz .LBB67_64
; %bb.63:
	v_div_scale_f64 v[164:165], s[6:7], v[162:163], v[162:163], 1.0
	v_rcp_f64_e32 v[166:167], v[164:165]
	v_div_scale_f64 v[168:169], vcc, 1.0, v[162:163], 1.0
	v_fma_f64 v[170:171], -v[164:165], v[166:167], 1.0
	v_fmac_f64_e32 v[166:167], v[166:167], v[170:171]
	v_fma_f64 v[170:171], -v[164:165], v[166:167], 1.0
	v_fmac_f64_e32 v[166:167], v[166:167], v[170:171]
	v_mul_f64 v[170:171], v[168:169], v[166:167]
	v_fma_f64 v[164:165], -v[164:165], v[170:171], v[168:169]
	v_div_fmas_f64 v[164:165], v[164:165], v[166:167], v[170:171]
	v_div_fixup_f64 v[162:163], v[164:165], v[162:163], 1.0
	ds_write_b64 v204, v[162:163]
.LBB67_64:
	s_or_b64 exec, exec, s[2:3]
	s_waitcnt lgkmcnt(0)
	s_barrier
	ds_read_b64 v[162:163], v204
	v_cmp_lt_u32_e32 vcc, 12, v206
	s_and_saveexec_b64 s[2:3], vcc
	s_cbranch_execz .LBB67_66
; %bb.65:
	ds_read2_b64 v[164:167], v205 offset0:13 offset1:14
	ds_read2_b64 v[168:171], v205 offset0:15 offset1:16
	s_waitcnt vmcnt(21) lgkmcnt(2)
	v_mul_f64 v[124:125], v[162:163], v[124:125]
	ds_read2_b64 v[172:175], v205 offset0:17 offset1:18
	s_waitcnt vmcnt(20) lgkmcnt(2)
	v_fma_f64 v[90:91], -v[124:125], v[164:165], v[90:91]
	s_waitcnt vmcnt(19)
	v_fma_f64 v[122:123], -v[124:125], v[166:167], v[122:123]
	ds_read2_b64 v[164:167], v205 offset0:19 offset1:20
	s_waitcnt vmcnt(18) lgkmcnt(2)
	v_fma_f64 v[88:89], -v[124:125], v[168:169], v[88:89]
	s_waitcnt vmcnt(17)
	v_fma_f64 v[120:121], -v[124:125], v[170:171], v[120:121]
	;; [unrolled: 5-line block ×4, first 2 shown]
	s_waitcnt vmcnt(12) lgkmcnt(1)
	v_fma_f64 v[82:83], -v[124:125], v[168:169], v[82:83]
	ds_read2_b64 v[164:167], v205 offset0:25 offset1:26
	s_waitcnt vmcnt(11)
	v_fma_f64 v[114:115], -v[124:125], v[170:171], v[114:115]
	ds_read2_b64 v[168:171], v205 offset0:27 offset1:28
	s_waitcnt vmcnt(10) lgkmcnt(2)
	v_fma_f64 v[80:81], -v[124:125], v[172:173], v[80:81]
	s_waitcnt vmcnt(9)
	v_fma_f64 v[112:113], -v[124:125], v[174:175], v[112:113]
	s_waitcnt vmcnt(8) lgkmcnt(1)
	v_fma_f64 v[78:79], -v[124:125], v[164:165], v[78:79]
	s_waitcnt vmcnt(7)
	v_fma_f64 v[110:111], -v[124:125], v[166:167], v[110:111]
	ds_read2_b64 v[164:167], v205 offset0:29 offset1:30
	ds_read2_b64 v[172:175], v205 offset0:31 offset1:32
	s_waitcnt vmcnt(6) lgkmcnt(2)
	v_fma_f64 v[76:77], -v[124:125], v[168:169], v[76:77]
	ds_read_b64 v[168:169], v205 offset:264
	s_waitcnt vmcnt(5)
	v_fma_f64 v[108:109], -v[124:125], v[170:171], v[108:109]
	s_waitcnt vmcnt(4) lgkmcnt(2)
	v_fma_f64 v[74:75], -v[124:125], v[164:165], v[74:75]
	s_waitcnt vmcnt(3)
	v_fma_f64 v[106:107], -v[124:125], v[166:167], v[106:107]
	s_waitcnt vmcnt(2) lgkmcnt(1)
	v_fma_f64 v[72:73], -v[124:125], v[172:173], v[72:73]
	;; [unrolled: 4-line block ×3, first 2 shown]
.LBB67_66:
	s_or_b64 exec, exec, s[2:3]
	v_cmp_eq_u32_e32 vcc, 13, v206
	s_waitcnt lgkmcnt(0)
	s_barrier
	s_and_saveexec_b64 s[2:3], vcc
	s_cbranch_execz .LBB67_69
; %bb.67:
	s_waitcnt vmcnt(19)
	v_mov_b32_e32 v164, v122
	v_mov_b32_e32 v165, v123
	s_waitcnt vmcnt(18)
	v_mov_b32_e32 v166, v88
	v_mov_b32_e32 v167, v89
	ds_write_b64 v204, v[90:91]
	ds_write2_b64 v205, v[164:165], v[166:167] offset0:14 offset1:15
	s_waitcnt vmcnt(17)
	v_mov_b32_e32 v164, v120
	v_mov_b32_e32 v165, v121
	s_waitcnt vmcnt(16)
	v_mov_b32_e32 v166, v86
	v_mov_b32_e32 v167, v87
	ds_write2_b64 v205, v[164:165], v[166:167] offset0:16 offset1:17
	s_waitcnt vmcnt(15)
	v_mov_b32_e32 v164, v118
	v_mov_b32_e32 v165, v119
	s_waitcnt vmcnt(14)
	v_mov_b32_e32 v166, v84
	v_mov_b32_e32 v167, v85
	;; [unrolled: 7-line block ×8, first 2 shown]
	ds_write2_b64 v205, v[164:165], v[166:167] offset0:30 offset1:31
	s_waitcnt vmcnt(1)
	v_mov_b32_e32 v164, v104
	v_mov_b32_e32 v165, v105
	s_waitcnt vmcnt(0)
	ds_write2_b64 v205, v[164:165], v[136:137] offset0:32 offset1:33
	ds_read_b64 v[164:165], v204
	s_waitcnt lgkmcnt(0)
	v_cmp_neq_f64_e32 vcc, 0, v[164:165]
	s_and_b64 exec, exec, vcc
	s_cbranch_execz .LBB67_69
; %bb.68:
	v_div_scale_f64 v[166:167], s[6:7], v[164:165], v[164:165], 1.0
	v_rcp_f64_e32 v[168:169], v[166:167]
	v_div_scale_f64 v[170:171], vcc, 1.0, v[164:165], 1.0
	v_fma_f64 v[172:173], -v[166:167], v[168:169], 1.0
	v_fmac_f64_e32 v[168:169], v[168:169], v[172:173]
	v_fma_f64 v[172:173], -v[166:167], v[168:169], 1.0
	v_fmac_f64_e32 v[168:169], v[168:169], v[172:173]
	v_mul_f64 v[172:173], v[170:171], v[168:169]
	v_fma_f64 v[166:167], -v[166:167], v[172:173], v[170:171]
	v_div_fmas_f64 v[166:167], v[166:167], v[168:169], v[172:173]
	v_div_fixup_f64 v[164:165], v[166:167], v[164:165], 1.0
	ds_write_b64 v204, v[164:165]
.LBB67_69:
	s_or_b64 exec, exec, s[2:3]
	s_waitcnt lgkmcnt(0)
	s_barrier
	ds_read_b64 v[164:165], v204
	v_cmp_lt_u32_e32 vcc, 13, v206
	s_and_saveexec_b64 s[2:3], vcc
	s_cbranch_execz .LBB67_71
; %bb.70:
	ds_read2_b64 v[166:169], v205 offset0:14 offset1:15
	ds_read2_b64 v[170:173], v205 offset0:16 offset1:17
	s_waitcnt vmcnt(20) lgkmcnt(2)
	v_mul_f64 v[90:91], v[164:165], v[90:91]
	ds_read2_b64 v[174:177], v205 offset0:18 offset1:19
	s_waitcnt vmcnt(19) lgkmcnt(2)
	v_fma_f64 v[122:123], -v[90:91], v[166:167], v[122:123]
	s_waitcnt vmcnt(18)
	v_fma_f64 v[88:89], -v[90:91], v[168:169], v[88:89]
	ds_read2_b64 v[166:169], v205 offset0:20 offset1:21
	s_waitcnt vmcnt(17) lgkmcnt(2)
	v_fma_f64 v[120:121], -v[90:91], v[170:171], v[120:121]
	s_waitcnt vmcnt(16)
	v_fma_f64 v[86:87], -v[90:91], v[172:173], v[86:87]
	s_waitcnt vmcnt(15) lgkmcnt(1)
	v_fma_f64 v[118:119], -v[90:91], v[174:175], v[118:119]
	ds_read2_b64 v[170:173], v205 offset0:22 offset1:23
	s_waitcnt vmcnt(14)
	v_fma_f64 v[84:85], -v[90:91], v[176:177], v[84:85]
	ds_read2_b64 v[174:177], v205 offset0:24 offset1:25
	s_waitcnt vmcnt(13) lgkmcnt(2)
	v_fma_f64 v[116:117], -v[90:91], v[166:167], v[116:117]
	s_waitcnt vmcnt(12)
	v_fma_f64 v[82:83], -v[90:91], v[168:169], v[82:83]
	ds_read2_b64 v[166:169], v205 offset0:26 offset1:27
	s_waitcnt vmcnt(11) lgkmcnt(2)
	v_fma_f64 v[114:115], -v[90:91], v[170:171], v[114:115]
	;; [unrolled: 5-line block ×3, first 2 shown]
	s_waitcnt vmcnt(8)
	v_fma_f64 v[78:79], -v[90:91], v[176:177], v[78:79]
	s_waitcnt vmcnt(7) lgkmcnt(1)
	v_fma_f64 v[110:111], -v[90:91], v[166:167], v[110:111]
	ds_read2_b64 v[174:177], v205 offset0:30 offset1:31
	s_waitcnt vmcnt(6)
	v_fma_f64 v[76:77], -v[90:91], v[168:169], v[76:77]
	ds_read2_b64 v[166:169], v205 offset0:32 offset1:33
	s_waitcnt vmcnt(5) lgkmcnt(2)
	v_fma_f64 v[108:109], -v[90:91], v[170:171], v[108:109]
	s_waitcnt vmcnt(4)
	v_fma_f64 v[74:75], -v[90:91], v[172:173], v[74:75]
	s_waitcnt vmcnt(3) lgkmcnt(1)
	v_fma_f64 v[106:107], -v[90:91], v[174:175], v[106:107]
	s_waitcnt vmcnt(2)
	v_fma_f64 v[72:73], -v[90:91], v[176:177], v[72:73]
	;; [unrolled: 4-line block ×3, first 2 shown]
.LBB67_71:
	s_or_b64 exec, exec, s[2:3]
	v_cmp_eq_u32_e32 vcc, 14, v206
	s_waitcnt lgkmcnt(0)
	s_barrier
	s_and_saveexec_b64 s[2:3], vcc
	s_cbranch_execz .LBB67_74
; %bb.72:
	s_waitcnt vmcnt(19)
	ds_write_b64 v204, v[122:123]
	s_waitcnt vmcnt(17)
	ds_write2_b64 v205, v[88:89], v[120:121] offset0:15 offset1:16
	s_waitcnt vmcnt(15)
	ds_write2_b64 v205, v[86:87], v[118:119] offset0:17 offset1:18
	;; [unrolled: 2-line block ×9, first 2 shown]
	s_waitcnt vmcnt(0)
	ds_write_b64 v205, v[136:137] offset:264
	ds_read_b64 v[166:167], v204
	s_waitcnt lgkmcnt(0)
	v_cmp_neq_f64_e32 vcc, 0, v[166:167]
	s_and_b64 exec, exec, vcc
	s_cbranch_execz .LBB67_74
; %bb.73:
	v_div_scale_f64 v[168:169], s[6:7], v[166:167], v[166:167], 1.0
	v_rcp_f64_e32 v[170:171], v[168:169]
	v_div_scale_f64 v[172:173], vcc, 1.0, v[166:167], 1.0
	v_fma_f64 v[174:175], -v[168:169], v[170:171], 1.0
	v_fmac_f64_e32 v[170:171], v[170:171], v[174:175]
	v_fma_f64 v[174:175], -v[168:169], v[170:171], 1.0
	v_fmac_f64_e32 v[170:171], v[170:171], v[174:175]
	v_mul_f64 v[174:175], v[172:173], v[170:171]
	v_fma_f64 v[168:169], -v[168:169], v[174:175], v[172:173]
	v_div_fmas_f64 v[168:169], v[168:169], v[170:171], v[174:175]
	v_div_fixup_f64 v[166:167], v[168:169], v[166:167], 1.0
	ds_write_b64 v204, v[166:167]
.LBB67_74:
	s_or_b64 exec, exec, s[2:3]
	s_waitcnt lgkmcnt(0)
	s_barrier
	ds_read_b64 v[166:167], v204
	v_cmp_lt_u32_e32 vcc, 14, v206
	s_and_saveexec_b64 s[2:3], vcc
	s_cbranch_execz .LBB67_76
; %bb.75:
	ds_read2_b64 v[168:171], v205 offset0:15 offset1:16
	ds_read2_b64 v[172:175], v205 offset0:17 offset1:18
	s_waitcnt vmcnt(19) lgkmcnt(2)
	v_mul_f64 v[122:123], v[166:167], v[122:123]
	ds_read2_b64 v[176:179], v205 offset0:19 offset1:20
	s_waitcnt vmcnt(18) lgkmcnt(2)
	v_fma_f64 v[88:89], -v[122:123], v[168:169], v[88:89]
	s_waitcnt vmcnt(17)
	v_fma_f64 v[120:121], -v[122:123], v[170:171], v[120:121]
	ds_read2_b64 v[168:171], v205 offset0:21 offset1:22
	s_waitcnt vmcnt(16) lgkmcnt(2)
	v_fma_f64 v[86:87], -v[122:123], v[172:173], v[86:87]
	s_waitcnt vmcnt(15)
	v_fma_f64 v[118:119], -v[122:123], v[174:175], v[118:119]
	s_waitcnt vmcnt(14) lgkmcnt(1)
	v_fma_f64 v[84:85], -v[122:123], v[176:177], v[84:85]
	ds_read2_b64 v[172:175], v205 offset0:23 offset1:24
	s_waitcnt vmcnt(13)
	v_fma_f64 v[116:117], -v[122:123], v[178:179], v[116:117]
	ds_read2_b64 v[176:179], v205 offset0:25 offset1:26
	s_waitcnt vmcnt(12) lgkmcnt(2)
	v_fma_f64 v[82:83], -v[122:123], v[168:169], v[82:83]
	s_waitcnt vmcnt(11)
	v_fma_f64 v[114:115], -v[122:123], v[170:171], v[114:115]
	ds_read2_b64 v[168:171], v205 offset0:27 offset1:28
	s_waitcnt vmcnt(10) lgkmcnt(2)
	v_fma_f64 v[80:81], -v[122:123], v[172:173], v[80:81]
	;; [unrolled: 5-line block ×3, first 2 shown]
	s_waitcnt vmcnt(7)
	v_fma_f64 v[110:111], -v[122:123], v[178:179], v[110:111]
	s_waitcnt vmcnt(6) lgkmcnt(1)
	v_fma_f64 v[76:77], -v[122:123], v[168:169], v[76:77]
	ds_read2_b64 v[176:179], v205 offset0:31 offset1:32
	ds_read_b64 v[168:169], v205 offset:264
	s_waitcnt vmcnt(5)
	v_fma_f64 v[108:109], -v[122:123], v[170:171], v[108:109]
	s_waitcnt vmcnt(4) lgkmcnt(2)
	v_fma_f64 v[74:75], -v[122:123], v[172:173], v[74:75]
	s_waitcnt vmcnt(3)
	v_fma_f64 v[106:107], -v[122:123], v[174:175], v[106:107]
	s_waitcnt vmcnt(2) lgkmcnt(1)
	v_fma_f64 v[72:73], -v[122:123], v[176:177], v[72:73]
	;; [unrolled: 4-line block ×3, first 2 shown]
.LBB67_76:
	s_or_b64 exec, exec, s[2:3]
	v_cmp_eq_u32_e32 vcc, 15, v206
	s_waitcnt lgkmcnt(0)
	s_barrier
	s_and_saveexec_b64 s[2:3], vcc
	s_cbranch_execz .LBB67_79
; %bb.77:
	s_waitcnt vmcnt(17)
	v_mov_b32_e32 v168, v120
	v_mov_b32_e32 v169, v121
	s_waitcnt vmcnt(16)
	v_mov_b32_e32 v170, v86
	v_mov_b32_e32 v171, v87
	ds_write_b64 v204, v[88:89]
	ds_write2_b64 v205, v[168:169], v[170:171] offset0:16 offset1:17
	s_waitcnt vmcnt(15)
	v_mov_b32_e32 v168, v118
	v_mov_b32_e32 v169, v119
	s_waitcnt vmcnt(14)
	v_mov_b32_e32 v170, v84
	v_mov_b32_e32 v171, v85
	ds_write2_b64 v205, v[168:169], v[170:171] offset0:18 offset1:19
	s_waitcnt vmcnt(13)
	v_mov_b32_e32 v168, v116
	v_mov_b32_e32 v169, v117
	s_waitcnt vmcnt(12)
	v_mov_b32_e32 v170, v82
	v_mov_b32_e32 v171, v83
	;; [unrolled: 7-line block ×7, first 2 shown]
	ds_write2_b64 v205, v[168:169], v[170:171] offset0:30 offset1:31
	s_waitcnt vmcnt(1)
	v_mov_b32_e32 v168, v104
	v_mov_b32_e32 v169, v105
	s_waitcnt vmcnt(0)
	ds_write2_b64 v205, v[168:169], v[136:137] offset0:32 offset1:33
	ds_read_b64 v[168:169], v204
	s_waitcnt lgkmcnt(0)
	v_cmp_neq_f64_e32 vcc, 0, v[168:169]
	s_and_b64 exec, exec, vcc
	s_cbranch_execz .LBB67_79
; %bb.78:
	v_div_scale_f64 v[170:171], s[6:7], v[168:169], v[168:169], 1.0
	v_rcp_f64_e32 v[172:173], v[170:171]
	v_div_scale_f64 v[174:175], vcc, 1.0, v[168:169], 1.0
	v_fma_f64 v[176:177], -v[170:171], v[172:173], 1.0
	v_fmac_f64_e32 v[172:173], v[172:173], v[176:177]
	v_fma_f64 v[176:177], -v[170:171], v[172:173], 1.0
	v_fmac_f64_e32 v[172:173], v[172:173], v[176:177]
	v_mul_f64 v[176:177], v[174:175], v[172:173]
	v_fma_f64 v[170:171], -v[170:171], v[176:177], v[174:175]
	v_div_fmas_f64 v[170:171], v[170:171], v[172:173], v[176:177]
	v_div_fixup_f64 v[168:169], v[170:171], v[168:169], 1.0
	ds_write_b64 v204, v[168:169]
.LBB67_79:
	s_or_b64 exec, exec, s[2:3]
	s_waitcnt lgkmcnt(0)
	s_barrier
	ds_read_b64 v[168:169], v204
	v_cmp_lt_u32_e32 vcc, 15, v206
	s_and_saveexec_b64 s[2:3], vcc
	s_cbranch_execz .LBB67_81
; %bb.80:
	ds_read2_b64 v[170:173], v205 offset0:16 offset1:17
	ds_read2_b64 v[174:177], v205 offset0:18 offset1:19
	ds_read2_b64 v[178:181], v205 offset0:20 offset1:21
	s_waitcnt vmcnt(18) lgkmcnt(3)
	v_mul_f64 v[88:89], v[168:169], v[88:89]
	s_waitcnt vmcnt(17) lgkmcnt(2)
	v_fma_f64 v[120:121], -v[88:89], v[170:171], v[120:121]
	s_waitcnt vmcnt(16)
	v_fma_f64 v[86:87], -v[88:89], v[172:173], v[86:87]
	ds_read2_b64 v[170:173], v205 offset0:22 offset1:23
	s_waitcnt vmcnt(15) lgkmcnt(2)
	v_fma_f64 v[118:119], -v[88:89], v[174:175], v[118:119]
	s_waitcnt vmcnt(14)
	v_fma_f64 v[84:85], -v[88:89], v[176:177], v[84:85]
	s_waitcnt vmcnt(13) lgkmcnt(1)
	v_fma_f64 v[116:117], -v[88:89], v[178:179], v[116:117]
	ds_read2_b64 v[174:177], v205 offset0:24 offset1:25
	s_waitcnt vmcnt(12)
	v_fma_f64 v[82:83], -v[88:89], v[180:181], v[82:83]
	ds_read2_b64 v[178:181], v205 offset0:26 offset1:27
	s_waitcnt vmcnt(11) lgkmcnt(2)
	v_fma_f64 v[114:115], -v[88:89], v[170:171], v[114:115]
	s_waitcnt vmcnt(10)
	v_fma_f64 v[80:81], -v[88:89], v[172:173], v[80:81]
	s_waitcnt vmcnt(9) lgkmcnt(1)
	v_fma_f64 v[112:113], -v[88:89], v[174:175], v[112:113]
	s_waitcnt vmcnt(8)
	v_fma_f64 v[78:79], -v[88:89], v[176:177], v[78:79]
	ds_read2_b64 v[170:173], v205 offset0:28 offset1:29
	ds_read2_b64 v[174:177], v205 offset0:30 offset1:31
	s_waitcnt vmcnt(7) lgkmcnt(2)
	v_fma_f64 v[110:111], -v[88:89], v[178:179], v[110:111]
	s_waitcnt vmcnt(6)
	v_fma_f64 v[76:77], -v[88:89], v[180:181], v[76:77]
	ds_read2_b64 v[178:181], v205 offset0:32 offset1:33
	s_waitcnt vmcnt(5) lgkmcnt(2)
	v_fma_f64 v[108:109], -v[88:89], v[170:171], v[108:109]
	s_waitcnt vmcnt(4)
	v_fma_f64 v[74:75], -v[88:89], v[172:173], v[74:75]
	s_waitcnt vmcnt(3) lgkmcnt(1)
	v_fma_f64 v[106:107], -v[88:89], v[174:175], v[106:107]
	s_waitcnt vmcnt(2)
	v_fma_f64 v[72:73], -v[88:89], v[176:177], v[72:73]
	;; [unrolled: 4-line block ×3, first 2 shown]
.LBB67_81:
	s_or_b64 exec, exec, s[2:3]
	v_cmp_eq_u32_e32 vcc, 16, v206
	s_waitcnt lgkmcnt(0)
	s_barrier
	s_and_saveexec_b64 s[2:3], vcc
	s_cbranch_execz .LBB67_84
; %bb.82:
	s_waitcnt vmcnt(17)
	ds_write_b64 v204, v[120:121]
	s_waitcnt vmcnt(15)
	ds_write2_b64 v205, v[86:87], v[118:119] offset0:17 offset1:18
	s_waitcnt vmcnt(13)
	ds_write2_b64 v205, v[84:85], v[116:117] offset0:19 offset1:20
	;; [unrolled: 2-line block ×8, first 2 shown]
	s_waitcnt vmcnt(0)
	ds_write_b64 v205, v[136:137] offset:264
	ds_read_b64 v[170:171], v204
	s_waitcnt lgkmcnt(0)
	v_cmp_neq_f64_e32 vcc, 0, v[170:171]
	s_and_b64 exec, exec, vcc
	s_cbranch_execz .LBB67_84
; %bb.83:
	v_div_scale_f64 v[172:173], s[6:7], v[170:171], v[170:171], 1.0
	v_rcp_f64_e32 v[174:175], v[172:173]
	v_div_scale_f64 v[176:177], vcc, 1.0, v[170:171], 1.0
	v_fma_f64 v[178:179], -v[172:173], v[174:175], 1.0
	v_fmac_f64_e32 v[174:175], v[174:175], v[178:179]
	v_fma_f64 v[178:179], -v[172:173], v[174:175], 1.0
	v_fmac_f64_e32 v[174:175], v[174:175], v[178:179]
	v_mul_f64 v[178:179], v[176:177], v[174:175]
	v_fma_f64 v[172:173], -v[172:173], v[178:179], v[176:177]
	v_div_fmas_f64 v[172:173], v[172:173], v[174:175], v[178:179]
	v_div_fixup_f64 v[170:171], v[172:173], v[170:171], 1.0
	ds_write_b64 v204, v[170:171]
.LBB67_84:
	s_or_b64 exec, exec, s[2:3]
	s_waitcnt lgkmcnt(0)
	s_barrier
	ds_read_b64 v[170:171], v204
	v_cmp_lt_u32_e32 vcc, 16, v206
	s_and_saveexec_b64 s[2:3], vcc
	s_cbranch_execz .LBB67_86
; %bb.85:
	ds_read2_b64 v[172:175], v205 offset0:17 offset1:18
	ds_read2_b64 v[176:179], v205 offset0:19 offset1:20
	ds_read2_b64 v[180:183], v205 offset0:21 offset1:22
	s_waitcnt vmcnt(17) lgkmcnt(3)
	v_mul_f64 v[120:121], v[170:171], v[120:121]
	s_waitcnt vmcnt(16) lgkmcnt(2)
	v_fma_f64 v[86:87], -v[120:121], v[172:173], v[86:87]
	s_waitcnt vmcnt(15)
	v_fma_f64 v[118:119], -v[120:121], v[174:175], v[118:119]
	ds_read2_b64 v[172:175], v205 offset0:23 offset1:24
	s_waitcnt vmcnt(14) lgkmcnt(2)
	v_fma_f64 v[84:85], -v[120:121], v[176:177], v[84:85]
	s_waitcnt vmcnt(13)
	v_fma_f64 v[116:117], -v[120:121], v[178:179], v[116:117]
	s_waitcnt vmcnt(12) lgkmcnt(1)
	v_fma_f64 v[82:83], -v[120:121], v[180:181], v[82:83]
	ds_read2_b64 v[176:179], v205 offset0:25 offset1:26
	s_waitcnt vmcnt(11)
	v_fma_f64 v[114:115], -v[120:121], v[182:183], v[114:115]
	ds_read2_b64 v[180:183], v205 offset0:27 offset1:28
	s_waitcnt vmcnt(10) lgkmcnt(2)
	v_fma_f64 v[80:81], -v[120:121], v[172:173], v[80:81]
	s_waitcnt vmcnt(9)
	v_fma_f64 v[112:113], -v[120:121], v[174:175], v[112:113]
	s_waitcnt vmcnt(8) lgkmcnt(1)
	v_fma_f64 v[78:79], -v[120:121], v[176:177], v[78:79]
	s_waitcnt vmcnt(7)
	v_fma_f64 v[110:111], -v[120:121], v[178:179], v[110:111]
	ds_read2_b64 v[172:175], v205 offset0:29 offset1:30
	ds_read2_b64 v[176:179], v205 offset0:31 offset1:32
	s_waitcnt vmcnt(6) lgkmcnt(2)
	v_fma_f64 v[76:77], -v[120:121], v[180:181], v[76:77]
	ds_read_b64 v[180:181], v205 offset:264
	s_waitcnt vmcnt(5)
	v_fma_f64 v[108:109], -v[120:121], v[182:183], v[108:109]
	s_waitcnt vmcnt(4) lgkmcnt(2)
	v_fma_f64 v[74:75], -v[120:121], v[172:173], v[74:75]
	s_waitcnt vmcnt(3)
	v_fma_f64 v[106:107], -v[120:121], v[174:175], v[106:107]
	s_waitcnt vmcnt(2) lgkmcnt(1)
	v_fma_f64 v[72:73], -v[120:121], v[176:177], v[72:73]
	;; [unrolled: 4-line block ×3, first 2 shown]
.LBB67_86:
	s_or_b64 exec, exec, s[2:3]
	v_cmp_eq_u32_e32 vcc, 17, v206
	s_waitcnt lgkmcnt(0)
	s_barrier
	s_and_saveexec_b64 s[2:3], vcc
	s_cbranch_execz .LBB67_89
; %bb.87:
	s_waitcnt vmcnt(15)
	v_mov_b32_e32 v172, v118
	v_mov_b32_e32 v173, v119
	s_waitcnt vmcnt(14)
	v_mov_b32_e32 v174, v84
	v_mov_b32_e32 v175, v85
	ds_write_b64 v204, v[86:87]
	ds_write2_b64 v205, v[172:173], v[174:175] offset0:18 offset1:19
	s_waitcnt vmcnt(13)
	v_mov_b32_e32 v172, v116
	v_mov_b32_e32 v173, v117
	s_waitcnt vmcnt(12)
	v_mov_b32_e32 v174, v82
	v_mov_b32_e32 v175, v83
	ds_write2_b64 v205, v[172:173], v[174:175] offset0:20 offset1:21
	s_waitcnt vmcnt(11)
	v_mov_b32_e32 v172, v114
	v_mov_b32_e32 v173, v115
	s_waitcnt vmcnt(10)
	v_mov_b32_e32 v174, v80
	v_mov_b32_e32 v175, v81
	;; [unrolled: 7-line block ×6, first 2 shown]
	ds_write2_b64 v205, v[172:173], v[174:175] offset0:30 offset1:31
	s_waitcnt vmcnt(1)
	v_mov_b32_e32 v172, v104
	v_mov_b32_e32 v173, v105
	s_waitcnt vmcnt(0)
	ds_write2_b64 v205, v[172:173], v[136:137] offset0:32 offset1:33
	ds_read_b64 v[172:173], v204
	s_waitcnt lgkmcnt(0)
	v_cmp_neq_f64_e32 vcc, 0, v[172:173]
	s_and_b64 exec, exec, vcc
	s_cbranch_execz .LBB67_89
; %bb.88:
	v_div_scale_f64 v[174:175], s[6:7], v[172:173], v[172:173], 1.0
	v_rcp_f64_e32 v[176:177], v[174:175]
	v_div_scale_f64 v[178:179], vcc, 1.0, v[172:173], 1.0
	v_fma_f64 v[180:181], -v[174:175], v[176:177], 1.0
	v_fmac_f64_e32 v[176:177], v[176:177], v[180:181]
	v_fma_f64 v[180:181], -v[174:175], v[176:177], 1.0
	v_fmac_f64_e32 v[176:177], v[176:177], v[180:181]
	v_mul_f64 v[180:181], v[178:179], v[176:177]
	v_fma_f64 v[174:175], -v[174:175], v[180:181], v[178:179]
	v_div_fmas_f64 v[174:175], v[174:175], v[176:177], v[180:181]
	v_div_fixup_f64 v[172:173], v[174:175], v[172:173], 1.0
	ds_write_b64 v204, v[172:173]
.LBB67_89:
	s_or_b64 exec, exec, s[2:3]
	s_waitcnt lgkmcnt(0)
	s_barrier
	ds_read_b64 v[172:173], v204
	v_cmp_lt_u32_e32 vcc, 17, v206
	s_and_saveexec_b64 s[2:3], vcc
	s_cbranch_execz .LBB67_91
; %bb.90:
	ds_read2_b64 v[174:177], v205 offset0:18 offset1:19
	ds_read2_b64 v[178:181], v205 offset0:20 offset1:21
	s_waitcnt vmcnt(16) lgkmcnt(2)
	v_mul_f64 v[86:87], v[172:173], v[86:87]
	ds_read2_b64 v[182:185], v205 offset0:22 offset1:23
	s_waitcnt vmcnt(15) lgkmcnt(2)
	v_fma_f64 v[118:119], -v[86:87], v[174:175], v[118:119]
	s_waitcnt vmcnt(14)
	v_fma_f64 v[84:85], -v[86:87], v[176:177], v[84:85]
	ds_read2_b64 v[174:177], v205 offset0:24 offset1:25
	s_waitcnt vmcnt(13) lgkmcnt(2)
	v_fma_f64 v[116:117], -v[86:87], v[178:179], v[116:117]
	s_waitcnt vmcnt(12)
	v_fma_f64 v[82:83], -v[86:87], v[180:181], v[82:83]
	ds_read2_b64 v[178:181], v205 offset0:26 offset1:27
	s_waitcnt vmcnt(11) lgkmcnt(2)
	v_fma_f64 v[114:115], -v[86:87], v[182:183], v[114:115]
	s_waitcnt vmcnt(10)
	v_fma_f64 v[80:81], -v[86:87], v[184:185], v[80:81]
	s_waitcnt vmcnt(9) lgkmcnt(1)
	v_fma_f64 v[112:113], -v[86:87], v[174:175], v[112:113]
	s_waitcnt vmcnt(8)
	v_fma_f64 v[78:79], -v[86:87], v[176:177], v[78:79]
	ds_read2_b64 v[174:177], v205 offset0:28 offset1:29
	s_waitcnt vmcnt(7) lgkmcnt(1)
	v_fma_f64 v[110:111], -v[86:87], v[178:179], v[110:111]
	ds_read2_b64 v[182:185], v205 offset0:30 offset1:31
	s_waitcnt vmcnt(6)
	v_fma_f64 v[76:77], -v[86:87], v[180:181], v[76:77]
	ds_read2_b64 v[178:181], v205 offset0:32 offset1:33
	s_waitcnt vmcnt(5) lgkmcnt(2)
	v_fma_f64 v[108:109], -v[86:87], v[174:175], v[108:109]
	s_waitcnt vmcnt(4)
	v_fma_f64 v[74:75], -v[86:87], v[176:177], v[74:75]
	s_waitcnt vmcnt(3) lgkmcnt(1)
	v_fma_f64 v[106:107], -v[86:87], v[182:183], v[106:107]
	s_waitcnt vmcnt(2)
	v_fma_f64 v[72:73], -v[86:87], v[184:185], v[72:73]
	;; [unrolled: 4-line block ×3, first 2 shown]
.LBB67_91:
	s_or_b64 exec, exec, s[2:3]
	v_cmp_eq_u32_e32 vcc, 18, v206
	s_waitcnt lgkmcnt(0)
	s_barrier
	s_and_saveexec_b64 s[2:3], vcc
	s_cbranch_execz .LBB67_94
; %bb.92:
	s_waitcnt vmcnt(15)
	ds_write_b64 v204, v[118:119]
	s_waitcnt vmcnt(13)
	ds_write2_b64 v205, v[84:85], v[116:117] offset0:19 offset1:20
	s_waitcnt vmcnt(11)
	ds_write2_b64 v205, v[82:83], v[114:115] offset0:21 offset1:22
	;; [unrolled: 2-line block ×7, first 2 shown]
	s_waitcnt vmcnt(0)
	ds_write_b64 v205, v[136:137] offset:264
	ds_read_b64 v[174:175], v204
	s_waitcnt lgkmcnt(0)
	v_cmp_neq_f64_e32 vcc, 0, v[174:175]
	s_and_b64 exec, exec, vcc
	s_cbranch_execz .LBB67_94
; %bb.93:
	v_div_scale_f64 v[176:177], s[6:7], v[174:175], v[174:175], 1.0
	v_rcp_f64_e32 v[178:179], v[176:177]
	v_div_scale_f64 v[180:181], vcc, 1.0, v[174:175], 1.0
	v_fma_f64 v[182:183], -v[176:177], v[178:179], 1.0
	v_fmac_f64_e32 v[178:179], v[178:179], v[182:183]
	v_fma_f64 v[182:183], -v[176:177], v[178:179], 1.0
	v_fmac_f64_e32 v[178:179], v[178:179], v[182:183]
	v_mul_f64 v[182:183], v[180:181], v[178:179]
	v_fma_f64 v[176:177], -v[176:177], v[182:183], v[180:181]
	v_div_fmas_f64 v[176:177], v[176:177], v[178:179], v[182:183]
	v_div_fixup_f64 v[174:175], v[176:177], v[174:175], 1.0
	ds_write_b64 v204, v[174:175]
.LBB67_94:
	s_or_b64 exec, exec, s[2:3]
	s_waitcnt lgkmcnt(0)
	s_barrier
	ds_read_b64 v[174:175], v204
	v_cmp_lt_u32_e32 vcc, 18, v206
	s_and_saveexec_b64 s[2:3], vcc
	s_cbranch_execz .LBB67_96
; %bb.95:
	ds_read2_b64 v[176:179], v205 offset0:19 offset1:20
	ds_read2_b64 v[180:183], v205 offset0:21 offset1:22
	s_waitcnt vmcnt(15) lgkmcnt(2)
	v_mul_f64 v[118:119], v[174:175], v[118:119]
	ds_read2_b64 v[184:187], v205 offset0:23 offset1:24
	s_waitcnt vmcnt(14) lgkmcnt(2)
	v_fma_f64 v[84:85], -v[118:119], v[176:177], v[84:85]
	s_waitcnt vmcnt(13)
	v_fma_f64 v[116:117], -v[118:119], v[178:179], v[116:117]
	ds_read2_b64 v[176:179], v205 offset0:25 offset1:26
	s_waitcnt vmcnt(12) lgkmcnt(2)
	v_fma_f64 v[82:83], -v[118:119], v[180:181], v[82:83]
	s_waitcnt vmcnt(11)
	v_fma_f64 v[114:115], -v[118:119], v[182:183], v[114:115]
	;; [unrolled: 5-line block ×3, first 2 shown]
	s_waitcnt vmcnt(8) lgkmcnt(1)
	v_fma_f64 v[78:79], -v[118:119], v[176:177], v[78:79]
	s_waitcnt vmcnt(7)
	v_fma_f64 v[110:111], -v[118:119], v[178:179], v[110:111]
	ds_read2_b64 v[176:179], v205 offset0:29 offset1:30
	s_waitcnt vmcnt(6) lgkmcnt(1)
	v_fma_f64 v[76:77], -v[118:119], v[180:181], v[76:77]
	ds_read2_b64 v[184:187], v205 offset0:31 offset1:32
	ds_read_b64 v[180:181], v205 offset:264
	s_waitcnt vmcnt(5)
	v_fma_f64 v[108:109], -v[118:119], v[182:183], v[108:109]
	s_waitcnt vmcnt(4) lgkmcnt(2)
	v_fma_f64 v[74:75], -v[118:119], v[176:177], v[74:75]
	s_waitcnt vmcnt(3)
	v_fma_f64 v[106:107], -v[118:119], v[178:179], v[106:107]
	s_waitcnt vmcnt(2) lgkmcnt(1)
	v_fma_f64 v[72:73], -v[118:119], v[184:185], v[72:73]
	;; [unrolled: 4-line block ×3, first 2 shown]
.LBB67_96:
	s_or_b64 exec, exec, s[2:3]
	v_cmp_eq_u32_e32 vcc, 19, v206
	s_waitcnt lgkmcnt(0)
	s_barrier
	s_and_saveexec_b64 s[2:3], vcc
	s_cbranch_execz .LBB67_99
; %bb.97:
	s_waitcnt vmcnt(13)
	v_mov_b32_e32 v176, v116
	v_mov_b32_e32 v177, v117
	s_waitcnt vmcnt(12)
	v_mov_b32_e32 v178, v82
	v_mov_b32_e32 v179, v83
	ds_write_b64 v204, v[84:85]
	ds_write2_b64 v205, v[176:177], v[178:179] offset0:20 offset1:21
	s_waitcnt vmcnt(11)
	v_mov_b32_e32 v176, v114
	v_mov_b32_e32 v177, v115
	s_waitcnt vmcnt(10)
	v_mov_b32_e32 v178, v80
	v_mov_b32_e32 v179, v81
	ds_write2_b64 v205, v[176:177], v[178:179] offset0:22 offset1:23
	s_waitcnt vmcnt(9)
	v_mov_b32_e32 v176, v112
	v_mov_b32_e32 v177, v113
	s_waitcnt vmcnt(8)
	v_mov_b32_e32 v178, v78
	v_mov_b32_e32 v179, v79
	;; [unrolled: 7-line block ×5, first 2 shown]
	ds_write2_b64 v205, v[176:177], v[178:179] offset0:30 offset1:31
	s_waitcnt vmcnt(1)
	v_mov_b32_e32 v176, v104
	v_mov_b32_e32 v177, v105
	s_waitcnt vmcnt(0)
	ds_write2_b64 v205, v[176:177], v[136:137] offset0:32 offset1:33
	ds_read_b64 v[176:177], v204
	s_waitcnt lgkmcnt(0)
	v_cmp_neq_f64_e32 vcc, 0, v[176:177]
	s_and_b64 exec, exec, vcc
	s_cbranch_execz .LBB67_99
; %bb.98:
	v_div_scale_f64 v[178:179], s[6:7], v[176:177], v[176:177], 1.0
	v_rcp_f64_e32 v[180:181], v[178:179]
	v_div_scale_f64 v[182:183], vcc, 1.0, v[176:177], 1.0
	v_fma_f64 v[184:185], -v[178:179], v[180:181], 1.0
	v_fmac_f64_e32 v[180:181], v[180:181], v[184:185]
	v_fma_f64 v[184:185], -v[178:179], v[180:181], 1.0
	v_fmac_f64_e32 v[180:181], v[180:181], v[184:185]
	v_mul_f64 v[184:185], v[182:183], v[180:181]
	v_fma_f64 v[178:179], -v[178:179], v[184:185], v[182:183]
	v_div_fmas_f64 v[178:179], v[178:179], v[180:181], v[184:185]
	v_div_fixup_f64 v[176:177], v[178:179], v[176:177], 1.0
	ds_write_b64 v204, v[176:177]
.LBB67_99:
	s_or_b64 exec, exec, s[2:3]
	s_waitcnt lgkmcnt(0)
	s_barrier
	ds_read_b64 v[176:177], v204
	v_cmp_lt_u32_e32 vcc, 19, v206
	s_and_saveexec_b64 s[2:3], vcc
	s_cbranch_execz .LBB67_101
; %bb.100:
	ds_read2_b64 v[178:181], v205 offset0:20 offset1:21
	ds_read2_b64 v[182:185], v205 offset0:22 offset1:23
	s_waitcnt vmcnt(14) lgkmcnt(2)
	v_mul_f64 v[84:85], v[176:177], v[84:85]
	ds_read2_b64 v[186:189], v205 offset0:24 offset1:25
	s_waitcnt vmcnt(13) lgkmcnt(2)
	v_fma_f64 v[116:117], -v[84:85], v[178:179], v[116:117]
	s_waitcnt vmcnt(12)
	v_fma_f64 v[82:83], -v[84:85], v[180:181], v[82:83]
	ds_read2_b64 v[178:181], v205 offset0:26 offset1:27
	s_waitcnt vmcnt(11) lgkmcnt(2)
	v_fma_f64 v[114:115], -v[84:85], v[182:183], v[114:115]
	s_waitcnt vmcnt(10)
	v_fma_f64 v[80:81], -v[84:85], v[184:185], v[80:81]
	s_waitcnt vmcnt(9) lgkmcnt(1)
	v_fma_f64 v[112:113], -v[84:85], v[186:187], v[112:113]
	s_waitcnt vmcnt(8)
	v_fma_f64 v[78:79], -v[84:85], v[188:189], v[78:79]
	ds_read2_b64 v[182:185], v205 offset0:28 offset1:29
	ds_read2_b64 v[186:189], v205 offset0:30 offset1:31
	s_waitcnt vmcnt(7) lgkmcnt(2)
	v_fma_f64 v[110:111], -v[84:85], v[178:179], v[110:111]
	s_waitcnt vmcnt(6)
	v_fma_f64 v[76:77], -v[84:85], v[180:181], v[76:77]
	ds_read2_b64 v[178:181], v205 offset0:32 offset1:33
	s_waitcnt vmcnt(5) lgkmcnt(2)
	v_fma_f64 v[108:109], -v[84:85], v[182:183], v[108:109]
	s_waitcnt vmcnt(4)
	v_fma_f64 v[74:75], -v[84:85], v[184:185], v[74:75]
	s_waitcnt vmcnt(3) lgkmcnt(1)
	v_fma_f64 v[106:107], -v[84:85], v[186:187], v[106:107]
	s_waitcnt vmcnt(2)
	v_fma_f64 v[72:73], -v[84:85], v[188:189], v[72:73]
	;; [unrolled: 4-line block ×3, first 2 shown]
.LBB67_101:
	s_or_b64 exec, exec, s[2:3]
	v_cmp_eq_u32_e32 vcc, 20, v206
	s_waitcnt lgkmcnt(0)
	s_barrier
	s_and_saveexec_b64 s[2:3], vcc
	s_cbranch_execz .LBB67_104
; %bb.102:
	s_waitcnt vmcnt(13)
	ds_write_b64 v204, v[116:117]
	s_waitcnt vmcnt(11)
	ds_write2_b64 v205, v[82:83], v[114:115] offset0:21 offset1:22
	s_waitcnt vmcnt(9)
	ds_write2_b64 v205, v[80:81], v[112:113] offset0:23 offset1:24
	;; [unrolled: 2-line block ×6, first 2 shown]
	s_waitcnt vmcnt(0)
	ds_write_b64 v205, v[136:137] offset:264
	ds_read_b64 v[178:179], v204
	s_waitcnt lgkmcnt(0)
	v_cmp_neq_f64_e32 vcc, 0, v[178:179]
	s_and_b64 exec, exec, vcc
	s_cbranch_execz .LBB67_104
; %bb.103:
	v_div_scale_f64 v[180:181], s[6:7], v[178:179], v[178:179], 1.0
	v_rcp_f64_e32 v[182:183], v[180:181]
	v_div_scale_f64 v[184:185], vcc, 1.0, v[178:179], 1.0
	v_fma_f64 v[186:187], -v[180:181], v[182:183], 1.0
	v_fmac_f64_e32 v[182:183], v[182:183], v[186:187]
	v_fma_f64 v[186:187], -v[180:181], v[182:183], 1.0
	v_fmac_f64_e32 v[182:183], v[182:183], v[186:187]
	v_mul_f64 v[186:187], v[184:185], v[182:183]
	v_fma_f64 v[180:181], -v[180:181], v[186:187], v[184:185]
	v_div_fmas_f64 v[180:181], v[180:181], v[182:183], v[186:187]
	v_div_fixup_f64 v[178:179], v[180:181], v[178:179], 1.0
	ds_write_b64 v204, v[178:179]
.LBB67_104:
	s_or_b64 exec, exec, s[2:3]
	s_waitcnt lgkmcnt(0)
	s_barrier
	ds_read_b64 v[178:179], v204
	v_cmp_lt_u32_e32 vcc, 20, v206
	s_and_saveexec_b64 s[2:3], vcc
	s_cbranch_execz .LBB67_106
; %bb.105:
	ds_read2_b64 v[180:183], v205 offset0:21 offset1:22
	ds_read2_b64 v[184:187], v205 offset0:23 offset1:24
	s_waitcnt vmcnt(13) lgkmcnt(2)
	v_mul_f64 v[116:117], v[178:179], v[116:117]
	ds_read2_b64 v[188:191], v205 offset0:25 offset1:26
	s_waitcnt vmcnt(12) lgkmcnt(2)
	v_fma_f64 v[82:83], -v[116:117], v[180:181], v[82:83]
	s_waitcnt vmcnt(11)
	v_fma_f64 v[114:115], -v[116:117], v[182:183], v[114:115]
	ds_read2_b64 v[180:183], v205 offset0:27 offset1:28
	s_waitcnt vmcnt(10) lgkmcnt(2)
	v_fma_f64 v[80:81], -v[116:117], v[184:185], v[80:81]
	s_waitcnt vmcnt(9)
	v_fma_f64 v[112:113], -v[116:117], v[186:187], v[112:113]
	s_waitcnt vmcnt(8) lgkmcnt(1)
	v_fma_f64 v[78:79], -v[116:117], v[188:189], v[78:79]
	s_waitcnt vmcnt(7)
	v_fma_f64 v[110:111], -v[116:117], v[190:191], v[110:111]
	ds_read2_b64 v[184:187], v205 offset0:29 offset1:30
	ds_read2_b64 v[188:191], v205 offset0:31 offset1:32
	s_waitcnt vmcnt(6) lgkmcnt(2)
	v_fma_f64 v[76:77], -v[116:117], v[180:181], v[76:77]
	ds_read_b64 v[180:181], v205 offset:264
	s_waitcnt vmcnt(5)
	v_fma_f64 v[108:109], -v[116:117], v[182:183], v[108:109]
	s_waitcnt vmcnt(4) lgkmcnt(2)
	v_fma_f64 v[74:75], -v[116:117], v[184:185], v[74:75]
	s_waitcnt vmcnt(3)
	v_fma_f64 v[106:107], -v[116:117], v[186:187], v[106:107]
	s_waitcnt vmcnt(2) lgkmcnt(1)
	v_fma_f64 v[72:73], -v[116:117], v[188:189], v[72:73]
	s_waitcnt vmcnt(1)
	v_fma_f64 v[104:105], -v[116:117], v[190:191], v[104:105]
	s_waitcnt vmcnt(0) lgkmcnt(0)
	v_fma_f64 v[136:137], -v[116:117], v[180:181], v[136:137]
.LBB67_106:
	s_or_b64 exec, exec, s[2:3]
	v_cmp_eq_u32_e32 vcc, 21, v206
	s_waitcnt lgkmcnt(0)
	s_barrier
	s_and_saveexec_b64 s[2:3], vcc
	s_cbranch_execz .LBB67_109
; %bb.107:
	s_waitcnt vmcnt(11)
	v_mov_b32_e32 v180, v114
	v_mov_b32_e32 v181, v115
	s_waitcnt vmcnt(10)
	v_mov_b32_e32 v182, v80
	v_mov_b32_e32 v183, v81
	ds_write_b64 v204, v[82:83]
	ds_write2_b64 v205, v[180:181], v[182:183] offset0:22 offset1:23
	s_waitcnt vmcnt(9)
	v_mov_b32_e32 v180, v112
	v_mov_b32_e32 v181, v113
	s_waitcnt vmcnt(8)
	v_mov_b32_e32 v182, v78
	v_mov_b32_e32 v183, v79
	ds_write2_b64 v205, v[180:181], v[182:183] offset0:24 offset1:25
	s_waitcnt vmcnt(7)
	v_mov_b32_e32 v180, v110
	v_mov_b32_e32 v181, v111
	s_waitcnt vmcnt(6)
	v_mov_b32_e32 v182, v76
	v_mov_b32_e32 v183, v77
	;; [unrolled: 7-line block ×4, first 2 shown]
	ds_write2_b64 v205, v[180:181], v[182:183] offset0:30 offset1:31
	s_waitcnt vmcnt(1)
	v_mov_b32_e32 v180, v104
	v_mov_b32_e32 v181, v105
	s_waitcnt vmcnt(0)
	ds_write2_b64 v205, v[180:181], v[136:137] offset0:32 offset1:33
	ds_read_b64 v[180:181], v204
	s_waitcnt lgkmcnt(0)
	v_cmp_neq_f64_e32 vcc, 0, v[180:181]
	s_and_b64 exec, exec, vcc
	s_cbranch_execz .LBB67_109
; %bb.108:
	v_div_scale_f64 v[182:183], s[6:7], v[180:181], v[180:181], 1.0
	v_rcp_f64_e32 v[184:185], v[182:183]
	v_div_scale_f64 v[186:187], vcc, 1.0, v[180:181], 1.0
	v_fma_f64 v[188:189], -v[182:183], v[184:185], 1.0
	v_fmac_f64_e32 v[184:185], v[184:185], v[188:189]
	v_fma_f64 v[188:189], -v[182:183], v[184:185], 1.0
	v_fmac_f64_e32 v[184:185], v[184:185], v[188:189]
	v_mul_f64 v[188:189], v[186:187], v[184:185]
	v_fma_f64 v[182:183], -v[182:183], v[188:189], v[186:187]
	v_div_fmas_f64 v[182:183], v[182:183], v[184:185], v[188:189]
	v_div_fixup_f64 v[180:181], v[182:183], v[180:181], 1.0
	ds_write_b64 v204, v[180:181]
.LBB67_109:
	s_or_b64 exec, exec, s[2:3]
	s_waitcnt lgkmcnt(0)
	s_barrier
	ds_read_b64 v[180:181], v204
	v_cmp_lt_u32_e32 vcc, 21, v206
	s_and_saveexec_b64 s[2:3], vcc
	s_cbranch_execz .LBB67_111
; %bb.110:
	ds_read2_b64 v[182:185], v205 offset0:22 offset1:23
	ds_read2_b64 v[186:189], v205 offset0:24 offset1:25
	;; [unrolled: 1-line block ×3, first 2 shown]
	s_waitcnt vmcnt(12) lgkmcnt(3)
	v_mul_f64 v[82:83], v[180:181], v[82:83]
	s_waitcnt vmcnt(11) lgkmcnt(2)
	v_fma_f64 v[114:115], -v[82:83], v[182:183], v[114:115]
	s_waitcnt vmcnt(10)
	v_fma_f64 v[80:81], -v[82:83], v[184:185], v[80:81]
	ds_read2_b64 v[182:185], v205 offset0:28 offset1:29
	s_waitcnt vmcnt(9) lgkmcnt(2)
	v_fma_f64 v[112:113], -v[82:83], v[186:187], v[112:113]
	s_waitcnt vmcnt(8)
	v_fma_f64 v[78:79], -v[82:83], v[188:189], v[78:79]
	s_waitcnt vmcnt(7) lgkmcnt(1)
	v_fma_f64 v[110:111], -v[82:83], v[190:191], v[110:111]
	ds_read2_b64 v[186:189], v205 offset0:30 offset1:31
	s_waitcnt vmcnt(6)
	v_fma_f64 v[76:77], -v[82:83], v[192:193], v[76:77]
	ds_read2_b64 v[190:193], v205 offset0:32 offset1:33
	s_waitcnt vmcnt(5) lgkmcnt(2)
	v_fma_f64 v[108:109], -v[82:83], v[182:183], v[108:109]
	s_waitcnt vmcnt(4)
	v_fma_f64 v[74:75], -v[82:83], v[184:185], v[74:75]
	s_waitcnt vmcnt(3) lgkmcnt(1)
	v_fma_f64 v[106:107], -v[82:83], v[186:187], v[106:107]
	s_waitcnt vmcnt(2)
	v_fma_f64 v[72:73], -v[82:83], v[188:189], v[72:73]
	;; [unrolled: 4-line block ×3, first 2 shown]
.LBB67_111:
	s_or_b64 exec, exec, s[2:3]
	v_cmp_eq_u32_e32 vcc, 22, v206
	s_waitcnt lgkmcnt(0)
	s_barrier
	s_and_saveexec_b64 s[2:3], vcc
	s_cbranch_execz .LBB67_114
; %bb.112:
	s_waitcnt vmcnt(11)
	ds_write_b64 v204, v[114:115]
	s_waitcnt vmcnt(9)
	ds_write2_b64 v205, v[80:81], v[112:113] offset0:23 offset1:24
	s_waitcnt vmcnt(7)
	ds_write2_b64 v205, v[78:79], v[110:111] offset0:25 offset1:26
	;; [unrolled: 2-line block ×5, first 2 shown]
	s_waitcnt vmcnt(0)
	ds_write_b64 v205, v[136:137] offset:264
	ds_read_b64 v[182:183], v204
	s_waitcnt lgkmcnt(0)
	v_cmp_neq_f64_e32 vcc, 0, v[182:183]
	s_and_b64 exec, exec, vcc
	s_cbranch_execz .LBB67_114
; %bb.113:
	v_div_scale_f64 v[184:185], s[6:7], v[182:183], v[182:183], 1.0
	v_rcp_f64_e32 v[186:187], v[184:185]
	v_div_scale_f64 v[188:189], vcc, 1.0, v[182:183], 1.0
	v_fma_f64 v[190:191], -v[184:185], v[186:187], 1.0
	v_fmac_f64_e32 v[186:187], v[186:187], v[190:191]
	v_fma_f64 v[190:191], -v[184:185], v[186:187], 1.0
	v_fmac_f64_e32 v[186:187], v[186:187], v[190:191]
	v_mul_f64 v[190:191], v[188:189], v[186:187]
	v_fma_f64 v[184:185], -v[184:185], v[190:191], v[188:189]
	v_div_fmas_f64 v[184:185], v[184:185], v[186:187], v[190:191]
	v_div_fixup_f64 v[182:183], v[184:185], v[182:183], 1.0
	ds_write_b64 v204, v[182:183]
.LBB67_114:
	s_or_b64 exec, exec, s[2:3]
	s_waitcnt lgkmcnt(0)
	s_barrier
	ds_read_b64 v[182:183], v204
	v_cmp_lt_u32_e32 vcc, 22, v206
	s_and_saveexec_b64 s[2:3], vcc
	s_cbranch_execz .LBB67_116
; %bb.115:
	ds_read2_b64 v[184:187], v205 offset0:23 offset1:24
	ds_read2_b64 v[188:191], v205 offset0:25 offset1:26
	;; [unrolled: 1-line block ×3, first 2 shown]
	s_waitcnt vmcnt(11) lgkmcnt(3)
	v_mul_f64 v[114:115], v[182:183], v[114:115]
	s_waitcnt vmcnt(10) lgkmcnt(2)
	v_fma_f64 v[80:81], -v[114:115], v[184:185], v[80:81]
	s_waitcnt vmcnt(9)
	v_fma_f64 v[112:113], -v[114:115], v[186:187], v[112:113]
	ds_read2_b64 v[184:187], v205 offset0:29 offset1:30
	s_waitcnt vmcnt(8) lgkmcnt(2)
	v_fma_f64 v[78:79], -v[114:115], v[188:189], v[78:79]
	s_waitcnt vmcnt(7)
	v_fma_f64 v[110:111], -v[114:115], v[190:191], v[110:111]
	s_waitcnt vmcnt(6) lgkmcnt(1)
	v_fma_f64 v[76:77], -v[114:115], v[192:193], v[76:77]
	ds_read2_b64 v[188:191], v205 offset0:31 offset1:32
	ds_read_b64 v[192:193], v205 offset:264
	s_waitcnt vmcnt(5)
	v_fma_f64 v[108:109], -v[114:115], v[194:195], v[108:109]
	s_waitcnt vmcnt(4) lgkmcnt(2)
	v_fma_f64 v[74:75], -v[114:115], v[184:185], v[74:75]
	s_waitcnt vmcnt(3)
	v_fma_f64 v[106:107], -v[114:115], v[186:187], v[106:107]
	s_waitcnt vmcnt(2) lgkmcnt(1)
	v_fma_f64 v[72:73], -v[114:115], v[188:189], v[72:73]
	;; [unrolled: 4-line block ×3, first 2 shown]
.LBB67_116:
	s_or_b64 exec, exec, s[2:3]
	v_cmp_eq_u32_e32 vcc, 23, v206
	s_waitcnt lgkmcnt(0)
	s_barrier
	s_and_saveexec_b64 s[2:3], vcc
	s_cbranch_execz .LBB67_119
; %bb.117:
	s_waitcnt vmcnt(9)
	v_mov_b32_e32 v184, v112
	v_mov_b32_e32 v185, v113
	s_waitcnt vmcnt(8)
	v_mov_b32_e32 v186, v78
	v_mov_b32_e32 v187, v79
	ds_write_b64 v204, v[80:81]
	ds_write2_b64 v205, v[184:185], v[186:187] offset0:24 offset1:25
	s_waitcnt vmcnt(7)
	v_mov_b32_e32 v184, v110
	v_mov_b32_e32 v185, v111
	s_waitcnt vmcnt(6)
	v_mov_b32_e32 v186, v76
	v_mov_b32_e32 v187, v77
	ds_write2_b64 v205, v[184:185], v[186:187] offset0:26 offset1:27
	s_waitcnt vmcnt(5)
	v_mov_b32_e32 v184, v108
	v_mov_b32_e32 v185, v109
	s_waitcnt vmcnt(4)
	v_mov_b32_e32 v186, v74
	v_mov_b32_e32 v187, v75
	;; [unrolled: 7-line block ×3, first 2 shown]
	ds_write2_b64 v205, v[184:185], v[186:187] offset0:30 offset1:31
	s_waitcnt vmcnt(1)
	v_mov_b32_e32 v184, v104
	v_mov_b32_e32 v185, v105
	s_waitcnt vmcnt(0)
	ds_write2_b64 v205, v[184:185], v[136:137] offset0:32 offset1:33
	ds_read_b64 v[184:185], v204
	s_waitcnt lgkmcnt(0)
	v_cmp_neq_f64_e32 vcc, 0, v[184:185]
	s_and_b64 exec, exec, vcc
	s_cbranch_execz .LBB67_119
; %bb.118:
	v_div_scale_f64 v[186:187], s[6:7], v[184:185], v[184:185], 1.0
	v_rcp_f64_e32 v[188:189], v[186:187]
	v_div_scale_f64 v[190:191], vcc, 1.0, v[184:185], 1.0
	v_fma_f64 v[192:193], -v[186:187], v[188:189], 1.0
	v_fmac_f64_e32 v[188:189], v[188:189], v[192:193]
	v_fma_f64 v[192:193], -v[186:187], v[188:189], 1.0
	v_fmac_f64_e32 v[188:189], v[188:189], v[192:193]
	v_mul_f64 v[192:193], v[190:191], v[188:189]
	v_fma_f64 v[186:187], -v[186:187], v[192:193], v[190:191]
	v_div_fmas_f64 v[186:187], v[186:187], v[188:189], v[192:193]
	v_div_fixup_f64 v[184:185], v[186:187], v[184:185], 1.0
	ds_write_b64 v204, v[184:185]
.LBB67_119:
	s_or_b64 exec, exec, s[2:3]
	s_waitcnt lgkmcnt(0)
	s_barrier
	ds_read_b64 v[184:185], v204
	v_cmp_lt_u32_e32 vcc, 23, v206
	s_and_saveexec_b64 s[2:3], vcc
	s_cbranch_execz .LBB67_121
; %bb.120:
	ds_read2_b64 v[186:189], v205 offset0:24 offset1:25
	ds_read2_b64 v[190:193], v205 offset0:26 offset1:27
	s_waitcnt vmcnt(10) lgkmcnt(2)
	v_mul_f64 v[80:81], v[184:185], v[80:81]
	ds_read2_b64 v[194:197], v205 offset0:30 offset1:31
	s_waitcnt vmcnt(9) lgkmcnt(2)
	v_fma_f64 v[112:113], -v[80:81], v[186:187], v[112:113]
	s_waitcnt vmcnt(8)
	v_fma_f64 v[78:79], -v[80:81], v[188:189], v[78:79]
	ds_read2_b64 v[186:189], v205 offset0:28 offset1:29
	s_waitcnt vmcnt(7) lgkmcnt(2)
	v_fma_f64 v[110:111], -v[80:81], v[190:191], v[110:111]
	s_waitcnt vmcnt(6)
	v_fma_f64 v[76:77], -v[80:81], v[192:193], v[76:77]
	ds_read2_b64 v[190:193], v205 offset0:32 offset1:33
	s_waitcnt vmcnt(3) lgkmcnt(2)
	v_fma_f64 v[106:107], -v[80:81], v[194:195], v[106:107]
	s_waitcnt lgkmcnt(1)
	v_fma_f64 v[108:109], -v[80:81], v[186:187], v[108:109]
	v_fma_f64 v[74:75], -v[80:81], v[188:189], v[74:75]
	s_waitcnt vmcnt(2)
	v_fma_f64 v[72:73], -v[80:81], v[196:197], v[72:73]
	s_waitcnt vmcnt(1) lgkmcnt(0)
	v_fma_f64 v[104:105], -v[80:81], v[190:191], v[104:105]
	s_waitcnt vmcnt(0)
	v_fma_f64 v[136:137], -v[80:81], v[192:193], v[136:137]
.LBB67_121:
	s_or_b64 exec, exec, s[2:3]
	v_cmp_eq_u32_e32 vcc, 24, v206
	s_waitcnt lgkmcnt(0)
	s_barrier
	s_and_saveexec_b64 s[2:3], vcc
	s_cbranch_execz .LBB67_124
; %bb.122:
	s_waitcnt vmcnt(9)
	ds_write_b64 v204, v[112:113]
	s_waitcnt vmcnt(7)
	ds_write2_b64 v205, v[78:79], v[110:111] offset0:25 offset1:26
	s_waitcnt vmcnt(5)
	ds_write2_b64 v205, v[76:77], v[108:109] offset0:27 offset1:28
	;; [unrolled: 2-line block ×4, first 2 shown]
	s_waitcnt vmcnt(0)
	ds_write_b64 v205, v[136:137] offset:264
	ds_read_b64 v[186:187], v204
	s_waitcnt lgkmcnt(0)
	v_cmp_neq_f64_e32 vcc, 0, v[186:187]
	s_and_b64 exec, exec, vcc
	s_cbranch_execz .LBB67_124
; %bb.123:
	v_div_scale_f64 v[188:189], s[6:7], v[186:187], v[186:187], 1.0
	v_rcp_f64_e32 v[190:191], v[188:189]
	v_div_scale_f64 v[192:193], vcc, 1.0, v[186:187], 1.0
	v_fma_f64 v[194:195], -v[188:189], v[190:191], 1.0
	v_fmac_f64_e32 v[190:191], v[190:191], v[194:195]
	v_fma_f64 v[194:195], -v[188:189], v[190:191], 1.0
	v_fmac_f64_e32 v[190:191], v[190:191], v[194:195]
	v_mul_f64 v[194:195], v[192:193], v[190:191]
	v_fma_f64 v[188:189], -v[188:189], v[194:195], v[192:193]
	v_div_fmas_f64 v[188:189], v[188:189], v[190:191], v[194:195]
	v_div_fixup_f64 v[186:187], v[188:189], v[186:187], 1.0
	ds_write_b64 v204, v[186:187]
.LBB67_124:
	s_or_b64 exec, exec, s[2:3]
	s_waitcnt lgkmcnt(0)
	s_barrier
	ds_read_b64 v[186:187], v204
	v_cmp_lt_u32_e32 vcc, 24, v206
	s_and_saveexec_b64 s[2:3], vcc
	s_cbranch_execz .LBB67_126
; %bb.125:
	ds_read2_b64 v[188:191], v205 offset0:25 offset1:26
	ds_read2_b64 v[192:195], v205 offset0:27 offset1:28
	s_waitcnt vmcnt(9) lgkmcnt(2)
	v_mul_f64 v[112:113], v[186:187], v[112:113]
	ds_read2_b64 v[196:199], v205 offset0:31 offset1:32
	s_waitcnt vmcnt(8) lgkmcnt(2)
	v_fma_f64 v[78:79], -v[112:113], v[188:189], v[78:79]
	s_waitcnt vmcnt(7)
	v_fma_f64 v[110:111], -v[112:113], v[190:191], v[110:111]
	ds_read2_b64 v[188:191], v205 offset0:29 offset1:30
	s_waitcnt vmcnt(6) lgkmcnt(2)
	v_fma_f64 v[76:77], -v[112:113], v[192:193], v[76:77]
	ds_read_b64 v[192:193], v205 offset:264
	s_waitcnt vmcnt(5)
	v_fma_f64 v[108:109], -v[112:113], v[194:195], v[108:109]
	s_waitcnt vmcnt(2) lgkmcnt(2)
	v_fma_f64 v[72:73], -v[112:113], v[196:197], v[72:73]
	s_waitcnt lgkmcnt(1)
	v_fma_f64 v[74:75], -v[112:113], v[188:189], v[74:75]
	v_fma_f64 v[106:107], -v[112:113], v[190:191], v[106:107]
	s_waitcnt vmcnt(1)
	v_fma_f64 v[104:105], -v[112:113], v[198:199], v[104:105]
	s_waitcnt vmcnt(0) lgkmcnt(0)
	v_fma_f64 v[136:137], -v[112:113], v[192:193], v[136:137]
.LBB67_126:
	s_or_b64 exec, exec, s[2:3]
	v_cmp_eq_u32_e32 vcc, 25, v206
	s_waitcnt lgkmcnt(0)
	s_barrier
	s_and_saveexec_b64 s[2:3], vcc
	s_cbranch_execz .LBB67_129
; %bb.127:
	s_waitcnt vmcnt(7)
	v_mov_b32_e32 v188, v110
	v_mov_b32_e32 v189, v111
	s_waitcnt vmcnt(6)
	v_mov_b32_e32 v190, v76
	v_mov_b32_e32 v191, v77
	ds_write_b64 v204, v[78:79]
	ds_write2_b64 v205, v[188:189], v[190:191] offset0:26 offset1:27
	s_waitcnt vmcnt(5)
	v_mov_b32_e32 v188, v108
	v_mov_b32_e32 v189, v109
	s_waitcnt vmcnt(4)
	v_mov_b32_e32 v190, v74
	v_mov_b32_e32 v191, v75
	ds_write2_b64 v205, v[188:189], v[190:191] offset0:28 offset1:29
	s_waitcnt vmcnt(3)
	v_mov_b32_e32 v188, v106
	v_mov_b32_e32 v189, v107
	s_waitcnt vmcnt(2)
	v_mov_b32_e32 v190, v72
	v_mov_b32_e32 v191, v73
	ds_write2_b64 v205, v[188:189], v[190:191] offset0:30 offset1:31
	s_waitcnt vmcnt(1)
	v_mov_b32_e32 v188, v104
	v_mov_b32_e32 v189, v105
	s_waitcnt vmcnt(0)
	ds_write2_b64 v205, v[188:189], v[136:137] offset0:32 offset1:33
	ds_read_b64 v[188:189], v204
	s_waitcnt lgkmcnt(0)
	v_cmp_neq_f64_e32 vcc, 0, v[188:189]
	s_and_b64 exec, exec, vcc
	s_cbranch_execz .LBB67_129
; %bb.128:
	v_div_scale_f64 v[190:191], s[6:7], v[188:189], v[188:189], 1.0
	v_rcp_f64_e32 v[192:193], v[190:191]
	v_div_scale_f64 v[194:195], vcc, 1.0, v[188:189], 1.0
	v_fma_f64 v[196:197], -v[190:191], v[192:193], 1.0
	v_fmac_f64_e32 v[192:193], v[192:193], v[196:197]
	v_fma_f64 v[196:197], -v[190:191], v[192:193], 1.0
	v_fmac_f64_e32 v[192:193], v[192:193], v[196:197]
	v_mul_f64 v[196:197], v[194:195], v[192:193]
	v_fma_f64 v[190:191], -v[190:191], v[196:197], v[194:195]
	v_div_fmas_f64 v[190:191], v[190:191], v[192:193], v[196:197]
	v_div_fixup_f64 v[188:189], v[190:191], v[188:189], 1.0
	ds_write_b64 v204, v[188:189]
.LBB67_129:
	s_or_b64 exec, exec, s[2:3]
	s_waitcnt lgkmcnt(0)
	s_barrier
	ds_read_b64 v[188:189], v204
	v_cmp_lt_u32_e32 vcc, 25, v206
	s_and_saveexec_b64 s[2:3], vcc
	s_cbranch_execz .LBB67_131
; %bb.130:
	ds_read2_b64 v[190:193], v205 offset0:26 offset1:27
	ds_read2_b64 v[194:197], v205 offset0:28 offset1:29
	s_waitcnt vmcnt(8) lgkmcnt(2)
	v_mul_f64 v[78:79], v[188:189], v[78:79]
	ds_read2_b64 v[198:201], v205 offset0:30 offset1:31
	s_waitcnt vmcnt(7) lgkmcnt(2)
	v_fma_f64 v[110:111], -v[78:79], v[190:191], v[110:111]
	s_waitcnt vmcnt(6)
	v_fma_f64 v[76:77], -v[78:79], v[192:193], v[76:77]
	ds_read2_b64 v[190:193], v205 offset0:32 offset1:33
	s_waitcnt vmcnt(5) lgkmcnt(2)
	v_fma_f64 v[108:109], -v[78:79], v[194:195], v[108:109]
	s_waitcnt vmcnt(4)
	v_fma_f64 v[74:75], -v[78:79], v[196:197], v[74:75]
	s_waitcnt vmcnt(3) lgkmcnt(1)
	v_fma_f64 v[106:107], -v[78:79], v[198:199], v[106:107]
	s_waitcnt vmcnt(2)
	v_fma_f64 v[72:73], -v[78:79], v[200:201], v[72:73]
	;; [unrolled: 4-line block ×3, first 2 shown]
.LBB67_131:
	s_or_b64 exec, exec, s[2:3]
	v_cmp_eq_u32_e32 vcc, 26, v206
	s_waitcnt lgkmcnt(0)
	s_barrier
	s_and_saveexec_b64 s[2:3], vcc
	s_cbranch_execz .LBB67_134
; %bb.132:
	s_waitcnt vmcnt(7)
	ds_write_b64 v204, v[110:111]
	s_waitcnt vmcnt(5)
	ds_write2_b64 v205, v[76:77], v[108:109] offset0:27 offset1:28
	s_waitcnt vmcnt(3)
	ds_write2_b64 v205, v[74:75], v[106:107] offset0:29 offset1:30
	;; [unrolled: 2-line block ×3, first 2 shown]
	s_waitcnt vmcnt(0)
	ds_write_b64 v205, v[136:137] offset:264
	ds_read_b64 v[190:191], v204
	s_waitcnt lgkmcnt(0)
	v_cmp_neq_f64_e32 vcc, 0, v[190:191]
	s_and_b64 exec, exec, vcc
	s_cbranch_execz .LBB67_134
; %bb.133:
	v_div_scale_f64 v[192:193], s[6:7], v[190:191], v[190:191], 1.0
	v_rcp_f64_e32 v[194:195], v[192:193]
	v_div_scale_f64 v[196:197], vcc, 1.0, v[190:191], 1.0
	v_fma_f64 v[198:199], -v[192:193], v[194:195], 1.0
	v_fmac_f64_e32 v[194:195], v[194:195], v[198:199]
	v_fma_f64 v[198:199], -v[192:193], v[194:195], 1.0
	v_fmac_f64_e32 v[194:195], v[194:195], v[198:199]
	v_mul_f64 v[198:199], v[196:197], v[194:195]
	v_fma_f64 v[192:193], -v[192:193], v[198:199], v[196:197]
	v_div_fmas_f64 v[192:193], v[192:193], v[194:195], v[198:199]
	v_div_fixup_f64 v[190:191], v[192:193], v[190:191], 1.0
	ds_write_b64 v204, v[190:191]
.LBB67_134:
	s_or_b64 exec, exec, s[2:3]
	s_waitcnt lgkmcnt(0)
	s_barrier
	ds_read_b64 v[190:191], v204
	v_cmp_lt_u32_e32 vcc, 26, v206
	s_and_saveexec_b64 s[2:3], vcc
	s_cbranch_execz .LBB67_136
; %bb.135:
	ds_read2_b64 v[192:195], v205 offset0:27 offset1:28
	ds_read2_b64 v[196:199], v205 offset0:29 offset1:30
	s_waitcnt vmcnt(7) lgkmcnt(2)
	v_mul_f64 v[110:111], v[190:191], v[110:111]
	ds_read2_b64 v[200:203], v205 offset0:31 offset1:32
	s_waitcnt vmcnt(6) lgkmcnt(2)
	v_fma_f64 v[76:77], -v[110:111], v[192:193], v[76:77]
	ds_read_b64 v[192:193], v205 offset:264
	s_waitcnt vmcnt(5)
	v_fma_f64 v[108:109], -v[110:111], v[194:195], v[108:109]
	s_waitcnt vmcnt(4) lgkmcnt(2)
	v_fma_f64 v[74:75], -v[110:111], v[196:197], v[74:75]
	s_waitcnt vmcnt(3)
	v_fma_f64 v[106:107], -v[110:111], v[198:199], v[106:107]
	s_waitcnt vmcnt(2) lgkmcnt(1)
	v_fma_f64 v[72:73], -v[110:111], v[200:201], v[72:73]
	;; [unrolled: 4-line block ×3, first 2 shown]
.LBB67_136:
	s_or_b64 exec, exec, s[2:3]
	v_cmp_eq_u32_e32 vcc, 27, v206
	s_waitcnt lgkmcnt(0)
	s_barrier
	s_and_saveexec_b64 s[2:3], vcc
	s_cbranch_execz .LBB67_139
; %bb.137:
	s_waitcnt vmcnt(5)
	v_mov_b32_e32 v192, v108
	v_mov_b32_e32 v193, v109
	s_waitcnt vmcnt(4)
	v_mov_b32_e32 v194, v74
	v_mov_b32_e32 v195, v75
	ds_write_b64 v204, v[76:77]
	ds_write2_b64 v205, v[192:193], v[194:195] offset0:28 offset1:29
	s_waitcnt vmcnt(3)
	v_mov_b32_e32 v192, v106
	v_mov_b32_e32 v193, v107
	s_waitcnt vmcnt(2)
	v_mov_b32_e32 v194, v72
	v_mov_b32_e32 v195, v73
	ds_write2_b64 v205, v[192:193], v[194:195] offset0:30 offset1:31
	s_waitcnt vmcnt(1)
	v_mov_b32_e32 v192, v104
	v_mov_b32_e32 v193, v105
	s_waitcnt vmcnt(0)
	ds_write2_b64 v205, v[192:193], v[136:137] offset0:32 offset1:33
	ds_read_b64 v[192:193], v204
	s_waitcnt lgkmcnt(0)
	v_cmp_neq_f64_e32 vcc, 0, v[192:193]
	s_and_b64 exec, exec, vcc
	s_cbranch_execz .LBB67_139
; %bb.138:
	v_div_scale_f64 v[194:195], s[6:7], v[192:193], v[192:193], 1.0
	v_rcp_f64_e32 v[196:197], v[194:195]
	v_div_scale_f64 v[198:199], vcc, 1.0, v[192:193], 1.0
	v_fma_f64 v[200:201], -v[194:195], v[196:197], 1.0
	v_fmac_f64_e32 v[196:197], v[196:197], v[200:201]
	v_fma_f64 v[200:201], -v[194:195], v[196:197], 1.0
	v_fmac_f64_e32 v[196:197], v[196:197], v[200:201]
	v_mul_f64 v[200:201], v[198:199], v[196:197]
	v_fma_f64 v[194:195], -v[194:195], v[200:201], v[198:199]
	v_div_fmas_f64 v[194:195], v[194:195], v[196:197], v[200:201]
	v_div_fixup_f64 v[192:193], v[194:195], v[192:193], 1.0
	ds_write_b64 v204, v[192:193]
.LBB67_139:
	s_or_b64 exec, exec, s[2:3]
	s_waitcnt lgkmcnt(0)
	s_barrier
	ds_read_b64 v[192:193], v204
	v_cmp_lt_u32_e32 vcc, 27, v206
	s_and_saveexec_b64 s[2:3], vcc
	s_cbranch_execz .LBB67_141
; %bb.140:
	ds_read2_b64 v[194:197], v205 offset0:28 offset1:29
	ds_read2_b64 v[198:201], v205 offset0:30 offset1:31
	;; [unrolled: 1-line block ×3, first 2 shown]
	s_waitcnt vmcnt(6) lgkmcnt(3)
	v_mul_f64 v[76:77], v[192:193], v[76:77]
	s_waitcnt vmcnt(5) lgkmcnt(2)
	v_fma_f64 v[108:109], -v[76:77], v[194:195], v[108:109]
	s_waitcnt vmcnt(4)
	v_fma_f64 v[74:75], -v[76:77], v[196:197], v[74:75]
	s_waitcnt vmcnt(3) lgkmcnt(1)
	v_fma_f64 v[106:107], -v[76:77], v[198:199], v[106:107]
	s_waitcnt vmcnt(2)
	v_fma_f64 v[72:73], -v[76:77], v[200:201], v[72:73]
	;; [unrolled: 4-line block ×3, first 2 shown]
.LBB67_141:
	s_or_b64 exec, exec, s[2:3]
	v_cmp_eq_u32_e32 vcc, 28, v206
	s_waitcnt lgkmcnt(0)
	s_barrier
	s_and_saveexec_b64 s[2:3], vcc
	s_cbranch_execz .LBB67_144
; %bb.142:
	s_waitcnt vmcnt(5)
	ds_write_b64 v204, v[108:109]
	s_waitcnt vmcnt(3)
	ds_write2_b64 v205, v[74:75], v[106:107] offset0:29 offset1:30
	s_waitcnt vmcnt(1)
	ds_write2_b64 v205, v[72:73], v[104:105] offset0:31 offset1:32
	s_waitcnt vmcnt(0)
	ds_write_b64 v205, v[136:137] offset:264
	ds_read_b64 v[194:195], v204
	s_waitcnt lgkmcnt(0)
	v_cmp_neq_f64_e32 vcc, 0, v[194:195]
	s_and_b64 exec, exec, vcc
	s_cbranch_execz .LBB67_144
; %bb.143:
	v_div_scale_f64 v[196:197], s[6:7], v[194:195], v[194:195], 1.0
	v_rcp_f64_e32 v[198:199], v[196:197]
	v_div_scale_f64 v[200:201], vcc, 1.0, v[194:195], 1.0
	v_fma_f64 v[202:203], -v[196:197], v[198:199], 1.0
	v_fmac_f64_e32 v[198:199], v[198:199], v[202:203]
	v_fma_f64 v[202:203], -v[196:197], v[198:199], 1.0
	v_fmac_f64_e32 v[198:199], v[198:199], v[202:203]
	v_mul_f64 v[202:203], v[200:201], v[198:199]
	v_fma_f64 v[196:197], -v[196:197], v[202:203], v[200:201]
	v_div_fmas_f64 v[196:197], v[196:197], v[198:199], v[202:203]
	v_div_fixup_f64 v[194:195], v[196:197], v[194:195], 1.0
	ds_write_b64 v204, v[194:195]
.LBB67_144:
	s_or_b64 exec, exec, s[2:3]
	s_waitcnt lgkmcnt(0)
	s_barrier
	ds_read_b64 v[194:195], v204
	v_cmp_lt_u32_e32 vcc, 28, v206
	s_and_saveexec_b64 s[2:3], vcc
	s_cbranch_execz .LBB67_146
; %bb.145:
	ds_read2_b64 v[196:199], v205 offset0:29 offset1:30
	ds_read2_b64 v[200:203], v205 offset0:31 offset1:32
	ds_read_b64 v[208:209], v205 offset:264
	s_waitcnt vmcnt(5) lgkmcnt(3)
	v_mul_f64 v[108:109], v[194:195], v[108:109]
	s_waitcnt vmcnt(4) lgkmcnt(2)
	v_fma_f64 v[74:75], -v[108:109], v[196:197], v[74:75]
	s_waitcnt vmcnt(3)
	v_fma_f64 v[106:107], -v[108:109], v[198:199], v[106:107]
	s_waitcnt vmcnt(2) lgkmcnt(1)
	v_fma_f64 v[72:73], -v[108:109], v[200:201], v[72:73]
	s_waitcnt vmcnt(1)
	v_fma_f64 v[104:105], -v[108:109], v[202:203], v[104:105]
	s_waitcnt vmcnt(0) lgkmcnt(0)
	v_fma_f64 v[136:137], -v[108:109], v[208:209], v[136:137]
.LBB67_146:
	s_or_b64 exec, exec, s[2:3]
	v_cmp_eq_u32_e32 vcc, 29, v206
	s_waitcnt lgkmcnt(0)
	s_barrier
	s_and_saveexec_b64 s[2:3], vcc
	s_cbranch_execz .LBB67_149
; %bb.147:
	s_waitcnt vmcnt(3)
	v_mov_b32_e32 v196, v106
	v_mov_b32_e32 v197, v107
	s_waitcnt vmcnt(2)
	v_mov_b32_e32 v198, v72
	v_mov_b32_e32 v199, v73
	ds_write_b64 v204, v[74:75]
	ds_write2_b64 v205, v[196:197], v[198:199] offset0:30 offset1:31
	s_waitcnt vmcnt(1)
	v_mov_b32_e32 v196, v104
	v_mov_b32_e32 v197, v105
	s_waitcnt vmcnt(0)
	ds_write2_b64 v205, v[196:197], v[136:137] offset0:32 offset1:33
	ds_read_b64 v[196:197], v204
	s_waitcnt lgkmcnt(0)
	v_cmp_neq_f64_e32 vcc, 0, v[196:197]
	s_and_b64 exec, exec, vcc
	s_cbranch_execz .LBB67_149
; %bb.148:
	v_div_scale_f64 v[198:199], s[6:7], v[196:197], v[196:197], 1.0
	v_rcp_f64_e32 v[200:201], v[198:199]
	v_div_scale_f64 v[202:203], vcc, 1.0, v[196:197], 1.0
	v_fma_f64 v[208:209], -v[198:199], v[200:201], 1.0
	v_fmac_f64_e32 v[200:201], v[200:201], v[208:209]
	v_fma_f64 v[208:209], -v[198:199], v[200:201], 1.0
	v_fmac_f64_e32 v[200:201], v[200:201], v[208:209]
	v_mul_f64 v[208:209], v[202:203], v[200:201]
	v_fma_f64 v[198:199], -v[198:199], v[208:209], v[202:203]
	v_div_fmas_f64 v[198:199], v[198:199], v[200:201], v[208:209]
	v_div_fixup_f64 v[196:197], v[198:199], v[196:197], 1.0
	ds_write_b64 v204, v[196:197]
.LBB67_149:
	s_or_b64 exec, exec, s[2:3]
	s_waitcnt lgkmcnt(0)
	s_barrier
	ds_read_b64 v[196:197], v204
	v_cmp_lt_u32_e32 vcc, 29, v206
	s_and_saveexec_b64 s[2:3], vcc
	s_cbranch_execz .LBB67_151
; %bb.150:
	ds_read2_b64 v[198:201], v205 offset0:30 offset1:31
	ds_read2_b64 v[208:211], v205 offset0:32 offset1:33
	s_waitcnt vmcnt(4) lgkmcnt(2)
	v_mul_f64 v[74:75], v[196:197], v[74:75]
	s_waitcnt vmcnt(3) lgkmcnt(1)
	v_fma_f64 v[106:107], -v[74:75], v[198:199], v[106:107]
	s_waitcnt vmcnt(2)
	v_fma_f64 v[72:73], -v[74:75], v[200:201], v[72:73]
	s_waitcnt vmcnt(1) lgkmcnt(0)
	v_fma_f64 v[104:105], -v[74:75], v[208:209], v[104:105]
	s_waitcnt vmcnt(0)
	v_fma_f64 v[136:137], -v[74:75], v[210:211], v[136:137]
.LBB67_151:
	s_or_b64 exec, exec, s[2:3]
	v_cmp_eq_u32_e32 vcc, 30, v206
	s_waitcnt lgkmcnt(0)
	s_barrier
	s_and_saveexec_b64 s[2:3], vcc
	s_cbranch_execz .LBB67_154
; %bb.152:
	s_waitcnt vmcnt(3)
	ds_write_b64 v204, v[106:107]
	s_waitcnt vmcnt(1)
	ds_write2_b64 v205, v[72:73], v[104:105] offset0:31 offset1:32
	s_waitcnt vmcnt(0)
	ds_write_b64 v205, v[136:137] offset:264
	ds_read_b64 v[198:199], v204
	s_waitcnt lgkmcnt(0)
	v_cmp_neq_f64_e32 vcc, 0, v[198:199]
	s_and_b64 exec, exec, vcc
	s_cbranch_execz .LBB67_154
; %bb.153:
	v_div_scale_f64 v[200:201], s[6:7], v[198:199], v[198:199], 1.0
	v_rcp_f64_e32 v[202:203], v[200:201]
	v_div_scale_f64 v[208:209], vcc, 1.0, v[198:199], 1.0
	v_fma_f64 v[210:211], -v[200:201], v[202:203], 1.0
	v_fmac_f64_e32 v[202:203], v[202:203], v[210:211]
	v_fma_f64 v[210:211], -v[200:201], v[202:203], 1.0
	v_fmac_f64_e32 v[202:203], v[202:203], v[210:211]
	v_mul_f64 v[210:211], v[208:209], v[202:203]
	v_fma_f64 v[200:201], -v[200:201], v[210:211], v[208:209]
	v_div_fmas_f64 v[200:201], v[200:201], v[202:203], v[210:211]
	v_div_fixup_f64 v[198:199], v[200:201], v[198:199], 1.0
	ds_write_b64 v204, v[198:199]
.LBB67_154:
	s_or_b64 exec, exec, s[2:3]
	s_waitcnt lgkmcnt(0)
	s_barrier
	ds_read_b64 v[198:199], v204
	v_cmp_lt_u32_e32 vcc, 30, v206
	s_and_saveexec_b64 s[2:3], vcc
	s_cbranch_execz .LBB67_156
; %bb.155:
	ds_read2_b64 v[200:203], v205 offset0:31 offset1:32
	ds_read_b64 v[208:209], v205 offset:264
	s_waitcnt vmcnt(3) lgkmcnt(2)
	v_mul_f64 v[106:107], v[198:199], v[106:107]
	s_waitcnt vmcnt(2) lgkmcnt(1)
	v_fma_f64 v[72:73], -v[106:107], v[200:201], v[72:73]
	s_waitcnt vmcnt(1)
	v_fma_f64 v[104:105], -v[106:107], v[202:203], v[104:105]
	s_waitcnt vmcnt(0) lgkmcnt(0)
	v_fma_f64 v[136:137], -v[106:107], v[208:209], v[136:137]
.LBB67_156:
	s_or_b64 exec, exec, s[2:3]
	v_cmp_eq_u32_e32 vcc, 31, v206
	s_waitcnt lgkmcnt(0)
	s_barrier
	s_and_saveexec_b64 s[2:3], vcc
	s_cbranch_execz .LBB67_159
; %bb.157:
	s_waitcnt vmcnt(1)
	v_mov_b32_e32 v200, v104
	v_mov_b32_e32 v201, v105
	ds_write_b64 v204, v[72:73]
	s_waitcnt vmcnt(0)
	ds_write2_b64 v205, v[200:201], v[136:137] offset0:32 offset1:33
	ds_read_b64 v[200:201], v204
	s_waitcnt lgkmcnt(0)
	v_cmp_neq_f64_e32 vcc, 0, v[200:201]
	s_and_b64 exec, exec, vcc
	s_cbranch_execz .LBB67_159
; %bb.158:
	v_div_scale_f64 v[202:203], s[6:7], v[200:201], v[200:201], 1.0
	v_rcp_f64_e32 v[208:209], v[202:203]
	v_div_scale_f64 v[210:211], vcc, 1.0, v[200:201], 1.0
	v_fma_f64 v[212:213], -v[202:203], v[208:209], 1.0
	v_fmac_f64_e32 v[208:209], v[208:209], v[212:213]
	v_fma_f64 v[212:213], -v[202:203], v[208:209], 1.0
	v_fmac_f64_e32 v[208:209], v[208:209], v[212:213]
	v_mul_f64 v[212:213], v[210:211], v[208:209]
	v_fma_f64 v[202:203], -v[202:203], v[212:213], v[210:211]
	v_div_fmas_f64 v[202:203], v[202:203], v[208:209], v[212:213]
	v_div_fixup_f64 v[200:201], v[202:203], v[200:201], 1.0
	ds_write_b64 v204, v[200:201]
.LBB67_159:
	s_or_b64 exec, exec, s[2:3]
	s_waitcnt lgkmcnt(0)
	s_barrier
	ds_read_b64 v[200:201], v204
	v_cmp_lt_u32_e32 vcc, 31, v206
	s_and_saveexec_b64 s[2:3], vcc
	s_cbranch_execz .LBB67_161
; %bb.160:
	ds_read2_b64 v[208:211], v205 offset0:32 offset1:33
	s_waitcnt vmcnt(2) lgkmcnt(1)
	v_mul_f64 v[72:73], v[200:201], v[72:73]
	s_waitcnt vmcnt(1) lgkmcnt(0)
	v_fma_f64 v[104:105], -v[72:73], v[208:209], v[104:105]
	s_waitcnt vmcnt(0)
	v_fma_f64 v[136:137], -v[72:73], v[210:211], v[136:137]
.LBB67_161:
	s_or_b64 exec, exec, s[2:3]
	v_cmp_eq_u32_e32 vcc, 32, v206
	s_waitcnt lgkmcnt(0)
	s_barrier
	s_and_saveexec_b64 s[2:3], vcc
	s_cbranch_execz .LBB67_164
; %bb.162:
	s_waitcnt vmcnt(1)
	ds_write_b64 v204, v[104:105]
	s_waitcnt vmcnt(0)
	ds_write_b64 v205, v[136:137] offset:264
	ds_read_b64 v[202:203], v204
	s_waitcnt lgkmcnt(0)
	v_cmp_neq_f64_e32 vcc, 0, v[202:203]
	s_and_b64 exec, exec, vcc
	s_cbranch_execz .LBB67_164
; %bb.163:
	v_div_scale_f64 v[208:209], s[6:7], v[202:203], v[202:203], 1.0
	v_rcp_f64_e32 v[210:211], v[208:209]
	v_div_scale_f64 v[212:213], vcc, 1.0, v[202:203], 1.0
	v_fma_f64 v[214:215], -v[208:209], v[210:211], 1.0
	v_fmac_f64_e32 v[210:211], v[210:211], v[214:215]
	v_fma_f64 v[214:215], -v[208:209], v[210:211], 1.0
	v_fmac_f64_e32 v[210:211], v[210:211], v[214:215]
	v_mul_f64 v[214:215], v[212:213], v[210:211]
	v_fma_f64 v[208:209], -v[208:209], v[214:215], v[212:213]
	v_div_fmas_f64 v[208:209], v[208:209], v[210:211], v[214:215]
	v_div_fixup_f64 v[202:203], v[208:209], v[202:203], 1.0
	ds_write_b64 v204, v[202:203]
.LBB67_164:
	s_or_b64 exec, exec, s[2:3]
	s_waitcnt lgkmcnt(0)
	s_barrier
	ds_read_b64 v[202:203], v204
	v_cmp_lt_u32_e32 vcc, 32, v206
	s_and_saveexec_b64 s[2:3], vcc
	s_cbranch_execz .LBB67_166
; %bb.165:
	ds_read_b64 v[208:209], v205 offset:264
	s_waitcnt vmcnt(1) lgkmcnt(1)
	v_mul_f64 v[104:105], v[202:203], v[104:105]
	s_waitcnt vmcnt(0) lgkmcnt(0)
	v_fma_f64 v[136:137], -v[104:105], v[208:209], v[136:137]
.LBB67_166:
	s_or_b64 exec, exec, s[2:3]
	v_cmp_eq_u32_e32 vcc, 33, v206
	s_waitcnt lgkmcnt(0)
	s_barrier
	s_and_saveexec_b64 s[2:3], vcc
	s_cbranch_execz .LBB67_169
; %bb.167:
	s_waitcnt vmcnt(0)
	v_cmp_neq_f64_e32 vcc, 0, v[136:137]
	ds_write_b64 v204, v[136:137]
	s_and_b64 exec, exec, vcc
	s_cbranch_execz .LBB67_169
; %bb.168:
	v_div_scale_f64 v[208:209], s[6:7], v[136:137], v[136:137], 1.0
	v_rcp_f64_e32 v[210:211], v[208:209]
	v_div_scale_f64 v[212:213], vcc, 1.0, v[136:137], 1.0
	v_fma_f64 v[214:215], -v[208:209], v[210:211], 1.0
	v_fmac_f64_e32 v[210:211], v[210:211], v[214:215]
	v_fma_f64 v[214:215], -v[208:209], v[210:211], 1.0
	v_fmac_f64_e32 v[210:211], v[210:211], v[214:215]
	v_mul_f64 v[214:215], v[212:213], v[210:211]
	v_fma_f64 v[208:209], -v[208:209], v[214:215], v[212:213]
	v_div_fmas_f64 v[208:209], v[208:209], v[210:211], v[214:215]
	v_div_fixup_f64 v[208:209], v[208:209], v[136:137], 1.0
	ds_write_b64 v204, v[208:209]
.LBB67_169:
	s_or_b64 exec, exec, s[2:3]
	s_waitcnt lgkmcnt(0)
	s_barrier
	ds_read_b64 v[204:205], v204
	s_waitcnt lgkmcnt(0)
	s_barrier
	s_and_saveexec_b64 s[2:3], s[0:1]
	s_cbranch_execz .LBB67_172
; %bb.170:
	v_cmp_eq_f64_e32 vcc, 0, v[138:139]
	v_cmp_neq_f64_e64 s[0:1], 0, v[140:141]
	v_cndmask_b32_e64 v138, 0, 1, vcc
	s_or_b64 vcc, s[0:1], vcc
	v_cndmask_b32_e32 v138, 2, v138, vcc
	v_cmp_eq_f64_e32 vcc, 0, v[142:143]
	v_cmp_eq_u32_e64 s[0:1], 0, v138
	s_and_b64 s[0:1], vcc, s[0:1]
	v_cndmask_b32_e64 v138, v138, 3, s[0:1]
	v_cmp_eq_f64_e32 vcc, 0, v[144:145]
	v_cmp_eq_u32_e64 s[0:1], 0, v138
	s_and_b64 s[0:1], vcc, s[0:1]
	v_cndmask_b32_e64 v138, v138, 4, s[0:1]
	;; [unrolled: 4-line block ×10, first 2 shown]
	v_cmp_eq_f64_e32 vcc, 0, v[162:163]
	v_cmp_eq_u32_e64 s[0:1], 0, v138
	s_load_dwordx2 s[4:5], s[4:5], 0x28
	s_and_b64 s[0:1], vcc, s[0:1]
	v_cndmask_b32_e64 v138, v138, 13, s[0:1]
	v_cmp_eq_f64_e32 vcc, 0, v[164:165]
	v_cmp_eq_u32_e64 s[0:1], 0, v138
	s_and_b64 s[0:1], vcc, s[0:1]
	v_lshlrev_b64 v[2:3], 2, v[2:3]
	v_cndmask_b32_e64 v138, v138, 14, s[0:1]
	s_waitcnt lgkmcnt(0)
	v_mov_b32_e32 v139, s5
	v_add_co_u32_e64 v2, s[0:1], s4, v2
	v_addc_co_u32_e64 v3, s[0:1], v139, v3, s[0:1]
	global_load_dword v139, v[2:3], off
	v_cmp_eq_f64_e32 vcc, 0, v[166:167]
	v_cmp_eq_u32_e64 s[0:1], 0, v138
	s_and_b64 s[0:1], vcc, s[0:1]
	v_cndmask_b32_e64 v138, v138, 15, s[0:1]
	v_cmp_eq_f64_e32 vcc, 0, v[168:169]
	v_cmp_eq_u32_e64 s[0:1], 0, v138
	s_and_b64 s[0:1], vcc, s[0:1]
	v_cndmask_b32_e64 v138, v138, 16, s[0:1]
	v_cmp_eq_f64_e32 vcc, 0, v[170:171]
	v_cmp_eq_u32_e64 s[0:1], 0, v138
	s_and_b64 s[0:1], vcc, s[0:1]
	v_cndmask_b32_e64 v138, v138, 17, s[0:1]
	v_cmp_eq_f64_e32 vcc, 0, v[172:173]
	v_cmp_eq_u32_e64 s[0:1], 0, v138
	s_and_b64 s[0:1], vcc, s[0:1]
	v_cndmask_b32_e64 v138, v138, 18, s[0:1]
	v_cmp_eq_f64_e32 vcc, 0, v[174:175]
	v_cmp_eq_u32_e64 s[0:1], 0, v138
	s_and_b64 s[0:1], vcc, s[0:1]
	v_cndmask_b32_e64 v138, v138, 19, s[0:1]
	v_cmp_eq_f64_e32 vcc, 0, v[176:177]
	v_cmp_eq_u32_e64 s[0:1], 0, v138
	s_and_b64 s[0:1], vcc, s[0:1]
	v_cndmask_b32_e64 v138, v138, 20, s[0:1]
	v_cmp_eq_f64_e32 vcc, 0, v[178:179]
	v_cmp_eq_u32_e64 s[0:1], 0, v138
	s_and_b64 s[0:1], vcc, s[0:1]
	v_cndmask_b32_e64 v138, v138, 21, s[0:1]
	v_cmp_eq_f64_e32 vcc, 0, v[180:181]
	v_cmp_eq_u32_e64 s[0:1], 0, v138
	s_and_b64 s[0:1], vcc, s[0:1]
	v_cndmask_b32_e64 v138, v138, 22, s[0:1]
	v_cmp_eq_f64_e32 vcc, 0, v[182:183]
	v_cmp_eq_u32_e64 s[0:1], 0, v138
	s_and_b64 s[0:1], vcc, s[0:1]
	v_cndmask_b32_e64 v138, v138, 23, s[0:1]
	v_cmp_eq_f64_e32 vcc, 0, v[184:185]
	v_cmp_eq_u32_e64 s[0:1], 0, v138
	s_and_b64 s[0:1], vcc, s[0:1]
	v_cndmask_b32_e64 v138, v138, 24, s[0:1]
	v_cmp_eq_f64_e32 vcc, 0, v[186:187]
	v_cmp_eq_u32_e64 s[0:1], 0, v138
	s_and_b64 s[0:1], vcc, s[0:1]
	v_cndmask_b32_e64 v138, v138, 25, s[0:1]
	v_cmp_eq_f64_e32 vcc, 0, v[188:189]
	v_cmp_eq_u32_e64 s[0:1], 0, v138
	s_and_b64 s[0:1], vcc, s[0:1]
	v_cndmask_b32_e64 v138, v138, 26, s[0:1]
	v_cmp_eq_f64_e32 vcc, 0, v[190:191]
	v_cmp_eq_u32_e64 s[0:1], 0, v138
	s_and_b64 s[0:1], vcc, s[0:1]
	v_cndmask_b32_e64 v138, v138, 27, s[0:1]
	v_cmp_eq_f64_e32 vcc, 0, v[192:193]
	v_cmp_eq_u32_e64 s[0:1], 0, v138
	s_and_b64 s[0:1], vcc, s[0:1]
	v_cndmask_b32_e64 v138, v138, 28, s[0:1]
	v_cmp_eq_f64_e32 vcc, 0, v[194:195]
	v_cmp_eq_u32_e64 s[0:1], 0, v138
	s_and_b64 s[0:1], vcc, s[0:1]
	v_cndmask_b32_e64 v138, v138, 29, s[0:1]
	v_cmp_eq_f64_e32 vcc, 0, v[196:197]
	v_cmp_eq_u32_e64 s[0:1], 0, v138
	s_and_b64 s[0:1], vcc, s[0:1]
	v_cndmask_b32_e64 v138, v138, 30, s[0:1]
	v_cmp_eq_f64_e32 vcc, 0, v[198:199]
	v_cmp_eq_u32_e64 s[0:1], 0, v138
	s_and_b64 s[0:1], vcc, s[0:1]
	v_cndmask_b32_e64 v138, v138, 31, s[0:1]
	v_cmp_eq_f64_e32 vcc, 0, v[200:201]
	v_cmp_eq_u32_e64 s[0:1], 0, v138
	s_and_b64 s[0:1], vcc, s[0:1]
	v_cndmask_b32_e64 v138, v138, 32, s[0:1]
	v_cmp_eq_f64_e32 vcc, 0, v[202:203]
	v_cmp_eq_u32_e64 s[0:1], 0, v138
	s_and_b64 s[0:1], vcc, s[0:1]
	v_cndmask_b32_e64 v138, v138, 33, s[0:1]
	v_cmp_eq_f64_e32 vcc, 0, v[204:205]
	v_cmp_eq_u32_e64 s[0:1], 0, v138
	s_and_b64 s[0:1], vcc, s[0:1]
	v_cndmask_b32_e64 v138, v138, 34, s[0:1]
	s_waitcnt vmcnt(0)
	v_cmp_eq_u32_e32 vcc, 0, v139
	v_cmp_ne_u32_e64 s[0:1], 0, v138
	s_and_b64 s[0:1], vcc, s[0:1]
	s_and_b64 exec, exec, s[0:1]
	s_cbranch_execz .LBB67_172
; %bb.171:
	v_add_u32_e32 v138, s9, v138
	global_store_dword v[2:3], v138, off
.LBB67_172:
	s_or_b64 exec, exec, s[2:3]
	s_waitcnt vmcnt(0)
	v_mul_f64 v[2:3], v[204:205], v[136:137]
	v_cmp_lt_u32_e32 vcc, 33, v206
	v_cndmask_b32_e32 v3, v137, v3, vcc
	v_cndmask_b32_e32 v2, v136, v2, vcc
	global_store_dwordx2 v[66:67], v[70:71], off
	global_store_dwordx2 v[68:69], v[102:103], off
	;; [unrolled: 1-line block ×34, first 2 shown]
.LBB67_173:
	s_endpgm
	.section	.rodata,"a",@progbits
	.p2align	6, 0x0
	.amdhsa_kernel _ZN9rocsolver6v33100L23getf2_npvt_small_kernelILi34EdiiPKPdEEvT1_T3_lS5_lPT2_S5_S5_
		.amdhsa_group_segment_fixed_size 0
		.amdhsa_private_segment_fixed_size 0
		.amdhsa_kernarg_size 312
		.amdhsa_user_sgpr_count 6
		.amdhsa_user_sgpr_private_segment_buffer 1
		.amdhsa_user_sgpr_dispatch_ptr 0
		.amdhsa_user_sgpr_queue_ptr 0
		.amdhsa_user_sgpr_kernarg_segment_ptr 1
		.amdhsa_user_sgpr_dispatch_id 0
		.amdhsa_user_sgpr_flat_scratch_init 0
		.amdhsa_user_sgpr_kernarg_preload_length 0
		.amdhsa_user_sgpr_kernarg_preload_offset 0
		.amdhsa_user_sgpr_private_segment_size 0
		.amdhsa_uses_dynamic_stack 0
		.amdhsa_system_sgpr_private_segment_wavefront_offset 0
		.amdhsa_system_sgpr_workgroup_id_x 1
		.amdhsa_system_sgpr_workgroup_id_y 1
		.amdhsa_system_sgpr_workgroup_id_z 0
		.amdhsa_system_sgpr_workgroup_info 0
		.amdhsa_system_vgpr_workitem_id 1
		.amdhsa_next_free_vgpr 216
		.amdhsa_next_free_sgpr 16
		.amdhsa_accum_offset 216
		.amdhsa_reserve_vcc 1
		.amdhsa_reserve_flat_scratch 0
		.amdhsa_float_round_mode_32 0
		.amdhsa_float_round_mode_16_64 0
		.amdhsa_float_denorm_mode_32 3
		.amdhsa_float_denorm_mode_16_64 3
		.amdhsa_dx10_clamp 1
		.amdhsa_ieee_mode 1
		.amdhsa_fp16_overflow 0
		.amdhsa_tg_split 0
		.amdhsa_exception_fp_ieee_invalid_op 0
		.amdhsa_exception_fp_denorm_src 0
		.amdhsa_exception_fp_ieee_div_zero 0
		.amdhsa_exception_fp_ieee_overflow 0
		.amdhsa_exception_fp_ieee_underflow 0
		.amdhsa_exception_fp_ieee_inexact 0
		.amdhsa_exception_int_div_zero 0
	.end_amdhsa_kernel
	.section	.text._ZN9rocsolver6v33100L23getf2_npvt_small_kernelILi34EdiiPKPdEEvT1_T3_lS5_lPT2_S5_S5_,"axG",@progbits,_ZN9rocsolver6v33100L23getf2_npvt_small_kernelILi34EdiiPKPdEEvT1_T3_lS5_lPT2_S5_S5_,comdat
.Lfunc_end67:
	.size	_ZN9rocsolver6v33100L23getf2_npvt_small_kernelILi34EdiiPKPdEEvT1_T3_lS5_lPT2_S5_S5_, .Lfunc_end67-_ZN9rocsolver6v33100L23getf2_npvt_small_kernelILi34EdiiPKPdEEvT1_T3_lS5_lPT2_S5_S5_
                                        ; -- End function
	.section	.AMDGPU.csdata,"",@progbits
; Kernel info:
; codeLenInByte = 23824
; NumSgprs: 20
; NumVgprs: 216
; NumAgprs: 0
; TotalNumVgprs: 216
; ScratchSize: 0
; MemoryBound: 0
; FloatMode: 240
; IeeeMode: 1
; LDSByteSize: 0 bytes/workgroup (compile time only)
; SGPRBlocks: 2
; VGPRBlocks: 26
; NumSGPRsForWavesPerEU: 20
; NumVGPRsForWavesPerEU: 216
; AccumOffset: 216
; Occupancy: 2
; WaveLimiterHint : 1
; COMPUTE_PGM_RSRC2:SCRATCH_EN: 0
; COMPUTE_PGM_RSRC2:USER_SGPR: 6
; COMPUTE_PGM_RSRC2:TRAP_HANDLER: 0
; COMPUTE_PGM_RSRC2:TGID_X_EN: 1
; COMPUTE_PGM_RSRC2:TGID_Y_EN: 1
; COMPUTE_PGM_RSRC2:TGID_Z_EN: 0
; COMPUTE_PGM_RSRC2:TIDIG_COMP_CNT: 1
; COMPUTE_PGM_RSRC3_GFX90A:ACCUM_OFFSET: 53
; COMPUTE_PGM_RSRC3_GFX90A:TG_SPLIT: 0
	.section	.text._ZN9rocsolver6v33100L18getf2_small_kernelILi35EdiiPKPdEEvT1_T3_lS5_lPS5_llPT2_S5_S5_S7_l,"axG",@progbits,_ZN9rocsolver6v33100L18getf2_small_kernelILi35EdiiPKPdEEvT1_T3_lS5_lPS5_llPT2_S5_S5_S7_l,comdat
	.globl	_ZN9rocsolver6v33100L18getf2_small_kernelILi35EdiiPKPdEEvT1_T3_lS5_lPS5_llPT2_S5_S5_S7_l ; -- Begin function _ZN9rocsolver6v33100L18getf2_small_kernelILi35EdiiPKPdEEvT1_T3_lS5_lPS5_llPT2_S5_S5_S7_l
	.p2align	8
	.type	_ZN9rocsolver6v33100L18getf2_small_kernelILi35EdiiPKPdEEvT1_T3_lS5_lPS5_llPT2_S5_S5_S7_l,@function
_ZN9rocsolver6v33100L18getf2_small_kernelILi35EdiiPKPdEEvT1_T3_lS5_lPS5_llPT2_S5_S5_S7_l: ; @_ZN9rocsolver6v33100L18getf2_small_kernelILi35EdiiPKPdEEvT1_T3_lS5_lPS5_llPT2_S5_S5_S7_l
; %bb.0:
	s_load_dword s0, s[4:5], 0x6c
	s_load_dwordx2 s[12:13], s[4:5], 0x48
	v_bfe_u32 v74, v0, 10, 10
	s_waitcnt lgkmcnt(0)
	s_lshr_b32 s0, s0, 16
	s_mul_i32 s7, s7, s0
	v_add_u32_e32 v2, s7, v74
	v_cmp_gt_i32_e32 vcc, s12, v2
	s_and_saveexec_b64 s[0:1], vcc
	s_cbranch_execz .LBB68_592
; %bb.1:
	s_load_dwordx4 s[0:3], s[4:5], 0x8
	s_load_dwordx4 s[8:11], s[4:5], 0x50
	v_ashrrev_i32_e32 v3, 31, v2
	v_lshlrev_b64 v[4:5], 3, v[2:3]
	s_waitcnt lgkmcnt(0)
	v_mov_b32_e32 v1, s1
	v_add_co_u32_e32 v4, vcc, s0, v4
	v_addc_co_u32_e32 v5, vcc, v1, v5, vcc
	global_load_dwordx2 v[6:7], v[4:5], off
	s_cmp_eq_u64 s[8:9], 0
	s_cselect_b64 s[6:7], -1, 0
	s_and_b64 vcc, exec, s[6:7]
	v_pk_mov_b32 v[4:5], 0, 0
	s_cbranch_vccnz .LBB68_3
; %bb.2:
	v_mul_lo_u32 v1, v3, s10
	v_mul_lo_u32 v8, v2, s11
	v_mad_u64_u32 v[4:5], s[0:1], v2, s10, 0
	v_add3_u32 v5, v5, v8, v1
	v_lshlrev_b64 v[4:5], 2, v[4:5]
	v_mov_b32_e32 v1, s9
	v_add_co_u32_e32 v4, vcc, s8, v4
	v_addc_co_u32_e32 v5, vcc, v1, v5, vcc
.LBB68_3:
	s_load_dword s8, s[4:5], 0x18
	s_load_dword s18, s[4:5], 0x0
	s_lshl_b64 s[0:1], s[2:3], 3
	v_and_b32_e32 v82, 0x3ff, v0
	v_mov_b32_e32 v1, s1
	s_waitcnt lgkmcnt(0)
	s_add_i32 s12, s8, s8
	s_waitcnt vmcnt(0)
	v_add_co_u32_e32 v80, vcc, s0, v6
	v_add_u32_e32 v0, s12, v82
	v_addc_co_u32_e32 v81, vcc, v7, v1, vcc
	v_ashrrev_i32_e32 v1, 31, v0
	v_lshlrev_b64 v[6:7], 3, v[0:1]
	v_add_u32_e32 v0, s8, v0
	v_add_co_u32_e32 v6, vcc, v80, v6
	v_ashrrev_i32_e32 v1, 31, v0
	v_addc_co_u32_e32 v7, vcc, v81, v7, vcc
	v_lshlrev_b64 v[8:9], 3, v[0:1]
	v_add_u32_e32 v0, s8, v0
	v_add_co_u32_e32 v8, vcc, v80, v8
	v_ashrrev_i32_e32 v1, 31, v0
	v_addc_co_u32_e32 v9, vcc, v81, v9, vcc
	;; [unrolled: 5-line block ×32, first 2 shown]
	v_lshlrev_b64 v[0:1], 3, v[0:1]
	v_add_co_u32_e32 v116, vcc, v80, v0
	v_addc_co_u32_e32 v117, vcc, v81, v1, vcc
	v_lshlrev_b32_e32 v75, 3, v82
	v_add_co_u32_e32 v0, vcc, v80, v75
	s_ashr_i32 s9, s8, 31
	v_addc_co_u32_e32 v1, vcc, 0, v81, vcc
	s_lshl_b64 s[10:11], s[8:9], 3
	v_mov_b32_e32 v33, s11
	v_add_co_u32_e32 v32, vcc, s10, v0
	v_addc_co_u32_e32 v33, vcc, v1, v33, vcc
	global_load_dwordx2 v[68:69], v[0:1], off
	global_load_dwordx2 v[70:71], v[32:33], off
	;; [unrolled: 1-line block ×15, first 2 shown]
                                        ; kill: killed $vgpr30 killed $vgpr31
                                        ; kill: killed $vgpr8 killed $vgpr9
                                        ; kill: killed $vgpr12 killed $vgpr13
                                        ; kill: killed $vgpr16 killed $vgpr17
                                        ; kill: killed $vgpr20 killed $vgpr21
                                        ; kill: killed $vgpr24 killed $vgpr25
                                        ; kill: killed $vgpr28 killed $vgpr29
                                        ; kill: killed $vgpr0 killed $vgpr1
                                        ; kill: killed $vgpr6 killed $vgpr7
                                        ; kill: killed $vgpr32 killed $vgpr33
                                        ; kill: killed $vgpr10 killed $vgpr11
                                        ; kill: killed $vgpr14 killed $vgpr15
                                        ; kill: killed $vgpr18 killed $vgpr19
                                        ; kill: killed $vgpr22 killed $vgpr23
                                        ; kill: killed $vgpr26 killed $vgpr27
	global_load_dwordx2 v[42:43], v[72:73], off
	global_load_dwordx2 v[38:39], v[76:77], off
	global_load_dwordx2 v[36:37], v[78:79], off
	global_load_dwordx2 v[34:35], v[84:85], off
	global_load_dwordx2 v[32:33], v[86:87], off
	global_load_dwordx2 v[30:31], v[88:89], off
	global_load_dwordx2 v[28:29], v[90:91], off
	global_load_dwordx2 v[26:27], v[92:93], off
	global_load_dwordx2 v[24:25], v[94:95], off
	global_load_dwordx2 v[22:23], v[96:97], off
	global_load_dwordx2 v[20:21], v[98:99], off
	global_load_dwordx2 v[18:19], v[100:101], off
	global_load_dwordx2 v[16:17], v[102:103], off
	global_load_dwordx2 v[14:15], v[104:105], off
	global_load_dwordx2 v[10:11], v[106:107], off
                                        ; kill: killed $vgpr76 killed $vgpr77
                                        ; kill: killed $vgpr84 killed $vgpr85
                                        ; kill: killed $vgpr88 killed $vgpr89
                                        ; kill: killed $vgpr92 killed $vgpr93
                                        ; kill: killed $vgpr96 killed $vgpr97
                                        ; kill: killed $vgpr100 killed $vgpr101
                                        ; kill: killed $vgpr104 killed $vgpr105
                                        ; kill: killed $vgpr72 killed $vgpr73
                                        ; kill: killed $vgpr78 killed $vgpr79
                                        ; kill: killed $vgpr86 killed $vgpr87
                                        ; kill: killed $vgpr90 killed $vgpr91
                                        ; kill: killed $vgpr94 killed $vgpr95
                                        ; kill: killed $vgpr98 killed $vgpr99
                                        ; kill: killed $vgpr102 killed $vgpr103
                                        ; kill: killed $vgpr106 killed $vgpr107
	global_load_dwordx2 v[12:13], v[108:109], off
	global_load_dwordx2 v[8:9], v[110:111], off
	;; [unrolled: 1-line block ×5, first 2 shown]
	s_max_i32 s0, s18, 35
	v_mul_lo_u32 v76, s0, v74
	v_lshl_add_u32 v78, v76, 3, 0
	v_add_u32_e32 v74, v78, v75
	s_cmp_lt_i32 s18, 2
	v_lshlrev_b32_e32 v83, 3, v76
	v_mov_b32_e32 v76, 0
	s_waitcnt vmcnt(34)
	ds_write_b64 v74, v[68:69]
	s_waitcnt lgkmcnt(0)
	s_barrier
	ds_read_b64 v[74:75], v78
	s_cbranch_scc1 .LBB68_6
; %bb.4:
	v_add3_u32 v77, v83, 0, 8
	s_mov_b32 s0, 1
	v_mov_b32_e32 v76, 0
.LBB68_5:                               ; =>This Inner Loop Header: Depth=1
	ds_read_b64 v[84:85], v77
	v_mov_b32_e32 v79, s0
	s_add_i32 s0, s0, 1
	v_add_u32_e32 v77, 8, v77
	s_cmp_eq_u32 s18, s0
	s_waitcnt lgkmcnt(0)
	v_cmp_lt_f64_e64 vcc, |v[74:75]|, |v[84:85]|
	v_cndmask_b32_e32 v75, v75, v85, vcc
	v_cndmask_b32_e32 v74, v74, v84, vcc
	v_cndmask_b32_e32 v76, v76, v79, vcc
	s_cbranch_scc0 .LBB68_5
.LBB68_6:
	v_cmp_ne_u32_e32 vcc, v82, v76
                                        ; implicit-def: $vgpr79
	s_and_saveexec_b64 s[0:1], vcc
	s_xor_b64 s[0:1], exec, s[0:1]
	s_cbranch_execz .LBB68_12
; %bb.7:
	v_cmp_eq_u32_e32 vcc, 0, v82
	s_and_saveexec_b64 s[2:3], vcc
	s_cbranch_execz .LBB68_11
; %bb.8:
	v_cmp_ne_u32_e32 vcc, 0, v76
	s_xor_b64 s[14:15], s[6:7], -1
	s_and_b64 s[16:17], s[14:15], vcc
	s_and_saveexec_b64 s[14:15], s[16:17]
	s_cbranch_execz .LBB68_10
; %bb.9:
	v_ashrrev_i32_e32 v77, 31, v76
	v_lshlrev_b64 v[84:85], 2, v[76:77]
	v_add_co_u32_e32 v84, vcc, v4, v84
	v_addc_co_u32_e32 v85, vcc, v5, v85, vcc
	flat_load_dword v77, v[84:85]
	flat_load_dword v79, v[4:5]
	s_waitcnt vmcnt(0) lgkmcnt(0)
	flat_store_dword v[4:5], v77
	flat_store_dword v[84:85], v79
.LBB68_10:
	s_or_b64 exec, exec, s[14:15]
	v_mov_b32_e32 v82, v76
.LBB68_11:
	s_or_b64 exec, exec, s[2:3]
	v_mov_b32_e32 v79, v82
                                        ; implicit-def: $vgpr82
.LBB68_12:
	s_or_saveexec_b64 s[0:1], s[0:1]
	v_mov_b32_e32 v77, v79
	s_xor_b64 exec, exec, s[0:1]
	s_cbranch_execz .LBB68_14
; %bb.13:
	v_mov_b32_e32 v79, 0
	v_mov_b32_e32 v77, v82
	s_waitcnt vmcnt(0)
	ds_write2_b64 v78, v[70:71], v[66:67] offset0:1 offset1:2
	ds_write2_b64 v78, v[64:65], v[62:63] offset0:3 offset1:4
	;; [unrolled: 1-line block ×17, first 2 shown]
.LBB68_14:
	s_or_b64 exec, exec, s[0:1]
	s_waitcnt lgkmcnt(0)
	v_cmp_eq_f64_e64 s[0:1], 0, v[74:75]
	v_cmp_lt_i32_e32 vcc, 0, v79
	s_barrier
	s_and_saveexec_b64 s[2:3], vcc
	s_cbranch_execz .LBB68_16
; %bb.15:
	v_div_scale_f64 v[84:85], s[14:15], v[74:75], v[74:75], 1.0
	v_rcp_f64_e32 v[86:87], v[84:85]
	v_div_scale_f64 v[88:89], vcc, 1.0, v[74:75], 1.0
	ds_read2_b64 v[92:95], v78 offset0:5 offset1:6
	v_fma_f64 v[90:91], -v[84:85], v[86:87], 1.0
	v_fmac_f64_e32 v[86:87], v[86:87], v[90:91]
	v_fma_f64 v[90:91], -v[84:85], v[86:87], 1.0
	v_fmac_f64_e32 v[86:87], v[86:87], v[90:91]
	v_mul_f64 v[90:91], v[88:89], v[86:87]
	v_fma_f64 v[84:85], -v[84:85], v[90:91], v[88:89]
	v_div_fmas_f64 v[84:85], v[84:85], v[86:87], v[90:91]
	v_div_fixup_f64 v[88:89], v[84:85], v[74:75], 1.0
	ds_read2_b64 v[84:87], v78 offset0:1 offset1:2
	v_cndmask_b32_e64 v75, v89, v75, s[0:1]
	v_cndmask_b32_e64 v74, v88, v74, s[0:1]
	ds_read2_b64 v[88:91], v78 offset0:3 offset1:4
	v_mul_f64 v[68:69], v[74:75], v[68:69]
	s_waitcnt vmcnt(0) lgkmcnt(0)
	v_fma_f64 v[70:71], -v[68:69], v[84:85], v[70:71]
	v_fma_f64 v[66:67], -v[68:69], v[86:87], v[66:67]
	ds_read2_b64 v[84:87], v78 offset0:7 offset1:8
	v_fma_f64 v[64:65], -v[68:69], v[88:89], v[64:65]
	v_fma_f64 v[62:63], -v[68:69], v[90:91], v[62:63]
	ds_read2_b64 v[88:91], v78 offset0:9 offset1:10
	v_fma_f64 v[60:61], -v[68:69], v[92:93], v[60:61]
	v_fma_f64 v[58:59], -v[68:69], v[94:95], v[58:59]
	ds_read2_b64 v[92:95], v78 offset0:11 offset1:12
	s_waitcnt lgkmcnt(2)
	v_fma_f64 v[56:57], -v[68:69], v[84:85], v[56:57]
	v_fma_f64 v[54:55], -v[68:69], v[86:87], v[54:55]
	s_waitcnt lgkmcnt(1)
	v_fma_f64 v[52:53], -v[68:69], v[88:89], v[52:53]
	ds_read2_b64 v[84:87], v78 offset0:13 offset1:14
	v_fma_f64 v[50:51], -v[68:69], v[90:91], v[50:51]
	ds_read2_b64 v[88:91], v78 offset0:15 offset1:16
	s_waitcnt lgkmcnt(2)
	v_fma_f64 v[48:49], -v[68:69], v[92:93], v[48:49]
	v_fma_f64 v[46:47], -v[68:69], v[94:95], v[46:47]
	s_waitcnt lgkmcnt(1)
	v_fma_f64 v[44:45], -v[68:69], v[84:85], v[44:45]
	ds_read2_b64 v[92:95], v78 offset0:17 offset1:18
	v_fma_f64 v[40:41], -v[68:69], v[86:87], v[40:41]
	ds_read2_b64 v[84:87], v78 offset0:19 offset1:20
	s_waitcnt lgkmcnt(2)
	v_fma_f64 v[42:43], -v[68:69], v[88:89], v[42:43]
	v_fma_f64 v[38:39], -v[68:69], v[90:91], v[38:39]
	ds_read2_b64 v[88:91], v78 offset0:21 offset1:22
	s_waitcnt lgkmcnt(2)
	v_fma_f64 v[36:37], -v[68:69], v[92:93], v[36:37]
	;; [unrolled: 4-line block ×3, first 2 shown]
	v_fma_f64 v[30:31], -v[68:69], v[86:87], v[30:31]
	s_waitcnt lgkmcnt(1)
	v_fma_f64 v[28:29], -v[68:69], v[88:89], v[28:29]
	ds_read2_b64 v[84:87], v78 offset0:25 offset1:26
	v_fma_f64 v[26:27], -v[68:69], v[90:91], v[26:27]
	ds_read2_b64 v[88:91], v78 offset0:27 offset1:28
	s_waitcnt lgkmcnt(2)
	v_fma_f64 v[24:25], -v[68:69], v[92:93], v[24:25]
	v_fma_f64 v[22:23], -v[68:69], v[94:95], v[22:23]
	s_waitcnt lgkmcnt(1)
	v_fma_f64 v[20:21], -v[68:69], v[84:85], v[20:21]
	v_fma_f64 v[18:19], -v[68:69], v[86:87], v[18:19]
	ds_read2_b64 v[84:87], v78 offset0:29 offset1:30
	ds_read2_b64 v[92:95], v78 offset0:31 offset1:32
	s_waitcnt lgkmcnt(2)
	v_fma_f64 v[16:17], -v[68:69], v[88:89], v[16:17]
	v_fma_f64 v[14:15], -v[68:69], v[90:91], v[14:15]
	ds_read2_b64 v[88:91], v78 offset0:33 offset1:34
	s_waitcnt lgkmcnt(2)
	v_fma_f64 v[10:11], -v[68:69], v[84:85], v[10:11]
	v_fma_f64 v[12:13], -v[68:69], v[86:87], v[12:13]
	s_waitcnt lgkmcnt(1)
	v_fma_f64 v[8:9], -v[68:69], v[92:93], v[8:9]
	v_fma_f64 v[6:7], -v[68:69], v[94:95], v[6:7]
	;; [unrolled: 3-line block ×3, first 2 shown]
.LBB68_16:
	s_or_b64 exec, exec, s[2:3]
	v_lshl_add_u32 v74, v79, 3, v78
	s_barrier
	s_waitcnt vmcnt(0)
	ds_write_b64 v74, v[70:71]
	s_waitcnt lgkmcnt(0)
	s_barrier
	ds_read_b64 v[74:75], v78 offset:8
	s_cmp_lt_i32 s18, 3
	v_mov_b32_e32 v76, 1
	s_cbranch_scc1 .LBB68_19
; %bb.17:
	v_add3_u32 v82, v83, 0, 16
	s_mov_b32 s2, 2
	v_mov_b32_e32 v76, 1
.LBB68_18:                              ; =>This Inner Loop Header: Depth=1
	ds_read_b64 v[84:85], v82
	v_mov_b32_e32 v86, s2
	s_add_i32 s2, s2, 1
	v_add_u32_e32 v82, 8, v82
	s_cmp_lg_u32 s18, s2
	s_waitcnt lgkmcnt(0)
	v_cmp_lt_f64_e64 vcc, |v[74:75]|, |v[84:85]|
	v_cndmask_b32_e32 v75, v75, v85, vcc
	v_cndmask_b32_e32 v74, v74, v84, vcc
	;; [unrolled: 1-line block ×3, first 2 shown]
	s_cbranch_scc1 .LBB68_18
.LBB68_19:
	v_cmp_ne_u32_e32 vcc, v79, v76
	s_and_saveexec_b64 s[2:3], vcc
	s_xor_b64 s[2:3], exec, s[2:3]
	s_cbranch_execz .LBB68_25
; %bb.20:
	v_cmp_eq_u32_e32 vcc, 1, v79
	s_and_saveexec_b64 s[14:15], vcc
	s_cbranch_execz .LBB68_24
; %bb.21:
	v_cmp_ne_u32_e32 vcc, 1, v76
	s_xor_b64 s[16:17], s[6:7], -1
	s_and_b64 s[20:21], s[16:17], vcc
	s_and_saveexec_b64 s[16:17], s[20:21]
	s_cbranch_execz .LBB68_23
; %bb.22:
	v_ashrrev_i32_e32 v77, 31, v76
	v_lshlrev_b64 v[84:85], 2, v[76:77]
	v_add_co_u32_e32 v84, vcc, v4, v84
	v_addc_co_u32_e32 v85, vcc, v5, v85, vcc
	flat_load_dword v77, v[84:85]
	flat_load_dword v79, v[4:5] offset:4
	s_waitcnt vmcnt(0) lgkmcnt(0)
	flat_store_dword v[4:5], v77 offset:4
	flat_store_dword v[84:85], v79
.LBB68_23:
	s_or_b64 exec, exec, s[16:17]
	v_mov_b32_e32 v77, v76
	v_mov_b32_e32 v79, v76
.LBB68_24:
	s_or_b64 exec, exec, s[14:15]
.LBB68_25:
	s_andn2_saveexec_b64 s[2:3], s[2:3]
	s_cbranch_execz .LBB68_27
; %bb.26:
	v_mov_b32_e32 v84, v66
	v_mov_b32_e32 v85, v67
	v_mov_b32_e32 v86, v64
	v_mov_b32_e32 v87, v65
	ds_write2_b64 v78, v[84:85], v[86:87] offset0:2 offset1:3
	v_mov_b32_e32 v84, v62
	v_mov_b32_e32 v85, v63
	v_mov_b32_e32 v86, v60
	v_mov_b32_e32 v87, v61
	ds_write2_b64 v78, v[84:85], v[86:87] offset0:4 offset1:5
	;; [unrolled: 5-line block ×15, first 2 shown]
	v_mov_b32_e32 v84, v6
	v_mov_b32_e32 v85, v7
	;; [unrolled: 1-line block ×5, first 2 shown]
	ds_write2_b64 v78, v[84:85], v[86:87] offset0:32 offset1:33
	ds_write_b64 v78, v[72:73] offset:272
.LBB68_27:
	s_or_b64 exec, exec, s[2:3]
	s_waitcnt lgkmcnt(0)
	v_cmp_neq_f64_e64 s[2:3], 0, v[74:75]
	v_cmp_lt_i32_e32 vcc, 1, v79
	s_barrier
	s_and_saveexec_b64 s[14:15], vcc
	s_cbranch_execz .LBB68_29
; %bb.28:
	v_div_scale_f64 v[84:85], s[16:17], v[74:75], v[74:75], 1.0
	v_rcp_f64_e32 v[86:87], v[84:85]
	v_div_scale_f64 v[88:89], vcc, 1.0, v[74:75], 1.0
	ds_read2_b64 v[92:95], v78 offset0:6 offset1:7
	v_fma_f64 v[90:91], -v[84:85], v[86:87], 1.0
	v_fmac_f64_e32 v[86:87], v[86:87], v[90:91]
	v_fma_f64 v[90:91], -v[84:85], v[86:87], 1.0
	v_fmac_f64_e32 v[86:87], v[86:87], v[90:91]
	v_mul_f64 v[90:91], v[88:89], v[86:87]
	v_fma_f64 v[84:85], -v[84:85], v[90:91], v[88:89]
	v_div_fmas_f64 v[84:85], v[84:85], v[86:87], v[90:91]
	v_div_fixup_f64 v[88:89], v[84:85], v[74:75], 1.0
	ds_read2_b64 v[84:87], v78 offset0:2 offset1:3
	v_cndmask_b32_e64 v75, v75, v89, s[2:3]
	v_cndmask_b32_e64 v74, v74, v88, s[2:3]
	ds_read2_b64 v[88:91], v78 offset0:4 offset1:5
	v_mul_f64 v[70:71], v[74:75], v[70:71]
	s_waitcnt lgkmcnt(0)
	v_fma_f64 v[66:67], -v[70:71], v[84:85], v[66:67]
	v_fma_f64 v[64:65], -v[70:71], v[86:87], v[64:65]
	ds_read2_b64 v[84:87], v78 offset0:8 offset1:9
	v_fma_f64 v[62:63], -v[70:71], v[88:89], v[62:63]
	v_fma_f64 v[60:61], -v[70:71], v[90:91], v[60:61]
	;; [unrolled: 1-line block ×3, first 2 shown]
	ds_read2_b64 v[88:91], v78 offset0:10 offset1:11
	v_fma_f64 v[56:57], -v[70:71], v[94:95], v[56:57]
	ds_read2_b64 v[92:95], v78 offset0:12 offset1:13
	s_waitcnt lgkmcnt(0)
	v_fma_f64 v[54:55], -v[70:71], v[84:85], v[54:55]
	v_fma_f64 v[52:53], -v[70:71], v[86:87], v[52:53]
	ds_read2_b64 v[84:87], v78 offset0:14 offset1:15
	v_fma_f64 v[50:51], -v[70:71], v[88:89], v[50:51]
	v_fma_f64 v[48:49], -v[70:71], v[90:91], v[48:49]
	ds_read2_b64 v[88:91], v78 offset0:16 offset1:17
	v_fma_f64 v[46:47], -v[70:71], v[92:93], v[46:47]
	v_fma_f64 v[44:45], -v[70:71], v[94:95], v[44:45]
	s_waitcnt lgkmcnt(0)
	v_fma_f64 v[40:41], -v[70:71], v[84:85], v[40:41]
	ds_read2_b64 v[92:95], v78 offset0:18 offset1:19
	v_fma_f64 v[42:43], -v[70:71], v[86:87], v[42:43]
	ds_read2_b64 v[84:87], v78 offset0:20 offset1:21
	v_fma_f64 v[38:39], -v[70:71], v[88:89], v[38:39]
	v_fma_f64 v[36:37], -v[70:71], v[90:91], v[36:37]
	s_waitcnt lgkmcnt(0)
	v_fma_f64 v[34:35], -v[70:71], v[92:93], v[34:35]
	ds_read2_b64 v[88:91], v78 offset0:22 offset1:23
	v_fma_f64 v[32:33], -v[70:71], v[94:95], v[32:33]
	ds_read2_b64 v[92:95], v78 offset0:24 offset1:25
	v_fma_f64 v[30:31], -v[70:71], v[84:85], v[30:31]
	v_fma_f64 v[28:29], -v[70:71], v[86:87], v[28:29]
	ds_read2_b64 v[84:87], v78 offset0:26 offset1:27
	s_waitcnt lgkmcnt(0)
	v_fma_f64 v[26:27], -v[70:71], v[88:89], v[26:27]
	v_fma_f64 v[24:25], -v[70:71], v[90:91], v[24:25]
	ds_read2_b64 v[88:91], v78 offset0:28 offset1:29
	v_fma_f64 v[22:23], -v[70:71], v[92:93], v[22:23]
	v_fma_f64 v[20:21], -v[70:71], v[94:95], v[20:21]
	;; [unrolled: 1-line block ×4, first 2 shown]
	ds_read2_b64 v[84:87], v78 offset0:30 offset1:31
	ds_read2_b64 v[92:95], v78 offset0:32 offset1:33
	ds_read_b64 v[74:75], v78 offset:272
	s_waitcnt lgkmcnt(0)
	v_fma_f64 v[14:15], -v[70:71], v[88:89], v[14:15]
	v_fma_f64 v[10:11], -v[70:71], v[90:91], v[10:11]
	;; [unrolled: 1-line block ×7, first 2 shown]
.LBB68_29:
	s_or_b64 exec, exec, s[14:15]
	v_lshl_add_u32 v74, v79, 3, v78
	s_barrier
	ds_write_b64 v74, v[66:67]
	s_waitcnt lgkmcnt(0)
	s_barrier
	ds_read_b64 v[74:75], v78 offset:16
	s_mov_b32 s9, 3
	s_cmp_lt_i32 s18, 4
	v_mov_b32_e32 v76, 2
	s_cbranch_scc1 .LBB68_32
; %bb.30:
	v_add3_u32 v82, v83, 0, 24
	v_mov_b32_e32 v76, 2
.LBB68_31:                              ; =>This Inner Loop Header: Depth=1
	ds_read_b64 v[84:85], v82
	v_mov_b32_e32 v86, s9
	s_add_i32 s9, s9, 1
	v_add_u32_e32 v82, 8, v82
	s_cmp_lg_u32 s18, s9
	s_waitcnt lgkmcnt(0)
	v_cmp_lt_f64_e64 vcc, |v[74:75]|, |v[84:85]|
	v_cndmask_b32_e32 v75, v75, v85, vcc
	v_cndmask_b32_e32 v74, v74, v84, vcc
	;; [unrolled: 1-line block ×3, first 2 shown]
	s_cbranch_scc1 .LBB68_31
.LBB68_32:
	v_cndmask_b32_e64 v82, 2, 1, s[0:1]
	v_cndmask_b32_e64 v84, 0, 1, s[0:1]
	;; [unrolled: 1-line block ×3, first 2 shown]
	s_waitcnt lgkmcnt(0)
	v_cmp_eq_f64_e32 vcc, 0, v[74:75]
	s_and_saveexec_b64 s[0:1], vcc
	s_xor_b64 s[0:1], exec, s[0:1]
; %bb.33:
	v_cmp_ne_u32_e32 vcc, 0, v82
	v_cndmask_b32_e32 v82, 3, v82, vcc
; %bb.34:
	s_andn2_saveexec_b64 s[0:1], s[0:1]
; %bb.35:
	v_div_scale_f64 v[84:85], s[2:3], v[74:75], v[74:75], 1.0
	v_rcp_f64_e32 v[86:87], v[84:85]
	v_div_scale_f64 v[88:89], vcc, 1.0, v[74:75], 1.0
	v_fma_f64 v[90:91], -v[84:85], v[86:87], 1.0
	v_fmac_f64_e32 v[86:87], v[86:87], v[90:91]
	v_fma_f64 v[90:91], -v[84:85], v[86:87], 1.0
	v_fmac_f64_e32 v[86:87], v[86:87], v[90:91]
	v_mul_f64 v[90:91], v[88:89], v[86:87]
	v_fma_f64 v[84:85], -v[84:85], v[90:91], v[88:89]
	v_div_fmas_f64 v[84:85], v[84:85], v[86:87], v[90:91]
	v_div_fixup_f64 v[74:75], v[84:85], v[74:75], 1.0
; %bb.36:
	s_or_b64 exec, exec, s[0:1]
	v_cmp_ne_u32_e32 vcc, v79, v76
	s_and_saveexec_b64 s[0:1], vcc
	s_xor_b64 s[0:1], exec, s[0:1]
	s_cbranch_execz .LBB68_42
; %bb.37:
	v_cmp_eq_u32_e32 vcc, 2, v79
	s_and_saveexec_b64 s[2:3], vcc
	s_cbranch_execz .LBB68_41
; %bb.38:
	v_cmp_ne_u32_e32 vcc, 2, v76
	s_xor_b64 s[14:15], s[6:7], -1
	s_and_b64 s[16:17], s[14:15], vcc
	s_and_saveexec_b64 s[14:15], s[16:17]
	s_cbranch_execz .LBB68_40
; %bb.39:
	v_ashrrev_i32_e32 v77, 31, v76
	v_lshlrev_b64 v[84:85], 2, v[76:77]
	v_add_co_u32_e32 v84, vcc, v4, v84
	v_addc_co_u32_e32 v85, vcc, v5, v85, vcc
	flat_load_dword v77, v[84:85]
	flat_load_dword v79, v[4:5] offset:8
	s_waitcnt vmcnt(0) lgkmcnt(0)
	flat_store_dword v[4:5], v77 offset:8
	flat_store_dword v[84:85], v79
.LBB68_40:
	s_or_b64 exec, exec, s[14:15]
	v_mov_b32_e32 v77, v76
	v_mov_b32_e32 v79, v76
.LBB68_41:
	s_or_b64 exec, exec, s[2:3]
.LBB68_42:
	s_andn2_saveexec_b64 s[0:1], s[0:1]
	s_cbranch_execz .LBB68_44
; %bb.43:
	v_mov_b32_e32 v79, 2
	ds_write2_b64 v78, v[64:65], v[62:63] offset0:3 offset1:4
	ds_write2_b64 v78, v[60:61], v[58:59] offset0:5 offset1:6
	;; [unrolled: 1-line block ×16, first 2 shown]
.LBB68_44:
	s_or_b64 exec, exec, s[0:1]
	v_cmp_lt_i32_e32 vcc, 2, v79
	s_waitcnt lgkmcnt(0)
	s_barrier
	s_and_saveexec_b64 s[0:1], vcc
	s_cbranch_execz .LBB68_46
; %bb.45:
	ds_read2_b64 v[84:87], v78 offset0:3 offset1:4
	ds_read2_b64 v[88:91], v78 offset0:5 offset1:6
	v_mul_f64 v[66:67], v[74:75], v[66:67]
	ds_read2_b64 v[92:95], v78 offset0:7 offset1:8
	s_waitcnt lgkmcnt(0)
	v_fma_f64 v[64:65], -v[66:67], v[84:85], v[64:65]
	v_fma_f64 v[62:63], -v[66:67], v[86:87], v[62:63]
	ds_read2_b64 v[84:87], v78 offset0:9 offset1:10
	v_fma_f64 v[60:61], -v[66:67], v[88:89], v[60:61]
	v_fma_f64 v[58:59], -v[66:67], v[90:91], v[58:59]
	;; [unrolled: 1-line block ×3, first 2 shown]
	ds_read2_b64 v[88:91], v78 offset0:11 offset1:12
	v_fma_f64 v[54:55], -v[66:67], v[94:95], v[54:55]
	ds_read2_b64 v[92:95], v78 offset0:13 offset1:14
	s_waitcnt lgkmcnt(0)
	v_fma_f64 v[52:53], -v[66:67], v[84:85], v[52:53]
	v_fma_f64 v[50:51], -v[66:67], v[86:87], v[50:51]
	ds_read2_b64 v[84:87], v78 offset0:15 offset1:16
	v_fma_f64 v[48:49], -v[66:67], v[88:89], v[48:49]
	v_fma_f64 v[46:47], -v[66:67], v[90:91], v[46:47]
	ds_read2_b64 v[88:91], v78 offset0:17 offset1:18
	v_fma_f64 v[44:45], -v[66:67], v[92:93], v[44:45]
	v_fma_f64 v[40:41], -v[66:67], v[94:95], v[40:41]
	s_waitcnt lgkmcnt(0)
	v_fma_f64 v[42:43], -v[66:67], v[84:85], v[42:43]
	ds_read2_b64 v[92:95], v78 offset0:19 offset1:20
	v_fma_f64 v[38:39], -v[66:67], v[86:87], v[38:39]
	ds_read2_b64 v[84:87], v78 offset0:21 offset1:22
	v_fma_f64 v[36:37], -v[66:67], v[88:89], v[36:37]
	v_fma_f64 v[34:35], -v[66:67], v[90:91], v[34:35]
	s_waitcnt lgkmcnt(0)
	v_fma_f64 v[32:33], -v[66:67], v[92:93], v[32:33]
	ds_read2_b64 v[88:91], v78 offset0:23 offset1:24
	v_fma_f64 v[30:31], -v[66:67], v[94:95], v[30:31]
	ds_read2_b64 v[92:95], v78 offset0:25 offset1:26
	v_fma_f64 v[28:29], -v[66:67], v[84:85], v[28:29]
	v_fma_f64 v[26:27], -v[66:67], v[86:87], v[26:27]
	ds_read2_b64 v[84:87], v78 offset0:27 offset1:28
	s_waitcnt lgkmcnt(0)
	v_fma_f64 v[24:25], -v[66:67], v[88:89], v[24:25]
	v_fma_f64 v[22:23], -v[66:67], v[90:91], v[22:23]
	ds_read2_b64 v[88:91], v78 offset0:29 offset1:30
	v_fma_f64 v[20:21], -v[66:67], v[92:93], v[20:21]
	v_fma_f64 v[18:19], -v[66:67], v[94:95], v[18:19]
	;; [unrolled: 1-line block ×3, first 2 shown]
	ds_read2_b64 v[92:95], v78 offset0:31 offset1:32
	v_fma_f64 v[14:15], -v[66:67], v[86:87], v[14:15]
	ds_read2_b64 v[84:87], v78 offset0:33 offset1:34
	s_waitcnt lgkmcnt(0)
	v_fma_f64 v[10:11], -v[66:67], v[88:89], v[10:11]
	v_fma_f64 v[12:13], -v[66:67], v[90:91], v[12:13]
	;; [unrolled: 1-line block ×6, first 2 shown]
.LBB68_46:
	s_or_b64 exec, exec, s[0:1]
	v_lshl_add_u32 v74, v79, 3, v78
	s_barrier
	ds_write_b64 v74, v[64:65]
	s_waitcnt lgkmcnt(0)
	s_barrier
	ds_read_b64 v[74:75], v78 offset:24
	s_cmp_lt_i32 s18, 5
	v_mov_b32_e32 v76, 3
	s_cbranch_scc1 .LBB68_49
; %bb.47:
	v_add3_u32 v84, v83, 0, 32
	s_mov_b32 s0, 4
	v_mov_b32_e32 v76, 3
.LBB68_48:                              ; =>This Inner Loop Header: Depth=1
	ds_read_b64 v[86:87], v84
	v_mov_b32_e32 v85, s0
	s_add_i32 s0, s0, 1
	v_add_u32_e32 v84, 8, v84
	s_cmp_lg_u32 s18, s0
	s_waitcnt lgkmcnt(0)
	v_cmp_lt_f64_e64 vcc, |v[74:75]|, |v[86:87]|
	v_cndmask_b32_e32 v75, v75, v87, vcc
	v_cndmask_b32_e32 v74, v74, v86, vcc
	;; [unrolled: 1-line block ×3, first 2 shown]
	s_cbranch_scc1 .LBB68_48
.LBB68_49:
	s_waitcnt lgkmcnt(0)
	v_cmp_eq_f64_e32 vcc, 0, v[74:75]
	s_and_saveexec_b64 s[0:1], vcc
	s_xor_b64 s[0:1], exec, s[0:1]
; %bb.50:
	v_cmp_ne_u32_e32 vcc, 0, v82
	v_cndmask_b32_e32 v82, 4, v82, vcc
; %bb.51:
	s_andn2_saveexec_b64 s[0:1], s[0:1]
; %bb.52:
	v_div_scale_f64 v[84:85], s[2:3], v[74:75], v[74:75], 1.0
	v_rcp_f64_e32 v[86:87], v[84:85]
	v_div_scale_f64 v[88:89], vcc, 1.0, v[74:75], 1.0
	v_fma_f64 v[90:91], -v[84:85], v[86:87], 1.0
	v_fmac_f64_e32 v[86:87], v[86:87], v[90:91]
	v_fma_f64 v[90:91], -v[84:85], v[86:87], 1.0
	v_fmac_f64_e32 v[86:87], v[86:87], v[90:91]
	v_mul_f64 v[90:91], v[88:89], v[86:87]
	v_fma_f64 v[84:85], -v[84:85], v[90:91], v[88:89]
	v_div_fmas_f64 v[84:85], v[84:85], v[86:87], v[90:91]
	v_div_fixup_f64 v[74:75], v[84:85], v[74:75], 1.0
; %bb.53:
	s_or_b64 exec, exec, s[0:1]
	v_cmp_ne_u32_e32 vcc, v79, v76
	s_and_saveexec_b64 s[0:1], vcc
	s_xor_b64 s[0:1], exec, s[0:1]
	s_cbranch_execz .LBB68_59
; %bb.54:
	v_cmp_eq_u32_e32 vcc, 3, v79
	s_and_saveexec_b64 s[2:3], vcc
	s_cbranch_execz .LBB68_58
; %bb.55:
	v_cmp_ne_u32_e32 vcc, 3, v76
	s_xor_b64 s[14:15], s[6:7], -1
	s_and_b64 s[16:17], s[14:15], vcc
	s_and_saveexec_b64 s[14:15], s[16:17]
	s_cbranch_execz .LBB68_57
; %bb.56:
	v_ashrrev_i32_e32 v77, 31, v76
	v_lshlrev_b64 v[84:85], 2, v[76:77]
	v_add_co_u32_e32 v84, vcc, v4, v84
	v_addc_co_u32_e32 v85, vcc, v5, v85, vcc
	flat_load_dword v77, v[84:85]
	flat_load_dword v79, v[4:5] offset:12
	s_waitcnt vmcnt(0) lgkmcnt(0)
	flat_store_dword v[4:5], v77 offset:12
	flat_store_dword v[84:85], v79
.LBB68_57:
	s_or_b64 exec, exec, s[14:15]
	v_mov_b32_e32 v77, v76
	v_mov_b32_e32 v79, v76
.LBB68_58:
	s_or_b64 exec, exec, s[2:3]
.LBB68_59:
	s_andn2_saveexec_b64 s[0:1], s[0:1]
	s_cbranch_execz .LBB68_61
; %bb.60:
	v_mov_b32_e32 v84, v62
	v_mov_b32_e32 v85, v63
	v_mov_b32_e32 v86, v60
	v_mov_b32_e32 v87, v61
	ds_write2_b64 v78, v[84:85], v[86:87] offset0:4 offset1:5
	v_mov_b32_e32 v84, v58
	v_mov_b32_e32 v85, v59
	v_mov_b32_e32 v86, v56
	v_mov_b32_e32 v87, v57
	ds_write2_b64 v78, v[84:85], v[86:87] offset0:6 offset1:7
	;; [unrolled: 5-line block ×14, first 2 shown]
	v_mov_b32_e32 v84, v6
	v_mov_b32_e32 v85, v7
	;; [unrolled: 1-line block ×5, first 2 shown]
	ds_write2_b64 v78, v[84:85], v[86:87] offset0:32 offset1:33
	ds_write_b64 v78, v[72:73] offset:272
.LBB68_61:
	s_or_b64 exec, exec, s[0:1]
	v_cmp_lt_i32_e32 vcc, 3, v79
	s_waitcnt lgkmcnt(0)
	s_barrier
	s_and_saveexec_b64 s[0:1], vcc
	s_cbranch_execz .LBB68_63
; %bb.62:
	ds_read2_b64 v[84:87], v78 offset0:4 offset1:5
	ds_read2_b64 v[88:91], v78 offset0:6 offset1:7
	;; [unrolled: 1-line block ×3, first 2 shown]
	v_mul_f64 v[64:65], v[74:75], v[64:65]
	ds_read_b64 v[74:75], v78 offset:272
	s_waitcnt lgkmcnt(0)
	v_fma_f64 v[62:63], -v[64:65], v[84:85], v[62:63]
	v_fma_f64 v[60:61], -v[64:65], v[86:87], v[60:61]
	ds_read2_b64 v[84:87], v78 offset0:10 offset1:11
	v_fma_f64 v[58:59], -v[64:65], v[88:89], v[58:59]
	v_fma_f64 v[56:57], -v[64:65], v[90:91], v[56:57]
	v_fma_f64 v[54:55], -v[64:65], v[92:93], v[54:55]
	ds_read2_b64 v[88:91], v78 offset0:12 offset1:13
	v_fma_f64 v[52:53], -v[64:65], v[94:95], v[52:53]
	ds_read2_b64 v[92:95], v78 offset0:14 offset1:15
	s_waitcnt lgkmcnt(0)
	v_fma_f64 v[50:51], -v[64:65], v[84:85], v[50:51]
	v_fma_f64 v[48:49], -v[64:65], v[86:87], v[48:49]
	;; [unrolled: 1-line block ×3, first 2 shown]
	ds_read2_b64 v[84:87], v78 offset0:16 offset1:17
	v_fma_f64 v[44:45], -v[64:65], v[90:91], v[44:45]
	ds_read2_b64 v[88:91], v78 offset0:18 offset1:19
	v_fma_f64 v[40:41], -v[64:65], v[92:93], v[40:41]
	v_fma_f64 v[42:43], -v[64:65], v[94:95], v[42:43]
	ds_read2_b64 v[92:95], v78 offset0:20 offset1:21
	s_waitcnt lgkmcnt(0)
	v_fma_f64 v[38:39], -v[64:65], v[84:85], v[38:39]
	v_fma_f64 v[36:37], -v[64:65], v[86:87], v[36:37]
	ds_read2_b64 v[84:87], v78 offset0:22 offset1:23
	v_fma_f64 v[34:35], -v[64:65], v[88:89], v[34:35]
	v_fma_f64 v[32:33], -v[64:65], v[90:91], v[32:33]
	;; [unrolled: 1-line block ×3, first 2 shown]
	ds_read2_b64 v[88:91], v78 offset0:24 offset1:25
	v_fma_f64 v[28:29], -v[64:65], v[94:95], v[28:29]
	ds_read2_b64 v[92:95], v78 offset0:26 offset1:27
	s_waitcnt lgkmcnt(0)
	v_fma_f64 v[26:27], -v[64:65], v[84:85], v[26:27]
	v_fma_f64 v[24:25], -v[64:65], v[86:87], v[24:25]
	;; [unrolled: 1-line block ×3, first 2 shown]
	ds_read2_b64 v[84:87], v78 offset0:28 offset1:29
	v_fma_f64 v[20:21], -v[64:65], v[90:91], v[20:21]
	ds_read2_b64 v[88:91], v78 offset0:30 offset1:31
	v_fma_f64 v[18:19], -v[64:65], v[92:93], v[18:19]
	v_fma_f64 v[16:17], -v[64:65], v[94:95], v[16:17]
	ds_read2_b64 v[92:95], v78 offset0:32 offset1:33
	s_waitcnt lgkmcnt(0)
	v_fma_f64 v[14:15], -v[64:65], v[84:85], v[14:15]
	v_fma_f64 v[10:11], -v[64:65], v[86:87], v[10:11]
	v_fma_f64 v[12:13], -v[64:65], v[88:89], v[12:13]
	v_fma_f64 v[8:9], -v[64:65], v[90:91], v[8:9]
	v_fma_f64 v[6:7], -v[64:65], v[92:93], v[6:7]
	v_fma_f64 v[0:1], -v[64:65], v[94:95], v[0:1]
	v_fma_f64 v[72:73], -v[64:65], v[74:75], v[72:73]
.LBB68_63:
	s_or_b64 exec, exec, s[0:1]
	v_lshl_add_u32 v74, v79, 3, v78
	s_barrier
	ds_write_b64 v74, v[62:63]
	s_waitcnt lgkmcnt(0)
	s_barrier
	ds_read_b64 v[74:75], v78 offset:32
	s_cmp_lt_i32 s18, 6
	v_mov_b32_e32 v76, 4
	s_cbranch_scc1 .LBB68_66
; %bb.64:
	v_add3_u32 v84, v83, 0, 40
	s_mov_b32 s0, 5
	v_mov_b32_e32 v76, 4
.LBB68_65:                              ; =>This Inner Loop Header: Depth=1
	ds_read_b64 v[86:87], v84
	v_mov_b32_e32 v85, s0
	s_add_i32 s0, s0, 1
	v_add_u32_e32 v84, 8, v84
	s_cmp_lg_u32 s18, s0
	s_waitcnt lgkmcnt(0)
	v_cmp_lt_f64_e64 vcc, |v[74:75]|, |v[86:87]|
	v_cndmask_b32_e32 v75, v75, v87, vcc
	v_cndmask_b32_e32 v74, v74, v86, vcc
	;; [unrolled: 1-line block ×3, first 2 shown]
	s_cbranch_scc1 .LBB68_65
.LBB68_66:
	s_waitcnt lgkmcnt(0)
	v_cmp_eq_f64_e32 vcc, 0, v[74:75]
	s_and_saveexec_b64 s[0:1], vcc
	s_xor_b64 s[0:1], exec, s[0:1]
; %bb.67:
	v_cmp_ne_u32_e32 vcc, 0, v82
	v_cndmask_b32_e32 v82, 5, v82, vcc
; %bb.68:
	s_andn2_saveexec_b64 s[0:1], s[0:1]
; %bb.69:
	v_div_scale_f64 v[84:85], s[2:3], v[74:75], v[74:75], 1.0
	v_rcp_f64_e32 v[86:87], v[84:85]
	v_div_scale_f64 v[88:89], vcc, 1.0, v[74:75], 1.0
	v_fma_f64 v[90:91], -v[84:85], v[86:87], 1.0
	v_fmac_f64_e32 v[86:87], v[86:87], v[90:91]
	v_fma_f64 v[90:91], -v[84:85], v[86:87], 1.0
	v_fmac_f64_e32 v[86:87], v[86:87], v[90:91]
	v_mul_f64 v[90:91], v[88:89], v[86:87]
	v_fma_f64 v[84:85], -v[84:85], v[90:91], v[88:89]
	v_div_fmas_f64 v[84:85], v[84:85], v[86:87], v[90:91]
	v_div_fixup_f64 v[74:75], v[84:85], v[74:75], 1.0
; %bb.70:
	s_or_b64 exec, exec, s[0:1]
	v_cmp_ne_u32_e32 vcc, v79, v76
	s_and_saveexec_b64 s[0:1], vcc
	s_xor_b64 s[0:1], exec, s[0:1]
	s_cbranch_execz .LBB68_76
; %bb.71:
	v_cmp_eq_u32_e32 vcc, 4, v79
	s_and_saveexec_b64 s[2:3], vcc
	s_cbranch_execz .LBB68_75
; %bb.72:
	v_cmp_ne_u32_e32 vcc, 4, v76
	s_xor_b64 s[14:15], s[6:7], -1
	s_and_b64 s[16:17], s[14:15], vcc
	s_and_saveexec_b64 s[14:15], s[16:17]
	s_cbranch_execz .LBB68_74
; %bb.73:
	v_ashrrev_i32_e32 v77, 31, v76
	v_lshlrev_b64 v[84:85], 2, v[76:77]
	v_add_co_u32_e32 v84, vcc, v4, v84
	v_addc_co_u32_e32 v85, vcc, v5, v85, vcc
	flat_load_dword v77, v[84:85]
	flat_load_dword v79, v[4:5] offset:16
	s_waitcnt vmcnt(0) lgkmcnt(0)
	flat_store_dword v[4:5], v77 offset:16
	flat_store_dword v[84:85], v79
.LBB68_74:
	s_or_b64 exec, exec, s[14:15]
	v_mov_b32_e32 v77, v76
	v_mov_b32_e32 v79, v76
.LBB68_75:
	s_or_b64 exec, exec, s[2:3]
.LBB68_76:
	s_andn2_saveexec_b64 s[0:1], s[0:1]
	s_cbranch_execz .LBB68_78
; %bb.77:
	v_mov_b32_e32 v79, 4
	ds_write2_b64 v78, v[60:61], v[58:59] offset0:5 offset1:6
	ds_write2_b64 v78, v[56:57], v[54:55] offset0:7 offset1:8
	;; [unrolled: 1-line block ×15, first 2 shown]
.LBB68_78:
	s_or_b64 exec, exec, s[0:1]
	v_cmp_lt_i32_e32 vcc, 4, v79
	s_waitcnt lgkmcnt(0)
	s_barrier
	s_and_saveexec_b64 s[0:1], vcc
	s_cbranch_execz .LBB68_80
; %bb.79:
	ds_read2_b64 v[84:87], v78 offset0:5 offset1:6
	ds_read2_b64 v[88:91], v78 offset0:7 offset1:8
	;; [unrolled: 1-line block ×3, first 2 shown]
	v_mul_f64 v[62:63], v[74:75], v[62:63]
	s_waitcnt lgkmcnt(0)
	v_fma_f64 v[60:61], -v[62:63], v[84:85], v[60:61]
	v_fma_f64 v[58:59], -v[62:63], v[86:87], v[58:59]
	ds_read2_b64 v[84:87], v78 offset0:11 offset1:12
	v_fma_f64 v[56:57], -v[62:63], v[88:89], v[56:57]
	v_fma_f64 v[54:55], -v[62:63], v[90:91], v[54:55]
	;; [unrolled: 1-line block ×3, first 2 shown]
	ds_read2_b64 v[88:91], v78 offset0:13 offset1:14
	v_fma_f64 v[50:51], -v[62:63], v[94:95], v[50:51]
	ds_read2_b64 v[92:95], v78 offset0:15 offset1:16
	s_waitcnt lgkmcnt(0)
	v_fma_f64 v[48:49], -v[62:63], v[84:85], v[48:49]
	v_fma_f64 v[46:47], -v[62:63], v[86:87], v[46:47]
	v_fma_f64 v[44:45], -v[62:63], v[88:89], v[44:45]
	ds_read2_b64 v[84:87], v78 offset0:17 offset1:18
	v_fma_f64 v[40:41], -v[62:63], v[90:91], v[40:41]
	ds_read2_b64 v[88:91], v78 offset0:19 offset1:20
	v_fma_f64 v[42:43], -v[62:63], v[92:93], v[42:43]
	v_fma_f64 v[38:39], -v[62:63], v[94:95], v[38:39]
	ds_read2_b64 v[92:95], v78 offset0:21 offset1:22
	s_waitcnt lgkmcnt(0)
	v_fma_f64 v[36:37], -v[62:63], v[84:85], v[36:37]
	v_fma_f64 v[34:35], -v[62:63], v[86:87], v[34:35]
	ds_read2_b64 v[84:87], v78 offset0:23 offset1:24
	v_fma_f64 v[32:33], -v[62:63], v[88:89], v[32:33]
	v_fma_f64 v[30:31], -v[62:63], v[90:91], v[30:31]
	;; [unrolled: 1-line block ×3, first 2 shown]
	ds_read2_b64 v[88:91], v78 offset0:25 offset1:26
	v_fma_f64 v[26:27], -v[62:63], v[94:95], v[26:27]
	ds_read2_b64 v[92:95], v78 offset0:27 offset1:28
	s_waitcnt lgkmcnt(0)
	v_fma_f64 v[24:25], -v[62:63], v[84:85], v[24:25]
	v_fma_f64 v[22:23], -v[62:63], v[86:87], v[22:23]
	;; [unrolled: 1-line block ×4, first 2 shown]
	ds_read2_b64 v[84:87], v78 offset0:29 offset1:30
	ds_read2_b64 v[88:91], v78 offset0:31 offset1:32
	v_fma_f64 v[16:17], -v[62:63], v[92:93], v[16:17]
	v_fma_f64 v[14:15], -v[62:63], v[94:95], v[14:15]
	ds_read2_b64 v[92:95], v78 offset0:33 offset1:34
	s_waitcnt lgkmcnt(0)
	v_fma_f64 v[10:11], -v[62:63], v[84:85], v[10:11]
	v_fma_f64 v[12:13], -v[62:63], v[86:87], v[12:13]
	;; [unrolled: 1-line block ×6, first 2 shown]
.LBB68_80:
	s_or_b64 exec, exec, s[0:1]
	v_lshl_add_u32 v74, v79, 3, v78
	s_barrier
	ds_write_b64 v74, v[60:61]
	s_waitcnt lgkmcnt(0)
	s_barrier
	ds_read_b64 v[74:75], v78 offset:40
	s_cmp_lt_i32 s18, 7
	v_mov_b32_e32 v76, 5
	s_cbranch_scc1 .LBB68_83
; %bb.81:
	v_add3_u32 v84, v83, 0, 48
	s_mov_b32 s0, 6
	v_mov_b32_e32 v76, 5
.LBB68_82:                              ; =>This Inner Loop Header: Depth=1
	ds_read_b64 v[86:87], v84
	v_mov_b32_e32 v85, s0
	s_add_i32 s0, s0, 1
	v_add_u32_e32 v84, 8, v84
	s_cmp_lg_u32 s18, s0
	s_waitcnt lgkmcnt(0)
	v_cmp_lt_f64_e64 vcc, |v[74:75]|, |v[86:87]|
	v_cndmask_b32_e32 v75, v75, v87, vcc
	v_cndmask_b32_e32 v74, v74, v86, vcc
	v_cndmask_b32_e32 v76, v76, v85, vcc
	s_cbranch_scc1 .LBB68_82
.LBB68_83:
	s_waitcnt lgkmcnt(0)
	v_cmp_eq_f64_e32 vcc, 0, v[74:75]
	s_and_saveexec_b64 s[0:1], vcc
	s_xor_b64 s[0:1], exec, s[0:1]
; %bb.84:
	v_cmp_ne_u32_e32 vcc, 0, v82
	v_cndmask_b32_e32 v82, 6, v82, vcc
; %bb.85:
	s_andn2_saveexec_b64 s[0:1], s[0:1]
; %bb.86:
	v_div_scale_f64 v[84:85], s[2:3], v[74:75], v[74:75], 1.0
	v_rcp_f64_e32 v[86:87], v[84:85]
	v_div_scale_f64 v[88:89], vcc, 1.0, v[74:75], 1.0
	v_fma_f64 v[90:91], -v[84:85], v[86:87], 1.0
	v_fmac_f64_e32 v[86:87], v[86:87], v[90:91]
	v_fma_f64 v[90:91], -v[84:85], v[86:87], 1.0
	v_fmac_f64_e32 v[86:87], v[86:87], v[90:91]
	v_mul_f64 v[90:91], v[88:89], v[86:87]
	v_fma_f64 v[84:85], -v[84:85], v[90:91], v[88:89]
	v_div_fmas_f64 v[84:85], v[84:85], v[86:87], v[90:91]
	v_div_fixup_f64 v[74:75], v[84:85], v[74:75], 1.0
; %bb.87:
	s_or_b64 exec, exec, s[0:1]
	v_cmp_ne_u32_e32 vcc, v79, v76
	s_and_saveexec_b64 s[0:1], vcc
	s_xor_b64 s[0:1], exec, s[0:1]
	s_cbranch_execz .LBB68_93
; %bb.88:
	v_cmp_eq_u32_e32 vcc, 5, v79
	s_and_saveexec_b64 s[2:3], vcc
	s_cbranch_execz .LBB68_92
; %bb.89:
	v_cmp_ne_u32_e32 vcc, 5, v76
	s_xor_b64 s[14:15], s[6:7], -1
	s_and_b64 s[16:17], s[14:15], vcc
	s_and_saveexec_b64 s[14:15], s[16:17]
	s_cbranch_execz .LBB68_91
; %bb.90:
	v_ashrrev_i32_e32 v77, 31, v76
	v_lshlrev_b64 v[84:85], 2, v[76:77]
	v_add_co_u32_e32 v84, vcc, v4, v84
	v_addc_co_u32_e32 v85, vcc, v5, v85, vcc
	flat_load_dword v77, v[84:85]
	flat_load_dword v79, v[4:5] offset:20
	s_waitcnt vmcnt(0) lgkmcnt(0)
	flat_store_dword v[4:5], v77 offset:20
	flat_store_dword v[84:85], v79
.LBB68_91:
	s_or_b64 exec, exec, s[14:15]
	v_mov_b32_e32 v77, v76
	v_mov_b32_e32 v79, v76
.LBB68_92:
	s_or_b64 exec, exec, s[2:3]
.LBB68_93:
	s_andn2_saveexec_b64 s[0:1], s[0:1]
	s_cbranch_execz .LBB68_95
; %bb.94:
	v_mov_b32_e32 v84, v58
	v_mov_b32_e32 v85, v59
	v_mov_b32_e32 v86, v56
	v_mov_b32_e32 v87, v57
	ds_write2_b64 v78, v[84:85], v[86:87] offset0:6 offset1:7
	v_mov_b32_e32 v84, v54
	v_mov_b32_e32 v85, v55
	v_mov_b32_e32 v86, v52
	v_mov_b32_e32 v87, v53
	ds_write2_b64 v78, v[84:85], v[86:87] offset0:8 offset1:9
	;; [unrolled: 5-line block ×13, first 2 shown]
	v_mov_b32_e32 v84, v6
	v_mov_b32_e32 v85, v7
	;; [unrolled: 1-line block ×5, first 2 shown]
	ds_write2_b64 v78, v[84:85], v[86:87] offset0:32 offset1:33
	ds_write_b64 v78, v[72:73] offset:272
.LBB68_95:
	s_or_b64 exec, exec, s[0:1]
	v_cmp_lt_i32_e32 vcc, 5, v79
	s_waitcnt lgkmcnt(0)
	s_barrier
	s_and_saveexec_b64 s[0:1], vcc
	s_cbranch_execz .LBB68_97
; %bb.96:
	ds_read2_b64 v[84:87], v78 offset0:6 offset1:7
	ds_read2_b64 v[88:91], v78 offset0:8 offset1:9
	v_mul_f64 v[60:61], v[74:75], v[60:61]
	ds_read2_b64 v[92:95], v78 offset0:10 offset1:11
	ds_read_b64 v[74:75], v78 offset:272
	s_waitcnt lgkmcnt(0)
	v_fma_f64 v[58:59], -v[60:61], v[84:85], v[58:59]
	v_fma_f64 v[56:57], -v[60:61], v[86:87], v[56:57]
	ds_read2_b64 v[84:87], v78 offset0:12 offset1:13
	v_fma_f64 v[54:55], -v[60:61], v[88:89], v[54:55]
	v_fma_f64 v[52:53], -v[60:61], v[90:91], v[52:53]
	ds_read2_b64 v[88:91], v78 offset0:14 offset1:15
	;; [unrolled: 3-line block ×3, first 2 shown]
	s_waitcnt lgkmcnt(0)
	v_fma_f64 v[46:47], -v[60:61], v[84:85], v[46:47]
	v_fma_f64 v[44:45], -v[60:61], v[86:87], v[44:45]
	;; [unrolled: 1-line block ×3, first 2 shown]
	ds_read2_b64 v[84:87], v78 offset0:18 offset1:19
	v_fma_f64 v[42:43], -v[60:61], v[90:91], v[42:43]
	ds_read2_b64 v[88:91], v78 offset0:20 offset1:21
	v_fma_f64 v[38:39], -v[60:61], v[92:93], v[38:39]
	v_fma_f64 v[36:37], -v[60:61], v[94:95], v[36:37]
	s_waitcnt lgkmcnt(0)
	v_fma_f64 v[34:35], -v[60:61], v[84:85], v[34:35]
	ds_read2_b64 v[92:95], v78 offset0:22 offset1:23
	v_fma_f64 v[32:33], -v[60:61], v[86:87], v[32:33]
	ds_read2_b64 v[84:87], v78 offset0:24 offset1:25
	v_fma_f64 v[30:31], -v[60:61], v[88:89], v[30:31]
	v_fma_f64 v[28:29], -v[60:61], v[90:91], v[28:29]
	ds_read2_b64 v[88:91], v78 offset0:26 offset1:27
	s_waitcnt lgkmcnt(0)
	v_fma_f64 v[26:27], -v[60:61], v[92:93], v[26:27]
	v_fma_f64 v[24:25], -v[60:61], v[94:95], v[24:25]
	ds_read2_b64 v[92:95], v78 offset0:28 offset1:29
	v_fma_f64 v[22:23], -v[60:61], v[84:85], v[22:23]
	v_fma_f64 v[20:21], -v[60:61], v[86:87], v[20:21]
	;; [unrolled: 1-line block ×4, first 2 shown]
	ds_read2_b64 v[84:87], v78 offset0:30 offset1:31
	ds_read2_b64 v[88:91], v78 offset0:32 offset1:33
	s_waitcnt lgkmcnt(0)
	v_fma_f64 v[14:15], -v[60:61], v[92:93], v[14:15]
	v_fma_f64 v[10:11], -v[60:61], v[94:95], v[10:11]
	;; [unrolled: 1-line block ×7, first 2 shown]
.LBB68_97:
	s_or_b64 exec, exec, s[0:1]
	v_lshl_add_u32 v74, v79, 3, v78
	s_barrier
	ds_write_b64 v74, v[58:59]
	s_waitcnt lgkmcnt(0)
	s_barrier
	ds_read_b64 v[74:75], v78 offset:48
	s_cmp_lt_i32 s18, 8
	v_mov_b32_e32 v76, 6
	s_cbranch_scc1 .LBB68_100
; %bb.98:
	v_add3_u32 v84, v83, 0, 56
	s_mov_b32 s0, 7
	v_mov_b32_e32 v76, 6
.LBB68_99:                              ; =>This Inner Loop Header: Depth=1
	ds_read_b64 v[86:87], v84
	v_mov_b32_e32 v85, s0
	s_add_i32 s0, s0, 1
	v_add_u32_e32 v84, 8, v84
	s_cmp_lg_u32 s18, s0
	s_waitcnt lgkmcnt(0)
	v_cmp_lt_f64_e64 vcc, |v[74:75]|, |v[86:87]|
	v_cndmask_b32_e32 v75, v75, v87, vcc
	v_cndmask_b32_e32 v74, v74, v86, vcc
	;; [unrolled: 1-line block ×3, first 2 shown]
	s_cbranch_scc1 .LBB68_99
.LBB68_100:
	s_waitcnt lgkmcnt(0)
	v_cmp_eq_f64_e32 vcc, 0, v[74:75]
	s_and_saveexec_b64 s[0:1], vcc
	s_xor_b64 s[0:1], exec, s[0:1]
; %bb.101:
	v_cmp_ne_u32_e32 vcc, 0, v82
	v_cndmask_b32_e32 v82, 7, v82, vcc
; %bb.102:
	s_andn2_saveexec_b64 s[0:1], s[0:1]
; %bb.103:
	v_div_scale_f64 v[84:85], s[2:3], v[74:75], v[74:75], 1.0
	v_rcp_f64_e32 v[86:87], v[84:85]
	v_div_scale_f64 v[88:89], vcc, 1.0, v[74:75], 1.0
	v_fma_f64 v[90:91], -v[84:85], v[86:87], 1.0
	v_fmac_f64_e32 v[86:87], v[86:87], v[90:91]
	v_fma_f64 v[90:91], -v[84:85], v[86:87], 1.0
	v_fmac_f64_e32 v[86:87], v[86:87], v[90:91]
	v_mul_f64 v[90:91], v[88:89], v[86:87]
	v_fma_f64 v[84:85], -v[84:85], v[90:91], v[88:89]
	v_div_fmas_f64 v[84:85], v[84:85], v[86:87], v[90:91]
	v_div_fixup_f64 v[74:75], v[84:85], v[74:75], 1.0
; %bb.104:
	s_or_b64 exec, exec, s[0:1]
	v_cmp_ne_u32_e32 vcc, v79, v76
	s_and_saveexec_b64 s[0:1], vcc
	s_xor_b64 s[0:1], exec, s[0:1]
	s_cbranch_execz .LBB68_110
; %bb.105:
	v_cmp_eq_u32_e32 vcc, 6, v79
	s_and_saveexec_b64 s[2:3], vcc
	s_cbranch_execz .LBB68_109
; %bb.106:
	v_cmp_ne_u32_e32 vcc, 6, v76
	s_xor_b64 s[14:15], s[6:7], -1
	s_and_b64 s[16:17], s[14:15], vcc
	s_and_saveexec_b64 s[14:15], s[16:17]
	s_cbranch_execz .LBB68_108
; %bb.107:
	v_ashrrev_i32_e32 v77, 31, v76
	v_lshlrev_b64 v[84:85], 2, v[76:77]
	v_add_co_u32_e32 v84, vcc, v4, v84
	v_addc_co_u32_e32 v85, vcc, v5, v85, vcc
	flat_load_dword v77, v[84:85]
	flat_load_dword v79, v[4:5] offset:24
	s_waitcnt vmcnt(0) lgkmcnt(0)
	flat_store_dword v[4:5], v77 offset:24
	flat_store_dword v[84:85], v79
.LBB68_108:
	s_or_b64 exec, exec, s[14:15]
	v_mov_b32_e32 v77, v76
	v_mov_b32_e32 v79, v76
.LBB68_109:
	s_or_b64 exec, exec, s[2:3]
.LBB68_110:
	s_andn2_saveexec_b64 s[0:1], s[0:1]
	s_cbranch_execz .LBB68_112
; %bb.111:
	v_mov_b32_e32 v79, 6
	ds_write2_b64 v78, v[56:57], v[54:55] offset0:7 offset1:8
	ds_write2_b64 v78, v[52:53], v[50:51] offset0:9 offset1:10
	;; [unrolled: 1-line block ×14, first 2 shown]
.LBB68_112:
	s_or_b64 exec, exec, s[0:1]
	v_cmp_lt_i32_e32 vcc, 6, v79
	s_waitcnt lgkmcnt(0)
	s_barrier
	s_and_saveexec_b64 s[0:1], vcc
	s_cbranch_execz .LBB68_114
; %bb.113:
	ds_read2_b64 v[84:87], v78 offset0:7 offset1:8
	ds_read2_b64 v[88:91], v78 offset0:9 offset1:10
	v_mul_f64 v[58:59], v[74:75], v[58:59]
	ds_read2_b64 v[92:95], v78 offset0:11 offset1:12
	s_waitcnt lgkmcnt(0)
	v_fma_f64 v[56:57], -v[58:59], v[84:85], v[56:57]
	v_fma_f64 v[54:55], -v[58:59], v[86:87], v[54:55]
	ds_read2_b64 v[84:87], v78 offset0:13 offset1:14
	v_fma_f64 v[52:53], -v[58:59], v[88:89], v[52:53]
	v_fma_f64 v[50:51], -v[58:59], v[90:91], v[50:51]
	ds_read2_b64 v[88:91], v78 offset0:15 offset1:16
	;; [unrolled: 3-line block ×3, first 2 shown]
	s_waitcnt lgkmcnt(0)
	v_fma_f64 v[44:45], -v[58:59], v[84:85], v[44:45]
	v_fma_f64 v[40:41], -v[58:59], v[86:87], v[40:41]
	;; [unrolled: 1-line block ×3, first 2 shown]
	ds_read2_b64 v[84:87], v78 offset0:19 offset1:20
	v_fma_f64 v[38:39], -v[58:59], v[90:91], v[38:39]
	ds_read2_b64 v[88:91], v78 offset0:21 offset1:22
	v_fma_f64 v[36:37], -v[58:59], v[92:93], v[36:37]
	v_fma_f64 v[34:35], -v[58:59], v[94:95], v[34:35]
	s_waitcnt lgkmcnt(0)
	v_fma_f64 v[32:33], -v[58:59], v[84:85], v[32:33]
	ds_read2_b64 v[92:95], v78 offset0:23 offset1:24
	v_fma_f64 v[30:31], -v[58:59], v[86:87], v[30:31]
	ds_read2_b64 v[84:87], v78 offset0:25 offset1:26
	v_fma_f64 v[28:29], -v[58:59], v[88:89], v[28:29]
	v_fma_f64 v[26:27], -v[58:59], v[90:91], v[26:27]
	ds_read2_b64 v[88:91], v78 offset0:27 offset1:28
	s_waitcnt lgkmcnt(0)
	v_fma_f64 v[24:25], -v[58:59], v[92:93], v[24:25]
	v_fma_f64 v[22:23], -v[58:59], v[94:95], v[22:23]
	;; [unrolled: 1-line block ×4, first 2 shown]
	ds_read2_b64 v[84:87], v78 offset0:29 offset1:30
	v_fma_f64 v[16:17], -v[58:59], v[88:89], v[16:17]
	ds_read2_b64 v[92:95], v78 offset0:31 offset1:32
	v_fma_f64 v[14:15], -v[58:59], v[90:91], v[14:15]
	ds_read2_b64 v[88:91], v78 offset0:33 offset1:34
	s_waitcnt lgkmcnt(0)
	v_fma_f64 v[10:11], -v[58:59], v[84:85], v[10:11]
	v_fma_f64 v[12:13], -v[58:59], v[86:87], v[12:13]
	;; [unrolled: 1-line block ×6, first 2 shown]
.LBB68_114:
	s_or_b64 exec, exec, s[0:1]
	v_lshl_add_u32 v74, v79, 3, v78
	s_barrier
	ds_write_b64 v74, v[56:57]
	s_waitcnt lgkmcnt(0)
	s_barrier
	ds_read_b64 v[74:75], v78 offset:56
	s_cmp_lt_i32 s18, 9
	v_mov_b32_e32 v76, 7
	s_cbranch_scc1 .LBB68_117
; %bb.115:
	v_add3_u32 v83, v83, 0, 64
	s_mov_b32 s0, 8
	v_mov_b32_e32 v76, 7
.LBB68_116:                             ; =>This Inner Loop Header: Depth=1
	ds_read_b64 v[84:85], v83
	v_mov_b32_e32 v86, s0
	s_add_i32 s0, s0, 1
	v_add_u32_e32 v83, 8, v83
	s_cmp_lg_u32 s18, s0
	s_waitcnt lgkmcnt(0)
	v_cmp_lt_f64_e64 vcc, |v[74:75]|, |v[84:85]|
	v_cndmask_b32_e32 v75, v75, v85, vcc
	v_cndmask_b32_e32 v74, v74, v84, vcc
	;; [unrolled: 1-line block ×3, first 2 shown]
	s_cbranch_scc1 .LBB68_116
.LBB68_117:
	s_waitcnt lgkmcnt(0)
	v_cmp_eq_f64_e32 vcc, 0, v[74:75]
	s_and_saveexec_b64 s[0:1], vcc
	s_xor_b64 s[0:1], exec, s[0:1]
; %bb.118:
	v_cmp_ne_u32_e32 vcc, 0, v82
	v_cndmask_b32_e32 v82, 8, v82, vcc
; %bb.119:
	s_andn2_saveexec_b64 s[0:1], s[0:1]
; %bb.120:
	v_div_scale_f64 v[84:85], s[2:3], v[74:75], v[74:75], 1.0
	v_rcp_f64_e32 v[86:87], v[84:85]
	v_div_scale_f64 v[88:89], vcc, 1.0, v[74:75], 1.0
	v_fma_f64 v[90:91], -v[84:85], v[86:87], 1.0
	v_fmac_f64_e32 v[86:87], v[86:87], v[90:91]
	v_fma_f64 v[90:91], -v[84:85], v[86:87], 1.0
	v_fmac_f64_e32 v[86:87], v[86:87], v[90:91]
	v_mul_f64 v[90:91], v[88:89], v[86:87]
	v_fma_f64 v[84:85], -v[84:85], v[90:91], v[88:89]
	v_div_fmas_f64 v[84:85], v[84:85], v[86:87], v[90:91]
	v_div_fixup_f64 v[74:75], v[84:85], v[74:75], 1.0
; %bb.121:
	s_or_b64 exec, exec, s[0:1]
	v_cmp_ne_u32_e32 vcc, v79, v76
	s_and_saveexec_b64 s[0:1], vcc
	s_xor_b64 s[0:1], exec, s[0:1]
	s_cbranch_execz .LBB68_127
; %bb.122:
	v_cmp_eq_u32_e32 vcc, 7, v79
	s_and_saveexec_b64 s[2:3], vcc
	s_cbranch_execz .LBB68_126
; %bb.123:
	v_cmp_ne_u32_e32 vcc, 7, v76
	s_xor_b64 s[14:15], s[6:7], -1
	s_and_b64 s[16:17], s[14:15], vcc
	s_and_saveexec_b64 s[14:15], s[16:17]
	s_cbranch_execz .LBB68_125
; %bb.124:
	v_ashrrev_i32_e32 v77, 31, v76
	v_lshlrev_b64 v[84:85], 2, v[76:77]
	v_add_co_u32_e32 v84, vcc, v4, v84
	v_addc_co_u32_e32 v85, vcc, v5, v85, vcc
	flat_load_dword v77, v[84:85]
	flat_load_dword v79, v[4:5] offset:28
	s_waitcnt vmcnt(0) lgkmcnt(0)
	flat_store_dword v[4:5], v77 offset:28
	flat_store_dword v[84:85], v79
.LBB68_125:
	s_or_b64 exec, exec, s[14:15]
	v_mov_b32_e32 v77, v76
	v_mov_b32_e32 v79, v76
.LBB68_126:
	s_or_b64 exec, exec, s[2:3]
.LBB68_127:
	s_andn2_saveexec_b64 s[0:1], s[0:1]
	s_cbranch_execz .LBB68_129
; %bb.128:
	v_mov_b32_e32 v84, v54
	v_mov_b32_e32 v85, v55
	v_mov_b32_e32 v86, v52
	v_mov_b32_e32 v87, v53
	ds_write2_b64 v78, v[84:85], v[86:87] offset0:8 offset1:9
	v_mov_b32_e32 v84, v50
	v_mov_b32_e32 v85, v51
	v_mov_b32_e32 v86, v48
	v_mov_b32_e32 v87, v49
	ds_write2_b64 v78, v[84:85], v[86:87] offset0:10 offset1:11
	;; [unrolled: 5-line block ×12, first 2 shown]
	v_mov_b32_e32 v84, v6
	v_mov_b32_e32 v85, v7
	;; [unrolled: 1-line block ×5, first 2 shown]
	ds_write2_b64 v78, v[84:85], v[86:87] offset0:32 offset1:33
	ds_write_b64 v78, v[72:73] offset:272
.LBB68_129:
	s_or_b64 exec, exec, s[0:1]
	v_cmp_lt_i32_e32 vcc, 7, v79
	s_waitcnt lgkmcnt(0)
	s_barrier
	s_and_saveexec_b64 s[0:1], vcc
	s_cbranch_execz .LBB68_131
; %bb.130:
	ds_read2_b64 v[84:87], v78 offset0:8 offset1:9
	ds_read2_b64 v[88:91], v78 offset0:10 offset1:11
	v_mul_f64 v[56:57], v[74:75], v[56:57]
	ds_read2_b64 v[92:95], v78 offset0:12 offset1:13
	ds_read_b64 v[74:75], v78 offset:272
	s_waitcnt lgkmcnt(0)
	v_fma_f64 v[54:55], -v[56:57], v[84:85], v[54:55]
	v_fma_f64 v[52:53], -v[56:57], v[86:87], v[52:53]
	ds_read2_b64 v[84:87], v78 offset0:14 offset1:15
	v_fma_f64 v[50:51], -v[56:57], v[88:89], v[50:51]
	v_fma_f64 v[48:49], -v[56:57], v[90:91], v[48:49]
	;; [unrolled: 1-line block ×3, first 2 shown]
	ds_read2_b64 v[88:91], v78 offset0:16 offset1:17
	v_fma_f64 v[44:45], -v[56:57], v[94:95], v[44:45]
	ds_read2_b64 v[92:95], v78 offset0:18 offset1:19
	s_waitcnt lgkmcnt(0)
	v_fma_f64 v[40:41], -v[56:57], v[84:85], v[40:41]
	v_fma_f64 v[42:43], -v[56:57], v[86:87], v[42:43]
	ds_read2_b64 v[84:87], v78 offset0:20 offset1:21
	v_fma_f64 v[38:39], -v[56:57], v[88:89], v[38:39]
	v_fma_f64 v[36:37], -v[56:57], v[90:91], v[36:37]
	ds_read2_b64 v[88:91], v78 offset0:22 offset1:23
	v_fma_f64 v[34:35], -v[56:57], v[92:93], v[34:35]
	v_fma_f64 v[32:33], -v[56:57], v[94:95], v[32:33]
	s_waitcnt lgkmcnt(0)
	v_fma_f64 v[30:31], -v[56:57], v[84:85], v[30:31]
	ds_read2_b64 v[92:95], v78 offset0:24 offset1:25
	v_fma_f64 v[28:29], -v[56:57], v[86:87], v[28:29]
	ds_read2_b64 v[84:87], v78 offset0:26 offset1:27
	v_fma_f64 v[26:27], -v[56:57], v[88:89], v[26:27]
	v_fma_f64 v[24:25], -v[56:57], v[90:91], v[24:25]
	s_waitcnt lgkmcnt(0)
	v_fma_f64 v[22:23], -v[56:57], v[92:93], v[22:23]
	ds_read2_b64 v[88:91], v78 offset0:28 offset1:29
	v_fma_f64 v[20:21], -v[56:57], v[94:95], v[20:21]
	v_fma_f64 v[18:19], -v[56:57], v[84:85], v[18:19]
	;; [unrolled: 1-line block ×3, first 2 shown]
	ds_read2_b64 v[84:87], v78 offset0:30 offset1:31
	ds_read2_b64 v[92:95], v78 offset0:32 offset1:33
	s_waitcnt lgkmcnt(0)
	v_fma_f64 v[14:15], -v[56:57], v[88:89], v[14:15]
	v_fma_f64 v[10:11], -v[56:57], v[90:91], v[10:11]
	;; [unrolled: 1-line block ×7, first 2 shown]
.LBB68_131:
	s_or_b64 exec, exec, s[0:1]
	v_lshl_add_u32 v74, v79, 3, v78
	s_barrier
	ds_write_b64 v74, v[54:55]
	s_waitcnt lgkmcnt(0)
	s_barrier
	ds_read_b64 v[74:75], v78 offset:64
	s_cmp_lt_i32 s18, 10
	v_mov_b32_e32 v76, 8
	s_cbranch_scc1 .LBB68_134
; %bb.132:
	v_add_u32_e32 v83, 0x48, v78
	s_mov_b32 s0, 9
	v_mov_b32_e32 v76, 8
.LBB68_133:                             ; =>This Inner Loop Header: Depth=1
	ds_read_b64 v[84:85], v83
	v_mov_b32_e32 v86, s0
	s_add_i32 s0, s0, 1
	v_add_u32_e32 v83, 8, v83
	s_cmp_lg_u32 s18, s0
	s_waitcnt lgkmcnt(0)
	v_cmp_lt_f64_e64 vcc, |v[74:75]|, |v[84:85]|
	v_cndmask_b32_e32 v75, v75, v85, vcc
	v_cndmask_b32_e32 v74, v74, v84, vcc
	;; [unrolled: 1-line block ×3, first 2 shown]
	s_cbranch_scc1 .LBB68_133
.LBB68_134:
	s_waitcnt lgkmcnt(0)
	v_cmp_eq_f64_e32 vcc, 0, v[74:75]
	s_and_saveexec_b64 s[0:1], vcc
	s_xor_b64 s[0:1], exec, s[0:1]
; %bb.135:
	v_cmp_ne_u32_e32 vcc, 0, v82
	v_cndmask_b32_e32 v82, 9, v82, vcc
; %bb.136:
	s_andn2_saveexec_b64 s[0:1], s[0:1]
; %bb.137:
	v_div_scale_f64 v[84:85], s[2:3], v[74:75], v[74:75], 1.0
	v_rcp_f64_e32 v[86:87], v[84:85]
	v_div_scale_f64 v[88:89], vcc, 1.0, v[74:75], 1.0
	v_fma_f64 v[90:91], -v[84:85], v[86:87], 1.0
	v_fmac_f64_e32 v[86:87], v[86:87], v[90:91]
	v_fma_f64 v[90:91], -v[84:85], v[86:87], 1.0
	v_fmac_f64_e32 v[86:87], v[86:87], v[90:91]
	v_mul_f64 v[90:91], v[88:89], v[86:87]
	v_fma_f64 v[84:85], -v[84:85], v[90:91], v[88:89]
	v_div_fmas_f64 v[84:85], v[84:85], v[86:87], v[90:91]
	v_div_fixup_f64 v[74:75], v[84:85], v[74:75], 1.0
; %bb.138:
	s_or_b64 exec, exec, s[0:1]
	v_cmp_ne_u32_e32 vcc, v79, v76
	s_and_saveexec_b64 s[0:1], vcc
	s_xor_b64 s[0:1], exec, s[0:1]
	s_cbranch_execz .LBB68_144
; %bb.139:
	v_cmp_eq_u32_e32 vcc, 8, v79
	s_and_saveexec_b64 s[2:3], vcc
	s_cbranch_execz .LBB68_143
; %bb.140:
	v_cmp_ne_u32_e32 vcc, 8, v76
	s_xor_b64 s[14:15], s[6:7], -1
	s_and_b64 s[16:17], s[14:15], vcc
	s_and_saveexec_b64 s[14:15], s[16:17]
	s_cbranch_execz .LBB68_142
; %bb.141:
	v_ashrrev_i32_e32 v77, 31, v76
	v_lshlrev_b64 v[84:85], 2, v[76:77]
	v_add_co_u32_e32 v84, vcc, v4, v84
	v_addc_co_u32_e32 v85, vcc, v5, v85, vcc
	flat_load_dword v77, v[84:85]
	flat_load_dword v79, v[4:5] offset:32
	s_waitcnt vmcnt(0) lgkmcnt(0)
	flat_store_dword v[4:5], v77 offset:32
	flat_store_dword v[84:85], v79
.LBB68_142:
	s_or_b64 exec, exec, s[14:15]
	v_mov_b32_e32 v77, v76
	v_mov_b32_e32 v79, v76
.LBB68_143:
	s_or_b64 exec, exec, s[2:3]
.LBB68_144:
	s_andn2_saveexec_b64 s[0:1], s[0:1]
	s_cbranch_execz .LBB68_146
; %bb.145:
	v_mov_b32_e32 v79, 8
	ds_write2_b64 v78, v[52:53], v[50:51] offset0:9 offset1:10
	ds_write2_b64 v78, v[48:49], v[46:47] offset0:11 offset1:12
	;; [unrolled: 1-line block ×13, first 2 shown]
.LBB68_146:
	s_or_b64 exec, exec, s[0:1]
	v_cmp_lt_i32_e32 vcc, 8, v79
	s_waitcnt lgkmcnt(0)
	s_barrier
	s_and_saveexec_b64 s[0:1], vcc
	s_cbranch_execz .LBB68_148
; %bb.147:
	ds_read2_b64 v[84:87], v78 offset0:9 offset1:10
	ds_read2_b64 v[88:91], v78 offset0:11 offset1:12
	v_mul_f64 v[54:55], v[74:75], v[54:55]
	ds_read2_b64 v[92:95], v78 offset0:13 offset1:14
	s_waitcnt lgkmcnt(0)
	v_fma_f64 v[52:53], -v[54:55], v[84:85], v[52:53]
	v_fma_f64 v[50:51], -v[54:55], v[86:87], v[50:51]
	ds_read2_b64 v[84:87], v78 offset0:15 offset1:16
	v_fma_f64 v[48:49], -v[54:55], v[88:89], v[48:49]
	v_fma_f64 v[46:47], -v[54:55], v[90:91], v[46:47]
	;; [unrolled: 1-line block ×3, first 2 shown]
	ds_read2_b64 v[88:91], v78 offset0:17 offset1:18
	v_fma_f64 v[40:41], -v[54:55], v[94:95], v[40:41]
	ds_read2_b64 v[92:95], v78 offset0:19 offset1:20
	s_waitcnt lgkmcnt(0)
	v_fma_f64 v[42:43], -v[54:55], v[84:85], v[42:43]
	v_fma_f64 v[38:39], -v[54:55], v[86:87], v[38:39]
	ds_read2_b64 v[84:87], v78 offset0:21 offset1:22
	v_fma_f64 v[36:37], -v[54:55], v[88:89], v[36:37]
	v_fma_f64 v[34:35], -v[54:55], v[90:91], v[34:35]
	ds_read2_b64 v[88:91], v78 offset0:23 offset1:24
	v_fma_f64 v[32:33], -v[54:55], v[92:93], v[32:33]
	v_fma_f64 v[30:31], -v[54:55], v[94:95], v[30:31]
	s_waitcnt lgkmcnt(0)
	v_fma_f64 v[28:29], -v[54:55], v[84:85], v[28:29]
	ds_read2_b64 v[92:95], v78 offset0:25 offset1:26
	v_fma_f64 v[26:27], -v[54:55], v[86:87], v[26:27]
	ds_read2_b64 v[84:87], v78 offset0:27 offset1:28
	v_fma_f64 v[24:25], -v[54:55], v[88:89], v[24:25]
	v_fma_f64 v[22:23], -v[54:55], v[90:91], v[22:23]
	s_waitcnt lgkmcnt(0)
	v_fma_f64 v[20:21], -v[54:55], v[92:93], v[20:21]
	v_fma_f64 v[18:19], -v[54:55], v[94:95], v[18:19]
	ds_read2_b64 v[88:91], v78 offset0:29 offset1:30
	ds_read2_b64 v[92:95], v78 offset0:31 offset1:32
	v_fma_f64 v[16:17], -v[54:55], v[84:85], v[16:17]
	v_fma_f64 v[14:15], -v[54:55], v[86:87], v[14:15]
	ds_read2_b64 v[84:87], v78 offset0:33 offset1:34
	s_waitcnt lgkmcnt(0)
	v_fma_f64 v[10:11], -v[54:55], v[88:89], v[10:11]
	v_fma_f64 v[12:13], -v[54:55], v[90:91], v[12:13]
	;; [unrolled: 1-line block ×6, first 2 shown]
.LBB68_148:
	s_or_b64 exec, exec, s[0:1]
	v_lshl_add_u32 v74, v79, 3, v78
	s_barrier
	ds_write_b64 v74, v[52:53]
	s_waitcnt lgkmcnt(0)
	s_barrier
	ds_read_b64 v[74:75], v78 offset:72
	s_cmp_lt_i32 s18, 11
	v_mov_b32_e32 v76, 9
	s_cbranch_scc1 .LBB68_151
; %bb.149:
	v_add_u32_e32 v83, 0x50, v78
	s_mov_b32 s0, 10
	v_mov_b32_e32 v76, 9
.LBB68_150:                             ; =>This Inner Loop Header: Depth=1
	ds_read_b64 v[84:85], v83
	v_mov_b32_e32 v86, s0
	s_add_i32 s0, s0, 1
	v_add_u32_e32 v83, 8, v83
	s_cmp_lg_u32 s18, s0
	s_waitcnt lgkmcnt(0)
	v_cmp_lt_f64_e64 vcc, |v[74:75]|, |v[84:85]|
	v_cndmask_b32_e32 v75, v75, v85, vcc
	v_cndmask_b32_e32 v74, v74, v84, vcc
	;; [unrolled: 1-line block ×3, first 2 shown]
	s_cbranch_scc1 .LBB68_150
.LBB68_151:
	s_waitcnt lgkmcnt(0)
	v_cmp_eq_f64_e32 vcc, 0, v[74:75]
	s_and_saveexec_b64 s[0:1], vcc
	s_xor_b64 s[0:1], exec, s[0:1]
; %bb.152:
	v_cmp_ne_u32_e32 vcc, 0, v82
	v_cndmask_b32_e32 v82, 10, v82, vcc
; %bb.153:
	s_andn2_saveexec_b64 s[0:1], s[0:1]
; %bb.154:
	v_div_scale_f64 v[84:85], s[2:3], v[74:75], v[74:75], 1.0
	v_rcp_f64_e32 v[86:87], v[84:85]
	v_div_scale_f64 v[88:89], vcc, 1.0, v[74:75], 1.0
	v_fma_f64 v[90:91], -v[84:85], v[86:87], 1.0
	v_fmac_f64_e32 v[86:87], v[86:87], v[90:91]
	v_fma_f64 v[90:91], -v[84:85], v[86:87], 1.0
	v_fmac_f64_e32 v[86:87], v[86:87], v[90:91]
	v_mul_f64 v[90:91], v[88:89], v[86:87]
	v_fma_f64 v[84:85], -v[84:85], v[90:91], v[88:89]
	v_div_fmas_f64 v[84:85], v[84:85], v[86:87], v[90:91]
	v_div_fixup_f64 v[74:75], v[84:85], v[74:75], 1.0
; %bb.155:
	s_or_b64 exec, exec, s[0:1]
	v_cmp_ne_u32_e32 vcc, v79, v76
	s_and_saveexec_b64 s[0:1], vcc
	s_xor_b64 s[0:1], exec, s[0:1]
	s_cbranch_execz .LBB68_161
; %bb.156:
	v_cmp_eq_u32_e32 vcc, 9, v79
	s_and_saveexec_b64 s[2:3], vcc
	s_cbranch_execz .LBB68_160
; %bb.157:
	v_cmp_ne_u32_e32 vcc, 9, v76
	s_xor_b64 s[14:15], s[6:7], -1
	s_and_b64 s[16:17], s[14:15], vcc
	s_and_saveexec_b64 s[14:15], s[16:17]
	s_cbranch_execz .LBB68_159
; %bb.158:
	v_ashrrev_i32_e32 v77, 31, v76
	v_lshlrev_b64 v[84:85], 2, v[76:77]
	v_add_co_u32_e32 v84, vcc, v4, v84
	v_addc_co_u32_e32 v85, vcc, v5, v85, vcc
	flat_load_dword v77, v[84:85]
	flat_load_dword v79, v[4:5] offset:36
	s_waitcnt vmcnt(0) lgkmcnt(0)
	flat_store_dword v[4:5], v77 offset:36
	flat_store_dword v[84:85], v79
.LBB68_159:
	s_or_b64 exec, exec, s[14:15]
	v_mov_b32_e32 v77, v76
	v_mov_b32_e32 v79, v76
.LBB68_160:
	s_or_b64 exec, exec, s[2:3]
.LBB68_161:
	s_andn2_saveexec_b64 s[0:1], s[0:1]
	s_cbranch_execz .LBB68_163
; %bb.162:
	v_mov_b32_e32 v84, v50
	v_mov_b32_e32 v85, v51
	v_mov_b32_e32 v86, v48
	v_mov_b32_e32 v87, v49
	ds_write2_b64 v78, v[84:85], v[86:87] offset0:10 offset1:11
	v_mov_b32_e32 v84, v46
	v_mov_b32_e32 v85, v47
	v_mov_b32_e32 v86, v44
	v_mov_b32_e32 v87, v45
	ds_write2_b64 v78, v[84:85], v[86:87] offset0:12 offset1:13
	;; [unrolled: 5-line block ×11, first 2 shown]
	v_mov_b32_e32 v84, v6
	v_mov_b32_e32 v85, v7
	;; [unrolled: 1-line block ×5, first 2 shown]
	ds_write2_b64 v78, v[84:85], v[86:87] offset0:32 offset1:33
	ds_write_b64 v78, v[72:73] offset:272
.LBB68_163:
	s_or_b64 exec, exec, s[0:1]
	v_cmp_lt_i32_e32 vcc, 9, v79
	s_waitcnt lgkmcnt(0)
	s_barrier
	s_and_saveexec_b64 s[0:1], vcc
	s_cbranch_execz .LBB68_165
; %bb.164:
	ds_read2_b64 v[84:87], v78 offset0:10 offset1:11
	ds_read2_b64 v[88:91], v78 offset0:12 offset1:13
	;; [unrolled: 1-line block ×3, first 2 shown]
	v_mul_f64 v[52:53], v[74:75], v[52:53]
	ds_read_b64 v[74:75], v78 offset:272
	s_waitcnt lgkmcnt(0)
	v_fma_f64 v[50:51], -v[52:53], v[84:85], v[50:51]
	v_fma_f64 v[48:49], -v[52:53], v[86:87], v[48:49]
	ds_read2_b64 v[84:87], v78 offset0:16 offset1:17
	v_fma_f64 v[46:47], -v[52:53], v[88:89], v[46:47]
	v_fma_f64 v[44:45], -v[52:53], v[90:91], v[44:45]
	;; [unrolled: 1-line block ×3, first 2 shown]
	ds_read2_b64 v[88:91], v78 offset0:18 offset1:19
	v_fma_f64 v[42:43], -v[52:53], v[94:95], v[42:43]
	ds_read2_b64 v[92:95], v78 offset0:20 offset1:21
	s_waitcnt lgkmcnt(0)
	v_fma_f64 v[38:39], -v[52:53], v[84:85], v[38:39]
	v_fma_f64 v[36:37], -v[52:53], v[86:87], v[36:37]
	v_fma_f64 v[34:35], -v[52:53], v[88:89], v[34:35]
	ds_read2_b64 v[84:87], v78 offset0:22 offset1:23
	v_fma_f64 v[32:33], -v[52:53], v[90:91], v[32:33]
	ds_read2_b64 v[88:91], v78 offset0:24 offset1:25
	v_fma_f64 v[30:31], -v[52:53], v[92:93], v[30:31]
	v_fma_f64 v[28:29], -v[52:53], v[94:95], v[28:29]
	ds_read2_b64 v[92:95], v78 offset0:26 offset1:27
	s_waitcnt lgkmcnt(0)
	v_fma_f64 v[26:27], -v[52:53], v[84:85], v[26:27]
	v_fma_f64 v[24:25], -v[52:53], v[86:87], v[24:25]
	ds_read2_b64 v[84:87], v78 offset0:28 offset1:29
	v_fma_f64 v[22:23], -v[52:53], v[88:89], v[22:23]
	v_fma_f64 v[20:21], -v[52:53], v[90:91], v[20:21]
	;; [unrolled: 1-line block ×4, first 2 shown]
	ds_read2_b64 v[88:91], v78 offset0:30 offset1:31
	ds_read2_b64 v[92:95], v78 offset0:32 offset1:33
	s_waitcnt lgkmcnt(0)
	v_fma_f64 v[14:15], -v[52:53], v[84:85], v[14:15]
	v_fma_f64 v[10:11], -v[52:53], v[86:87], v[10:11]
	;; [unrolled: 1-line block ×7, first 2 shown]
.LBB68_165:
	s_or_b64 exec, exec, s[0:1]
	v_lshl_add_u32 v74, v79, 3, v78
	s_barrier
	ds_write_b64 v74, v[50:51]
	s_waitcnt lgkmcnt(0)
	s_barrier
	ds_read_b64 v[74:75], v78 offset:80
	s_cmp_lt_i32 s18, 12
	v_mov_b32_e32 v76, 10
	s_cbranch_scc1 .LBB68_168
; %bb.166:
	v_add_u32_e32 v83, 0x58, v78
	s_mov_b32 s0, 11
	v_mov_b32_e32 v76, 10
.LBB68_167:                             ; =>This Inner Loop Header: Depth=1
	ds_read_b64 v[84:85], v83
	v_mov_b32_e32 v86, s0
	s_add_i32 s0, s0, 1
	v_add_u32_e32 v83, 8, v83
	s_cmp_lg_u32 s18, s0
	s_waitcnt lgkmcnt(0)
	v_cmp_lt_f64_e64 vcc, |v[74:75]|, |v[84:85]|
	v_cndmask_b32_e32 v75, v75, v85, vcc
	v_cndmask_b32_e32 v74, v74, v84, vcc
	;; [unrolled: 1-line block ×3, first 2 shown]
	s_cbranch_scc1 .LBB68_167
.LBB68_168:
	s_waitcnt lgkmcnt(0)
	v_cmp_eq_f64_e32 vcc, 0, v[74:75]
	s_and_saveexec_b64 s[0:1], vcc
	s_xor_b64 s[0:1], exec, s[0:1]
; %bb.169:
	v_cmp_ne_u32_e32 vcc, 0, v82
	v_cndmask_b32_e32 v82, 11, v82, vcc
; %bb.170:
	s_andn2_saveexec_b64 s[0:1], s[0:1]
; %bb.171:
	v_div_scale_f64 v[84:85], s[2:3], v[74:75], v[74:75], 1.0
	v_rcp_f64_e32 v[86:87], v[84:85]
	v_div_scale_f64 v[88:89], vcc, 1.0, v[74:75], 1.0
	v_fma_f64 v[90:91], -v[84:85], v[86:87], 1.0
	v_fmac_f64_e32 v[86:87], v[86:87], v[90:91]
	v_fma_f64 v[90:91], -v[84:85], v[86:87], 1.0
	v_fmac_f64_e32 v[86:87], v[86:87], v[90:91]
	v_mul_f64 v[90:91], v[88:89], v[86:87]
	v_fma_f64 v[84:85], -v[84:85], v[90:91], v[88:89]
	v_div_fmas_f64 v[84:85], v[84:85], v[86:87], v[90:91]
	v_div_fixup_f64 v[74:75], v[84:85], v[74:75], 1.0
; %bb.172:
	s_or_b64 exec, exec, s[0:1]
	v_cmp_ne_u32_e32 vcc, v79, v76
	s_and_saveexec_b64 s[0:1], vcc
	s_xor_b64 s[0:1], exec, s[0:1]
	s_cbranch_execz .LBB68_178
; %bb.173:
	v_cmp_eq_u32_e32 vcc, 10, v79
	s_and_saveexec_b64 s[2:3], vcc
	s_cbranch_execz .LBB68_177
; %bb.174:
	v_cmp_ne_u32_e32 vcc, 10, v76
	s_xor_b64 s[14:15], s[6:7], -1
	s_and_b64 s[16:17], s[14:15], vcc
	s_and_saveexec_b64 s[14:15], s[16:17]
	s_cbranch_execz .LBB68_176
; %bb.175:
	v_ashrrev_i32_e32 v77, 31, v76
	v_lshlrev_b64 v[84:85], 2, v[76:77]
	v_add_co_u32_e32 v84, vcc, v4, v84
	v_addc_co_u32_e32 v85, vcc, v5, v85, vcc
	flat_load_dword v77, v[84:85]
	flat_load_dword v79, v[4:5] offset:40
	s_waitcnt vmcnt(0) lgkmcnt(0)
	flat_store_dword v[4:5], v77 offset:40
	flat_store_dword v[84:85], v79
.LBB68_176:
	s_or_b64 exec, exec, s[14:15]
	v_mov_b32_e32 v77, v76
	v_mov_b32_e32 v79, v76
.LBB68_177:
	s_or_b64 exec, exec, s[2:3]
.LBB68_178:
	s_andn2_saveexec_b64 s[0:1], s[0:1]
	s_cbranch_execz .LBB68_180
; %bb.179:
	v_mov_b32_e32 v79, 10
	ds_write2_b64 v78, v[48:49], v[46:47] offset0:11 offset1:12
	ds_write2_b64 v78, v[44:45], v[40:41] offset0:13 offset1:14
	;; [unrolled: 1-line block ×12, first 2 shown]
.LBB68_180:
	s_or_b64 exec, exec, s[0:1]
	v_cmp_lt_i32_e32 vcc, 10, v79
	s_waitcnt lgkmcnt(0)
	s_barrier
	s_and_saveexec_b64 s[0:1], vcc
	s_cbranch_execz .LBB68_182
; %bb.181:
	ds_read2_b64 v[84:87], v78 offset0:11 offset1:12
	ds_read2_b64 v[88:91], v78 offset0:13 offset1:14
	;; [unrolled: 1-line block ×3, first 2 shown]
	v_mul_f64 v[50:51], v[74:75], v[50:51]
	s_waitcnt lgkmcnt(0)
	v_fma_f64 v[48:49], -v[50:51], v[84:85], v[48:49]
	v_fma_f64 v[46:47], -v[50:51], v[86:87], v[46:47]
	ds_read2_b64 v[84:87], v78 offset0:17 offset1:18
	v_fma_f64 v[44:45], -v[50:51], v[88:89], v[44:45]
	v_fma_f64 v[40:41], -v[50:51], v[90:91], v[40:41]
	;; [unrolled: 1-line block ×3, first 2 shown]
	ds_read2_b64 v[88:91], v78 offset0:19 offset1:20
	v_fma_f64 v[38:39], -v[50:51], v[94:95], v[38:39]
	ds_read2_b64 v[92:95], v78 offset0:21 offset1:22
	s_waitcnt lgkmcnt(0)
	v_fma_f64 v[36:37], -v[50:51], v[84:85], v[36:37]
	v_fma_f64 v[34:35], -v[50:51], v[86:87], v[34:35]
	;; [unrolled: 1-line block ×3, first 2 shown]
	ds_read2_b64 v[84:87], v78 offset0:23 offset1:24
	v_fma_f64 v[30:31], -v[50:51], v[90:91], v[30:31]
	ds_read2_b64 v[88:91], v78 offset0:25 offset1:26
	v_fma_f64 v[28:29], -v[50:51], v[92:93], v[28:29]
	v_fma_f64 v[26:27], -v[50:51], v[94:95], v[26:27]
	ds_read2_b64 v[92:95], v78 offset0:27 offset1:28
	s_waitcnt lgkmcnt(0)
	v_fma_f64 v[24:25], -v[50:51], v[84:85], v[24:25]
	v_fma_f64 v[22:23], -v[50:51], v[86:87], v[22:23]
	ds_read2_b64 v[84:87], v78 offset0:29 offset1:30
	v_fma_f64 v[20:21], -v[50:51], v[88:89], v[20:21]
	v_fma_f64 v[18:19], -v[50:51], v[90:91], v[18:19]
	;; [unrolled: 1-line block ×3, first 2 shown]
	ds_read2_b64 v[88:91], v78 offset0:31 offset1:32
	v_fma_f64 v[14:15], -v[50:51], v[94:95], v[14:15]
	ds_read2_b64 v[92:95], v78 offset0:33 offset1:34
	s_waitcnt lgkmcnt(0)
	v_fma_f64 v[10:11], -v[50:51], v[84:85], v[10:11]
	v_fma_f64 v[12:13], -v[50:51], v[86:87], v[12:13]
	v_fma_f64 v[8:9], -v[50:51], v[88:89], v[8:9]
	v_fma_f64 v[6:7], -v[50:51], v[90:91], v[6:7]
	v_fma_f64 v[0:1], -v[50:51], v[92:93], v[0:1]
	v_fma_f64 v[72:73], -v[50:51], v[94:95], v[72:73]
.LBB68_182:
	s_or_b64 exec, exec, s[0:1]
	v_lshl_add_u32 v74, v79, 3, v78
	s_barrier
	ds_write_b64 v74, v[48:49]
	s_waitcnt lgkmcnt(0)
	s_barrier
	ds_read_b64 v[74:75], v78 offset:88
	s_cmp_lt_i32 s18, 13
	v_mov_b32_e32 v76, 11
	s_cbranch_scc1 .LBB68_185
; %bb.183:
	v_add_u32_e32 v83, 0x60, v78
	s_mov_b32 s0, 12
	v_mov_b32_e32 v76, 11
.LBB68_184:                             ; =>This Inner Loop Header: Depth=1
	ds_read_b64 v[84:85], v83
	v_mov_b32_e32 v86, s0
	s_add_i32 s0, s0, 1
	v_add_u32_e32 v83, 8, v83
	s_cmp_lg_u32 s18, s0
	s_waitcnt lgkmcnt(0)
	v_cmp_lt_f64_e64 vcc, |v[74:75]|, |v[84:85]|
	v_cndmask_b32_e32 v75, v75, v85, vcc
	v_cndmask_b32_e32 v74, v74, v84, vcc
	v_cndmask_b32_e32 v76, v76, v86, vcc
	s_cbranch_scc1 .LBB68_184
.LBB68_185:
	s_waitcnt lgkmcnt(0)
	v_cmp_eq_f64_e32 vcc, 0, v[74:75]
	s_and_saveexec_b64 s[0:1], vcc
	s_xor_b64 s[0:1], exec, s[0:1]
; %bb.186:
	v_cmp_ne_u32_e32 vcc, 0, v82
	v_cndmask_b32_e32 v82, 12, v82, vcc
; %bb.187:
	s_andn2_saveexec_b64 s[0:1], s[0:1]
; %bb.188:
	v_div_scale_f64 v[84:85], s[2:3], v[74:75], v[74:75], 1.0
	v_rcp_f64_e32 v[86:87], v[84:85]
	v_div_scale_f64 v[88:89], vcc, 1.0, v[74:75], 1.0
	v_fma_f64 v[90:91], -v[84:85], v[86:87], 1.0
	v_fmac_f64_e32 v[86:87], v[86:87], v[90:91]
	v_fma_f64 v[90:91], -v[84:85], v[86:87], 1.0
	v_fmac_f64_e32 v[86:87], v[86:87], v[90:91]
	v_mul_f64 v[90:91], v[88:89], v[86:87]
	v_fma_f64 v[84:85], -v[84:85], v[90:91], v[88:89]
	v_div_fmas_f64 v[84:85], v[84:85], v[86:87], v[90:91]
	v_div_fixup_f64 v[74:75], v[84:85], v[74:75], 1.0
; %bb.189:
	s_or_b64 exec, exec, s[0:1]
	v_cmp_ne_u32_e32 vcc, v79, v76
	s_and_saveexec_b64 s[0:1], vcc
	s_xor_b64 s[0:1], exec, s[0:1]
	s_cbranch_execz .LBB68_195
; %bb.190:
	v_cmp_eq_u32_e32 vcc, 11, v79
	s_and_saveexec_b64 s[2:3], vcc
	s_cbranch_execz .LBB68_194
; %bb.191:
	v_cmp_ne_u32_e32 vcc, 11, v76
	s_xor_b64 s[14:15], s[6:7], -1
	s_and_b64 s[16:17], s[14:15], vcc
	s_and_saveexec_b64 s[14:15], s[16:17]
	s_cbranch_execz .LBB68_193
; %bb.192:
	v_ashrrev_i32_e32 v77, 31, v76
	v_lshlrev_b64 v[84:85], 2, v[76:77]
	v_add_co_u32_e32 v84, vcc, v4, v84
	v_addc_co_u32_e32 v85, vcc, v5, v85, vcc
	flat_load_dword v77, v[84:85]
	flat_load_dword v79, v[4:5] offset:44
	s_waitcnt vmcnt(0) lgkmcnt(0)
	flat_store_dword v[4:5], v77 offset:44
	flat_store_dword v[84:85], v79
.LBB68_193:
	s_or_b64 exec, exec, s[14:15]
	v_mov_b32_e32 v77, v76
	v_mov_b32_e32 v79, v76
.LBB68_194:
	s_or_b64 exec, exec, s[2:3]
.LBB68_195:
	s_andn2_saveexec_b64 s[0:1], s[0:1]
	s_cbranch_execz .LBB68_197
; %bb.196:
	v_mov_b32_e32 v84, v46
	v_mov_b32_e32 v85, v47
	v_mov_b32_e32 v86, v44
	v_mov_b32_e32 v87, v45
	ds_write2_b64 v78, v[84:85], v[86:87] offset0:12 offset1:13
	v_mov_b32_e32 v84, v40
	v_mov_b32_e32 v85, v41
	v_mov_b32_e32 v86, v42
	v_mov_b32_e32 v87, v43
	ds_write2_b64 v78, v[84:85], v[86:87] offset0:14 offset1:15
	;; [unrolled: 5-line block ×10, first 2 shown]
	v_mov_b32_e32 v84, v6
	v_mov_b32_e32 v85, v7
	;; [unrolled: 1-line block ×5, first 2 shown]
	ds_write2_b64 v78, v[84:85], v[86:87] offset0:32 offset1:33
	ds_write_b64 v78, v[72:73] offset:272
.LBB68_197:
	s_or_b64 exec, exec, s[0:1]
	v_cmp_lt_i32_e32 vcc, 11, v79
	s_waitcnt lgkmcnt(0)
	s_barrier
	s_and_saveexec_b64 s[0:1], vcc
	s_cbranch_execz .LBB68_199
; %bb.198:
	ds_read2_b64 v[84:87], v78 offset0:12 offset1:13
	ds_read2_b64 v[88:91], v78 offset0:14 offset1:15
	v_mul_f64 v[48:49], v[74:75], v[48:49]
	ds_read2_b64 v[92:95], v78 offset0:16 offset1:17
	ds_read_b64 v[74:75], v78 offset:272
	s_waitcnt lgkmcnt(0)
	v_fma_f64 v[46:47], -v[48:49], v[84:85], v[46:47]
	v_fma_f64 v[44:45], -v[48:49], v[86:87], v[44:45]
	ds_read2_b64 v[84:87], v78 offset0:18 offset1:19
	v_fma_f64 v[40:41], -v[48:49], v[88:89], v[40:41]
	v_fma_f64 v[42:43], -v[48:49], v[90:91], v[42:43]
	ds_read2_b64 v[88:91], v78 offset0:20 offset1:21
	;; [unrolled: 3-line block ×3, first 2 shown]
	s_waitcnt lgkmcnt(0)
	v_fma_f64 v[34:35], -v[48:49], v[84:85], v[34:35]
	v_fma_f64 v[32:33], -v[48:49], v[86:87], v[32:33]
	;; [unrolled: 1-line block ×3, first 2 shown]
	ds_read2_b64 v[84:87], v78 offset0:24 offset1:25
	v_fma_f64 v[28:29], -v[48:49], v[90:91], v[28:29]
	ds_read2_b64 v[88:91], v78 offset0:26 offset1:27
	v_fma_f64 v[26:27], -v[48:49], v[92:93], v[26:27]
	v_fma_f64 v[24:25], -v[48:49], v[94:95], v[24:25]
	s_waitcnt lgkmcnt(0)
	v_fma_f64 v[22:23], -v[48:49], v[84:85], v[22:23]
	ds_read2_b64 v[92:95], v78 offset0:28 offset1:29
	v_fma_f64 v[20:21], -v[48:49], v[86:87], v[20:21]
	ds_read2_b64 v[84:87], v78 offset0:30 offset1:31
	v_fma_f64 v[18:19], -v[48:49], v[88:89], v[18:19]
	v_fma_f64 v[16:17], -v[48:49], v[90:91], v[16:17]
	ds_read2_b64 v[88:91], v78 offset0:32 offset1:33
	s_waitcnt lgkmcnt(0)
	v_fma_f64 v[14:15], -v[48:49], v[92:93], v[14:15]
	v_fma_f64 v[10:11], -v[48:49], v[94:95], v[10:11]
	;; [unrolled: 1-line block ×7, first 2 shown]
.LBB68_199:
	s_or_b64 exec, exec, s[0:1]
	v_lshl_add_u32 v74, v79, 3, v78
	s_barrier
	ds_write_b64 v74, v[46:47]
	s_waitcnt lgkmcnt(0)
	s_barrier
	ds_read_b64 v[74:75], v78 offset:96
	s_cmp_lt_i32 s18, 14
	v_mov_b32_e32 v76, 12
	s_cbranch_scc1 .LBB68_202
; %bb.200:
	v_add_u32_e32 v83, 0x68, v78
	s_mov_b32 s0, 13
	v_mov_b32_e32 v76, 12
.LBB68_201:                             ; =>This Inner Loop Header: Depth=1
	ds_read_b64 v[84:85], v83
	v_mov_b32_e32 v86, s0
	s_add_i32 s0, s0, 1
	v_add_u32_e32 v83, 8, v83
	s_cmp_lg_u32 s18, s0
	s_waitcnt lgkmcnt(0)
	v_cmp_lt_f64_e64 vcc, |v[74:75]|, |v[84:85]|
	v_cndmask_b32_e32 v75, v75, v85, vcc
	v_cndmask_b32_e32 v74, v74, v84, vcc
	;; [unrolled: 1-line block ×3, first 2 shown]
	s_cbranch_scc1 .LBB68_201
.LBB68_202:
	s_waitcnt lgkmcnt(0)
	v_cmp_eq_f64_e32 vcc, 0, v[74:75]
	s_and_saveexec_b64 s[0:1], vcc
	s_xor_b64 s[0:1], exec, s[0:1]
; %bb.203:
	v_cmp_ne_u32_e32 vcc, 0, v82
	v_cndmask_b32_e32 v82, 13, v82, vcc
; %bb.204:
	s_andn2_saveexec_b64 s[0:1], s[0:1]
; %bb.205:
	v_div_scale_f64 v[84:85], s[2:3], v[74:75], v[74:75], 1.0
	v_rcp_f64_e32 v[86:87], v[84:85]
	v_div_scale_f64 v[88:89], vcc, 1.0, v[74:75], 1.0
	v_fma_f64 v[90:91], -v[84:85], v[86:87], 1.0
	v_fmac_f64_e32 v[86:87], v[86:87], v[90:91]
	v_fma_f64 v[90:91], -v[84:85], v[86:87], 1.0
	v_fmac_f64_e32 v[86:87], v[86:87], v[90:91]
	v_mul_f64 v[90:91], v[88:89], v[86:87]
	v_fma_f64 v[84:85], -v[84:85], v[90:91], v[88:89]
	v_div_fmas_f64 v[84:85], v[84:85], v[86:87], v[90:91]
	v_div_fixup_f64 v[74:75], v[84:85], v[74:75], 1.0
; %bb.206:
	s_or_b64 exec, exec, s[0:1]
	v_cmp_ne_u32_e32 vcc, v79, v76
	s_and_saveexec_b64 s[0:1], vcc
	s_xor_b64 s[0:1], exec, s[0:1]
	s_cbranch_execz .LBB68_212
; %bb.207:
	v_cmp_eq_u32_e32 vcc, 12, v79
	s_and_saveexec_b64 s[2:3], vcc
	s_cbranch_execz .LBB68_211
; %bb.208:
	v_cmp_ne_u32_e32 vcc, 12, v76
	s_xor_b64 s[14:15], s[6:7], -1
	s_and_b64 s[16:17], s[14:15], vcc
	s_and_saveexec_b64 s[14:15], s[16:17]
	s_cbranch_execz .LBB68_210
; %bb.209:
	v_ashrrev_i32_e32 v77, 31, v76
	v_lshlrev_b64 v[84:85], 2, v[76:77]
	v_add_co_u32_e32 v84, vcc, v4, v84
	v_addc_co_u32_e32 v85, vcc, v5, v85, vcc
	flat_load_dword v77, v[84:85]
	flat_load_dword v79, v[4:5] offset:48
	s_waitcnt vmcnt(0) lgkmcnt(0)
	flat_store_dword v[4:5], v77 offset:48
	flat_store_dword v[84:85], v79
.LBB68_210:
	s_or_b64 exec, exec, s[14:15]
	v_mov_b32_e32 v77, v76
	v_mov_b32_e32 v79, v76
.LBB68_211:
	s_or_b64 exec, exec, s[2:3]
.LBB68_212:
	s_andn2_saveexec_b64 s[0:1], s[0:1]
	s_cbranch_execz .LBB68_214
; %bb.213:
	v_mov_b32_e32 v79, 12
	ds_write2_b64 v78, v[44:45], v[40:41] offset0:13 offset1:14
	ds_write2_b64 v78, v[42:43], v[38:39] offset0:15 offset1:16
	;; [unrolled: 1-line block ×11, first 2 shown]
.LBB68_214:
	s_or_b64 exec, exec, s[0:1]
	v_cmp_lt_i32_e32 vcc, 12, v79
	s_waitcnt lgkmcnt(0)
	s_barrier
	s_and_saveexec_b64 s[0:1], vcc
	s_cbranch_execz .LBB68_216
; %bb.215:
	ds_read2_b64 v[84:87], v78 offset0:13 offset1:14
	ds_read2_b64 v[88:91], v78 offset0:15 offset1:16
	v_mul_f64 v[46:47], v[74:75], v[46:47]
	ds_read2_b64 v[92:95], v78 offset0:17 offset1:18
	s_waitcnt lgkmcnt(0)
	v_fma_f64 v[44:45], -v[46:47], v[84:85], v[44:45]
	v_fma_f64 v[40:41], -v[46:47], v[86:87], v[40:41]
	ds_read2_b64 v[84:87], v78 offset0:19 offset1:20
	v_fma_f64 v[42:43], -v[46:47], v[88:89], v[42:43]
	v_fma_f64 v[38:39], -v[46:47], v[90:91], v[38:39]
	ds_read2_b64 v[88:91], v78 offset0:21 offset1:22
	;; [unrolled: 3-line block ×3, first 2 shown]
	s_waitcnt lgkmcnt(0)
	v_fma_f64 v[32:33], -v[46:47], v[84:85], v[32:33]
	v_fma_f64 v[30:31], -v[46:47], v[86:87], v[30:31]
	;; [unrolled: 1-line block ×3, first 2 shown]
	ds_read2_b64 v[84:87], v78 offset0:25 offset1:26
	v_fma_f64 v[26:27], -v[46:47], v[90:91], v[26:27]
	ds_read2_b64 v[88:91], v78 offset0:27 offset1:28
	v_fma_f64 v[24:25], -v[46:47], v[92:93], v[24:25]
	v_fma_f64 v[22:23], -v[46:47], v[94:95], v[22:23]
	s_waitcnt lgkmcnt(0)
	v_fma_f64 v[20:21], -v[46:47], v[84:85], v[20:21]
	v_fma_f64 v[18:19], -v[46:47], v[86:87], v[18:19]
	ds_read2_b64 v[84:87], v78 offset0:29 offset1:30
	ds_read2_b64 v[92:95], v78 offset0:31 offset1:32
	v_fma_f64 v[16:17], -v[46:47], v[88:89], v[16:17]
	v_fma_f64 v[14:15], -v[46:47], v[90:91], v[14:15]
	ds_read2_b64 v[88:91], v78 offset0:33 offset1:34
	s_waitcnt lgkmcnt(0)
	v_fma_f64 v[10:11], -v[46:47], v[84:85], v[10:11]
	v_fma_f64 v[12:13], -v[46:47], v[86:87], v[12:13]
	;; [unrolled: 1-line block ×6, first 2 shown]
.LBB68_216:
	s_or_b64 exec, exec, s[0:1]
	v_lshl_add_u32 v74, v79, 3, v78
	s_barrier
	ds_write_b64 v74, v[44:45]
	s_waitcnt lgkmcnt(0)
	s_barrier
	ds_read_b64 v[74:75], v78 offset:104
	s_cmp_lt_i32 s18, 15
	v_mov_b32_e32 v76, 13
	s_cbranch_scc1 .LBB68_219
; %bb.217:
	v_add_u32_e32 v83, 0x70, v78
	s_mov_b32 s0, 14
	v_mov_b32_e32 v76, 13
.LBB68_218:                             ; =>This Inner Loop Header: Depth=1
	ds_read_b64 v[84:85], v83
	v_mov_b32_e32 v86, s0
	s_add_i32 s0, s0, 1
	v_add_u32_e32 v83, 8, v83
	s_cmp_lg_u32 s18, s0
	s_waitcnt lgkmcnt(0)
	v_cmp_lt_f64_e64 vcc, |v[74:75]|, |v[84:85]|
	v_cndmask_b32_e32 v75, v75, v85, vcc
	v_cndmask_b32_e32 v74, v74, v84, vcc
	;; [unrolled: 1-line block ×3, first 2 shown]
	s_cbranch_scc1 .LBB68_218
.LBB68_219:
	s_waitcnt lgkmcnt(0)
	v_cmp_eq_f64_e32 vcc, 0, v[74:75]
	s_and_saveexec_b64 s[0:1], vcc
	s_xor_b64 s[0:1], exec, s[0:1]
; %bb.220:
	v_cmp_ne_u32_e32 vcc, 0, v82
	v_cndmask_b32_e32 v82, 14, v82, vcc
; %bb.221:
	s_andn2_saveexec_b64 s[0:1], s[0:1]
; %bb.222:
	v_div_scale_f64 v[84:85], s[2:3], v[74:75], v[74:75], 1.0
	v_rcp_f64_e32 v[86:87], v[84:85]
	v_div_scale_f64 v[88:89], vcc, 1.0, v[74:75], 1.0
	v_fma_f64 v[90:91], -v[84:85], v[86:87], 1.0
	v_fmac_f64_e32 v[86:87], v[86:87], v[90:91]
	v_fma_f64 v[90:91], -v[84:85], v[86:87], 1.0
	v_fmac_f64_e32 v[86:87], v[86:87], v[90:91]
	v_mul_f64 v[90:91], v[88:89], v[86:87]
	v_fma_f64 v[84:85], -v[84:85], v[90:91], v[88:89]
	v_div_fmas_f64 v[84:85], v[84:85], v[86:87], v[90:91]
	v_div_fixup_f64 v[74:75], v[84:85], v[74:75], 1.0
; %bb.223:
	s_or_b64 exec, exec, s[0:1]
	v_cmp_ne_u32_e32 vcc, v79, v76
	s_and_saveexec_b64 s[0:1], vcc
	s_xor_b64 s[0:1], exec, s[0:1]
	s_cbranch_execz .LBB68_229
; %bb.224:
	v_cmp_eq_u32_e32 vcc, 13, v79
	s_and_saveexec_b64 s[2:3], vcc
	s_cbranch_execz .LBB68_228
; %bb.225:
	v_cmp_ne_u32_e32 vcc, 13, v76
	s_xor_b64 s[14:15], s[6:7], -1
	s_and_b64 s[16:17], s[14:15], vcc
	s_and_saveexec_b64 s[14:15], s[16:17]
	s_cbranch_execz .LBB68_227
; %bb.226:
	v_ashrrev_i32_e32 v77, 31, v76
	v_lshlrev_b64 v[84:85], 2, v[76:77]
	v_add_co_u32_e32 v84, vcc, v4, v84
	v_addc_co_u32_e32 v85, vcc, v5, v85, vcc
	flat_load_dword v77, v[84:85]
	flat_load_dword v79, v[4:5] offset:52
	s_waitcnt vmcnt(0) lgkmcnt(0)
	flat_store_dword v[4:5], v77 offset:52
	flat_store_dword v[84:85], v79
.LBB68_227:
	s_or_b64 exec, exec, s[14:15]
	v_mov_b32_e32 v77, v76
	v_mov_b32_e32 v79, v76
.LBB68_228:
	s_or_b64 exec, exec, s[2:3]
.LBB68_229:
	s_andn2_saveexec_b64 s[0:1], s[0:1]
	s_cbranch_execz .LBB68_231
; %bb.230:
	v_mov_b32_e32 v84, v40
	v_mov_b32_e32 v85, v41
	v_mov_b32_e32 v86, v42
	v_mov_b32_e32 v87, v43
	ds_write2_b64 v78, v[84:85], v[86:87] offset0:14 offset1:15
	v_mov_b32_e32 v84, v38
	v_mov_b32_e32 v85, v39
	v_mov_b32_e32 v86, v36
	v_mov_b32_e32 v87, v37
	ds_write2_b64 v78, v[84:85], v[86:87] offset0:16 offset1:17
	;; [unrolled: 5-line block ×9, first 2 shown]
	v_mov_b32_e32 v84, v6
	v_mov_b32_e32 v85, v7
	;; [unrolled: 1-line block ×5, first 2 shown]
	ds_write2_b64 v78, v[84:85], v[86:87] offset0:32 offset1:33
	ds_write_b64 v78, v[72:73] offset:272
.LBB68_231:
	s_or_b64 exec, exec, s[0:1]
	v_cmp_lt_i32_e32 vcc, 13, v79
	s_waitcnt lgkmcnt(0)
	s_barrier
	s_and_saveexec_b64 s[0:1], vcc
	s_cbranch_execz .LBB68_233
; %bb.232:
	ds_read2_b64 v[84:87], v78 offset0:14 offset1:15
	ds_read2_b64 v[88:91], v78 offset0:16 offset1:17
	v_mul_f64 v[44:45], v[74:75], v[44:45]
	ds_read2_b64 v[92:95], v78 offset0:18 offset1:19
	ds_read_b64 v[74:75], v78 offset:272
	s_waitcnt lgkmcnt(0)
	v_fma_f64 v[40:41], -v[44:45], v[84:85], v[40:41]
	v_fma_f64 v[42:43], -v[44:45], v[86:87], v[42:43]
	ds_read2_b64 v[84:87], v78 offset0:20 offset1:21
	v_fma_f64 v[38:39], -v[44:45], v[88:89], v[38:39]
	v_fma_f64 v[36:37], -v[44:45], v[90:91], v[36:37]
	;; [unrolled: 1-line block ×3, first 2 shown]
	ds_read2_b64 v[88:91], v78 offset0:22 offset1:23
	v_fma_f64 v[32:33], -v[44:45], v[94:95], v[32:33]
	ds_read2_b64 v[92:95], v78 offset0:24 offset1:25
	s_waitcnt lgkmcnt(0)
	v_fma_f64 v[30:31], -v[44:45], v[84:85], v[30:31]
	v_fma_f64 v[28:29], -v[44:45], v[86:87], v[28:29]
	ds_read2_b64 v[84:87], v78 offset0:26 offset1:27
	v_fma_f64 v[26:27], -v[44:45], v[88:89], v[26:27]
	v_fma_f64 v[24:25], -v[44:45], v[90:91], v[24:25]
	ds_read2_b64 v[88:91], v78 offset0:28 offset1:29
	v_fma_f64 v[22:23], -v[44:45], v[92:93], v[22:23]
	v_fma_f64 v[20:21], -v[44:45], v[94:95], v[20:21]
	s_waitcnt lgkmcnt(0)
	v_fma_f64 v[18:19], -v[44:45], v[84:85], v[18:19]
	v_fma_f64 v[16:17], -v[44:45], v[86:87], v[16:17]
	ds_read2_b64 v[84:87], v78 offset0:30 offset1:31
	ds_read2_b64 v[92:95], v78 offset0:32 offset1:33
	v_fma_f64 v[14:15], -v[44:45], v[88:89], v[14:15]
	v_fma_f64 v[10:11], -v[44:45], v[90:91], v[10:11]
	;; [unrolled: 1-line block ×3, first 2 shown]
	s_waitcnt lgkmcnt(0)
	v_fma_f64 v[12:13], -v[44:45], v[84:85], v[12:13]
	v_fma_f64 v[8:9], -v[44:45], v[86:87], v[8:9]
	;; [unrolled: 1-line block ×4, first 2 shown]
.LBB68_233:
	s_or_b64 exec, exec, s[0:1]
	v_lshl_add_u32 v74, v79, 3, v78
	s_barrier
	ds_write_b64 v74, v[40:41]
	s_waitcnt lgkmcnt(0)
	s_barrier
	ds_read_b64 v[74:75], v78 offset:112
	s_cmp_lt_i32 s18, 16
	v_mov_b32_e32 v76, 14
	s_cbranch_scc1 .LBB68_236
; %bb.234:
	v_add_u32_e32 v83, 0x78, v78
	s_mov_b32 s0, 15
	v_mov_b32_e32 v76, 14
.LBB68_235:                             ; =>This Inner Loop Header: Depth=1
	ds_read_b64 v[84:85], v83
	v_mov_b32_e32 v86, s0
	s_add_i32 s0, s0, 1
	v_add_u32_e32 v83, 8, v83
	s_cmp_lg_u32 s18, s0
	s_waitcnt lgkmcnt(0)
	v_cmp_lt_f64_e64 vcc, |v[74:75]|, |v[84:85]|
	v_cndmask_b32_e32 v75, v75, v85, vcc
	v_cndmask_b32_e32 v74, v74, v84, vcc
	;; [unrolled: 1-line block ×3, first 2 shown]
	s_cbranch_scc1 .LBB68_235
.LBB68_236:
	s_waitcnt lgkmcnt(0)
	v_cmp_eq_f64_e32 vcc, 0, v[74:75]
	s_and_saveexec_b64 s[0:1], vcc
	s_xor_b64 s[0:1], exec, s[0:1]
; %bb.237:
	v_cmp_ne_u32_e32 vcc, 0, v82
	v_cndmask_b32_e32 v82, 15, v82, vcc
; %bb.238:
	s_andn2_saveexec_b64 s[0:1], s[0:1]
; %bb.239:
	v_div_scale_f64 v[84:85], s[2:3], v[74:75], v[74:75], 1.0
	v_rcp_f64_e32 v[86:87], v[84:85]
	v_div_scale_f64 v[88:89], vcc, 1.0, v[74:75], 1.0
	v_fma_f64 v[90:91], -v[84:85], v[86:87], 1.0
	v_fmac_f64_e32 v[86:87], v[86:87], v[90:91]
	v_fma_f64 v[90:91], -v[84:85], v[86:87], 1.0
	v_fmac_f64_e32 v[86:87], v[86:87], v[90:91]
	v_mul_f64 v[90:91], v[88:89], v[86:87]
	v_fma_f64 v[84:85], -v[84:85], v[90:91], v[88:89]
	v_div_fmas_f64 v[84:85], v[84:85], v[86:87], v[90:91]
	v_div_fixup_f64 v[74:75], v[84:85], v[74:75], 1.0
; %bb.240:
	s_or_b64 exec, exec, s[0:1]
	v_cmp_ne_u32_e32 vcc, v79, v76
	s_and_saveexec_b64 s[0:1], vcc
	s_xor_b64 s[0:1], exec, s[0:1]
	s_cbranch_execz .LBB68_246
; %bb.241:
	v_cmp_eq_u32_e32 vcc, 14, v79
	s_and_saveexec_b64 s[2:3], vcc
	s_cbranch_execz .LBB68_245
; %bb.242:
	v_cmp_ne_u32_e32 vcc, 14, v76
	s_xor_b64 s[14:15], s[6:7], -1
	s_and_b64 s[16:17], s[14:15], vcc
	s_and_saveexec_b64 s[14:15], s[16:17]
	s_cbranch_execz .LBB68_244
; %bb.243:
	v_ashrrev_i32_e32 v77, 31, v76
	v_lshlrev_b64 v[84:85], 2, v[76:77]
	v_add_co_u32_e32 v84, vcc, v4, v84
	v_addc_co_u32_e32 v85, vcc, v5, v85, vcc
	flat_load_dword v77, v[84:85]
	flat_load_dword v79, v[4:5] offset:56
	s_waitcnt vmcnt(0) lgkmcnt(0)
	flat_store_dword v[4:5], v77 offset:56
	flat_store_dword v[84:85], v79
.LBB68_244:
	s_or_b64 exec, exec, s[14:15]
	v_mov_b32_e32 v77, v76
	v_mov_b32_e32 v79, v76
.LBB68_245:
	s_or_b64 exec, exec, s[2:3]
.LBB68_246:
	s_andn2_saveexec_b64 s[0:1], s[0:1]
	s_cbranch_execz .LBB68_248
; %bb.247:
	v_mov_b32_e32 v79, 14
	ds_write2_b64 v78, v[42:43], v[38:39] offset0:15 offset1:16
	ds_write2_b64 v78, v[36:37], v[34:35] offset0:17 offset1:18
	;; [unrolled: 1-line block ×10, first 2 shown]
.LBB68_248:
	s_or_b64 exec, exec, s[0:1]
	v_cmp_lt_i32_e32 vcc, 14, v79
	s_waitcnt lgkmcnt(0)
	s_barrier
	s_and_saveexec_b64 s[0:1], vcc
	s_cbranch_execz .LBB68_250
; %bb.249:
	ds_read2_b64 v[84:87], v78 offset0:15 offset1:16
	ds_read2_b64 v[88:91], v78 offset0:17 offset1:18
	v_mul_f64 v[40:41], v[74:75], v[40:41]
	ds_read2_b64 v[92:95], v78 offset0:19 offset1:20
	s_waitcnt lgkmcnt(0)
	v_fma_f64 v[42:43], -v[40:41], v[84:85], v[42:43]
	v_fma_f64 v[38:39], -v[40:41], v[86:87], v[38:39]
	ds_read2_b64 v[84:87], v78 offset0:21 offset1:22
	v_fma_f64 v[36:37], -v[40:41], v[88:89], v[36:37]
	v_fma_f64 v[34:35], -v[40:41], v[90:91], v[34:35]
	;; [unrolled: 1-line block ×3, first 2 shown]
	ds_read2_b64 v[88:91], v78 offset0:23 offset1:24
	v_fma_f64 v[30:31], -v[40:41], v[94:95], v[30:31]
	ds_read2_b64 v[92:95], v78 offset0:25 offset1:26
	s_waitcnt lgkmcnt(0)
	v_fma_f64 v[28:29], -v[40:41], v[84:85], v[28:29]
	v_fma_f64 v[26:27], -v[40:41], v[86:87], v[26:27]
	ds_read2_b64 v[84:87], v78 offset0:27 offset1:28
	v_fma_f64 v[24:25], -v[40:41], v[88:89], v[24:25]
	v_fma_f64 v[22:23], -v[40:41], v[90:91], v[22:23]
	ds_read2_b64 v[88:91], v78 offset0:29 offset1:30
	v_fma_f64 v[20:21], -v[40:41], v[92:93], v[20:21]
	v_fma_f64 v[18:19], -v[40:41], v[94:95], v[18:19]
	s_waitcnt lgkmcnt(0)
	v_fma_f64 v[16:17], -v[40:41], v[84:85], v[16:17]
	ds_read2_b64 v[92:95], v78 offset0:31 offset1:32
	v_fma_f64 v[14:15], -v[40:41], v[86:87], v[14:15]
	ds_read2_b64 v[84:87], v78 offset0:33 offset1:34
	v_fma_f64 v[10:11], -v[40:41], v[88:89], v[10:11]
	v_fma_f64 v[12:13], -v[40:41], v[90:91], v[12:13]
	s_waitcnt lgkmcnt(0)
	v_fma_f64 v[8:9], -v[40:41], v[92:93], v[8:9]
	v_fma_f64 v[6:7], -v[40:41], v[94:95], v[6:7]
	;; [unrolled: 1-line block ×4, first 2 shown]
.LBB68_250:
	s_or_b64 exec, exec, s[0:1]
	v_lshl_add_u32 v74, v79, 3, v78
	s_barrier
	ds_write_b64 v74, v[42:43]
	s_waitcnt lgkmcnt(0)
	s_barrier
	ds_read_b64 v[74:75], v78 offset:120
	s_cmp_lt_i32 s18, 17
	v_mov_b32_e32 v76, 15
	s_cbranch_scc1 .LBB68_253
; %bb.251:
	v_add_u32_e32 v83, 0x80, v78
	s_mov_b32 s0, 16
	v_mov_b32_e32 v76, 15
.LBB68_252:                             ; =>This Inner Loop Header: Depth=1
	ds_read_b64 v[84:85], v83
	v_mov_b32_e32 v86, s0
	s_add_i32 s0, s0, 1
	v_add_u32_e32 v83, 8, v83
	s_cmp_lg_u32 s18, s0
	s_waitcnt lgkmcnt(0)
	v_cmp_lt_f64_e64 vcc, |v[74:75]|, |v[84:85]|
	v_cndmask_b32_e32 v75, v75, v85, vcc
	v_cndmask_b32_e32 v74, v74, v84, vcc
	;; [unrolled: 1-line block ×3, first 2 shown]
	s_cbranch_scc1 .LBB68_252
.LBB68_253:
	s_waitcnt lgkmcnt(0)
	v_cmp_eq_f64_e32 vcc, 0, v[74:75]
	s_and_saveexec_b64 s[0:1], vcc
	s_xor_b64 s[0:1], exec, s[0:1]
; %bb.254:
	v_cmp_ne_u32_e32 vcc, 0, v82
	v_cndmask_b32_e32 v82, 16, v82, vcc
; %bb.255:
	s_andn2_saveexec_b64 s[0:1], s[0:1]
; %bb.256:
	v_div_scale_f64 v[84:85], s[2:3], v[74:75], v[74:75], 1.0
	v_rcp_f64_e32 v[86:87], v[84:85]
	v_div_scale_f64 v[88:89], vcc, 1.0, v[74:75], 1.0
	v_fma_f64 v[90:91], -v[84:85], v[86:87], 1.0
	v_fmac_f64_e32 v[86:87], v[86:87], v[90:91]
	v_fma_f64 v[90:91], -v[84:85], v[86:87], 1.0
	v_fmac_f64_e32 v[86:87], v[86:87], v[90:91]
	v_mul_f64 v[90:91], v[88:89], v[86:87]
	v_fma_f64 v[84:85], -v[84:85], v[90:91], v[88:89]
	v_div_fmas_f64 v[84:85], v[84:85], v[86:87], v[90:91]
	v_div_fixup_f64 v[74:75], v[84:85], v[74:75], 1.0
; %bb.257:
	s_or_b64 exec, exec, s[0:1]
	v_cmp_ne_u32_e32 vcc, v79, v76
	s_and_saveexec_b64 s[0:1], vcc
	s_xor_b64 s[0:1], exec, s[0:1]
	s_cbranch_execz .LBB68_263
; %bb.258:
	v_cmp_eq_u32_e32 vcc, 15, v79
	s_and_saveexec_b64 s[2:3], vcc
	s_cbranch_execz .LBB68_262
; %bb.259:
	v_cmp_ne_u32_e32 vcc, 15, v76
	s_xor_b64 s[14:15], s[6:7], -1
	s_and_b64 s[16:17], s[14:15], vcc
	s_and_saveexec_b64 s[14:15], s[16:17]
	s_cbranch_execz .LBB68_261
; %bb.260:
	v_ashrrev_i32_e32 v77, 31, v76
	v_lshlrev_b64 v[84:85], 2, v[76:77]
	v_add_co_u32_e32 v84, vcc, v4, v84
	v_addc_co_u32_e32 v85, vcc, v5, v85, vcc
	flat_load_dword v77, v[84:85]
	flat_load_dword v79, v[4:5] offset:60
	s_waitcnt vmcnt(0) lgkmcnt(0)
	flat_store_dword v[4:5], v77 offset:60
	flat_store_dword v[84:85], v79
.LBB68_261:
	s_or_b64 exec, exec, s[14:15]
	v_mov_b32_e32 v77, v76
	v_mov_b32_e32 v79, v76
.LBB68_262:
	s_or_b64 exec, exec, s[2:3]
.LBB68_263:
	s_andn2_saveexec_b64 s[0:1], s[0:1]
	s_cbranch_execz .LBB68_265
; %bb.264:
	v_mov_b32_e32 v84, v38
	v_mov_b32_e32 v85, v39
	v_mov_b32_e32 v86, v36
	v_mov_b32_e32 v87, v37
	ds_write2_b64 v78, v[84:85], v[86:87] offset0:16 offset1:17
	v_mov_b32_e32 v84, v34
	v_mov_b32_e32 v85, v35
	v_mov_b32_e32 v86, v32
	v_mov_b32_e32 v87, v33
	ds_write2_b64 v78, v[84:85], v[86:87] offset0:18 offset1:19
	;; [unrolled: 5-line block ×8, first 2 shown]
	v_mov_b32_e32 v84, v6
	v_mov_b32_e32 v85, v7
	;; [unrolled: 1-line block ×5, first 2 shown]
	ds_write2_b64 v78, v[84:85], v[86:87] offset0:32 offset1:33
	ds_write_b64 v78, v[72:73] offset:272
.LBB68_265:
	s_or_b64 exec, exec, s[0:1]
	v_cmp_lt_i32_e32 vcc, 15, v79
	s_waitcnt lgkmcnt(0)
	s_barrier
	s_and_saveexec_b64 s[0:1], vcc
	s_cbranch_execz .LBB68_267
; %bb.266:
	ds_read2_b64 v[84:87], v78 offset0:16 offset1:17
	ds_read2_b64 v[88:91], v78 offset0:18 offset1:19
	;; [unrolled: 1-line block ×3, first 2 shown]
	v_mul_f64 v[42:43], v[74:75], v[42:43]
	ds_read_b64 v[74:75], v78 offset:272
	s_waitcnt lgkmcnt(0)
	v_fma_f64 v[38:39], -v[42:43], v[84:85], v[38:39]
	v_fma_f64 v[36:37], -v[42:43], v[86:87], v[36:37]
	ds_read2_b64 v[84:87], v78 offset0:22 offset1:23
	v_fma_f64 v[34:35], -v[42:43], v[88:89], v[34:35]
	v_fma_f64 v[32:33], -v[42:43], v[90:91], v[32:33]
	;; [unrolled: 1-line block ×3, first 2 shown]
	ds_read2_b64 v[88:91], v78 offset0:24 offset1:25
	v_fma_f64 v[28:29], -v[42:43], v[94:95], v[28:29]
	ds_read2_b64 v[92:95], v78 offset0:26 offset1:27
	s_waitcnt lgkmcnt(0)
	v_fma_f64 v[26:27], -v[42:43], v[84:85], v[26:27]
	v_fma_f64 v[24:25], -v[42:43], v[86:87], v[24:25]
	;; [unrolled: 1-line block ×3, first 2 shown]
	ds_read2_b64 v[84:87], v78 offset0:28 offset1:29
	v_fma_f64 v[20:21], -v[42:43], v[90:91], v[20:21]
	ds_read2_b64 v[88:91], v78 offset0:30 offset1:31
	v_fma_f64 v[18:19], -v[42:43], v[92:93], v[18:19]
	v_fma_f64 v[16:17], -v[42:43], v[94:95], v[16:17]
	ds_read2_b64 v[92:95], v78 offset0:32 offset1:33
	s_waitcnt lgkmcnt(0)
	v_fma_f64 v[14:15], -v[42:43], v[84:85], v[14:15]
	v_fma_f64 v[10:11], -v[42:43], v[86:87], v[10:11]
	;; [unrolled: 1-line block ×7, first 2 shown]
.LBB68_267:
	s_or_b64 exec, exec, s[0:1]
	v_lshl_add_u32 v74, v79, 3, v78
	s_barrier
	ds_write_b64 v74, v[38:39]
	s_waitcnt lgkmcnt(0)
	s_barrier
	ds_read_b64 v[74:75], v78 offset:128
	s_cmp_lt_i32 s18, 18
	v_mov_b32_e32 v76, 16
	s_cbranch_scc1 .LBB68_270
; %bb.268:
	v_add_u32_e32 v83, 0x88, v78
	s_mov_b32 s0, 17
	v_mov_b32_e32 v76, 16
.LBB68_269:                             ; =>This Inner Loop Header: Depth=1
	ds_read_b64 v[84:85], v83
	v_mov_b32_e32 v86, s0
	s_add_i32 s0, s0, 1
	v_add_u32_e32 v83, 8, v83
	s_cmp_lg_u32 s18, s0
	s_waitcnt lgkmcnt(0)
	v_cmp_lt_f64_e64 vcc, |v[74:75]|, |v[84:85]|
	v_cndmask_b32_e32 v75, v75, v85, vcc
	v_cndmask_b32_e32 v74, v74, v84, vcc
	;; [unrolled: 1-line block ×3, first 2 shown]
	s_cbranch_scc1 .LBB68_269
.LBB68_270:
	s_waitcnt lgkmcnt(0)
	v_cmp_eq_f64_e32 vcc, 0, v[74:75]
	s_and_saveexec_b64 s[0:1], vcc
	s_xor_b64 s[0:1], exec, s[0:1]
; %bb.271:
	v_cmp_ne_u32_e32 vcc, 0, v82
	v_cndmask_b32_e32 v82, 17, v82, vcc
; %bb.272:
	s_andn2_saveexec_b64 s[0:1], s[0:1]
; %bb.273:
	v_div_scale_f64 v[84:85], s[2:3], v[74:75], v[74:75], 1.0
	v_rcp_f64_e32 v[86:87], v[84:85]
	v_div_scale_f64 v[88:89], vcc, 1.0, v[74:75], 1.0
	v_fma_f64 v[90:91], -v[84:85], v[86:87], 1.0
	v_fmac_f64_e32 v[86:87], v[86:87], v[90:91]
	v_fma_f64 v[90:91], -v[84:85], v[86:87], 1.0
	v_fmac_f64_e32 v[86:87], v[86:87], v[90:91]
	v_mul_f64 v[90:91], v[88:89], v[86:87]
	v_fma_f64 v[84:85], -v[84:85], v[90:91], v[88:89]
	v_div_fmas_f64 v[84:85], v[84:85], v[86:87], v[90:91]
	v_div_fixup_f64 v[74:75], v[84:85], v[74:75], 1.0
; %bb.274:
	s_or_b64 exec, exec, s[0:1]
	v_cmp_ne_u32_e32 vcc, v79, v76
	s_and_saveexec_b64 s[0:1], vcc
	s_xor_b64 s[0:1], exec, s[0:1]
	s_cbranch_execz .LBB68_280
; %bb.275:
	v_cmp_eq_u32_e32 vcc, 16, v79
	s_and_saveexec_b64 s[2:3], vcc
	s_cbranch_execz .LBB68_279
; %bb.276:
	v_cmp_ne_u32_e32 vcc, 16, v76
	s_xor_b64 s[14:15], s[6:7], -1
	s_and_b64 s[16:17], s[14:15], vcc
	s_and_saveexec_b64 s[14:15], s[16:17]
	s_cbranch_execz .LBB68_278
; %bb.277:
	v_ashrrev_i32_e32 v77, 31, v76
	v_lshlrev_b64 v[84:85], 2, v[76:77]
	v_add_co_u32_e32 v84, vcc, v4, v84
	v_addc_co_u32_e32 v85, vcc, v5, v85, vcc
	flat_load_dword v77, v[84:85]
	flat_load_dword v79, v[4:5] offset:64
	s_waitcnt vmcnt(0) lgkmcnt(0)
	flat_store_dword v[4:5], v77 offset:64
	flat_store_dword v[84:85], v79
.LBB68_278:
	s_or_b64 exec, exec, s[14:15]
	v_mov_b32_e32 v77, v76
	v_mov_b32_e32 v79, v76
.LBB68_279:
	s_or_b64 exec, exec, s[2:3]
.LBB68_280:
	s_andn2_saveexec_b64 s[0:1], s[0:1]
	s_cbranch_execz .LBB68_282
; %bb.281:
	v_mov_b32_e32 v79, 16
	ds_write2_b64 v78, v[36:37], v[34:35] offset0:17 offset1:18
	ds_write2_b64 v78, v[32:33], v[30:31] offset0:19 offset1:20
	;; [unrolled: 1-line block ×9, first 2 shown]
.LBB68_282:
	s_or_b64 exec, exec, s[0:1]
	v_cmp_lt_i32_e32 vcc, 16, v79
	s_waitcnt lgkmcnt(0)
	s_barrier
	s_and_saveexec_b64 s[0:1], vcc
	s_cbranch_execz .LBB68_284
; %bb.283:
	ds_read2_b64 v[84:87], v78 offset0:17 offset1:18
	ds_read2_b64 v[88:91], v78 offset0:19 offset1:20
	;; [unrolled: 1-line block ×3, first 2 shown]
	v_mul_f64 v[38:39], v[74:75], v[38:39]
	s_waitcnt lgkmcnt(0)
	v_fma_f64 v[36:37], -v[38:39], v[84:85], v[36:37]
	v_fma_f64 v[34:35], -v[38:39], v[86:87], v[34:35]
	ds_read2_b64 v[84:87], v78 offset0:23 offset1:24
	v_fma_f64 v[32:33], -v[38:39], v[88:89], v[32:33]
	v_fma_f64 v[30:31], -v[38:39], v[90:91], v[30:31]
	v_fma_f64 v[28:29], -v[38:39], v[92:93], v[28:29]
	ds_read2_b64 v[88:91], v78 offset0:25 offset1:26
	v_fma_f64 v[26:27], -v[38:39], v[94:95], v[26:27]
	ds_read2_b64 v[92:95], v78 offset0:27 offset1:28
	s_waitcnt lgkmcnt(0)
	v_fma_f64 v[24:25], -v[38:39], v[84:85], v[24:25]
	v_fma_f64 v[22:23], -v[38:39], v[86:87], v[22:23]
	;; [unrolled: 1-line block ×4, first 2 shown]
	ds_read2_b64 v[84:87], v78 offset0:29 offset1:30
	ds_read2_b64 v[88:91], v78 offset0:31 offset1:32
	v_fma_f64 v[16:17], -v[38:39], v[92:93], v[16:17]
	v_fma_f64 v[14:15], -v[38:39], v[94:95], v[14:15]
	ds_read2_b64 v[92:95], v78 offset0:33 offset1:34
	s_waitcnt lgkmcnt(0)
	v_fma_f64 v[10:11], -v[38:39], v[84:85], v[10:11]
	v_fma_f64 v[12:13], -v[38:39], v[86:87], v[12:13]
	;; [unrolled: 1-line block ×6, first 2 shown]
.LBB68_284:
	s_or_b64 exec, exec, s[0:1]
	v_lshl_add_u32 v74, v79, 3, v78
	s_barrier
	ds_write_b64 v74, v[36:37]
	s_waitcnt lgkmcnt(0)
	s_barrier
	ds_read_b64 v[74:75], v78 offset:136
	s_cmp_lt_i32 s18, 19
	v_mov_b32_e32 v76, 17
	s_cbranch_scc1 .LBB68_287
; %bb.285:
	v_add_u32_e32 v83, 0x90, v78
	s_mov_b32 s0, 18
	v_mov_b32_e32 v76, 17
.LBB68_286:                             ; =>This Inner Loop Header: Depth=1
	ds_read_b64 v[84:85], v83
	v_mov_b32_e32 v86, s0
	s_add_i32 s0, s0, 1
	v_add_u32_e32 v83, 8, v83
	s_cmp_lg_u32 s18, s0
	s_waitcnt lgkmcnt(0)
	v_cmp_lt_f64_e64 vcc, |v[74:75]|, |v[84:85]|
	v_cndmask_b32_e32 v75, v75, v85, vcc
	v_cndmask_b32_e32 v74, v74, v84, vcc
	;; [unrolled: 1-line block ×3, first 2 shown]
	s_cbranch_scc1 .LBB68_286
.LBB68_287:
	s_waitcnt lgkmcnt(0)
	v_cmp_eq_f64_e32 vcc, 0, v[74:75]
	s_and_saveexec_b64 s[0:1], vcc
	s_xor_b64 s[0:1], exec, s[0:1]
; %bb.288:
	v_cmp_ne_u32_e32 vcc, 0, v82
	v_cndmask_b32_e32 v82, 18, v82, vcc
; %bb.289:
	s_andn2_saveexec_b64 s[0:1], s[0:1]
; %bb.290:
	v_div_scale_f64 v[84:85], s[2:3], v[74:75], v[74:75], 1.0
	v_rcp_f64_e32 v[86:87], v[84:85]
	v_div_scale_f64 v[88:89], vcc, 1.0, v[74:75], 1.0
	v_fma_f64 v[90:91], -v[84:85], v[86:87], 1.0
	v_fmac_f64_e32 v[86:87], v[86:87], v[90:91]
	v_fma_f64 v[90:91], -v[84:85], v[86:87], 1.0
	v_fmac_f64_e32 v[86:87], v[86:87], v[90:91]
	v_mul_f64 v[90:91], v[88:89], v[86:87]
	v_fma_f64 v[84:85], -v[84:85], v[90:91], v[88:89]
	v_div_fmas_f64 v[84:85], v[84:85], v[86:87], v[90:91]
	v_div_fixup_f64 v[74:75], v[84:85], v[74:75], 1.0
; %bb.291:
	s_or_b64 exec, exec, s[0:1]
	v_cmp_ne_u32_e32 vcc, v79, v76
	s_and_saveexec_b64 s[0:1], vcc
	s_xor_b64 s[0:1], exec, s[0:1]
	s_cbranch_execz .LBB68_297
; %bb.292:
	v_cmp_eq_u32_e32 vcc, 17, v79
	s_and_saveexec_b64 s[2:3], vcc
	s_cbranch_execz .LBB68_296
; %bb.293:
	v_cmp_ne_u32_e32 vcc, 17, v76
	s_xor_b64 s[14:15], s[6:7], -1
	s_and_b64 s[16:17], s[14:15], vcc
	s_and_saveexec_b64 s[14:15], s[16:17]
	s_cbranch_execz .LBB68_295
; %bb.294:
	v_ashrrev_i32_e32 v77, 31, v76
	v_lshlrev_b64 v[84:85], 2, v[76:77]
	v_add_co_u32_e32 v84, vcc, v4, v84
	v_addc_co_u32_e32 v85, vcc, v5, v85, vcc
	flat_load_dword v77, v[84:85]
	flat_load_dword v79, v[4:5] offset:68
	s_waitcnt vmcnt(0) lgkmcnt(0)
	flat_store_dword v[4:5], v77 offset:68
	flat_store_dword v[84:85], v79
.LBB68_295:
	s_or_b64 exec, exec, s[14:15]
	v_mov_b32_e32 v77, v76
	v_mov_b32_e32 v79, v76
.LBB68_296:
	s_or_b64 exec, exec, s[2:3]
.LBB68_297:
	s_andn2_saveexec_b64 s[0:1], s[0:1]
	s_cbranch_execz .LBB68_299
; %bb.298:
	v_mov_b32_e32 v84, v34
	v_mov_b32_e32 v85, v35
	v_mov_b32_e32 v86, v32
	v_mov_b32_e32 v87, v33
	ds_write2_b64 v78, v[84:85], v[86:87] offset0:18 offset1:19
	v_mov_b32_e32 v84, v30
	v_mov_b32_e32 v85, v31
	v_mov_b32_e32 v86, v28
	v_mov_b32_e32 v87, v29
	ds_write2_b64 v78, v[84:85], v[86:87] offset0:20 offset1:21
	;; [unrolled: 5-line block ×7, first 2 shown]
	v_mov_b32_e32 v84, v6
	v_mov_b32_e32 v85, v7
	;; [unrolled: 1-line block ×5, first 2 shown]
	ds_write2_b64 v78, v[84:85], v[86:87] offset0:32 offset1:33
	ds_write_b64 v78, v[72:73] offset:272
.LBB68_299:
	s_or_b64 exec, exec, s[0:1]
	v_cmp_lt_i32_e32 vcc, 17, v79
	s_waitcnt lgkmcnt(0)
	s_barrier
	s_and_saveexec_b64 s[0:1], vcc
	s_cbranch_execz .LBB68_301
; %bb.300:
	ds_read2_b64 v[84:87], v78 offset0:18 offset1:19
	ds_read2_b64 v[88:91], v78 offset0:20 offset1:21
	v_mul_f64 v[36:37], v[74:75], v[36:37]
	ds_read2_b64 v[92:95], v78 offset0:22 offset1:23
	ds_read_b64 v[74:75], v78 offset:272
	s_waitcnt lgkmcnt(0)
	v_fma_f64 v[34:35], -v[36:37], v[84:85], v[34:35]
	v_fma_f64 v[32:33], -v[36:37], v[86:87], v[32:33]
	ds_read2_b64 v[84:87], v78 offset0:24 offset1:25
	v_fma_f64 v[30:31], -v[36:37], v[88:89], v[30:31]
	v_fma_f64 v[28:29], -v[36:37], v[90:91], v[28:29]
	ds_read2_b64 v[88:91], v78 offset0:26 offset1:27
	;; [unrolled: 3-line block ×3, first 2 shown]
	s_waitcnt lgkmcnt(0)
	v_fma_f64 v[22:23], -v[36:37], v[84:85], v[22:23]
	v_fma_f64 v[20:21], -v[36:37], v[86:87], v[20:21]
	;; [unrolled: 1-line block ×4, first 2 shown]
	ds_read2_b64 v[84:87], v78 offset0:30 offset1:31
	ds_read2_b64 v[88:91], v78 offset0:32 offset1:33
	v_fma_f64 v[14:15], -v[36:37], v[92:93], v[14:15]
	v_fma_f64 v[10:11], -v[36:37], v[94:95], v[10:11]
	;; [unrolled: 1-line block ×3, first 2 shown]
	s_waitcnt lgkmcnt(0)
	v_fma_f64 v[12:13], -v[36:37], v[84:85], v[12:13]
	v_fma_f64 v[8:9], -v[36:37], v[86:87], v[8:9]
	v_fma_f64 v[6:7], -v[36:37], v[88:89], v[6:7]
	v_fma_f64 v[0:1], -v[36:37], v[90:91], v[0:1]
.LBB68_301:
	s_or_b64 exec, exec, s[0:1]
	v_lshl_add_u32 v74, v79, 3, v78
	s_barrier
	ds_write_b64 v74, v[34:35]
	s_waitcnt lgkmcnt(0)
	s_barrier
	ds_read_b64 v[74:75], v78 offset:144
	s_cmp_lt_i32 s18, 20
	v_mov_b32_e32 v76, 18
	s_cbranch_scc1 .LBB68_304
; %bb.302:
	v_add_u32_e32 v83, 0x98, v78
	s_mov_b32 s0, 19
	v_mov_b32_e32 v76, 18
.LBB68_303:                             ; =>This Inner Loop Header: Depth=1
	ds_read_b64 v[84:85], v83
	v_mov_b32_e32 v86, s0
	s_add_i32 s0, s0, 1
	v_add_u32_e32 v83, 8, v83
	s_cmp_lg_u32 s18, s0
	s_waitcnt lgkmcnt(0)
	v_cmp_lt_f64_e64 vcc, |v[74:75]|, |v[84:85]|
	v_cndmask_b32_e32 v75, v75, v85, vcc
	v_cndmask_b32_e32 v74, v74, v84, vcc
	;; [unrolled: 1-line block ×3, first 2 shown]
	s_cbranch_scc1 .LBB68_303
.LBB68_304:
	s_waitcnt lgkmcnt(0)
	v_cmp_eq_f64_e32 vcc, 0, v[74:75]
	s_and_saveexec_b64 s[0:1], vcc
	s_xor_b64 s[0:1], exec, s[0:1]
; %bb.305:
	v_cmp_ne_u32_e32 vcc, 0, v82
	v_cndmask_b32_e32 v82, 19, v82, vcc
; %bb.306:
	s_andn2_saveexec_b64 s[0:1], s[0:1]
; %bb.307:
	v_div_scale_f64 v[84:85], s[2:3], v[74:75], v[74:75], 1.0
	v_rcp_f64_e32 v[86:87], v[84:85]
	v_div_scale_f64 v[88:89], vcc, 1.0, v[74:75], 1.0
	v_fma_f64 v[90:91], -v[84:85], v[86:87], 1.0
	v_fmac_f64_e32 v[86:87], v[86:87], v[90:91]
	v_fma_f64 v[90:91], -v[84:85], v[86:87], 1.0
	v_fmac_f64_e32 v[86:87], v[86:87], v[90:91]
	v_mul_f64 v[90:91], v[88:89], v[86:87]
	v_fma_f64 v[84:85], -v[84:85], v[90:91], v[88:89]
	v_div_fmas_f64 v[84:85], v[84:85], v[86:87], v[90:91]
	v_div_fixup_f64 v[74:75], v[84:85], v[74:75], 1.0
; %bb.308:
	s_or_b64 exec, exec, s[0:1]
	v_cmp_ne_u32_e32 vcc, v79, v76
	s_and_saveexec_b64 s[0:1], vcc
	s_xor_b64 s[0:1], exec, s[0:1]
	s_cbranch_execz .LBB68_314
; %bb.309:
	v_cmp_eq_u32_e32 vcc, 18, v79
	s_and_saveexec_b64 s[2:3], vcc
	s_cbranch_execz .LBB68_313
; %bb.310:
	v_cmp_ne_u32_e32 vcc, 18, v76
	s_xor_b64 s[14:15], s[6:7], -1
	s_and_b64 s[16:17], s[14:15], vcc
	s_and_saveexec_b64 s[14:15], s[16:17]
	s_cbranch_execz .LBB68_312
; %bb.311:
	v_ashrrev_i32_e32 v77, 31, v76
	v_lshlrev_b64 v[84:85], 2, v[76:77]
	v_add_co_u32_e32 v84, vcc, v4, v84
	v_addc_co_u32_e32 v85, vcc, v5, v85, vcc
	flat_load_dword v77, v[84:85]
	flat_load_dword v79, v[4:5] offset:72
	s_waitcnt vmcnt(0) lgkmcnt(0)
	flat_store_dword v[4:5], v77 offset:72
	flat_store_dword v[84:85], v79
.LBB68_312:
	s_or_b64 exec, exec, s[14:15]
	v_mov_b32_e32 v77, v76
	v_mov_b32_e32 v79, v76
.LBB68_313:
	s_or_b64 exec, exec, s[2:3]
.LBB68_314:
	s_andn2_saveexec_b64 s[0:1], s[0:1]
	s_cbranch_execz .LBB68_316
; %bb.315:
	v_mov_b32_e32 v79, 18
	ds_write2_b64 v78, v[32:33], v[30:31] offset0:19 offset1:20
	ds_write2_b64 v78, v[28:29], v[26:27] offset0:21 offset1:22
	;; [unrolled: 1-line block ×8, first 2 shown]
.LBB68_316:
	s_or_b64 exec, exec, s[0:1]
	v_cmp_lt_i32_e32 vcc, 18, v79
	s_waitcnt lgkmcnt(0)
	s_barrier
	s_and_saveexec_b64 s[0:1], vcc
	s_cbranch_execz .LBB68_318
; %bb.317:
	ds_read2_b64 v[84:87], v78 offset0:19 offset1:20
	ds_read2_b64 v[88:91], v78 offset0:21 offset1:22
	v_mul_f64 v[34:35], v[74:75], v[34:35]
	ds_read2_b64 v[92:95], v78 offset0:23 offset1:24
	s_waitcnt lgkmcnt(0)
	v_fma_f64 v[32:33], -v[34:35], v[84:85], v[32:33]
	v_fma_f64 v[30:31], -v[34:35], v[86:87], v[30:31]
	ds_read2_b64 v[84:87], v78 offset0:25 offset1:26
	v_fma_f64 v[28:29], -v[34:35], v[88:89], v[28:29]
	v_fma_f64 v[26:27], -v[34:35], v[90:91], v[26:27]
	ds_read2_b64 v[88:91], v78 offset0:27 offset1:28
	v_fma_f64 v[24:25], -v[34:35], v[92:93], v[24:25]
	v_fma_f64 v[22:23], -v[34:35], v[94:95], v[22:23]
	s_waitcnt lgkmcnt(0)
	v_fma_f64 v[20:21], -v[34:35], v[84:85], v[20:21]
	v_fma_f64 v[18:19], -v[34:35], v[86:87], v[18:19]
	ds_read2_b64 v[84:87], v78 offset0:29 offset1:30
	v_fma_f64 v[16:17], -v[34:35], v[88:89], v[16:17]
	ds_read2_b64 v[92:95], v78 offset0:31 offset1:32
	;; [unrolled: 2-line block ×3, first 2 shown]
	s_waitcnt lgkmcnt(0)
	v_fma_f64 v[10:11], -v[34:35], v[84:85], v[10:11]
	v_fma_f64 v[12:13], -v[34:35], v[86:87], v[12:13]
	;; [unrolled: 1-line block ×6, first 2 shown]
.LBB68_318:
	s_or_b64 exec, exec, s[0:1]
	v_lshl_add_u32 v74, v79, 3, v78
	s_barrier
	ds_write_b64 v74, v[32:33]
	s_waitcnt lgkmcnt(0)
	s_barrier
	ds_read_b64 v[74:75], v78 offset:152
	s_cmp_lt_i32 s18, 21
	v_mov_b32_e32 v76, 19
	s_cbranch_scc1 .LBB68_321
; %bb.319:
	v_add_u32_e32 v83, 0xa0, v78
	s_mov_b32 s0, 20
	v_mov_b32_e32 v76, 19
.LBB68_320:                             ; =>This Inner Loop Header: Depth=1
	ds_read_b64 v[84:85], v83
	v_mov_b32_e32 v86, s0
	s_add_i32 s0, s0, 1
	v_add_u32_e32 v83, 8, v83
	s_cmp_lg_u32 s18, s0
	s_waitcnt lgkmcnt(0)
	v_cmp_lt_f64_e64 vcc, |v[74:75]|, |v[84:85]|
	v_cndmask_b32_e32 v75, v75, v85, vcc
	v_cndmask_b32_e32 v74, v74, v84, vcc
	;; [unrolled: 1-line block ×3, first 2 shown]
	s_cbranch_scc1 .LBB68_320
.LBB68_321:
	s_waitcnt lgkmcnt(0)
	v_cmp_eq_f64_e32 vcc, 0, v[74:75]
	s_and_saveexec_b64 s[0:1], vcc
	s_xor_b64 s[0:1], exec, s[0:1]
; %bb.322:
	v_cmp_ne_u32_e32 vcc, 0, v82
	v_cndmask_b32_e32 v82, 20, v82, vcc
; %bb.323:
	s_andn2_saveexec_b64 s[0:1], s[0:1]
; %bb.324:
	v_div_scale_f64 v[84:85], s[2:3], v[74:75], v[74:75], 1.0
	v_rcp_f64_e32 v[86:87], v[84:85]
	v_div_scale_f64 v[88:89], vcc, 1.0, v[74:75], 1.0
	v_fma_f64 v[90:91], -v[84:85], v[86:87], 1.0
	v_fmac_f64_e32 v[86:87], v[86:87], v[90:91]
	v_fma_f64 v[90:91], -v[84:85], v[86:87], 1.0
	v_fmac_f64_e32 v[86:87], v[86:87], v[90:91]
	v_mul_f64 v[90:91], v[88:89], v[86:87]
	v_fma_f64 v[84:85], -v[84:85], v[90:91], v[88:89]
	v_div_fmas_f64 v[84:85], v[84:85], v[86:87], v[90:91]
	v_div_fixup_f64 v[74:75], v[84:85], v[74:75], 1.0
; %bb.325:
	s_or_b64 exec, exec, s[0:1]
	v_cmp_ne_u32_e32 vcc, v79, v76
	s_and_saveexec_b64 s[0:1], vcc
	s_xor_b64 s[0:1], exec, s[0:1]
	s_cbranch_execz .LBB68_331
; %bb.326:
	v_cmp_eq_u32_e32 vcc, 19, v79
	s_and_saveexec_b64 s[2:3], vcc
	s_cbranch_execz .LBB68_330
; %bb.327:
	v_cmp_ne_u32_e32 vcc, 19, v76
	s_xor_b64 s[14:15], s[6:7], -1
	s_and_b64 s[16:17], s[14:15], vcc
	s_and_saveexec_b64 s[14:15], s[16:17]
	s_cbranch_execz .LBB68_329
; %bb.328:
	v_ashrrev_i32_e32 v77, 31, v76
	v_lshlrev_b64 v[84:85], 2, v[76:77]
	v_add_co_u32_e32 v84, vcc, v4, v84
	v_addc_co_u32_e32 v85, vcc, v5, v85, vcc
	flat_load_dword v77, v[84:85]
	flat_load_dword v79, v[4:5] offset:76
	s_waitcnt vmcnt(0) lgkmcnt(0)
	flat_store_dword v[4:5], v77 offset:76
	flat_store_dword v[84:85], v79
.LBB68_329:
	s_or_b64 exec, exec, s[14:15]
	v_mov_b32_e32 v77, v76
	v_mov_b32_e32 v79, v76
.LBB68_330:
	s_or_b64 exec, exec, s[2:3]
.LBB68_331:
	s_andn2_saveexec_b64 s[0:1], s[0:1]
	s_cbranch_execz .LBB68_333
; %bb.332:
	v_mov_b32_e32 v84, v30
	v_mov_b32_e32 v85, v31
	v_mov_b32_e32 v86, v28
	v_mov_b32_e32 v87, v29
	ds_write2_b64 v78, v[84:85], v[86:87] offset0:20 offset1:21
	v_mov_b32_e32 v84, v26
	v_mov_b32_e32 v85, v27
	v_mov_b32_e32 v86, v24
	v_mov_b32_e32 v87, v25
	ds_write2_b64 v78, v[84:85], v[86:87] offset0:22 offset1:23
	;; [unrolled: 5-line block ×6, first 2 shown]
	v_mov_b32_e32 v84, v6
	v_mov_b32_e32 v85, v7
	;; [unrolled: 1-line block ×5, first 2 shown]
	ds_write2_b64 v78, v[84:85], v[86:87] offset0:32 offset1:33
	ds_write_b64 v78, v[72:73] offset:272
.LBB68_333:
	s_or_b64 exec, exec, s[0:1]
	v_cmp_lt_i32_e32 vcc, 19, v79
	s_waitcnt lgkmcnt(0)
	s_barrier
	s_and_saveexec_b64 s[0:1], vcc
	s_cbranch_execz .LBB68_335
; %bb.334:
	ds_read2_b64 v[84:87], v78 offset0:20 offset1:21
	ds_read2_b64 v[88:91], v78 offset0:22 offset1:23
	v_mul_f64 v[32:33], v[74:75], v[32:33]
	ds_read2_b64 v[92:95], v78 offset0:24 offset1:25
	ds_read_b64 v[74:75], v78 offset:272
	s_waitcnt lgkmcnt(0)
	v_fma_f64 v[30:31], -v[32:33], v[84:85], v[30:31]
	v_fma_f64 v[28:29], -v[32:33], v[86:87], v[28:29]
	ds_read2_b64 v[84:87], v78 offset0:26 offset1:27
	v_fma_f64 v[26:27], -v[32:33], v[88:89], v[26:27]
	v_fma_f64 v[24:25], -v[32:33], v[90:91], v[24:25]
	;; [unrolled: 1-line block ×3, first 2 shown]
	ds_read2_b64 v[88:91], v78 offset0:28 offset1:29
	v_fma_f64 v[20:21], -v[32:33], v[94:95], v[20:21]
	s_waitcnt lgkmcnt(0)
	v_fma_f64 v[18:19], -v[32:33], v[84:85], v[18:19]
	v_fma_f64 v[16:17], -v[32:33], v[86:87], v[16:17]
	ds_read2_b64 v[84:87], v78 offset0:30 offset1:31
	ds_read2_b64 v[92:95], v78 offset0:32 offset1:33
	v_fma_f64 v[14:15], -v[32:33], v[88:89], v[14:15]
	v_fma_f64 v[10:11], -v[32:33], v[90:91], v[10:11]
	;; [unrolled: 1-line block ×3, first 2 shown]
	s_waitcnt lgkmcnt(0)
	v_fma_f64 v[12:13], -v[32:33], v[84:85], v[12:13]
	v_fma_f64 v[8:9], -v[32:33], v[86:87], v[8:9]
	v_fma_f64 v[6:7], -v[32:33], v[92:93], v[6:7]
	v_fma_f64 v[0:1], -v[32:33], v[94:95], v[0:1]
.LBB68_335:
	s_or_b64 exec, exec, s[0:1]
	v_lshl_add_u32 v74, v79, 3, v78
	s_barrier
	ds_write_b64 v74, v[30:31]
	s_waitcnt lgkmcnt(0)
	s_barrier
	ds_read_b64 v[74:75], v78 offset:160
	s_cmp_lt_i32 s18, 22
	v_mov_b32_e32 v76, 20
	s_cbranch_scc1 .LBB68_338
; %bb.336:
	v_add_u32_e32 v83, 0xa8, v78
	s_mov_b32 s0, 21
	v_mov_b32_e32 v76, 20
.LBB68_337:                             ; =>This Inner Loop Header: Depth=1
	ds_read_b64 v[84:85], v83
	v_mov_b32_e32 v86, s0
	s_add_i32 s0, s0, 1
	v_add_u32_e32 v83, 8, v83
	s_cmp_lg_u32 s18, s0
	s_waitcnt lgkmcnt(0)
	v_cmp_lt_f64_e64 vcc, |v[74:75]|, |v[84:85]|
	v_cndmask_b32_e32 v75, v75, v85, vcc
	v_cndmask_b32_e32 v74, v74, v84, vcc
	;; [unrolled: 1-line block ×3, first 2 shown]
	s_cbranch_scc1 .LBB68_337
.LBB68_338:
	s_waitcnt lgkmcnt(0)
	v_cmp_eq_f64_e32 vcc, 0, v[74:75]
	s_and_saveexec_b64 s[0:1], vcc
	s_xor_b64 s[0:1], exec, s[0:1]
; %bb.339:
	v_cmp_ne_u32_e32 vcc, 0, v82
	v_cndmask_b32_e32 v82, 21, v82, vcc
; %bb.340:
	s_andn2_saveexec_b64 s[0:1], s[0:1]
; %bb.341:
	v_div_scale_f64 v[84:85], s[2:3], v[74:75], v[74:75], 1.0
	v_rcp_f64_e32 v[86:87], v[84:85]
	v_div_scale_f64 v[88:89], vcc, 1.0, v[74:75], 1.0
	v_fma_f64 v[90:91], -v[84:85], v[86:87], 1.0
	v_fmac_f64_e32 v[86:87], v[86:87], v[90:91]
	v_fma_f64 v[90:91], -v[84:85], v[86:87], 1.0
	v_fmac_f64_e32 v[86:87], v[86:87], v[90:91]
	v_mul_f64 v[90:91], v[88:89], v[86:87]
	v_fma_f64 v[84:85], -v[84:85], v[90:91], v[88:89]
	v_div_fmas_f64 v[84:85], v[84:85], v[86:87], v[90:91]
	v_div_fixup_f64 v[74:75], v[84:85], v[74:75], 1.0
; %bb.342:
	s_or_b64 exec, exec, s[0:1]
	v_cmp_ne_u32_e32 vcc, v79, v76
	s_and_saveexec_b64 s[0:1], vcc
	s_xor_b64 s[0:1], exec, s[0:1]
	s_cbranch_execz .LBB68_348
; %bb.343:
	v_cmp_eq_u32_e32 vcc, 20, v79
	s_and_saveexec_b64 s[2:3], vcc
	s_cbranch_execz .LBB68_347
; %bb.344:
	v_cmp_ne_u32_e32 vcc, 20, v76
	s_xor_b64 s[14:15], s[6:7], -1
	s_and_b64 s[16:17], s[14:15], vcc
	s_and_saveexec_b64 s[14:15], s[16:17]
	s_cbranch_execz .LBB68_346
; %bb.345:
	v_ashrrev_i32_e32 v77, 31, v76
	v_lshlrev_b64 v[84:85], 2, v[76:77]
	v_add_co_u32_e32 v84, vcc, v4, v84
	v_addc_co_u32_e32 v85, vcc, v5, v85, vcc
	flat_load_dword v77, v[84:85]
	flat_load_dword v79, v[4:5] offset:80
	s_waitcnt vmcnt(0) lgkmcnt(0)
	flat_store_dword v[4:5], v77 offset:80
	flat_store_dword v[84:85], v79
.LBB68_346:
	s_or_b64 exec, exec, s[14:15]
	v_mov_b32_e32 v77, v76
	v_mov_b32_e32 v79, v76
.LBB68_347:
	s_or_b64 exec, exec, s[2:3]
.LBB68_348:
	s_andn2_saveexec_b64 s[0:1], s[0:1]
	s_cbranch_execz .LBB68_350
; %bb.349:
	v_mov_b32_e32 v79, 20
	ds_write2_b64 v78, v[28:29], v[26:27] offset0:21 offset1:22
	ds_write2_b64 v78, v[24:25], v[22:23] offset0:23 offset1:24
	;; [unrolled: 1-line block ×7, first 2 shown]
.LBB68_350:
	s_or_b64 exec, exec, s[0:1]
	v_cmp_lt_i32_e32 vcc, 20, v79
	s_waitcnt lgkmcnt(0)
	s_barrier
	s_and_saveexec_b64 s[0:1], vcc
	s_cbranch_execz .LBB68_352
; %bb.351:
	ds_read2_b64 v[84:87], v78 offset0:21 offset1:22
	ds_read2_b64 v[88:91], v78 offset0:23 offset1:24
	v_mul_f64 v[30:31], v[74:75], v[30:31]
	ds_read2_b64 v[92:95], v78 offset0:25 offset1:26
	s_waitcnt lgkmcnt(0)
	v_fma_f64 v[28:29], -v[30:31], v[84:85], v[28:29]
	v_fma_f64 v[26:27], -v[30:31], v[86:87], v[26:27]
	ds_read2_b64 v[84:87], v78 offset0:27 offset1:28
	v_fma_f64 v[24:25], -v[30:31], v[88:89], v[24:25]
	v_fma_f64 v[22:23], -v[30:31], v[90:91], v[22:23]
	;; [unrolled: 1-line block ×4, first 2 shown]
	ds_read2_b64 v[88:91], v78 offset0:29 offset1:30
	ds_read2_b64 v[92:95], v78 offset0:31 offset1:32
	s_waitcnt lgkmcnt(0)
	v_fma_f64 v[16:17], -v[30:31], v[84:85], v[16:17]
	v_fma_f64 v[14:15], -v[30:31], v[86:87], v[14:15]
	ds_read2_b64 v[84:87], v78 offset0:33 offset1:34
	v_fma_f64 v[10:11], -v[30:31], v[88:89], v[10:11]
	v_fma_f64 v[12:13], -v[30:31], v[90:91], v[12:13]
	;; [unrolled: 1-line block ×4, first 2 shown]
	s_waitcnt lgkmcnt(0)
	v_fma_f64 v[0:1], -v[30:31], v[84:85], v[0:1]
	v_fma_f64 v[72:73], -v[30:31], v[86:87], v[72:73]
.LBB68_352:
	s_or_b64 exec, exec, s[0:1]
	v_lshl_add_u32 v74, v79, 3, v78
	s_barrier
	ds_write_b64 v74, v[28:29]
	s_waitcnt lgkmcnt(0)
	s_barrier
	ds_read_b64 v[74:75], v78 offset:168
	s_cmp_lt_i32 s18, 23
	v_mov_b32_e32 v76, 21
	s_cbranch_scc1 .LBB68_355
; %bb.353:
	v_add_u32_e32 v83, 0xb0, v78
	s_mov_b32 s0, 22
	v_mov_b32_e32 v76, 21
.LBB68_354:                             ; =>This Inner Loop Header: Depth=1
	ds_read_b64 v[84:85], v83
	v_mov_b32_e32 v86, s0
	s_add_i32 s0, s0, 1
	v_add_u32_e32 v83, 8, v83
	s_cmp_lg_u32 s18, s0
	s_waitcnt lgkmcnt(0)
	v_cmp_lt_f64_e64 vcc, |v[74:75]|, |v[84:85]|
	v_cndmask_b32_e32 v75, v75, v85, vcc
	v_cndmask_b32_e32 v74, v74, v84, vcc
	;; [unrolled: 1-line block ×3, first 2 shown]
	s_cbranch_scc1 .LBB68_354
.LBB68_355:
	s_waitcnt lgkmcnt(0)
	v_cmp_eq_f64_e32 vcc, 0, v[74:75]
	s_and_saveexec_b64 s[0:1], vcc
	s_xor_b64 s[0:1], exec, s[0:1]
; %bb.356:
	v_cmp_ne_u32_e32 vcc, 0, v82
	v_cndmask_b32_e32 v82, 22, v82, vcc
; %bb.357:
	s_andn2_saveexec_b64 s[0:1], s[0:1]
; %bb.358:
	v_div_scale_f64 v[84:85], s[2:3], v[74:75], v[74:75], 1.0
	v_rcp_f64_e32 v[86:87], v[84:85]
	v_div_scale_f64 v[88:89], vcc, 1.0, v[74:75], 1.0
	v_fma_f64 v[90:91], -v[84:85], v[86:87], 1.0
	v_fmac_f64_e32 v[86:87], v[86:87], v[90:91]
	v_fma_f64 v[90:91], -v[84:85], v[86:87], 1.0
	v_fmac_f64_e32 v[86:87], v[86:87], v[90:91]
	v_mul_f64 v[90:91], v[88:89], v[86:87]
	v_fma_f64 v[84:85], -v[84:85], v[90:91], v[88:89]
	v_div_fmas_f64 v[84:85], v[84:85], v[86:87], v[90:91]
	v_div_fixup_f64 v[74:75], v[84:85], v[74:75], 1.0
; %bb.359:
	s_or_b64 exec, exec, s[0:1]
	v_cmp_ne_u32_e32 vcc, v79, v76
	s_and_saveexec_b64 s[0:1], vcc
	s_xor_b64 s[0:1], exec, s[0:1]
	s_cbranch_execz .LBB68_365
; %bb.360:
	v_cmp_eq_u32_e32 vcc, 21, v79
	s_and_saveexec_b64 s[2:3], vcc
	s_cbranch_execz .LBB68_364
; %bb.361:
	v_cmp_ne_u32_e32 vcc, 21, v76
	s_xor_b64 s[14:15], s[6:7], -1
	s_and_b64 s[16:17], s[14:15], vcc
	s_and_saveexec_b64 s[14:15], s[16:17]
	s_cbranch_execz .LBB68_363
; %bb.362:
	v_ashrrev_i32_e32 v77, 31, v76
	v_lshlrev_b64 v[84:85], 2, v[76:77]
	v_add_co_u32_e32 v84, vcc, v4, v84
	v_addc_co_u32_e32 v85, vcc, v5, v85, vcc
	flat_load_dword v77, v[84:85]
	flat_load_dword v79, v[4:5] offset:84
	s_waitcnt vmcnt(0) lgkmcnt(0)
	flat_store_dword v[4:5], v77 offset:84
	flat_store_dword v[84:85], v79
.LBB68_363:
	s_or_b64 exec, exec, s[14:15]
	v_mov_b32_e32 v77, v76
	v_mov_b32_e32 v79, v76
.LBB68_364:
	s_or_b64 exec, exec, s[2:3]
.LBB68_365:
	s_andn2_saveexec_b64 s[0:1], s[0:1]
	s_cbranch_execz .LBB68_367
; %bb.366:
	v_mov_b32_e32 v84, v26
	v_mov_b32_e32 v85, v27
	v_mov_b32_e32 v86, v24
	v_mov_b32_e32 v87, v25
	ds_write2_b64 v78, v[84:85], v[86:87] offset0:22 offset1:23
	v_mov_b32_e32 v84, v22
	v_mov_b32_e32 v85, v23
	v_mov_b32_e32 v86, v20
	v_mov_b32_e32 v87, v21
	ds_write2_b64 v78, v[84:85], v[86:87] offset0:24 offset1:25
	;; [unrolled: 5-line block ×5, first 2 shown]
	v_mov_b32_e32 v84, v6
	v_mov_b32_e32 v85, v7
	;; [unrolled: 1-line block ×5, first 2 shown]
	ds_write2_b64 v78, v[84:85], v[86:87] offset0:32 offset1:33
	ds_write_b64 v78, v[72:73] offset:272
.LBB68_367:
	s_or_b64 exec, exec, s[0:1]
	v_cmp_lt_i32_e32 vcc, 21, v79
	s_waitcnt lgkmcnt(0)
	s_barrier
	s_and_saveexec_b64 s[0:1], vcc
	s_cbranch_execz .LBB68_369
; %bb.368:
	ds_read2_b64 v[84:87], v78 offset0:22 offset1:23
	ds_read2_b64 v[88:91], v78 offset0:24 offset1:25
	;; [unrolled: 1-line block ×3, first 2 shown]
	v_mul_f64 v[28:29], v[74:75], v[28:29]
	ds_read_b64 v[74:75], v78 offset:272
	s_waitcnt lgkmcnt(0)
	v_fma_f64 v[26:27], -v[28:29], v[84:85], v[26:27]
	v_fma_f64 v[24:25], -v[28:29], v[86:87], v[24:25]
	ds_read2_b64 v[84:87], v78 offset0:28 offset1:29
	v_fma_f64 v[22:23], -v[28:29], v[88:89], v[22:23]
	v_fma_f64 v[20:21], -v[28:29], v[90:91], v[20:21]
	;; [unrolled: 1-line block ×4, first 2 shown]
	ds_read2_b64 v[88:91], v78 offset0:30 offset1:31
	ds_read2_b64 v[92:95], v78 offset0:32 offset1:33
	s_waitcnt lgkmcnt(0)
	v_fma_f64 v[14:15], -v[28:29], v[84:85], v[14:15]
	v_fma_f64 v[10:11], -v[28:29], v[86:87], v[10:11]
	v_fma_f64 v[72:73], -v[28:29], v[74:75], v[72:73]
	v_fma_f64 v[12:13], -v[28:29], v[88:89], v[12:13]
	v_fma_f64 v[8:9], -v[28:29], v[90:91], v[8:9]
	v_fma_f64 v[6:7], -v[28:29], v[92:93], v[6:7]
	v_fma_f64 v[0:1], -v[28:29], v[94:95], v[0:1]
.LBB68_369:
	s_or_b64 exec, exec, s[0:1]
	v_lshl_add_u32 v74, v79, 3, v78
	s_barrier
	ds_write_b64 v74, v[26:27]
	s_waitcnt lgkmcnt(0)
	s_barrier
	ds_read_b64 v[74:75], v78 offset:176
	s_cmp_lt_i32 s18, 24
	v_mov_b32_e32 v76, 22
	s_cbranch_scc1 .LBB68_372
; %bb.370:
	v_add_u32_e32 v83, 0xb8, v78
	s_mov_b32 s0, 23
	v_mov_b32_e32 v76, 22
.LBB68_371:                             ; =>This Inner Loop Header: Depth=1
	ds_read_b64 v[84:85], v83
	v_mov_b32_e32 v86, s0
	s_add_i32 s0, s0, 1
	v_add_u32_e32 v83, 8, v83
	s_cmp_lg_u32 s18, s0
	s_waitcnt lgkmcnt(0)
	v_cmp_lt_f64_e64 vcc, |v[74:75]|, |v[84:85]|
	v_cndmask_b32_e32 v75, v75, v85, vcc
	v_cndmask_b32_e32 v74, v74, v84, vcc
	;; [unrolled: 1-line block ×3, first 2 shown]
	s_cbranch_scc1 .LBB68_371
.LBB68_372:
	s_waitcnt lgkmcnt(0)
	v_cmp_eq_f64_e32 vcc, 0, v[74:75]
	s_and_saveexec_b64 s[0:1], vcc
	s_xor_b64 s[0:1], exec, s[0:1]
; %bb.373:
	v_cmp_ne_u32_e32 vcc, 0, v82
	v_cndmask_b32_e32 v82, 23, v82, vcc
; %bb.374:
	s_andn2_saveexec_b64 s[0:1], s[0:1]
; %bb.375:
	v_div_scale_f64 v[84:85], s[2:3], v[74:75], v[74:75], 1.0
	v_rcp_f64_e32 v[86:87], v[84:85]
	v_div_scale_f64 v[88:89], vcc, 1.0, v[74:75], 1.0
	v_fma_f64 v[90:91], -v[84:85], v[86:87], 1.0
	v_fmac_f64_e32 v[86:87], v[86:87], v[90:91]
	v_fma_f64 v[90:91], -v[84:85], v[86:87], 1.0
	v_fmac_f64_e32 v[86:87], v[86:87], v[90:91]
	v_mul_f64 v[90:91], v[88:89], v[86:87]
	v_fma_f64 v[84:85], -v[84:85], v[90:91], v[88:89]
	v_div_fmas_f64 v[84:85], v[84:85], v[86:87], v[90:91]
	v_div_fixup_f64 v[74:75], v[84:85], v[74:75], 1.0
; %bb.376:
	s_or_b64 exec, exec, s[0:1]
	v_cmp_ne_u32_e32 vcc, v79, v76
	s_and_saveexec_b64 s[0:1], vcc
	s_xor_b64 s[0:1], exec, s[0:1]
	s_cbranch_execz .LBB68_382
; %bb.377:
	v_cmp_eq_u32_e32 vcc, 22, v79
	s_and_saveexec_b64 s[2:3], vcc
	s_cbranch_execz .LBB68_381
; %bb.378:
	v_cmp_ne_u32_e32 vcc, 22, v76
	s_xor_b64 s[14:15], s[6:7], -1
	s_and_b64 s[16:17], s[14:15], vcc
	s_and_saveexec_b64 s[14:15], s[16:17]
	s_cbranch_execz .LBB68_380
; %bb.379:
	v_ashrrev_i32_e32 v77, 31, v76
	v_lshlrev_b64 v[84:85], 2, v[76:77]
	v_add_co_u32_e32 v84, vcc, v4, v84
	v_addc_co_u32_e32 v85, vcc, v5, v85, vcc
	flat_load_dword v77, v[84:85]
	flat_load_dword v79, v[4:5] offset:88
	s_waitcnt vmcnt(0) lgkmcnt(0)
	flat_store_dword v[4:5], v77 offset:88
	flat_store_dword v[84:85], v79
.LBB68_380:
	s_or_b64 exec, exec, s[14:15]
	v_mov_b32_e32 v77, v76
	v_mov_b32_e32 v79, v76
.LBB68_381:
	s_or_b64 exec, exec, s[2:3]
.LBB68_382:
	s_andn2_saveexec_b64 s[0:1], s[0:1]
	s_cbranch_execz .LBB68_384
; %bb.383:
	v_mov_b32_e32 v79, 22
	ds_write2_b64 v78, v[24:25], v[22:23] offset0:23 offset1:24
	ds_write2_b64 v78, v[20:21], v[18:19] offset0:25 offset1:26
	;; [unrolled: 1-line block ×6, first 2 shown]
.LBB68_384:
	s_or_b64 exec, exec, s[0:1]
	v_cmp_lt_i32_e32 vcc, 22, v79
	s_waitcnt lgkmcnt(0)
	s_barrier
	s_and_saveexec_b64 s[0:1], vcc
	s_cbranch_execz .LBB68_386
; %bb.385:
	ds_read2_b64 v[84:87], v78 offset0:23 offset1:24
	ds_read2_b64 v[88:91], v78 offset0:25 offset1:26
	;; [unrolled: 1-line block ×3, first 2 shown]
	v_mul_f64 v[26:27], v[74:75], v[26:27]
	s_waitcnt lgkmcnt(0)
	v_fma_f64 v[24:25], -v[26:27], v[84:85], v[24:25]
	v_fma_f64 v[22:23], -v[26:27], v[86:87], v[22:23]
	ds_read2_b64 v[84:87], v78 offset0:29 offset1:30
	v_fma_f64 v[20:21], -v[26:27], v[88:89], v[20:21]
	v_fma_f64 v[18:19], -v[26:27], v[90:91], v[18:19]
	;; [unrolled: 1-line block ×3, first 2 shown]
	ds_read2_b64 v[88:91], v78 offset0:31 offset1:32
	v_fma_f64 v[14:15], -v[26:27], v[94:95], v[14:15]
	ds_read2_b64 v[92:95], v78 offset0:33 offset1:34
	s_waitcnt lgkmcnt(0)
	v_fma_f64 v[10:11], -v[26:27], v[84:85], v[10:11]
	v_fma_f64 v[12:13], -v[26:27], v[86:87], v[12:13]
	;; [unrolled: 1-line block ×6, first 2 shown]
.LBB68_386:
	s_or_b64 exec, exec, s[0:1]
	v_lshl_add_u32 v74, v79, 3, v78
	s_barrier
	ds_write_b64 v74, v[24:25]
	s_waitcnt lgkmcnt(0)
	s_barrier
	ds_read_b64 v[74:75], v78 offset:184
	s_cmp_lt_i32 s18, 25
	v_mov_b32_e32 v76, 23
	s_cbranch_scc1 .LBB68_389
; %bb.387:
	v_add_u32_e32 v83, 0xc0, v78
	s_mov_b32 s0, 24
	v_mov_b32_e32 v76, 23
.LBB68_388:                             ; =>This Inner Loop Header: Depth=1
	ds_read_b64 v[84:85], v83
	v_mov_b32_e32 v86, s0
	s_add_i32 s0, s0, 1
	v_add_u32_e32 v83, 8, v83
	s_cmp_lg_u32 s18, s0
	s_waitcnt lgkmcnt(0)
	v_cmp_lt_f64_e64 vcc, |v[74:75]|, |v[84:85]|
	v_cndmask_b32_e32 v75, v75, v85, vcc
	v_cndmask_b32_e32 v74, v74, v84, vcc
	v_cndmask_b32_e32 v76, v76, v86, vcc
	s_cbranch_scc1 .LBB68_388
.LBB68_389:
	s_waitcnt lgkmcnt(0)
	v_cmp_eq_f64_e32 vcc, 0, v[74:75]
	s_and_saveexec_b64 s[0:1], vcc
	s_xor_b64 s[0:1], exec, s[0:1]
; %bb.390:
	v_cmp_ne_u32_e32 vcc, 0, v82
	v_cndmask_b32_e32 v82, 24, v82, vcc
; %bb.391:
	s_andn2_saveexec_b64 s[0:1], s[0:1]
; %bb.392:
	v_div_scale_f64 v[84:85], s[2:3], v[74:75], v[74:75], 1.0
	v_rcp_f64_e32 v[86:87], v[84:85]
	v_div_scale_f64 v[88:89], vcc, 1.0, v[74:75], 1.0
	v_fma_f64 v[90:91], -v[84:85], v[86:87], 1.0
	v_fmac_f64_e32 v[86:87], v[86:87], v[90:91]
	v_fma_f64 v[90:91], -v[84:85], v[86:87], 1.0
	v_fmac_f64_e32 v[86:87], v[86:87], v[90:91]
	v_mul_f64 v[90:91], v[88:89], v[86:87]
	v_fma_f64 v[84:85], -v[84:85], v[90:91], v[88:89]
	v_div_fmas_f64 v[84:85], v[84:85], v[86:87], v[90:91]
	v_div_fixup_f64 v[74:75], v[84:85], v[74:75], 1.0
; %bb.393:
	s_or_b64 exec, exec, s[0:1]
	v_cmp_ne_u32_e32 vcc, v79, v76
	s_and_saveexec_b64 s[0:1], vcc
	s_xor_b64 s[0:1], exec, s[0:1]
	s_cbranch_execz .LBB68_399
; %bb.394:
	v_cmp_eq_u32_e32 vcc, 23, v79
	s_and_saveexec_b64 s[2:3], vcc
	s_cbranch_execz .LBB68_398
; %bb.395:
	v_cmp_ne_u32_e32 vcc, 23, v76
	s_xor_b64 s[14:15], s[6:7], -1
	s_and_b64 s[16:17], s[14:15], vcc
	s_and_saveexec_b64 s[14:15], s[16:17]
	s_cbranch_execz .LBB68_397
; %bb.396:
	v_ashrrev_i32_e32 v77, 31, v76
	v_lshlrev_b64 v[84:85], 2, v[76:77]
	v_add_co_u32_e32 v84, vcc, v4, v84
	v_addc_co_u32_e32 v85, vcc, v5, v85, vcc
	flat_load_dword v77, v[84:85]
	flat_load_dword v79, v[4:5] offset:92
	s_waitcnt vmcnt(0) lgkmcnt(0)
	flat_store_dword v[4:5], v77 offset:92
	flat_store_dword v[84:85], v79
.LBB68_397:
	s_or_b64 exec, exec, s[14:15]
	v_mov_b32_e32 v77, v76
	v_mov_b32_e32 v79, v76
.LBB68_398:
	s_or_b64 exec, exec, s[2:3]
.LBB68_399:
	s_andn2_saveexec_b64 s[0:1], s[0:1]
	s_cbranch_execz .LBB68_401
; %bb.400:
	v_mov_b32_e32 v84, v22
	v_mov_b32_e32 v85, v23
	v_mov_b32_e32 v86, v20
	v_mov_b32_e32 v87, v21
	ds_write2_b64 v78, v[84:85], v[86:87] offset0:24 offset1:25
	v_mov_b32_e32 v84, v18
	v_mov_b32_e32 v85, v19
	v_mov_b32_e32 v86, v16
	v_mov_b32_e32 v87, v17
	ds_write2_b64 v78, v[84:85], v[86:87] offset0:26 offset1:27
	;; [unrolled: 5-line block ×4, first 2 shown]
	v_mov_b32_e32 v84, v6
	v_mov_b32_e32 v85, v7
	;; [unrolled: 1-line block ×5, first 2 shown]
	ds_write2_b64 v78, v[84:85], v[86:87] offset0:32 offset1:33
	ds_write_b64 v78, v[72:73] offset:272
.LBB68_401:
	s_or_b64 exec, exec, s[0:1]
	v_cmp_lt_i32_e32 vcc, 23, v79
	s_waitcnt lgkmcnt(0)
	s_barrier
	s_and_saveexec_b64 s[0:1], vcc
	s_cbranch_execz .LBB68_403
; %bb.402:
	ds_read2_b64 v[84:87], v78 offset0:24 offset1:25
	ds_read2_b64 v[88:91], v78 offset0:26 offset1:27
	v_mul_f64 v[24:25], v[74:75], v[24:25]
	ds_read2_b64 v[92:95], v78 offset0:28 offset1:29
	ds_read_b64 v[74:75], v78 offset:272
	s_waitcnt lgkmcnt(0)
	v_fma_f64 v[22:23], -v[24:25], v[84:85], v[22:23]
	v_fma_f64 v[20:21], -v[24:25], v[86:87], v[20:21]
	ds_read2_b64 v[84:87], v78 offset0:30 offset1:31
	v_fma_f64 v[18:19], -v[24:25], v[88:89], v[18:19]
	v_fma_f64 v[16:17], -v[24:25], v[90:91], v[16:17]
	ds_read2_b64 v[88:91], v78 offset0:32 offset1:33
	v_fma_f64 v[14:15], -v[24:25], v[92:93], v[14:15]
	v_fma_f64 v[10:11], -v[24:25], v[94:95], v[10:11]
	s_waitcnt lgkmcnt(0)
	v_fma_f64 v[12:13], -v[24:25], v[84:85], v[12:13]
	v_fma_f64 v[8:9], -v[24:25], v[86:87], v[8:9]
	;; [unrolled: 1-line block ×5, first 2 shown]
.LBB68_403:
	s_or_b64 exec, exec, s[0:1]
	v_lshl_add_u32 v74, v79, 3, v78
	s_barrier
	ds_write_b64 v74, v[22:23]
	s_waitcnt lgkmcnt(0)
	s_barrier
	ds_read_b64 v[74:75], v78 offset:192
	s_cmp_lt_i32 s18, 26
	v_mov_b32_e32 v76, 24
	s_cbranch_scc1 .LBB68_406
; %bb.404:
	v_add_u32_e32 v83, 0xc8, v78
	s_mov_b32 s0, 25
	v_mov_b32_e32 v76, 24
.LBB68_405:                             ; =>This Inner Loop Header: Depth=1
	ds_read_b64 v[84:85], v83
	v_mov_b32_e32 v86, s0
	s_add_i32 s0, s0, 1
	v_add_u32_e32 v83, 8, v83
	s_cmp_lg_u32 s18, s0
	s_waitcnt lgkmcnt(0)
	v_cmp_lt_f64_e64 vcc, |v[74:75]|, |v[84:85]|
	v_cndmask_b32_e32 v75, v75, v85, vcc
	v_cndmask_b32_e32 v74, v74, v84, vcc
	;; [unrolled: 1-line block ×3, first 2 shown]
	s_cbranch_scc1 .LBB68_405
.LBB68_406:
	s_waitcnt lgkmcnt(0)
	v_cmp_eq_f64_e32 vcc, 0, v[74:75]
	s_and_saveexec_b64 s[0:1], vcc
	s_xor_b64 s[0:1], exec, s[0:1]
; %bb.407:
	v_cmp_ne_u32_e32 vcc, 0, v82
	v_cndmask_b32_e32 v82, 25, v82, vcc
; %bb.408:
	s_andn2_saveexec_b64 s[0:1], s[0:1]
; %bb.409:
	v_div_scale_f64 v[84:85], s[2:3], v[74:75], v[74:75], 1.0
	v_rcp_f64_e32 v[86:87], v[84:85]
	v_div_scale_f64 v[88:89], vcc, 1.0, v[74:75], 1.0
	v_fma_f64 v[90:91], -v[84:85], v[86:87], 1.0
	v_fmac_f64_e32 v[86:87], v[86:87], v[90:91]
	v_fma_f64 v[90:91], -v[84:85], v[86:87], 1.0
	v_fmac_f64_e32 v[86:87], v[86:87], v[90:91]
	v_mul_f64 v[90:91], v[88:89], v[86:87]
	v_fma_f64 v[84:85], -v[84:85], v[90:91], v[88:89]
	v_div_fmas_f64 v[84:85], v[84:85], v[86:87], v[90:91]
	v_div_fixup_f64 v[74:75], v[84:85], v[74:75], 1.0
; %bb.410:
	s_or_b64 exec, exec, s[0:1]
	v_cmp_ne_u32_e32 vcc, v79, v76
	s_and_saveexec_b64 s[0:1], vcc
	s_xor_b64 s[0:1], exec, s[0:1]
	s_cbranch_execz .LBB68_416
; %bb.411:
	v_cmp_eq_u32_e32 vcc, 24, v79
	s_and_saveexec_b64 s[2:3], vcc
	s_cbranch_execz .LBB68_415
; %bb.412:
	v_cmp_ne_u32_e32 vcc, 24, v76
	s_xor_b64 s[14:15], s[6:7], -1
	s_and_b64 s[16:17], s[14:15], vcc
	s_and_saveexec_b64 s[14:15], s[16:17]
	s_cbranch_execz .LBB68_414
; %bb.413:
	v_ashrrev_i32_e32 v77, 31, v76
	v_lshlrev_b64 v[84:85], 2, v[76:77]
	v_add_co_u32_e32 v84, vcc, v4, v84
	v_addc_co_u32_e32 v85, vcc, v5, v85, vcc
	flat_load_dword v77, v[84:85]
	flat_load_dword v79, v[4:5] offset:96
	s_waitcnt vmcnt(0) lgkmcnt(0)
	flat_store_dword v[4:5], v77 offset:96
	flat_store_dword v[84:85], v79
.LBB68_414:
	s_or_b64 exec, exec, s[14:15]
	v_mov_b32_e32 v77, v76
	v_mov_b32_e32 v79, v76
.LBB68_415:
	s_or_b64 exec, exec, s[2:3]
.LBB68_416:
	s_andn2_saveexec_b64 s[0:1], s[0:1]
	s_cbranch_execz .LBB68_418
; %bb.417:
	v_mov_b32_e32 v79, 24
	ds_write2_b64 v78, v[20:21], v[18:19] offset0:25 offset1:26
	ds_write2_b64 v78, v[16:17], v[14:15] offset0:27 offset1:28
	;; [unrolled: 1-line block ×5, first 2 shown]
.LBB68_418:
	s_or_b64 exec, exec, s[0:1]
	v_cmp_lt_i32_e32 vcc, 24, v79
	s_waitcnt lgkmcnt(0)
	s_barrier
	s_and_saveexec_b64 s[0:1], vcc
	s_cbranch_execz .LBB68_420
; %bb.419:
	ds_read2_b64 v[84:87], v78 offset0:25 offset1:26
	ds_read2_b64 v[88:91], v78 offset0:27 offset1:28
	v_mul_f64 v[22:23], v[74:75], v[22:23]
	ds_read2_b64 v[92:95], v78 offset0:31 offset1:32
	s_waitcnt lgkmcnt(0)
	v_fma_f64 v[20:21], -v[22:23], v[84:85], v[20:21]
	v_fma_f64 v[18:19], -v[22:23], v[86:87], v[18:19]
	ds_read2_b64 v[84:87], v78 offset0:29 offset1:30
	v_fma_f64 v[16:17], -v[22:23], v[88:89], v[16:17]
	v_fma_f64 v[14:15], -v[22:23], v[90:91], v[14:15]
	ds_read2_b64 v[88:91], v78 offset0:33 offset1:34
	v_fma_f64 v[8:9], -v[22:23], v[92:93], v[8:9]
	s_waitcnt lgkmcnt(0)
	v_fma_f64 v[10:11], -v[22:23], v[84:85], v[10:11]
	v_fma_f64 v[12:13], -v[22:23], v[86:87], v[12:13]
	;; [unrolled: 1-line block ×5, first 2 shown]
.LBB68_420:
	s_or_b64 exec, exec, s[0:1]
	v_lshl_add_u32 v74, v79, 3, v78
	s_barrier
	ds_write_b64 v74, v[20:21]
	s_waitcnt lgkmcnt(0)
	s_barrier
	ds_read_b64 v[74:75], v78 offset:200
	s_cmp_lt_i32 s18, 27
	v_mov_b32_e32 v76, 25
	s_cbranch_scc1 .LBB68_423
; %bb.421:
	v_add_u32_e32 v83, 0xd0, v78
	s_mov_b32 s0, 26
	v_mov_b32_e32 v76, 25
.LBB68_422:                             ; =>This Inner Loop Header: Depth=1
	ds_read_b64 v[84:85], v83
	v_mov_b32_e32 v86, s0
	s_add_i32 s0, s0, 1
	v_add_u32_e32 v83, 8, v83
	s_cmp_lg_u32 s18, s0
	s_waitcnt lgkmcnt(0)
	v_cmp_lt_f64_e64 vcc, |v[74:75]|, |v[84:85]|
	v_cndmask_b32_e32 v75, v75, v85, vcc
	v_cndmask_b32_e32 v74, v74, v84, vcc
	;; [unrolled: 1-line block ×3, first 2 shown]
	s_cbranch_scc1 .LBB68_422
.LBB68_423:
	s_waitcnt lgkmcnt(0)
	v_cmp_eq_f64_e32 vcc, 0, v[74:75]
	s_and_saveexec_b64 s[0:1], vcc
	s_xor_b64 s[0:1], exec, s[0:1]
; %bb.424:
	v_cmp_ne_u32_e32 vcc, 0, v82
	v_cndmask_b32_e32 v82, 26, v82, vcc
; %bb.425:
	s_andn2_saveexec_b64 s[0:1], s[0:1]
; %bb.426:
	v_div_scale_f64 v[84:85], s[2:3], v[74:75], v[74:75], 1.0
	v_rcp_f64_e32 v[86:87], v[84:85]
	v_div_scale_f64 v[88:89], vcc, 1.0, v[74:75], 1.0
	v_fma_f64 v[90:91], -v[84:85], v[86:87], 1.0
	v_fmac_f64_e32 v[86:87], v[86:87], v[90:91]
	v_fma_f64 v[90:91], -v[84:85], v[86:87], 1.0
	v_fmac_f64_e32 v[86:87], v[86:87], v[90:91]
	v_mul_f64 v[90:91], v[88:89], v[86:87]
	v_fma_f64 v[84:85], -v[84:85], v[90:91], v[88:89]
	v_div_fmas_f64 v[84:85], v[84:85], v[86:87], v[90:91]
	v_div_fixup_f64 v[74:75], v[84:85], v[74:75], 1.0
; %bb.427:
	s_or_b64 exec, exec, s[0:1]
	v_cmp_ne_u32_e32 vcc, v79, v76
	s_and_saveexec_b64 s[0:1], vcc
	s_xor_b64 s[0:1], exec, s[0:1]
	s_cbranch_execz .LBB68_433
; %bb.428:
	v_cmp_eq_u32_e32 vcc, 25, v79
	s_and_saveexec_b64 s[2:3], vcc
	s_cbranch_execz .LBB68_432
; %bb.429:
	v_cmp_ne_u32_e32 vcc, 25, v76
	s_xor_b64 s[14:15], s[6:7], -1
	s_and_b64 s[16:17], s[14:15], vcc
	s_and_saveexec_b64 s[14:15], s[16:17]
	s_cbranch_execz .LBB68_431
; %bb.430:
	v_ashrrev_i32_e32 v77, 31, v76
	v_lshlrev_b64 v[84:85], 2, v[76:77]
	v_add_co_u32_e32 v84, vcc, v4, v84
	v_addc_co_u32_e32 v85, vcc, v5, v85, vcc
	flat_load_dword v77, v[84:85]
	flat_load_dword v79, v[4:5] offset:100
	s_waitcnt vmcnt(0) lgkmcnt(0)
	flat_store_dword v[4:5], v77 offset:100
	flat_store_dword v[84:85], v79
.LBB68_431:
	s_or_b64 exec, exec, s[14:15]
	v_mov_b32_e32 v77, v76
	v_mov_b32_e32 v79, v76
.LBB68_432:
	s_or_b64 exec, exec, s[2:3]
.LBB68_433:
	s_andn2_saveexec_b64 s[0:1], s[0:1]
	s_cbranch_execz .LBB68_435
; %bb.434:
	v_mov_b32_e32 v84, v18
	v_mov_b32_e32 v85, v19
	v_mov_b32_e32 v86, v16
	v_mov_b32_e32 v87, v17
	ds_write2_b64 v78, v[84:85], v[86:87] offset0:26 offset1:27
	v_mov_b32_e32 v84, v14
	v_mov_b32_e32 v85, v15
	v_mov_b32_e32 v86, v10
	v_mov_b32_e32 v87, v11
	ds_write2_b64 v78, v[84:85], v[86:87] offset0:28 offset1:29
	;; [unrolled: 5-line block ×3, first 2 shown]
	v_mov_b32_e32 v84, v6
	v_mov_b32_e32 v85, v7
	;; [unrolled: 1-line block ×5, first 2 shown]
	ds_write2_b64 v78, v[84:85], v[86:87] offset0:32 offset1:33
	ds_write_b64 v78, v[72:73] offset:272
.LBB68_435:
	s_or_b64 exec, exec, s[0:1]
	v_cmp_lt_i32_e32 vcc, 25, v79
	s_waitcnt lgkmcnt(0)
	s_barrier
	s_and_saveexec_b64 s[0:1], vcc
	s_cbranch_execz .LBB68_437
; %bb.436:
	ds_read2_b64 v[84:87], v78 offset0:26 offset1:27
	ds_read2_b64 v[88:91], v78 offset0:28 offset1:29
	v_mul_f64 v[20:21], v[74:75], v[20:21]
	ds_read_b64 v[74:75], v78 offset:272
	ds_read2_b64 v[92:95], v78 offset0:32 offset1:33
	s_waitcnt lgkmcnt(0)
	v_fma_f64 v[18:19], -v[20:21], v[84:85], v[18:19]
	v_fma_f64 v[16:17], -v[20:21], v[86:87], v[16:17]
	ds_read2_b64 v[84:87], v78 offset0:30 offset1:31
	v_fma_f64 v[14:15], -v[20:21], v[88:89], v[14:15]
	v_fma_f64 v[10:11], -v[20:21], v[90:91], v[10:11]
	;; [unrolled: 1-line block ×4, first 2 shown]
	s_waitcnt lgkmcnt(0)
	v_fma_f64 v[12:13], -v[20:21], v[84:85], v[12:13]
	v_fma_f64 v[8:9], -v[20:21], v[86:87], v[8:9]
	;; [unrolled: 1-line block ×3, first 2 shown]
.LBB68_437:
	s_or_b64 exec, exec, s[0:1]
	v_lshl_add_u32 v74, v79, 3, v78
	s_barrier
	ds_write_b64 v74, v[18:19]
	s_waitcnt lgkmcnt(0)
	s_barrier
	ds_read_b64 v[74:75], v78 offset:208
	s_cmp_lt_i32 s18, 28
	v_mov_b32_e32 v76, 26
	s_cbranch_scc1 .LBB68_440
; %bb.438:
	v_add_u32_e32 v83, 0xd8, v78
	s_mov_b32 s0, 27
	v_mov_b32_e32 v76, 26
.LBB68_439:                             ; =>This Inner Loop Header: Depth=1
	ds_read_b64 v[84:85], v83
	v_mov_b32_e32 v86, s0
	s_add_i32 s0, s0, 1
	v_add_u32_e32 v83, 8, v83
	s_cmp_lg_u32 s18, s0
	s_waitcnt lgkmcnt(0)
	v_cmp_lt_f64_e64 vcc, |v[74:75]|, |v[84:85]|
	v_cndmask_b32_e32 v75, v75, v85, vcc
	v_cndmask_b32_e32 v74, v74, v84, vcc
	;; [unrolled: 1-line block ×3, first 2 shown]
	s_cbranch_scc1 .LBB68_439
.LBB68_440:
	s_waitcnt lgkmcnt(0)
	v_cmp_eq_f64_e32 vcc, 0, v[74:75]
	s_and_saveexec_b64 s[0:1], vcc
	s_xor_b64 s[0:1], exec, s[0:1]
; %bb.441:
	v_cmp_ne_u32_e32 vcc, 0, v82
	v_cndmask_b32_e32 v82, 27, v82, vcc
; %bb.442:
	s_andn2_saveexec_b64 s[0:1], s[0:1]
; %bb.443:
	v_div_scale_f64 v[84:85], s[2:3], v[74:75], v[74:75], 1.0
	v_rcp_f64_e32 v[86:87], v[84:85]
	v_div_scale_f64 v[88:89], vcc, 1.0, v[74:75], 1.0
	v_fma_f64 v[90:91], -v[84:85], v[86:87], 1.0
	v_fmac_f64_e32 v[86:87], v[86:87], v[90:91]
	v_fma_f64 v[90:91], -v[84:85], v[86:87], 1.0
	v_fmac_f64_e32 v[86:87], v[86:87], v[90:91]
	v_mul_f64 v[90:91], v[88:89], v[86:87]
	v_fma_f64 v[84:85], -v[84:85], v[90:91], v[88:89]
	v_div_fmas_f64 v[84:85], v[84:85], v[86:87], v[90:91]
	v_div_fixup_f64 v[74:75], v[84:85], v[74:75], 1.0
; %bb.444:
	s_or_b64 exec, exec, s[0:1]
	v_cmp_ne_u32_e32 vcc, v79, v76
	s_and_saveexec_b64 s[0:1], vcc
	s_xor_b64 s[0:1], exec, s[0:1]
	s_cbranch_execz .LBB68_450
; %bb.445:
	v_cmp_eq_u32_e32 vcc, 26, v79
	s_and_saveexec_b64 s[2:3], vcc
	s_cbranch_execz .LBB68_449
; %bb.446:
	v_cmp_ne_u32_e32 vcc, 26, v76
	s_xor_b64 s[14:15], s[6:7], -1
	s_and_b64 s[16:17], s[14:15], vcc
	s_and_saveexec_b64 s[14:15], s[16:17]
	s_cbranch_execz .LBB68_448
; %bb.447:
	v_ashrrev_i32_e32 v77, 31, v76
	v_lshlrev_b64 v[84:85], 2, v[76:77]
	v_add_co_u32_e32 v84, vcc, v4, v84
	v_addc_co_u32_e32 v85, vcc, v5, v85, vcc
	flat_load_dword v77, v[84:85]
	flat_load_dword v79, v[4:5] offset:104
	s_waitcnt vmcnt(0) lgkmcnt(0)
	flat_store_dword v[4:5], v77 offset:104
	flat_store_dword v[84:85], v79
.LBB68_448:
	s_or_b64 exec, exec, s[14:15]
	v_mov_b32_e32 v77, v76
	v_mov_b32_e32 v79, v76
.LBB68_449:
	s_or_b64 exec, exec, s[2:3]
.LBB68_450:
	s_andn2_saveexec_b64 s[0:1], s[0:1]
	s_cbranch_execz .LBB68_452
; %bb.451:
	v_mov_b32_e32 v79, 26
	ds_write2_b64 v78, v[16:17], v[14:15] offset0:27 offset1:28
	ds_write2_b64 v78, v[10:11], v[12:13] offset0:29 offset1:30
	;; [unrolled: 1-line block ×4, first 2 shown]
.LBB68_452:
	s_or_b64 exec, exec, s[0:1]
	v_cmp_lt_i32_e32 vcc, 26, v79
	s_waitcnt lgkmcnt(0)
	s_barrier
	s_and_saveexec_b64 s[0:1], vcc
	s_cbranch_execz .LBB68_454
; %bb.453:
	ds_read2_b64 v[84:87], v78 offset0:27 offset1:28
	ds_read2_b64 v[88:91], v78 offset0:29 offset1:30
	v_mul_f64 v[18:19], v[74:75], v[18:19]
	ds_read2_b64 v[92:95], v78 offset0:31 offset1:32
	s_waitcnt lgkmcnt(0)
	v_fma_f64 v[16:17], -v[18:19], v[84:85], v[16:17]
	v_fma_f64 v[14:15], -v[18:19], v[86:87], v[14:15]
	ds_read2_b64 v[84:87], v78 offset0:33 offset1:34
	v_fma_f64 v[10:11], -v[18:19], v[88:89], v[10:11]
	v_fma_f64 v[12:13], -v[18:19], v[90:91], v[12:13]
	;; [unrolled: 1-line block ×4, first 2 shown]
	s_waitcnt lgkmcnt(0)
	v_fma_f64 v[0:1], -v[18:19], v[84:85], v[0:1]
	v_fma_f64 v[72:73], -v[18:19], v[86:87], v[72:73]
.LBB68_454:
	s_or_b64 exec, exec, s[0:1]
	v_lshl_add_u32 v74, v79, 3, v78
	s_barrier
	ds_write_b64 v74, v[16:17]
	s_waitcnt lgkmcnt(0)
	s_barrier
	ds_read_b64 v[74:75], v78 offset:216
	s_cmp_lt_i32 s18, 29
	v_mov_b32_e32 v76, 27
	s_cbranch_scc1 .LBB68_457
; %bb.455:
	v_add_u32_e32 v83, 0xe0, v78
	s_mov_b32 s0, 28
	v_mov_b32_e32 v76, 27
.LBB68_456:                             ; =>This Inner Loop Header: Depth=1
	ds_read_b64 v[84:85], v83
	v_mov_b32_e32 v86, s0
	s_add_i32 s0, s0, 1
	v_add_u32_e32 v83, 8, v83
	s_cmp_lg_u32 s18, s0
	s_waitcnt lgkmcnt(0)
	v_cmp_lt_f64_e64 vcc, |v[74:75]|, |v[84:85]|
	v_cndmask_b32_e32 v75, v75, v85, vcc
	v_cndmask_b32_e32 v74, v74, v84, vcc
	;; [unrolled: 1-line block ×3, first 2 shown]
	s_cbranch_scc1 .LBB68_456
.LBB68_457:
	s_waitcnt lgkmcnt(0)
	v_cmp_eq_f64_e32 vcc, 0, v[74:75]
	s_and_saveexec_b64 s[0:1], vcc
	s_xor_b64 s[0:1], exec, s[0:1]
; %bb.458:
	v_cmp_ne_u32_e32 vcc, 0, v82
	v_cndmask_b32_e32 v82, 28, v82, vcc
; %bb.459:
	s_andn2_saveexec_b64 s[0:1], s[0:1]
; %bb.460:
	v_div_scale_f64 v[84:85], s[2:3], v[74:75], v[74:75], 1.0
	v_rcp_f64_e32 v[86:87], v[84:85]
	v_div_scale_f64 v[88:89], vcc, 1.0, v[74:75], 1.0
	v_fma_f64 v[90:91], -v[84:85], v[86:87], 1.0
	v_fmac_f64_e32 v[86:87], v[86:87], v[90:91]
	v_fma_f64 v[90:91], -v[84:85], v[86:87], 1.0
	v_fmac_f64_e32 v[86:87], v[86:87], v[90:91]
	v_mul_f64 v[90:91], v[88:89], v[86:87]
	v_fma_f64 v[84:85], -v[84:85], v[90:91], v[88:89]
	v_div_fmas_f64 v[84:85], v[84:85], v[86:87], v[90:91]
	v_div_fixup_f64 v[74:75], v[84:85], v[74:75], 1.0
; %bb.461:
	s_or_b64 exec, exec, s[0:1]
	v_cmp_ne_u32_e32 vcc, v79, v76
	s_and_saveexec_b64 s[0:1], vcc
	s_xor_b64 s[0:1], exec, s[0:1]
	s_cbranch_execz .LBB68_467
; %bb.462:
	v_cmp_eq_u32_e32 vcc, 27, v79
	s_and_saveexec_b64 s[2:3], vcc
	s_cbranch_execz .LBB68_466
; %bb.463:
	v_cmp_ne_u32_e32 vcc, 27, v76
	s_xor_b64 s[14:15], s[6:7], -1
	s_and_b64 s[16:17], s[14:15], vcc
	s_and_saveexec_b64 s[14:15], s[16:17]
	s_cbranch_execz .LBB68_465
; %bb.464:
	v_ashrrev_i32_e32 v77, 31, v76
	v_lshlrev_b64 v[84:85], 2, v[76:77]
	v_add_co_u32_e32 v84, vcc, v4, v84
	v_addc_co_u32_e32 v85, vcc, v5, v85, vcc
	flat_load_dword v77, v[84:85]
	flat_load_dword v79, v[4:5] offset:108
	s_waitcnt vmcnt(0) lgkmcnt(0)
	flat_store_dword v[4:5], v77 offset:108
	flat_store_dword v[84:85], v79
.LBB68_465:
	s_or_b64 exec, exec, s[14:15]
	v_mov_b32_e32 v77, v76
	v_mov_b32_e32 v79, v76
.LBB68_466:
	s_or_b64 exec, exec, s[2:3]
.LBB68_467:
	s_andn2_saveexec_b64 s[0:1], s[0:1]
	s_cbranch_execz .LBB68_469
; %bb.468:
	v_mov_b32_e32 v84, v14
	v_mov_b32_e32 v85, v15
	;; [unrolled: 1-line block ×4, first 2 shown]
	ds_write2_b64 v78, v[84:85], v[86:87] offset0:28 offset1:29
	v_mov_b32_e32 v84, v12
	v_mov_b32_e32 v85, v13
	;; [unrolled: 1-line block ×4, first 2 shown]
	ds_write2_b64 v78, v[84:85], v[86:87] offset0:30 offset1:31
	v_mov_b32_e32 v84, v6
	v_mov_b32_e32 v85, v7
	;; [unrolled: 1-line block ×5, first 2 shown]
	ds_write2_b64 v78, v[84:85], v[86:87] offset0:32 offset1:33
	ds_write_b64 v78, v[72:73] offset:272
.LBB68_469:
	s_or_b64 exec, exec, s[0:1]
	v_cmp_lt_i32_e32 vcc, 27, v79
	s_waitcnt lgkmcnt(0)
	s_barrier
	s_and_saveexec_b64 s[0:1], vcc
	s_cbranch_execz .LBB68_471
; %bb.470:
	ds_read2_b64 v[84:87], v78 offset0:28 offset1:29
	ds_read2_b64 v[88:91], v78 offset0:30 offset1:31
	v_mul_f64 v[16:17], v[74:75], v[16:17]
	ds_read2_b64 v[92:95], v78 offset0:32 offset1:33
	ds_read_b64 v[74:75], v78 offset:272
	s_waitcnt lgkmcnt(0)
	v_fma_f64 v[14:15], -v[16:17], v[84:85], v[14:15]
	v_fma_f64 v[10:11], -v[16:17], v[86:87], v[10:11]
	;; [unrolled: 1-line block ×7, first 2 shown]
.LBB68_471:
	s_or_b64 exec, exec, s[0:1]
	v_lshl_add_u32 v74, v79, 3, v78
	s_barrier
	ds_write_b64 v74, v[14:15]
	s_waitcnt lgkmcnt(0)
	s_barrier
	ds_read_b64 v[74:75], v78 offset:224
	s_cmp_lt_i32 s18, 30
	v_mov_b32_e32 v76, 28
	s_cbranch_scc1 .LBB68_474
; %bb.472:
	v_add_u32_e32 v83, 0xe8, v78
	s_mov_b32 s0, 29
	v_mov_b32_e32 v76, 28
.LBB68_473:                             ; =>This Inner Loop Header: Depth=1
	ds_read_b64 v[84:85], v83
	v_mov_b32_e32 v86, s0
	s_add_i32 s0, s0, 1
	v_add_u32_e32 v83, 8, v83
	s_cmp_lg_u32 s18, s0
	s_waitcnt lgkmcnt(0)
	v_cmp_lt_f64_e64 vcc, |v[74:75]|, |v[84:85]|
	v_cndmask_b32_e32 v75, v75, v85, vcc
	v_cndmask_b32_e32 v74, v74, v84, vcc
	;; [unrolled: 1-line block ×3, first 2 shown]
	s_cbranch_scc1 .LBB68_473
.LBB68_474:
	s_waitcnt lgkmcnt(0)
	v_cmp_eq_f64_e32 vcc, 0, v[74:75]
	s_and_saveexec_b64 s[0:1], vcc
	s_xor_b64 s[0:1], exec, s[0:1]
; %bb.475:
	v_cmp_ne_u32_e32 vcc, 0, v82
	v_cndmask_b32_e32 v82, 29, v82, vcc
; %bb.476:
	s_andn2_saveexec_b64 s[0:1], s[0:1]
; %bb.477:
	v_div_scale_f64 v[84:85], s[2:3], v[74:75], v[74:75], 1.0
	v_rcp_f64_e32 v[86:87], v[84:85]
	v_div_scale_f64 v[88:89], vcc, 1.0, v[74:75], 1.0
	v_fma_f64 v[90:91], -v[84:85], v[86:87], 1.0
	v_fmac_f64_e32 v[86:87], v[86:87], v[90:91]
	v_fma_f64 v[90:91], -v[84:85], v[86:87], 1.0
	v_fmac_f64_e32 v[86:87], v[86:87], v[90:91]
	v_mul_f64 v[90:91], v[88:89], v[86:87]
	v_fma_f64 v[84:85], -v[84:85], v[90:91], v[88:89]
	v_div_fmas_f64 v[84:85], v[84:85], v[86:87], v[90:91]
	v_div_fixup_f64 v[74:75], v[84:85], v[74:75], 1.0
; %bb.478:
	s_or_b64 exec, exec, s[0:1]
	v_cmp_ne_u32_e32 vcc, v79, v76
	s_and_saveexec_b64 s[0:1], vcc
	s_xor_b64 s[0:1], exec, s[0:1]
	s_cbranch_execz .LBB68_484
; %bb.479:
	v_cmp_eq_u32_e32 vcc, 28, v79
	s_and_saveexec_b64 s[2:3], vcc
	s_cbranch_execz .LBB68_483
; %bb.480:
	v_cmp_ne_u32_e32 vcc, 28, v76
	s_xor_b64 s[14:15], s[6:7], -1
	s_and_b64 s[16:17], s[14:15], vcc
	s_and_saveexec_b64 s[14:15], s[16:17]
	s_cbranch_execz .LBB68_482
; %bb.481:
	v_ashrrev_i32_e32 v77, 31, v76
	v_lshlrev_b64 v[84:85], 2, v[76:77]
	v_add_co_u32_e32 v84, vcc, v4, v84
	v_addc_co_u32_e32 v85, vcc, v5, v85, vcc
	flat_load_dword v77, v[84:85]
	flat_load_dword v79, v[4:5] offset:112
	s_waitcnt vmcnt(0) lgkmcnt(0)
	flat_store_dword v[4:5], v77 offset:112
	flat_store_dword v[84:85], v79
.LBB68_482:
	s_or_b64 exec, exec, s[14:15]
	v_mov_b32_e32 v77, v76
	v_mov_b32_e32 v79, v76
.LBB68_483:
	s_or_b64 exec, exec, s[2:3]
.LBB68_484:
	s_andn2_saveexec_b64 s[0:1], s[0:1]
	s_cbranch_execz .LBB68_486
; %bb.485:
	v_mov_b32_e32 v79, 28
	ds_write2_b64 v78, v[10:11], v[12:13] offset0:29 offset1:30
	ds_write2_b64 v78, v[8:9], v[6:7] offset0:31 offset1:32
	;; [unrolled: 1-line block ×3, first 2 shown]
.LBB68_486:
	s_or_b64 exec, exec, s[0:1]
	v_cmp_lt_i32_e32 vcc, 28, v79
	s_waitcnt lgkmcnt(0)
	s_barrier
	s_and_saveexec_b64 s[0:1], vcc
	s_cbranch_execz .LBB68_488
; %bb.487:
	ds_read2_b64 v[84:87], v78 offset0:29 offset1:30
	ds_read2_b64 v[88:91], v78 offset0:31 offset1:32
	;; [unrolled: 1-line block ×3, first 2 shown]
	v_mul_f64 v[14:15], v[74:75], v[14:15]
	s_waitcnt lgkmcnt(0)
	v_fma_f64 v[10:11], -v[14:15], v[84:85], v[10:11]
	v_fma_f64 v[12:13], -v[14:15], v[86:87], v[12:13]
	;; [unrolled: 1-line block ×6, first 2 shown]
.LBB68_488:
	s_or_b64 exec, exec, s[0:1]
	v_lshl_add_u32 v74, v79, 3, v78
	s_barrier
	ds_write_b64 v74, v[10:11]
	s_waitcnt lgkmcnt(0)
	s_barrier
	ds_read_b64 v[74:75], v78 offset:232
	s_cmp_lt_i32 s18, 31
	v_mov_b32_e32 v76, 29
	s_cbranch_scc1 .LBB68_491
; %bb.489:
	v_add_u32_e32 v83, 0xf0, v78
	s_mov_b32 s0, 30
	v_mov_b32_e32 v76, 29
.LBB68_490:                             ; =>This Inner Loop Header: Depth=1
	ds_read_b64 v[84:85], v83
	v_mov_b32_e32 v86, s0
	s_add_i32 s0, s0, 1
	v_add_u32_e32 v83, 8, v83
	s_cmp_lg_u32 s18, s0
	s_waitcnt lgkmcnt(0)
	v_cmp_lt_f64_e64 vcc, |v[74:75]|, |v[84:85]|
	v_cndmask_b32_e32 v75, v75, v85, vcc
	v_cndmask_b32_e32 v74, v74, v84, vcc
	;; [unrolled: 1-line block ×3, first 2 shown]
	s_cbranch_scc1 .LBB68_490
.LBB68_491:
	s_waitcnt lgkmcnt(0)
	v_cmp_eq_f64_e32 vcc, 0, v[74:75]
	s_and_saveexec_b64 s[0:1], vcc
	s_xor_b64 s[0:1], exec, s[0:1]
; %bb.492:
	v_cmp_ne_u32_e32 vcc, 0, v82
	v_cndmask_b32_e32 v82, 30, v82, vcc
; %bb.493:
	s_andn2_saveexec_b64 s[0:1], s[0:1]
; %bb.494:
	v_div_scale_f64 v[84:85], s[2:3], v[74:75], v[74:75], 1.0
	v_rcp_f64_e32 v[86:87], v[84:85]
	v_div_scale_f64 v[88:89], vcc, 1.0, v[74:75], 1.0
	v_fma_f64 v[90:91], -v[84:85], v[86:87], 1.0
	v_fmac_f64_e32 v[86:87], v[86:87], v[90:91]
	v_fma_f64 v[90:91], -v[84:85], v[86:87], 1.0
	v_fmac_f64_e32 v[86:87], v[86:87], v[90:91]
	v_mul_f64 v[90:91], v[88:89], v[86:87]
	v_fma_f64 v[84:85], -v[84:85], v[90:91], v[88:89]
	v_div_fmas_f64 v[84:85], v[84:85], v[86:87], v[90:91]
	v_div_fixup_f64 v[74:75], v[84:85], v[74:75], 1.0
; %bb.495:
	s_or_b64 exec, exec, s[0:1]
	v_cmp_ne_u32_e32 vcc, v79, v76
	s_and_saveexec_b64 s[0:1], vcc
	s_xor_b64 s[0:1], exec, s[0:1]
	s_cbranch_execz .LBB68_501
; %bb.496:
	v_cmp_eq_u32_e32 vcc, 29, v79
	s_and_saveexec_b64 s[2:3], vcc
	s_cbranch_execz .LBB68_500
; %bb.497:
	v_cmp_ne_u32_e32 vcc, 29, v76
	s_xor_b64 s[14:15], s[6:7], -1
	s_and_b64 s[16:17], s[14:15], vcc
	s_and_saveexec_b64 s[14:15], s[16:17]
	s_cbranch_execz .LBB68_499
; %bb.498:
	v_ashrrev_i32_e32 v77, 31, v76
	v_lshlrev_b64 v[84:85], 2, v[76:77]
	v_add_co_u32_e32 v84, vcc, v4, v84
	v_addc_co_u32_e32 v85, vcc, v5, v85, vcc
	flat_load_dword v77, v[84:85]
	flat_load_dword v79, v[4:5] offset:116
	s_waitcnt vmcnt(0) lgkmcnt(0)
	flat_store_dword v[4:5], v77 offset:116
	flat_store_dword v[84:85], v79
.LBB68_499:
	s_or_b64 exec, exec, s[14:15]
	v_mov_b32_e32 v77, v76
	v_mov_b32_e32 v79, v76
.LBB68_500:
	s_or_b64 exec, exec, s[2:3]
.LBB68_501:
	s_andn2_saveexec_b64 s[0:1], s[0:1]
	s_cbranch_execz .LBB68_503
; %bb.502:
	v_mov_b32_e32 v84, v12
	v_mov_b32_e32 v85, v13
	;; [unrolled: 1-line block ×4, first 2 shown]
	ds_write2_b64 v78, v[84:85], v[86:87] offset0:30 offset1:31
	v_mov_b32_e32 v84, v6
	v_mov_b32_e32 v85, v7
	v_mov_b32_e32 v86, v0
	v_mov_b32_e32 v87, v1
	v_mov_b32_e32 v79, 29
	ds_write2_b64 v78, v[84:85], v[86:87] offset0:32 offset1:33
	ds_write_b64 v78, v[72:73] offset:272
.LBB68_503:
	s_or_b64 exec, exec, s[0:1]
	v_cmp_lt_i32_e32 vcc, 29, v79
	s_waitcnt lgkmcnt(0)
	s_barrier
	s_and_saveexec_b64 s[0:1], vcc
	s_cbranch_execz .LBB68_505
; %bb.504:
	ds_read2_b64 v[84:87], v78 offset0:30 offset1:31
	ds_read2_b64 v[88:91], v78 offset0:32 offset1:33
	v_mul_f64 v[10:11], v[74:75], v[10:11]
	ds_read_b64 v[74:75], v78 offset:272
	s_waitcnt lgkmcnt(0)
	v_fma_f64 v[12:13], -v[10:11], v[84:85], v[12:13]
	v_fma_f64 v[8:9], -v[10:11], v[86:87], v[8:9]
	;; [unrolled: 1-line block ×5, first 2 shown]
.LBB68_505:
	s_or_b64 exec, exec, s[0:1]
	v_lshl_add_u32 v74, v79, 3, v78
	s_barrier
	ds_write_b64 v74, v[12:13]
	s_waitcnt lgkmcnt(0)
	s_barrier
	ds_read_b64 v[74:75], v78 offset:240
	s_cmp_lt_i32 s18, 32
	v_mov_b32_e32 v76, 30
	s_cbranch_scc1 .LBB68_508
; %bb.506:
	v_add_u32_e32 v83, 0xf8, v78
	s_mov_b32 s0, 31
	v_mov_b32_e32 v76, 30
.LBB68_507:                             ; =>This Inner Loop Header: Depth=1
	ds_read_b64 v[84:85], v83
	v_mov_b32_e32 v86, s0
	s_add_i32 s0, s0, 1
	v_add_u32_e32 v83, 8, v83
	s_cmp_lg_u32 s18, s0
	s_waitcnt lgkmcnt(0)
	v_cmp_lt_f64_e64 vcc, |v[74:75]|, |v[84:85]|
	v_cndmask_b32_e32 v75, v75, v85, vcc
	v_cndmask_b32_e32 v74, v74, v84, vcc
	v_cndmask_b32_e32 v76, v76, v86, vcc
	s_cbranch_scc1 .LBB68_507
.LBB68_508:
	s_waitcnt lgkmcnt(0)
	v_cmp_eq_f64_e32 vcc, 0, v[74:75]
	s_and_saveexec_b64 s[0:1], vcc
	s_xor_b64 s[0:1], exec, s[0:1]
; %bb.509:
	v_cmp_ne_u32_e32 vcc, 0, v82
	v_cndmask_b32_e32 v82, 31, v82, vcc
; %bb.510:
	s_andn2_saveexec_b64 s[0:1], s[0:1]
; %bb.511:
	v_div_scale_f64 v[84:85], s[2:3], v[74:75], v[74:75], 1.0
	v_rcp_f64_e32 v[86:87], v[84:85]
	v_div_scale_f64 v[88:89], vcc, 1.0, v[74:75], 1.0
	v_fma_f64 v[90:91], -v[84:85], v[86:87], 1.0
	v_fmac_f64_e32 v[86:87], v[86:87], v[90:91]
	v_fma_f64 v[90:91], -v[84:85], v[86:87], 1.0
	v_fmac_f64_e32 v[86:87], v[86:87], v[90:91]
	v_mul_f64 v[90:91], v[88:89], v[86:87]
	v_fma_f64 v[84:85], -v[84:85], v[90:91], v[88:89]
	v_div_fmas_f64 v[84:85], v[84:85], v[86:87], v[90:91]
	v_div_fixup_f64 v[74:75], v[84:85], v[74:75], 1.0
; %bb.512:
	s_or_b64 exec, exec, s[0:1]
	v_cmp_ne_u32_e32 vcc, v79, v76
	s_and_saveexec_b64 s[0:1], vcc
	s_xor_b64 s[0:1], exec, s[0:1]
	s_cbranch_execz .LBB68_518
; %bb.513:
	v_cmp_eq_u32_e32 vcc, 30, v79
	s_and_saveexec_b64 s[2:3], vcc
	s_cbranch_execz .LBB68_517
; %bb.514:
	v_cmp_ne_u32_e32 vcc, 30, v76
	s_xor_b64 s[14:15], s[6:7], -1
	s_and_b64 s[16:17], s[14:15], vcc
	s_and_saveexec_b64 s[14:15], s[16:17]
	s_cbranch_execz .LBB68_516
; %bb.515:
	v_ashrrev_i32_e32 v77, 31, v76
	v_lshlrev_b64 v[84:85], 2, v[76:77]
	v_add_co_u32_e32 v84, vcc, v4, v84
	v_addc_co_u32_e32 v85, vcc, v5, v85, vcc
	flat_load_dword v77, v[84:85]
	flat_load_dword v79, v[4:5] offset:120
	s_waitcnt vmcnt(0) lgkmcnt(0)
	flat_store_dword v[4:5], v77 offset:120
	flat_store_dword v[84:85], v79
.LBB68_516:
	s_or_b64 exec, exec, s[14:15]
	v_mov_b32_e32 v77, v76
	v_mov_b32_e32 v79, v76
.LBB68_517:
	s_or_b64 exec, exec, s[2:3]
.LBB68_518:
	s_andn2_saveexec_b64 s[0:1], s[0:1]
	s_cbranch_execz .LBB68_520
; %bb.519:
	v_mov_b32_e32 v79, 30
	ds_write2_b64 v78, v[8:9], v[6:7] offset0:31 offset1:32
	ds_write2_b64 v78, v[0:1], v[72:73] offset0:33 offset1:34
.LBB68_520:
	s_or_b64 exec, exec, s[0:1]
	v_cmp_lt_i32_e32 vcc, 30, v79
	s_waitcnt lgkmcnt(0)
	s_barrier
	s_and_saveexec_b64 s[0:1], vcc
	s_cbranch_execz .LBB68_522
; %bb.521:
	ds_read2_b64 v[84:87], v78 offset0:31 offset1:32
	ds_read2_b64 v[88:91], v78 offset0:33 offset1:34
	v_mul_f64 v[12:13], v[74:75], v[12:13]
	s_waitcnt lgkmcnt(0)
	v_fma_f64 v[8:9], -v[12:13], v[84:85], v[8:9]
	v_fma_f64 v[6:7], -v[12:13], v[86:87], v[6:7]
	;; [unrolled: 1-line block ×4, first 2 shown]
.LBB68_522:
	s_or_b64 exec, exec, s[0:1]
	v_lshl_add_u32 v74, v79, 3, v78
	s_barrier
	ds_write_b64 v74, v[8:9]
	s_waitcnt lgkmcnt(0)
	s_barrier
	ds_read_b64 v[74:75], v78 offset:248
	s_cmp_lt_i32 s18, 33
	v_mov_b32_e32 v76, 31
	s_cbranch_scc1 .LBB68_525
; %bb.523:
	v_add_u32_e32 v83, 0x100, v78
	s_mov_b32 s0, 32
	v_mov_b32_e32 v76, 31
.LBB68_524:                             ; =>This Inner Loop Header: Depth=1
	ds_read_b64 v[84:85], v83
	v_mov_b32_e32 v86, s0
	s_add_i32 s0, s0, 1
	v_add_u32_e32 v83, 8, v83
	s_cmp_lg_u32 s18, s0
	s_waitcnt lgkmcnt(0)
	v_cmp_lt_f64_e64 vcc, |v[74:75]|, |v[84:85]|
	v_cndmask_b32_e32 v75, v75, v85, vcc
	v_cndmask_b32_e32 v74, v74, v84, vcc
	;; [unrolled: 1-line block ×3, first 2 shown]
	s_cbranch_scc1 .LBB68_524
.LBB68_525:
	s_waitcnt lgkmcnt(0)
	v_cmp_eq_f64_e32 vcc, 0, v[74:75]
	s_and_saveexec_b64 s[0:1], vcc
	s_xor_b64 s[0:1], exec, s[0:1]
; %bb.526:
	v_cmp_ne_u32_e32 vcc, 0, v82
	v_cndmask_b32_e32 v82, 32, v82, vcc
; %bb.527:
	s_andn2_saveexec_b64 s[0:1], s[0:1]
; %bb.528:
	v_div_scale_f64 v[84:85], s[2:3], v[74:75], v[74:75], 1.0
	v_rcp_f64_e32 v[86:87], v[84:85]
	v_div_scale_f64 v[88:89], vcc, 1.0, v[74:75], 1.0
	v_fma_f64 v[90:91], -v[84:85], v[86:87], 1.0
	v_fmac_f64_e32 v[86:87], v[86:87], v[90:91]
	v_fma_f64 v[90:91], -v[84:85], v[86:87], 1.0
	v_fmac_f64_e32 v[86:87], v[86:87], v[90:91]
	v_mul_f64 v[90:91], v[88:89], v[86:87]
	v_fma_f64 v[84:85], -v[84:85], v[90:91], v[88:89]
	v_div_fmas_f64 v[84:85], v[84:85], v[86:87], v[90:91]
	v_div_fixup_f64 v[74:75], v[84:85], v[74:75], 1.0
; %bb.529:
	s_or_b64 exec, exec, s[0:1]
	v_cmp_ne_u32_e32 vcc, v79, v76
	s_and_saveexec_b64 s[0:1], vcc
	s_xor_b64 s[0:1], exec, s[0:1]
	s_cbranch_execz .LBB68_535
; %bb.530:
	v_cmp_eq_u32_e32 vcc, 31, v79
	s_and_saveexec_b64 s[2:3], vcc
	s_cbranch_execz .LBB68_534
; %bb.531:
	v_cmp_ne_u32_e32 vcc, 31, v76
	s_xor_b64 s[14:15], s[6:7], -1
	s_and_b64 s[16:17], s[14:15], vcc
	s_and_saveexec_b64 s[14:15], s[16:17]
	s_cbranch_execz .LBB68_533
; %bb.532:
	v_ashrrev_i32_e32 v77, 31, v76
	v_lshlrev_b64 v[84:85], 2, v[76:77]
	v_add_co_u32_e32 v84, vcc, v4, v84
	v_addc_co_u32_e32 v85, vcc, v5, v85, vcc
	flat_load_dword v77, v[84:85]
	flat_load_dword v79, v[4:5] offset:124
	s_waitcnt vmcnt(0) lgkmcnt(0)
	flat_store_dword v[4:5], v77 offset:124
	flat_store_dword v[84:85], v79
.LBB68_533:
	s_or_b64 exec, exec, s[14:15]
	v_mov_b32_e32 v77, v76
	v_mov_b32_e32 v79, v76
.LBB68_534:
	s_or_b64 exec, exec, s[2:3]
.LBB68_535:
	s_andn2_saveexec_b64 s[0:1], s[0:1]
	s_cbranch_execz .LBB68_537
; %bb.536:
	v_mov_b32_e32 v84, v6
	v_mov_b32_e32 v85, v7
	;; [unrolled: 1-line block ×5, first 2 shown]
	ds_write2_b64 v78, v[84:85], v[86:87] offset0:32 offset1:33
	ds_write_b64 v78, v[72:73] offset:272
.LBB68_537:
	s_or_b64 exec, exec, s[0:1]
	v_cmp_lt_i32_e32 vcc, 31, v79
	s_waitcnt lgkmcnt(0)
	s_barrier
	s_and_saveexec_b64 s[0:1], vcc
	s_cbranch_execz .LBB68_539
; %bb.538:
	ds_read2_b64 v[84:87], v78 offset0:32 offset1:33
	ds_read_b64 v[88:89], v78 offset:272
	v_mul_f64 v[8:9], v[74:75], v[8:9]
	s_waitcnt lgkmcnt(0)
	v_fma_f64 v[6:7], -v[8:9], v[84:85], v[6:7]
	v_fma_f64 v[0:1], -v[8:9], v[86:87], v[0:1]
	;; [unrolled: 1-line block ×3, first 2 shown]
.LBB68_539:
	s_or_b64 exec, exec, s[0:1]
	v_lshl_add_u32 v74, v79, 3, v78
	s_barrier
	ds_write_b64 v74, v[6:7]
	s_waitcnt lgkmcnt(0)
	s_barrier
	ds_read_b64 v[74:75], v78 offset:256
	s_cmp_lt_i32 s18, 34
	v_mov_b32_e32 v76, 32
	s_cbranch_scc1 .LBB68_542
; %bb.540:
	v_add_u32_e32 v83, 0x108, v78
	s_mov_b32 s0, 33
	v_mov_b32_e32 v76, 32
.LBB68_541:                             ; =>This Inner Loop Header: Depth=1
	ds_read_b64 v[84:85], v83
	v_mov_b32_e32 v86, s0
	s_add_i32 s0, s0, 1
	v_add_u32_e32 v83, 8, v83
	s_cmp_lg_u32 s18, s0
	s_waitcnt lgkmcnt(0)
	v_cmp_lt_f64_e64 vcc, |v[74:75]|, |v[84:85]|
	v_cndmask_b32_e32 v75, v75, v85, vcc
	v_cndmask_b32_e32 v74, v74, v84, vcc
	;; [unrolled: 1-line block ×3, first 2 shown]
	s_cbranch_scc1 .LBB68_541
.LBB68_542:
	s_waitcnt lgkmcnt(0)
	v_cmp_eq_f64_e32 vcc, 0, v[74:75]
	s_and_saveexec_b64 s[0:1], vcc
	s_xor_b64 s[0:1], exec, s[0:1]
; %bb.543:
	v_cmp_ne_u32_e32 vcc, 0, v82
	v_cndmask_b32_e32 v82, 33, v82, vcc
; %bb.544:
	s_andn2_saveexec_b64 s[0:1], s[0:1]
; %bb.545:
	v_div_scale_f64 v[84:85], s[2:3], v[74:75], v[74:75], 1.0
	v_rcp_f64_e32 v[86:87], v[84:85]
	v_div_scale_f64 v[88:89], vcc, 1.0, v[74:75], 1.0
	v_fma_f64 v[90:91], -v[84:85], v[86:87], 1.0
	v_fmac_f64_e32 v[86:87], v[86:87], v[90:91]
	v_fma_f64 v[90:91], -v[84:85], v[86:87], 1.0
	v_fmac_f64_e32 v[86:87], v[86:87], v[90:91]
	v_mul_f64 v[90:91], v[88:89], v[86:87]
	v_fma_f64 v[84:85], -v[84:85], v[90:91], v[88:89]
	v_div_fmas_f64 v[84:85], v[84:85], v[86:87], v[90:91]
	v_div_fixup_f64 v[74:75], v[84:85], v[74:75], 1.0
; %bb.546:
	s_or_b64 exec, exec, s[0:1]
	v_cmp_ne_u32_e32 vcc, v79, v76
	s_and_saveexec_b64 s[0:1], vcc
	s_xor_b64 s[0:1], exec, s[0:1]
	s_cbranch_execz .LBB68_552
; %bb.547:
	v_cmp_eq_u32_e32 vcc, 32, v79
	s_and_saveexec_b64 s[2:3], vcc
	s_cbranch_execz .LBB68_551
; %bb.548:
	v_cmp_ne_u32_e32 vcc, 32, v76
	s_xor_b64 s[14:15], s[6:7], -1
	s_and_b64 s[16:17], s[14:15], vcc
	s_and_saveexec_b64 s[14:15], s[16:17]
	s_cbranch_execz .LBB68_550
; %bb.549:
	v_ashrrev_i32_e32 v77, 31, v76
	v_lshlrev_b64 v[84:85], 2, v[76:77]
	v_add_co_u32_e32 v84, vcc, v4, v84
	v_addc_co_u32_e32 v85, vcc, v5, v85, vcc
	flat_load_dword v77, v[84:85]
	flat_load_dword v79, v[4:5] offset:128
	s_waitcnt vmcnt(0) lgkmcnt(0)
	flat_store_dword v[4:5], v77 offset:128
	flat_store_dword v[84:85], v79
.LBB68_550:
	s_or_b64 exec, exec, s[14:15]
	v_mov_b32_e32 v77, v76
	v_mov_b32_e32 v79, v76
.LBB68_551:
	s_or_b64 exec, exec, s[2:3]
.LBB68_552:
	s_andn2_saveexec_b64 s[0:1], s[0:1]
	s_cbranch_execz .LBB68_554
; %bb.553:
	v_mov_b32_e32 v79, 32
	ds_write2_b64 v78, v[0:1], v[72:73] offset0:33 offset1:34
.LBB68_554:
	s_or_b64 exec, exec, s[0:1]
	v_cmp_lt_i32_e32 vcc, 32, v79
	s_waitcnt lgkmcnt(0)
	s_barrier
	s_and_saveexec_b64 s[0:1], vcc
	s_cbranch_execz .LBB68_556
; %bb.555:
	ds_read2_b64 v[84:87], v78 offset0:33 offset1:34
	v_mul_f64 v[6:7], v[74:75], v[6:7]
	s_waitcnt lgkmcnt(0)
	v_fma_f64 v[0:1], -v[6:7], v[84:85], v[0:1]
	v_fma_f64 v[72:73], -v[6:7], v[86:87], v[72:73]
.LBB68_556:
	s_or_b64 exec, exec, s[0:1]
	v_lshl_add_u32 v74, v79, 3, v78
	s_barrier
	ds_write_b64 v74, v[0:1]
	s_waitcnt lgkmcnt(0)
	s_barrier
	ds_read_b64 v[74:75], v78 offset:264
	s_cmp_lt_i32 s18, 35
	v_mov_b32_e32 v76, 33
	s_cbranch_scc1 .LBB68_559
; %bb.557:
	v_add_u32_e32 v83, 0x110, v78
	s_mov_b32 s0, 34
	v_mov_b32_e32 v76, 33
.LBB68_558:                             ; =>This Inner Loop Header: Depth=1
	ds_read_b64 v[84:85], v83
	v_mov_b32_e32 v86, s0
	s_add_i32 s0, s0, 1
	v_add_u32_e32 v83, 8, v83
	s_cmp_lg_u32 s18, s0
	s_waitcnt lgkmcnt(0)
	v_cmp_lt_f64_e64 vcc, |v[74:75]|, |v[84:85]|
	v_cndmask_b32_e32 v75, v75, v85, vcc
	v_cndmask_b32_e32 v74, v74, v84, vcc
	v_cndmask_b32_e32 v76, v76, v86, vcc
	s_cbranch_scc1 .LBB68_558
.LBB68_559:
	s_waitcnt lgkmcnt(0)
	v_cmp_eq_f64_e32 vcc, 0, v[74:75]
	s_and_saveexec_b64 s[0:1], vcc
	s_xor_b64 s[0:1], exec, s[0:1]
; %bb.560:
	v_cmp_ne_u32_e32 vcc, 0, v82
	v_cndmask_b32_e32 v82, 34, v82, vcc
; %bb.561:
	s_andn2_saveexec_b64 s[0:1], s[0:1]
; %bb.562:
	v_div_scale_f64 v[84:85], s[2:3], v[74:75], v[74:75], 1.0
	v_rcp_f64_e32 v[86:87], v[84:85]
	v_div_scale_f64 v[88:89], vcc, 1.0, v[74:75], 1.0
	v_fma_f64 v[90:91], -v[84:85], v[86:87], 1.0
	v_fmac_f64_e32 v[86:87], v[86:87], v[90:91]
	v_fma_f64 v[90:91], -v[84:85], v[86:87], 1.0
	v_fmac_f64_e32 v[86:87], v[86:87], v[90:91]
	v_mul_f64 v[90:91], v[88:89], v[86:87]
	v_fma_f64 v[84:85], -v[84:85], v[90:91], v[88:89]
	v_div_fmas_f64 v[84:85], v[84:85], v[86:87], v[90:91]
	v_div_fixup_f64 v[74:75], v[84:85], v[74:75], 1.0
; %bb.563:
	s_or_b64 exec, exec, s[0:1]
	v_cmp_ne_u32_e32 vcc, v79, v76
	s_and_saveexec_b64 s[0:1], vcc
	s_xor_b64 s[0:1], exec, s[0:1]
	s_cbranch_execz .LBB68_569
; %bb.564:
	v_cmp_eq_u32_e32 vcc, 33, v79
	s_and_saveexec_b64 s[2:3], vcc
	s_cbranch_execz .LBB68_568
; %bb.565:
	v_cmp_ne_u32_e32 vcc, 33, v76
	s_xor_b64 s[14:15], s[6:7], -1
	s_and_b64 s[16:17], s[14:15], vcc
	s_and_saveexec_b64 s[14:15], s[16:17]
	s_cbranch_execz .LBB68_567
; %bb.566:
	v_ashrrev_i32_e32 v77, 31, v76
	v_lshlrev_b64 v[84:85], 2, v[76:77]
	v_add_co_u32_e32 v84, vcc, v4, v84
	v_addc_co_u32_e32 v85, vcc, v5, v85, vcc
	flat_load_dword v77, v[84:85]
	flat_load_dword v79, v[4:5] offset:132
	s_waitcnt vmcnt(0) lgkmcnt(0)
	flat_store_dword v[4:5], v77 offset:132
	flat_store_dword v[84:85], v79
.LBB68_567:
	s_or_b64 exec, exec, s[14:15]
	v_mov_b32_e32 v77, v76
	v_mov_b32_e32 v79, v76
.LBB68_568:
	s_or_b64 exec, exec, s[2:3]
.LBB68_569:
	s_andn2_saveexec_b64 s[0:1], s[0:1]
	s_cbranch_execz .LBB68_571
; %bb.570:
	v_mov_b32_e32 v79, 33
	ds_write_b64 v78, v[72:73] offset:272
.LBB68_571:
	s_or_b64 exec, exec, s[0:1]
	v_cmp_lt_i32_e32 vcc, 33, v79
	s_waitcnt lgkmcnt(0)
	s_barrier
	s_and_saveexec_b64 s[0:1], vcc
	s_cbranch_execz .LBB68_573
; %bb.572:
	ds_read_b64 v[84:85], v78 offset:272
	v_mul_f64 v[0:1], v[74:75], v[0:1]
	s_waitcnt lgkmcnt(0)
	v_fma_f64 v[72:73], -v[0:1], v[84:85], v[72:73]
.LBB68_573:
	s_or_b64 exec, exec, s[0:1]
	v_lshl_add_u32 v74, v79, 3, v78
	s_barrier
	ds_write_b64 v74, v[72:73]
	s_waitcnt lgkmcnt(0)
	s_barrier
	ds_read_b64 v[74:75], v78 offset:272
	s_cmp_lt_i32 s18, 36
	v_mov_b32_e32 v76, 34
	s_cbranch_scc1 .LBB68_576
; %bb.574:
	v_add_u32_e32 v78, 0x118, v78
	s_mov_b32 s0, 35
	v_mov_b32_e32 v76, 34
.LBB68_575:                             ; =>This Inner Loop Header: Depth=1
	ds_read_b64 v[84:85], v78
	v_mov_b32_e32 v83, s0
	s_add_i32 s0, s0, 1
	v_add_u32_e32 v78, 8, v78
	s_cmp_lg_u32 s18, s0
	s_waitcnt lgkmcnt(0)
	v_cmp_lt_f64_e64 vcc, |v[74:75]|, |v[84:85]|
	v_cndmask_b32_e32 v75, v75, v85, vcc
	v_cndmask_b32_e32 v74, v74, v84, vcc
	v_cndmask_b32_e32 v76, v76, v83, vcc
	s_cbranch_scc1 .LBB68_575
.LBB68_576:
	s_waitcnt lgkmcnt(0)
	v_cmp_eq_f64_e32 vcc, 0, v[74:75]
	s_and_saveexec_b64 s[0:1], vcc
	s_xor_b64 s[0:1], exec, s[0:1]
; %bb.577:
	v_cmp_ne_u32_e32 vcc, 0, v82
	v_cndmask_b32_e32 v82, 35, v82, vcc
; %bb.578:
	s_andn2_saveexec_b64 s[0:1], s[0:1]
; %bb.579:
	v_div_scale_f64 v[84:85], s[2:3], v[74:75], v[74:75], 1.0
	v_rcp_f64_e32 v[86:87], v[84:85]
	v_div_scale_f64 v[88:89], vcc, 1.0, v[74:75], 1.0
	v_fma_f64 v[90:91], -v[84:85], v[86:87], 1.0
	v_fmac_f64_e32 v[86:87], v[86:87], v[90:91]
	v_fma_f64 v[90:91], -v[84:85], v[86:87], 1.0
	v_fmac_f64_e32 v[86:87], v[86:87], v[90:91]
	v_mul_f64 v[90:91], v[88:89], v[86:87]
	v_fma_f64 v[84:85], -v[84:85], v[90:91], v[88:89]
	v_div_fmas_f64 v[84:85], v[84:85], v[86:87], v[90:91]
	v_div_fixup_f64 v[74:75], v[84:85], v[74:75], 1.0
; %bb.580:
	s_or_b64 exec, exec, s[0:1]
	v_cmp_ne_u32_e32 vcc, v79, v76
	v_mov_b32_e32 v78, 34
	s_and_saveexec_b64 s[0:1], vcc
	s_cbranch_execz .LBB68_586
; %bb.581:
	v_cmp_eq_u32_e32 vcc, 34, v79
	s_and_saveexec_b64 s[2:3], vcc
	s_cbranch_execz .LBB68_585
; %bb.582:
	v_cmp_ne_u32_e32 vcc, 34, v76
	s_xor_b64 s[6:7], s[6:7], -1
	s_and_b64 s[14:15], s[6:7], vcc
	s_and_saveexec_b64 s[6:7], s[14:15]
	s_cbranch_execz .LBB68_584
; %bb.583:
	v_ashrrev_i32_e32 v77, 31, v76
	v_lshlrev_b64 v[78:79], 2, v[76:77]
	v_add_co_u32_e32 v78, vcc, v4, v78
	v_addc_co_u32_e32 v79, vcc, v5, v79, vcc
	flat_load_dword v77, v[78:79]
	flat_load_dword v83, v[4:5] offset:136
	s_waitcnt vmcnt(0) lgkmcnt(0)
	flat_store_dword v[4:5], v77 offset:136
	flat_store_dword v[78:79], v83
.LBB68_584:
	s_or_b64 exec, exec, s[6:7]
	v_mov_b32_e32 v77, v76
	v_mov_b32_e32 v79, v76
.LBB68_585:
	s_or_b64 exec, exec, s[2:3]
	v_mov_b32_e32 v78, v79
.LBB68_586:
	s_or_b64 exec, exec, s[0:1]
	s_load_dwordx8 s[0:7], s[4:5], 0x28
	v_cmp_gt_i32_e32 vcc, 35, v78
	v_ashrrev_i32_e32 v79, 31, v78
	s_waitcnt lgkmcnt(0)
	s_barrier
	s_barrier
	s_and_saveexec_b64 s[14:15], vcc
	s_cbranch_execz .LBB68_588
; %bb.587:
	v_mul_lo_u32 v76, v3, s4
	v_mul_lo_u32 v83, v2, s5
	v_mad_u64_u32 v[4:5], s[4:5], v2, s4, 0
	s_lshl_b64 s[2:3], s[2:3], 2
	v_add3_u32 v5, v5, v83, v76
	s_add_u32 s0, s2, s0
	v_lshlrev_b64 v[4:5], 2, v[4:5]
	s_addc_u32 s1, s3, s1
	v_mov_b32_e32 v76, s1
	v_add_co_u32_e32 v83, vcc, s0, v4
	v_addc_co_u32_e32 v76, vcc, v76, v5, vcc
	v_lshlrev_b64 v[4:5], 2, v[78:79]
	v_add_co_u32_e32 v4, vcc, v83, v4
	v_addc_co_u32_e32 v5, vcc, v76, v5, vcc
	v_add3_u32 v76, v77, s13, 1
	global_store_dword v[4:5], v76, off
.LBB68_588:
	s_or_b64 exec, exec, s[14:15]
	v_cmp_eq_u32_e32 vcc, 0, v78
	s_and_saveexec_b64 s[2:3], vcc
	s_cbranch_execz .LBB68_591
; %bb.589:
	v_lshlrev_b64 v[2:3], 2, v[2:3]
	v_mov_b32_e32 v4, s7
	v_add_co_u32_e32 v2, vcc, s6, v2
	v_addc_co_u32_e32 v3, vcc, v4, v3, vcc
	global_load_dword v4, v[2:3], off
	v_cmp_lt_i32_e64 s[0:1], 0, v82
	s_waitcnt vmcnt(0)
	v_cmp_eq_u32_e32 vcc, 0, v4
	s_and_b64 s[0:1], vcc, s[0:1]
	s_and_b64 exec, exec, s[0:1]
	s_cbranch_execz .LBB68_591
; %bb.590:
	v_add_u32_e32 v4, s13, v82
	global_store_dword v[2:3], v4, off
.LBB68_591:
	s_or_b64 exec, exec, s[2:3]
	v_mul_f64 v[2:3], v[74:75], v[72:73]
	v_cmp_lt_i32_e32 vcc, 34, v78
	v_lshlrev_b64 v[4:5], 3, v[78:79]
	v_cndmask_b32_e32 v3, v73, v3, vcc
	v_cndmask_b32_e32 v2, v72, v2, vcc
	v_add_co_u32_e32 v4, vcc, v80, v4
	v_addc_co_u32_e32 v5, vcc, v81, v5, vcc
	global_store_dwordx2 v[4:5], v[68:69], off
	v_mov_b32_e32 v68, s11
	v_add_co_u32_e32 v4, vcc, s10, v4
	v_addc_co_u32_e32 v5, vcc, v5, v68, vcc
	global_store_dwordx2 v[4:5], v[70:71], off
	v_add_u32_e32 v4, s12, v78
	v_ashrrev_i32_e32 v5, 31, v4
	v_lshlrev_b64 v[68:69], 3, v[4:5]
	v_add_co_u32_e32 v68, vcc, v80, v68
	v_add_u32_e32 v4, s8, v4
	v_addc_co_u32_e32 v69, vcc, v81, v69, vcc
	v_ashrrev_i32_e32 v5, 31, v4
	global_store_dwordx2 v[68:69], v[66:67], off
	v_lshlrev_b64 v[66:67], 3, v[4:5]
	v_add_co_u32_e32 v66, vcc, v80, v66
	v_add_u32_e32 v4, s8, v4
	v_addc_co_u32_e32 v67, vcc, v81, v67, vcc
	v_ashrrev_i32_e32 v5, 31, v4
	global_store_dwordx2 v[66:67], v[64:65], off
	;; [unrolled: 6-line block ×31, first 2 shown]
	v_lshlrev_b64 v[6:7], 3, v[4:5]
	v_add_co_u32_e32 v6, vcc, v80, v6
	v_addc_co_u32_e32 v7, vcc, v81, v7, vcc
	global_store_dwordx2 v[6:7], v[0:1], off
	v_add_u32_e32 v0, s8, v4
	v_ashrrev_i32_e32 v1, 31, v0
	v_lshlrev_b64 v[0:1], 3, v[0:1]
	v_add_co_u32_e32 v0, vcc, v80, v0
	v_addc_co_u32_e32 v1, vcc, v81, v1, vcc
	global_store_dwordx2 v[0:1], v[2:3], off
.LBB68_592:
	s_endpgm
	.section	.rodata,"a",@progbits
	.p2align	6, 0x0
	.amdhsa_kernel _ZN9rocsolver6v33100L18getf2_small_kernelILi35EdiiPKPdEEvT1_T3_lS5_lPS5_llPT2_S5_S5_S7_l
		.amdhsa_group_segment_fixed_size 0
		.amdhsa_private_segment_fixed_size 0
		.amdhsa_kernarg_size 352
		.amdhsa_user_sgpr_count 6
		.amdhsa_user_sgpr_private_segment_buffer 1
		.amdhsa_user_sgpr_dispatch_ptr 0
		.amdhsa_user_sgpr_queue_ptr 0
		.amdhsa_user_sgpr_kernarg_segment_ptr 1
		.amdhsa_user_sgpr_dispatch_id 0
		.amdhsa_user_sgpr_flat_scratch_init 0
		.amdhsa_user_sgpr_kernarg_preload_length 0
		.amdhsa_user_sgpr_kernarg_preload_offset 0
		.amdhsa_user_sgpr_private_segment_size 0
		.amdhsa_uses_dynamic_stack 0
		.amdhsa_system_sgpr_private_segment_wavefront_offset 0
		.amdhsa_system_sgpr_workgroup_id_x 1
		.amdhsa_system_sgpr_workgroup_id_y 1
		.amdhsa_system_sgpr_workgroup_id_z 0
		.amdhsa_system_sgpr_workgroup_info 0
		.amdhsa_system_vgpr_workitem_id 1
		.amdhsa_next_free_vgpr 118
		.amdhsa_next_free_sgpr 22
		.amdhsa_accum_offset 120
		.amdhsa_reserve_vcc 1
		.amdhsa_reserve_flat_scratch 0
		.amdhsa_float_round_mode_32 0
		.amdhsa_float_round_mode_16_64 0
		.amdhsa_float_denorm_mode_32 3
		.amdhsa_float_denorm_mode_16_64 3
		.amdhsa_dx10_clamp 1
		.amdhsa_ieee_mode 1
		.amdhsa_fp16_overflow 0
		.amdhsa_tg_split 0
		.amdhsa_exception_fp_ieee_invalid_op 0
		.amdhsa_exception_fp_denorm_src 0
		.amdhsa_exception_fp_ieee_div_zero 0
		.amdhsa_exception_fp_ieee_overflow 0
		.amdhsa_exception_fp_ieee_underflow 0
		.amdhsa_exception_fp_ieee_inexact 0
		.amdhsa_exception_int_div_zero 0
	.end_amdhsa_kernel
	.section	.text._ZN9rocsolver6v33100L18getf2_small_kernelILi35EdiiPKPdEEvT1_T3_lS5_lPS5_llPT2_S5_S5_S7_l,"axG",@progbits,_ZN9rocsolver6v33100L18getf2_small_kernelILi35EdiiPKPdEEvT1_T3_lS5_lPS5_llPT2_S5_S5_S7_l,comdat
.Lfunc_end68:
	.size	_ZN9rocsolver6v33100L18getf2_small_kernelILi35EdiiPKPdEEvT1_T3_lS5_lPS5_llPT2_S5_S5_S7_l, .Lfunc_end68-_ZN9rocsolver6v33100L18getf2_small_kernelILi35EdiiPKPdEEvT1_T3_lS5_lPS5_llPT2_S5_S5_S7_l
                                        ; -- End function
	.section	.AMDGPU.csdata,"",@progbits
; Kernel info:
; codeLenInByte = 28712
; NumSgprs: 26
; NumVgprs: 118
; NumAgprs: 0
; TotalNumVgprs: 118
; ScratchSize: 0
; MemoryBound: 0
; FloatMode: 240
; IeeeMode: 1
; LDSByteSize: 0 bytes/workgroup (compile time only)
; SGPRBlocks: 3
; VGPRBlocks: 14
; NumSGPRsForWavesPerEU: 26
; NumVGPRsForWavesPerEU: 118
; AccumOffset: 120
; Occupancy: 4
; WaveLimiterHint : 1
; COMPUTE_PGM_RSRC2:SCRATCH_EN: 0
; COMPUTE_PGM_RSRC2:USER_SGPR: 6
; COMPUTE_PGM_RSRC2:TRAP_HANDLER: 0
; COMPUTE_PGM_RSRC2:TGID_X_EN: 1
; COMPUTE_PGM_RSRC2:TGID_Y_EN: 1
; COMPUTE_PGM_RSRC2:TGID_Z_EN: 0
; COMPUTE_PGM_RSRC2:TIDIG_COMP_CNT: 1
; COMPUTE_PGM_RSRC3_GFX90A:ACCUM_OFFSET: 29
; COMPUTE_PGM_RSRC3_GFX90A:TG_SPLIT: 0
	.section	.text._ZN9rocsolver6v33100L23getf2_npvt_small_kernelILi35EdiiPKPdEEvT1_T3_lS5_lPT2_S5_S5_,"axG",@progbits,_ZN9rocsolver6v33100L23getf2_npvt_small_kernelILi35EdiiPKPdEEvT1_T3_lS5_lPT2_S5_S5_,comdat
	.globl	_ZN9rocsolver6v33100L23getf2_npvt_small_kernelILi35EdiiPKPdEEvT1_T3_lS5_lPT2_S5_S5_ ; -- Begin function _ZN9rocsolver6v33100L23getf2_npvt_small_kernelILi35EdiiPKPdEEvT1_T3_lS5_lPT2_S5_S5_
	.p2align	8
	.type	_ZN9rocsolver6v33100L23getf2_npvt_small_kernelILi35EdiiPKPdEEvT1_T3_lS5_lPT2_S5_S5_,@function
_ZN9rocsolver6v33100L23getf2_npvt_small_kernelILi35EdiiPKPdEEvT1_T3_lS5_lPT2_S5_S5_: ; @_ZN9rocsolver6v33100L23getf2_npvt_small_kernelILi35EdiiPKPdEEvT1_T3_lS5_lPT2_S5_S5_
; %bb.0:
	s_load_dword s0, s[4:5], 0x44
	s_load_dwordx2 s[8:9], s[4:5], 0x30
	v_bfe_u32 v142, v0, 10, 10
	s_waitcnt lgkmcnt(0)
	s_lshr_b32 s6, s0, 16
	s_mul_i32 s7, s7, s6
	v_add_u32_e32 v2, s7, v142
	v_cmp_gt_i32_e32 vcc, s8, v2
	s_and_saveexec_b64 s[0:1], vcc
	s_cbranch_execz .LBB69_178
; %bb.1:
	s_load_dwordx4 s[12:15], s[4:5], 0x8
	s_load_dword s0, s[4:5], 0x18
	v_ashrrev_i32_e32 v3, 31, v2
	v_lshlrev_b64 v[4:5], 3, v[2:3]
	v_and_b32_e32 v212, 0x3ff, v0
	s_waitcnt lgkmcnt(0)
	v_mov_b32_e32 v1, s13
	v_add_co_u32_e32 v4, vcc, s12, v4
	v_addc_co_u32_e32 v5, vcc, v1, v5, vcc
	global_load_dwordx2 v[4:5], v[4:5], off
	s_add_i32 s1, s0, s0
	s_lshl_b64 s[2:3], s[14:15], 3
	v_add_u32_e32 v0, s1, v212
	v_mov_b32_e32 v25, s3
	v_ashrrev_i32_e32 v1, 31, v0
	v_add_u32_e32 v6, s0, v0
	v_lshlrev_b64 v[0:1], 3, v[0:1]
	v_ashrrev_i32_e32 v7, 31, v6
	v_add_u32_e32 v8, s0, v6
	v_lshlrev_b64 v[6:7], 3, v[6:7]
	;; [unrolled: 3-line block ×10, first 2 shown]
	v_add_u32_e32 v26, s0, v24
	v_ashrrev_i32_e32 v27, 31, v26
	v_add_u32_e32 v28, s0, v26
	v_ashrrev_i32_e32 v29, 31, v28
	;; [unrolled: 2-line block ×21, first 2 shown]
	v_lshlrev_b32_e32 v70, 3, v212
	s_ashr_i32 s1, s0, 31
	s_mulk_i32 s6, 0x118
	s_waitcnt vmcnt(0)
	v_add_co_u32_e32 v68, vcc, s2, v4
	v_addc_co_u32_e32 v69, vcc, v5, v25, vcc
	v_add_co_u32_e32 v0, vcc, v68, v0
	v_addc_co_u32_e32 v1, vcc, v69, v1, vcc
	;; [unrolled: 2-line block ×10, first 2 shown]
	v_add_co_u32_e32 v20, vcc, v68, v22
	v_ashrrev_i32_e32 v25, 31, v24
	v_addc_co_u32_e32 v21, vcc, v69, v23, vcc
	v_lshlrev_b64 v[22:23], 3, v[24:25]
	v_add_co_u32_e32 v22, vcc, v68, v22
	v_addc_co_u32_e32 v23, vcc, v69, v23, vcc
	v_lshlrev_b64 v[24:25], 3, v[26:27]
	v_add_co_u32_e32 v24, vcc, v68, v24
	;; [unrolled: 3-line block ×21, first 2 shown]
	v_addc_co_u32_e32 v63, vcc, v69, v63, vcc
	v_lshlrev_b64 v[64:65], 3, v[66:67]
	v_add_u32_e32 v66, s0, v66
	v_add_co_u32_e32 v64, vcc, v68, v64
	v_ashrrev_i32_e32 v67, 31, v66
	v_addc_co_u32_e32 v65, vcc, v69, v65, vcc
	v_lshlrev_b64 v[66:67], 3, v[66:67]
	v_add_co_u32_e32 v66, vcc, v68, v66
	v_addc_co_u32_e32 v67, vcc, v69, v67, vcc
	v_add_co_u32_e32 v68, vcc, v68, v70
	v_addc_co_u32_e32 v69, vcc, 0, v69, vcc
	s_lshl_b64 s[0:1], s[0:1], 3
	v_mov_b32_e32 v71, s1
	v_add_co_u32_e32 v70, vcc, s0, v68
	v_addc_co_u32_e32 v71, vcc, v69, v71, vcc
	global_load_dwordx2 v[72:73], v[68:69], off
	global_load_dwordx2 v[106:107], v[70:71], off
	;; [unrolled: 1-line block ×35, first 2 shown]
	s_movk_i32 s0, 0x118
	s_add_i32 s1, s6, 0
	v_mad_u32_u24 v211, v142, s0, 0
	v_lshl_add_u32 v210, v142, 3, s1
	v_cmp_ne_u32_e64 s[2:3], 0, v212
	v_cmp_eq_u32_e64 s[0:1], 0, v212
	s_and_saveexec_b64 s[6:7], s[0:1]
	s_cbranch_execz .LBB69_4
; %bb.2:
	s_waitcnt vmcnt(34)
	ds_write_b64 v210, v[72:73]
	s_waitcnt vmcnt(32)
	ds_write2_b64 v211, v[106:107], v[138:139] offset0:1 offset1:2
	s_waitcnt vmcnt(30)
	ds_write2_b64 v211, v[104:105], v[136:137] offset0:3 offset1:4
	;; [unrolled: 2-line block ×17, first 2 shown]
	ds_read_b64 v[142:143], v210
	s_waitcnt lgkmcnt(0)
	v_cmp_neq_f64_e32 vcc, 0, v[142:143]
	s_and_b64 exec, exec, vcc
	s_cbranch_execz .LBB69_4
; %bb.3:
	v_div_scale_f64 v[144:145], s[10:11], v[142:143], v[142:143], 1.0
	v_rcp_f64_e32 v[146:147], v[144:145]
	v_div_scale_f64 v[148:149], vcc, 1.0, v[142:143], 1.0
	v_fma_f64 v[150:151], -v[144:145], v[146:147], 1.0
	v_fmac_f64_e32 v[146:147], v[146:147], v[150:151]
	v_fma_f64 v[150:151], -v[144:145], v[146:147], 1.0
	v_fmac_f64_e32 v[146:147], v[146:147], v[150:151]
	v_mul_f64 v[150:151], v[148:149], v[146:147]
	v_fma_f64 v[144:145], -v[144:145], v[150:151], v[148:149]
	v_div_fmas_f64 v[144:145], v[144:145], v[146:147], v[150:151]
	v_div_fixup_f64 v[142:143], v[144:145], v[142:143], 1.0
	ds_write_b64 v210, v[142:143]
.LBB69_4:
	s_or_b64 exec, exec, s[6:7]
	s_waitcnt lgkmcnt(0)
	s_barrier
	ds_read_b64 v[142:143], v210
	s_and_saveexec_b64 s[6:7], s[2:3]
	s_cbranch_execz .LBB69_6
; %bb.5:
	ds_read2_b64 v[144:147], v211 offset0:1 offset1:2
	ds_read2_b64 v[148:151], v211 offset0:3 offset1:4
	s_waitcnt vmcnt(34) lgkmcnt(2)
	v_mul_f64 v[72:73], v[142:143], v[72:73]
	ds_read2_b64 v[152:155], v211 offset0:5 offset1:6
	s_waitcnt vmcnt(33) lgkmcnt(2)
	v_fma_f64 v[106:107], -v[72:73], v[144:145], v[106:107]
	s_waitcnt vmcnt(32)
	v_fma_f64 v[138:139], -v[72:73], v[146:147], v[138:139]
	ds_read2_b64 v[144:147], v211 offset0:7 offset1:8
	s_waitcnt vmcnt(31) lgkmcnt(2)
	v_fma_f64 v[104:105], -v[72:73], v[148:149], v[104:105]
	s_waitcnt vmcnt(30)
	v_fma_f64 v[136:137], -v[72:73], v[150:151], v[136:137]
	;; [unrolled: 5-line block ×4, first 2 shown]
	s_waitcnt vmcnt(25) lgkmcnt(1)
	v_fma_f64 v[98:99], -v[72:73], v[148:149], v[98:99]
	ds_read2_b64 v[144:147], v211 offset0:13 offset1:14
	s_waitcnt vmcnt(24)
	v_fma_f64 v[130:131], -v[72:73], v[150:151], v[130:131]
	ds_read2_b64 v[148:151], v211 offset0:15 offset1:16
	s_waitcnt vmcnt(23) lgkmcnt(2)
	v_fma_f64 v[96:97], -v[72:73], v[152:153], v[96:97]
	s_waitcnt vmcnt(22)
	v_fma_f64 v[128:129], -v[72:73], v[154:155], v[128:129]
	s_waitcnt vmcnt(21) lgkmcnt(1)
	v_fma_f64 v[94:95], -v[72:73], v[144:145], v[94:95]
	ds_read2_b64 v[152:155], v211 offset0:17 offset1:18
	s_waitcnt vmcnt(20)
	v_fma_f64 v[126:127], -v[72:73], v[146:147], v[126:127]
	ds_read2_b64 v[144:147], v211 offset0:19 offset1:20
	s_waitcnt vmcnt(19) lgkmcnt(2)
	v_fma_f64 v[92:93], -v[72:73], v[148:149], v[92:93]
	s_waitcnt vmcnt(18)
	v_fma_f64 v[124:125], -v[72:73], v[150:151], v[124:125]
	ds_read2_b64 v[148:151], v211 offset0:21 offset1:22
	s_waitcnt vmcnt(17) lgkmcnt(2)
	v_fma_f64 v[90:91], -v[72:73], v[152:153], v[90:91]
	;; [unrolled: 5-line block ×3, first 2 shown]
	s_waitcnt vmcnt(14)
	v_fma_f64 v[120:121], -v[72:73], v[146:147], v[120:121]
	s_waitcnt vmcnt(13) lgkmcnt(1)
	v_fma_f64 v[86:87], -v[72:73], v[148:149], v[86:87]
	ds_read2_b64 v[144:147], v211 offset0:25 offset1:26
	s_waitcnt vmcnt(12)
	v_fma_f64 v[118:119], -v[72:73], v[150:151], v[118:119]
	ds_read2_b64 v[148:151], v211 offset0:27 offset1:28
	s_waitcnt vmcnt(11) lgkmcnt(2)
	v_fma_f64 v[84:85], -v[72:73], v[152:153], v[84:85]
	s_waitcnt vmcnt(10)
	v_fma_f64 v[116:117], -v[72:73], v[154:155], v[116:117]
	s_waitcnt vmcnt(9) lgkmcnt(1)
	v_fma_f64 v[82:83], -v[72:73], v[144:145], v[82:83]
	s_waitcnt vmcnt(8)
	v_fma_f64 v[114:115], -v[72:73], v[146:147], v[114:115]
	ds_read2_b64 v[144:147], v211 offset0:29 offset1:30
	ds_read2_b64 v[152:155], v211 offset0:31 offset1:32
	s_waitcnt vmcnt(7) lgkmcnt(2)
	v_fma_f64 v[80:81], -v[72:73], v[148:149], v[80:81]
	s_waitcnt vmcnt(6)
	v_fma_f64 v[112:113], -v[72:73], v[150:151], v[112:113]
	ds_read2_b64 v[148:151], v211 offset0:33 offset1:34
	s_waitcnt vmcnt(5) lgkmcnt(2)
	v_fma_f64 v[78:79], -v[72:73], v[144:145], v[78:79]
	s_waitcnt vmcnt(4)
	v_fma_f64 v[110:111], -v[72:73], v[146:147], v[110:111]
	s_waitcnt vmcnt(3) lgkmcnt(1)
	v_fma_f64 v[76:77], -v[72:73], v[152:153], v[76:77]
	s_waitcnt vmcnt(2)
	v_fma_f64 v[108:109], -v[72:73], v[154:155], v[108:109]
	s_waitcnt vmcnt(1) lgkmcnt(0)
	v_fma_f64 v[74:75], -v[72:73], v[148:149], v[74:75]
	s_waitcnt vmcnt(0)
	v_fma_f64 v[140:141], -v[72:73], v[150:151], v[140:141]
.LBB69_6:
	s_or_b64 exec, exec, s[6:7]
	v_cmp_eq_u32_e32 vcc, 1, v212
	s_waitcnt lgkmcnt(0)
	s_barrier
	s_and_saveexec_b64 s[2:3], vcc
	s_cbranch_execz .LBB69_9
; %bb.7:
	s_waitcnt vmcnt(32)
	v_mov_b32_e32 v144, v138
	v_mov_b32_e32 v145, v139
	s_waitcnt vmcnt(31)
	v_mov_b32_e32 v146, v104
	v_mov_b32_e32 v147, v105
	ds_write_b64 v210, v[106:107]
	ds_write2_b64 v211, v[144:145], v[146:147] offset0:2 offset1:3
	s_waitcnt vmcnt(30)
	v_mov_b32_e32 v144, v136
	v_mov_b32_e32 v145, v137
	s_waitcnt vmcnt(29)
	v_mov_b32_e32 v146, v102
	v_mov_b32_e32 v147, v103
	ds_write2_b64 v211, v[144:145], v[146:147] offset0:4 offset1:5
	s_waitcnt vmcnt(28)
	v_mov_b32_e32 v144, v134
	v_mov_b32_e32 v145, v135
	s_waitcnt vmcnt(27)
	v_mov_b32_e32 v146, v100
	v_mov_b32_e32 v147, v101
	;; [unrolled: 7-line block ×15, first 2 shown]
	ds_write2_b64 v211, v[144:145], v[146:147] offset0:32 offset1:33
	s_waitcnt vmcnt(0)
	ds_write_b64 v211, v[140:141] offset:272
	ds_read_b64 v[144:145], v210
	s_waitcnt lgkmcnt(0)
	v_cmp_neq_f64_e32 vcc, 0, v[144:145]
	s_and_b64 exec, exec, vcc
	s_cbranch_execz .LBB69_9
; %bb.8:
	v_div_scale_f64 v[146:147], s[6:7], v[144:145], v[144:145], 1.0
	v_rcp_f64_e32 v[148:149], v[146:147]
	v_div_scale_f64 v[150:151], vcc, 1.0, v[144:145], 1.0
	v_fma_f64 v[152:153], -v[146:147], v[148:149], 1.0
	v_fmac_f64_e32 v[148:149], v[148:149], v[152:153]
	v_fma_f64 v[152:153], -v[146:147], v[148:149], 1.0
	v_fmac_f64_e32 v[148:149], v[148:149], v[152:153]
	v_mul_f64 v[152:153], v[150:151], v[148:149]
	v_fma_f64 v[146:147], -v[146:147], v[152:153], v[150:151]
	v_div_fmas_f64 v[146:147], v[146:147], v[148:149], v[152:153]
	v_div_fixup_f64 v[144:145], v[146:147], v[144:145], 1.0
	ds_write_b64 v210, v[144:145]
.LBB69_9:
	s_or_b64 exec, exec, s[2:3]
	s_waitcnt lgkmcnt(0)
	s_barrier
	ds_read_b64 v[144:145], v210
	v_cmp_lt_u32_e32 vcc, 1, v212
	s_and_saveexec_b64 s[2:3], vcc
	s_cbranch_execz .LBB69_11
; %bb.10:
	ds_read2_b64 v[146:149], v211 offset0:2 offset1:3
	ds_read2_b64 v[150:153], v211 offset0:4 offset1:5
	s_waitcnt vmcnt(33) lgkmcnt(2)
	v_mul_f64 v[106:107], v[144:145], v[106:107]
	ds_read2_b64 v[154:157], v211 offset0:6 offset1:7
	s_waitcnt vmcnt(32) lgkmcnt(2)
	v_fma_f64 v[138:139], -v[106:107], v[146:147], v[138:139]
	s_waitcnt vmcnt(31)
	v_fma_f64 v[104:105], -v[106:107], v[148:149], v[104:105]
	ds_read2_b64 v[146:149], v211 offset0:8 offset1:9
	s_waitcnt vmcnt(30) lgkmcnt(2)
	v_fma_f64 v[136:137], -v[106:107], v[150:151], v[136:137]
	s_waitcnt vmcnt(29)
	v_fma_f64 v[102:103], -v[106:107], v[152:153], v[102:103]
	;; [unrolled: 5-line block ×4, first 2 shown]
	s_waitcnt vmcnt(24) lgkmcnt(1)
	v_fma_f64 v[130:131], -v[106:107], v[150:151], v[130:131]
	ds_read2_b64 v[146:149], v211 offset0:14 offset1:15
	s_waitcnt vmcnt(23)
	v_fma_f64 v[96:97], -v[106:107], v[152:153], v[96:97]
	ds_read2_b64 v[150:153], v211 offset0:16 offset1:17
	s_waitcnt vmcnt(22) lgkmcnt(2)
	v_fma_f64 v[128:129], -v[106:107], v[154:155], v[128:129]
	s_waitcnt vmcnt(21)
	v_fma_f64 v[94:95], -v[106:107], v[156:157], v[94:95]
	s_waitcnt vmcnt(20) lgkmcnt(1)
	v_fma_f64 v[126:127], -v[106:107], v[146:147], v[126:127]
	ds_read2_b64 v[154:157], v211 offset0:18 offset1:19
	s_waitcnt vmcnt(19)
	v_fma_f64 v[92:93], -v[106:107], v[148:149], v[92:93]
	ds_read2_b64 v[146:149], v211 offset0:20 offset1:21
	s_waitcnt vmcnt(18) lgkmcnt(2)
	v_fma_f64 v[124:125], -v[106:107], v[150:151], v[124:125]
	s_waitcnt vmcnt(17)
	v_fma_f64 v[90:91], -v[106:107], v[152:153], v[90:91]
	ds_read2_b64 v[150:153], v211 offset0:22 offset1:23
	s_waitcnt vmcnt(16) lgkmcnt(2)
	v_fma_f64 v[122:123], -v[106:107], v[154:155], v[122:123]
	;; [unrolled: 5-line block ×3, first 2 shown]
	s_waitcnt vmcnt(13)
	v_fma_f64 v[86:87], -v[106:107], v[148:149], v[86:87]
	s_waitcnt vmcnt(12) lgkmcnt(1)
	v_fma_f64 v[118:119], -v[106:107], v[150:151], v[118:119]
	ds_read2_b64 v[146:149], v211 offset0:26 offset1:27
	s_waitcnt vmcnt(11)
	v_fma_f64 v[84:85], -v[106:107], v[152:153], v[84:85]
	ds_read2_b64 v[150:153], v211 offset0:28 offset1:29
	s_waitcnt vmcnt(10) lgkmcnt(2)
	v_fma_f64 v[116:117], -v[106:107], v[154:155], v[116:117]
	s_waitcnt vmcnt(9)
	v_fma_f64 v[82:83], -v[106:107], v[156:157], v[82:83]
	s_waitcnt vmcnt(8) lgkmcnt(1)
	v_fma_f64 v[114:115], -v[106:107], v[146:147], v[114:115]
	s_waitcnt vmcnt(7)
	v_fma_f64 v[80:81], -v[106:107], v[148:149], v[80:81]
	ds_read2_b64 v[146:149], v211 offset0:30 offset1:31
	ds_read2_b64 v[154:157], v211 offset0:32 offset1:33
	s_waitcnt vmcnt(6) lgkmcnt(2)
	v_fma_f64 v[112:113], -v[106:107], v[150:151], v[112:113]
	ds_read_b64 v[150:151], v211 offset:272
	s_waitcnt vmcnt(5)
	v_fma_f64 v[78:79], -v[106:107], v[152:153], v[78:79]
	s_waitcnt vmcnt(4) lgkmcnt(2)
	v_fma_f64 v[110:111], -v[106:107], v[146:147], v[110:111]
	s_waitcnt vmcnt(3)
	v_fma_f64 v[76:77], -v[106:107], v[148:149], v[76:77]
	s_waitcnt vmcnt(2) lgkmcnt(1)
	v_fma_f64 v[108:109], -v[106:107], v[154:155], v[108:109]
	;; [unrolled: 4-line block ×3, first 2 shown]
.LBB69_11:
	s_or_b64 exec, exec, s[2:3]
	v_cmp_eq_u32_e32 vcc, 2, v212
	s_waitcnt lgkmcnt(0)
	s_barrier
	s_and_saveexec_b64 s[2:3], vcc
	s_cbranch_execz .LBB69_14
; %bb.12:
	s_waitcnt vmcnt(32)
	ds_write_b64 v210, v[138:139]
	s_waitcnt vmcnt(30)
	ds_write2_b64 v211, v[104:105], v[136:137] offset0:3 offset1:4
	s_waitcnt vmcnt(28)
	ds_write2_b64 v211, v[102:103], v[134:135] offset0:5 offset1:6
	;; [unrolled: 2-line block ×16, first 2 shown]
	ds_read_b64 v[146:147], v210
	s_waitcnt lgkmcnt(0)
	v_cmp_neq_f64_e32 vcc, 0, v[146:147]
	s_and_b64 exec, exec, vcc
	s_cbranch_execz .LBB69_14
; %bb.13:
	v_div_scale_f64 v[148:149], s[6:7], v[146:147], v[146:147], 1.0
	v_rcp_f64_e32 v[150:151], v[148:149]
	v_div_scale_f64 v[152:153], vcc, 1.0, v[146:147], 1.0
	v_fma_f64 v[154:155], -v[148:149], v[150:151], 1.0
	v_fmac_f64_e32 v[150:151], v[150:151], v[154:155]
	v_fma_f64 v[154:155], -v[148:149], v[150:151], 1.0
	v_fmac_f64_e32 v[150:151], v[150:151], v[154:155]
	v_mul_f64 v[154:155], v[152:153], v[150:151]
	v_fma_f64 v[148:149], -v[148:149], v[154:155], v[152:153]
	v_div_fmas_f64 v[148:149], v[148:149], v[150:151], v[154:155]
	v_div_fixup_f64 v[146:147], v[148:149], v[146:147], 1.0
	ds_write_b64 v210, v[146:147]
.LBB69_14:
	s_or_b64 exec, exec, s[2:3]
	s_waitcnt lgkmcnt(0)
	s_barrier
	ds_read_b64 v[146:147], v210
	v_cmp_lt_u32_e32 vcc, 2, v212
	s_and_saveexec_b64 s[2:3], vcc
	s_cbranch_execz .LBB69_16
; %bb.15:
	ds_read2_b64 v[148:151], v211 offset0:3 offset1:4
	ds_read2_b64 v[152:155], v211 offset0:5 offset1:6
	s_waitcnt vmcnt(32) lgkmcnt(2)
	v_mul_f64 v[138:139], v[146:147], v[138:139]
	ds_read2_b64 v[156:159], v211 offset0:7 offset1:8
	s_waitcnt vmcnt(31) lgkmcnt(2)
	v_fma_f64 v[104:105], -v[138:139], v[148:149], v[104:105]
	s_waitcnt vmcnt(30)
	v_fma_f64 v[136:137], -v[138:139], v[150:151], v[136:137]
	ds_read2_b64 v[148:151], v211 offset0:9 offset1:10
	s_waitcnt vmcnt(29) lgkmcnt(2)
	v_fma_f64 v[102:103], -v[138:139], v[152:153], v[102:103]
	s_waitcnt vmcnt(28)
	v_fma_f64 v[134:135], -v[138:139], v[154:155], v[134:135]
	s_waitcnt vmcnt(27) lgkmcnt(1)
	v_fma_f64 v[100:101], -v[138:139], v[156:157], v[100:101]
	ds_read2_b64 v[152:155], v211 offset0:11 offset1:12
	s_waitcnt vmcnt(26)
	v_fma_f64 v[132:133], -v[138:139], v[158:159], v[132:133]
	ds_read2_b64 v[156:159], v211 offset0:13 offset1:14
	s_waitcnt vmcnt(25) lgkmcnt(2)
	v_fma_f64 v[98:99], -v[138:139], v[148:149], v[98:99]
	s_waitcnt vmcnt(24)
	v_fma_f64 v[130:131], -v[138:139], v[150:151], v[130:131]
	ds_read2_b64 v[148:151], v211 offset0:15 offset1:16
	s_waitcnt vmcnt(23) lgkmcnt(2)
	v_fma_f64 v[96:97], -v[138:139], v[152:153], v[96:97]
	;; [unrolled: 5-line block ×3, first 2 shown]
	s_waitcnt vmcnt(20)
	v_fma_f64 v[126:127], -v[138:139], v[158:159], v[126:127]
	s_waitcnt vmcnt(19) lgkmcnt(1)
	v_fma_f64 v[92:93], -v[138:139], v[148:149], v[92:93]
	ds_read2_b64 v[156:159], v211 offset0:19 offset1:20
	s_waitcnt vmcnt(18)
	v_fma_f64 v[124:125], -v[138:139], v[150:151], v[124:125]
	ds_read2_b64 v[148:151], v211 offset0:21 offset1:22
	s_waitcnt vmcnt(17) lgkmcnt(2)
	v_fma_f64 v[90:91], -v[138:139], v[152:153], v[90:91]
	s_waitcnt vmcnt(16)
	v_fma_f64 v[122:123], -v[138:139], v[154:155], v[122:123]
	s_waitcnt vmcnt(15) lgkmcnt(1)
	v_fma_f64 v[88:89], -v[138:139], v[156:157], v[88:89]
	ds_read2_b64 v[152:155], v211 offset0:23 offset1:24
	s_waitcnt vmcnt(14)
	v_fma_f64 v[120:121], -v[138:139], v[158:159], v[120:121]
	ds_read2_b64 v[156:159], v211 offset0:25 offset1:26
	s_waitcnt vmcnt(13) lgkmcnt(2)
	v_fma_f64 v[86:87], -v[138:139], v[148:149], v[86:87]
	s_waitcnt vmcnt(12)
	v_fma_f64 v[118:119], -v[138:139], v[150:151], v[118:119]
	ds_read2_b64 v[148:151], v211 offset0:27 offset1:28
	s_waitcnt vmcnt(11) lgkmcnt(2)
	v_fma_f64 v[84:85], -v[138:139], v[152:153], v[84:85]
	;; [unrolled: 5-line block ×3, first 2 shown]
	s_waitcnt vmcnt(8)
	v_fma_f64 v[114:115], -v[138:139], v[158:159], v[114:115]
	s_waitcnt vmcnt(7) lgkmcnt(1)
	v_fma_f64 v[80:81], -v[138:139], v[148:149], v[80:81]
	ds_read2_b64 v[156:159], v211 offset0:31 offset1:32
	s_waitcnt vmcnt(6)
	v_fma_f64 v[112:113], -v[138:139], v[150:151], v[112:113]
	ds_read2_b64 v[148:151], v211 offset0:33 offset1:34
	s_waitcnt vmcnt(5) lgkmcnt(2)
	v_fma_f64 v[78:79], -v[138:139], v[152:153], v[78:79]
	s_waitcnt vmcnt(4)
	v_fma_f64 v[110:111], -v[138:139], v[154:155], v[110:111]
	s_waitcnt vmcnt(3) lgkmcnt(1)
	v_fma_f64 v[76:77], -v[138:139], v[156:157], v[76:77]
	s_waitcnt vmcnt(2)
	v_fma_f64 v[108:109], -v[138:139], v[158:159], v[108:109]
	;; [unrolled: 4-line block ×3, first 2 shown]
.LBB69_16:
	s_or_b64 exec, exec, s[2:3]
	v_cmp_eq_u32_e32 vcc, 3, v212
	s_waitcnt lgkmcnt(0)
	s_barrier
	s_and_saveexec_b64 s[2:3], vcc
	s_cbranch_execz .LBB69_19
; %bb.17:
	s_waitcnt vmcnt(30)
	v_mov_b32_e32 v148, v136
	v_mov_b32_e32 v149, v137
	s_waitcnt vmcnt(29)
	v_mov_b32_e32 v150, v102
	v_mov_b32_e32 v151, v103
	ds_write_b64 v210, v[104:105]
	ds_write2_b64 v211, v[148:149], v[150:151] offset0:4 offset1:5
	s_waitcnt vmcnt(28)
	v_mov_b32_e32 v148, v134
	v_mov_b32_e32 v149, v135
	s_waitcnt vmcnt(27)
	v_mov_b32_e32 v150, v100
	v_mov_b32_e32 v151, v101
	ds_write2_b64 v211, v[148:149], v[150:151] offset0:6 offset1:7
	s_waitcnt vmcnt(26)
	v_mov_b32_e32 v148, v132
	v_mov_b32_e32 v149, v133
	s_waitcnt vmcnt(25)
	v_mov_b32_e32 v150, v98
	v_mov_b32_e32 v151, v99
	;; [unrolled: 7-line block ×14, first 2 shown]
	ds_write2_b64 v211, v[148:149], v[150:151] offset0:32 offset1:33
	s_waitcnt vmcnt(0)
	ds_write_b64 v211, v[140:141] offset:272
	ds_read_b64 v[148:149], v210
	s_waitcnt lgkmcnt(0)
	v_cmp_neq_f64_e32 vcc, 0, v[148:149]
	s_and_b64 exec, exec, vcc
	s_cbranch_execz .LBB69_19
; %bb.18:
	v_div_scale_f64 v[150:151], s[6:7], v[148:149], v[148:149], 1.0
	v_rcp_f64_e32 v[152:153], v[150:151]
	v_div_scale_f64 v[154:155], vcc, 1.0, v[148:149], 1.0
	v_fma_f64 v[156:157], -v[150:151], v[152:153], 1.0
	v_fmac_f64_e32 v[152:153], v[152:153], v[156:157]
	v_fma_f64 v[156:157], -v[150:151], v[152:153], 1.0
	v_fmac_f64_e32 v[152:153], v[152:153], v[156:157]
	v_mul_f64 v[156:157], v[154:155], v[152:153]
	v_fma_f64 v[150:151], -v[150:151], v[156:157], v[154:155]
	v_div_fmas_f64 v[150:151], v[150:151], v[152:153], v[156:157]
	v_div_fixup_f64 v[148:149], v[150:151], v[148:149], 1.0
	ds_write_b64 v210, v[148:149]
.LBB69_19:
	s_or_b64 exec, exec, s[2:3]
	s_waitcnt lgkmcnt(0)
	s_barrier
	ds_read_b64 v[148:149], v210
	v_cmp_lt_u32_e32 vcc, 3, v212
	s_and_saveexec_b64 s[2:3], vcc
	s_cbranch_execz .LBB69_21
; %bb.20:
	ds_read2_b64 v[150:153], v211 offset0:4 offset1:5
	ds_read2_b64 v[154:157], v211 offset0:6 offset1:7
	s_waitcnt vmcnt(31) lgkmcnt(2)
	v_mul_f64 v[104:105], v[148:149], v[104:105]
	ds_read2_b64 v[158:161], v211 offset0:8 offset1:9
	s_waitcnt vmcnt(30) lgkmcnt(2)
	v_fma_f64 v[136:137], -v[104:105], v[150:151], v[136:137]
	s_waitcnt vmcnt(29)
	v_fma_f64 v[102:103], -v[104:105], v[152:153], v[102:103]
	ds_read2_b64 v[150:153], v211 offset0:10 offset1:11
	s_waitcnt vmcnt(28) lgkmcnt(2)
	v_fma_f64 v[134:135], -v[104:105], v[154:155], v[134:135]
	s_waitcnt vmcnt(27)
	v_fma_f64 v[100:101], -v[104:105], v[156:157], v[100:101]
	s_waitcnt vmcnt(26) lgkmcnt(1)
	v_fma_f64 v[132:133], -v[104:105], v[158:159], v[132:133]
	ds_read2_b64 v[154:157], v211 offset0:12 offset1:13
	s_waitcnt vmcnt(25)
	v_fma_f64 v[98:99], -v[104:105], v[160:161], v[98:99]
	ds_read2_b64 v[158:161], v211 offset0:14 offset1:15
	s_waitcnt vmcnt(24) lgkmcnt(2)
	v_fma_f64 v[130:131], -v[104:105], v[150:151], v[130:131]
	s_waitcnt vmcnt(23)
	v_fma_f64 v[96:97], -v[104:105], v[152:153], v[96:97]
	ds_read2_b64 v[150:153], v211 offset0:16 offset1:17
	s_waitcnt vmcnt(22) lgkmcnt(2)
	v_fma_f64 v[128:129], -v[104:105], v[154:155], v[128:129]
	;; [unrolled: 5-line block ×3, first 2 shown]
	s_waitcnt vmcnt(19)
	v_fma_f64 v[92:93], -v[104:105], v[160:161], v[92:93]
	s_waitcnt vmcnt(18) lgkmcnt(1)
	v_fma_f64 v[124:125], -v[104:105], v[150:151], v[124:125]
	ds_read2_b64 v[158:161], v211 offset0:20 offset1:21
	s_waitcnt vmcnt(17)
	v_fma_f64 v[90:91], -v[104:105], v[152:153], v[90:91]
	ds_read2_b64 v[150:153], v211 offset0:22 offset1:23
	s_waitcnt vmcnt(16) lgkmcnt(2)
	v_fma_f64 v[122:123], -v[104:105], v[154:155], v[122:123]
	s_waitcnt vmcnt(15)
	v_fma_f64 v[88:89], -v[104:105], v[156:157], v[88:89]
	s_waitcnt vmcnt(14) lgkmcnt(1)
	v_fma_f64 v[120:121], -v[104:105], v[158:159], v[120:121]
	ds_read2_b64 v[154:157], v211 offset0:24 offset1:25
	s_waitcnt vmcnt(13)
	v_fma_f64 v[86:87], -v[104:105], v[160:161], v[86:87]
	ds_read2_b64 v[158:161], v211 offset0:26 offset1:27
	s_waitcnt vmcnt(12) lgkmcnt(2)
	v_fma_f64 v[118:119], -v[104:105], v[150:151], v[118:119]
	s_waitcnt vmcnt(11)
	v_fma_f64 v[84:85], -v[104:105], v[152:153], v[84:85]
	ds_read2_b64 v[150:153], v211 offset0:28 offset1:29
	s_waitcnt vmcnt(10) lgkmcnt(2)
	v_fma_f64 v[116:117], -v[104:105], v[154:155], v[116:117]
	;; [unrolled: 5-line block ×3, first 2 shown]
	s_waitcnt vmcnt(7)
	v_fma_f64 v[80:81], -v[104:105], v[160:161], v[80:81]
	s_waitcnt vmcnt(6) lgkmcnt(1)
	v_fma_f64 v[112:113], -v[104:105], v[150:151], v[112:113]
	ds_read2_b64 v[158:161], v211 offset0:32 offset1:33
	ds_read_b64 v[150:151], v211 offset:272
	s_waitcnt vmcnt(5)
	v_fma_f64 v[78:79], -v[104:105], v[152:153], v[78:79]
	s_waitcnt vmcnt(4) lgkmcnt(2)
	v_fma_f64 v[110:111], -v[104:105], v[154:155], v[110:111]
	s_waitcnt vmcnt(3)
	v_fma_f64 v[76:77], -v[104:105], v[156:157], v[76:77]
	s_waitcnt vmcnt(2) lgkmcnt(1)
	v_fma_f64 v[108:109], -v[104:105], v[158:159], v[108:109]
	;; [unrolled: 4-line block ×3, first 2 shown]
.LBB69_21:
	s_or_b64 exec, exec, s[2:3]
	v_cmp_eq_u32_e32 vcc, 4, v212
	s_waitcnt lgkmcnt(0)
	s_barrier
	s_and_saveexec_b64 s[2:3], vcc
	s_cbranch_execz .LBB69_24
; %bb.22:
	s_waitcnt vmcnt(30)
	ds_write_b64 v210, v[136:137]
	s_waitcnt vmcnt(28)
	ds_write2_b64 v211, v[102:103], v[134:135] offset0:5 offset1:6
	s_waitcnt vmcnt(26)
	ds_write2_b64 v211, v[100:101], v[132:133] offset0:7 offset1:8
	;; [unrolled: 2-line block ×15, first 2 shown]
	ds_read_b64 v[150:151], v210
	s_waitcnt lgkmcnt(0)
	v_cmp_neq_f64_e32 vcc, 0, v[150:151]
	s_and_b64 exec, exec, vcc
	s_cbranch_execz .LBB69_24
; %bb.23:
	v_div_scale_f64 v[152:153], s[6:7], v[150:151], v[150:151], 1.0
	v_rcp_f64_e32 v[154:155], v[152:153]
	v_div_scale_f64 v[156:157], vcc, 1.0, v[150:151], 1.0
	v_fma_f64 v[158:159], -v[152:153], v[154:155], 1.0
	v_fmac_f64_e32 v[154:155], v[154:155], v[158:159]
	v_fma_f64 v[158:159], -v[152:153], v[154:155], 1.0
	v_fmac_f64_e32 v[154:155], v[154:155], v[158:159]
	v_mul_f64 v[158:159], v[156:157], v[154:155]
	v_fma_f64 v[152:153], -v[152:153], v[158:159], v[156:157]
	v_div_fmas_f64 v[152:153], v[152:153], v[154:155], v[158:159]
	v_div_fixup_f64 v[150:151], v[152:153], v[150:151], 1.0
	ds_write_b64 v210, v[150:151]
.LBB69_24:
	s_or_b64 exec, exec, s[2:3]
	s_waitcnt lgkmcnt(0)
	s_barrier
	ds_read_b64 v[150:151], v210
	v_cmp_lt_u32_e32 vcc, 4, v212
	s_and_saveexec_b64 s[2:3], vcc
	s_cbranch_execz .LBB69_26
; %bb.25:
	ds_read2_b64 v[152:155], v211 offset0:5 offset1:6
	ds_read2_b64 v[156:159], v211 offset0:7 offset1:8
	;; [unrolled: 1-line block ×3, first 2 shown]
	s_waitcnt vmcnt(30) lgkmcnt(3)
	v_mul_f64 v[136:137], v[150:151], v[136:137]
	s_waitcnt vmcnt(29) lgkmcnt(2)
	v_fma_f64 v[102:103], -v[136:137], v[152:153], v[102:103]
	s_waitcnt vmcnt(28)
	v_fma_f64 v[134:135], -v[136:137], v[154:155], v[134:135]
	ds_read2_b64 v[152:155], v211 offset0:11 offset1:12
	s_waitcnt vmcnt(27) lgkmcnt(2)
	v_fma_f64 v[100:101], -v[136:137], v[156:157], v[100:101]
	s_waitcnt vmcnt(26)
	v_fma_f64 v[132:133], -v[136:137], v[158:159], v[132:133]
	s_waitcnt vmcnt(25) lgkmcnt(1)
	v_fma_f64 v[98:99], -v[136:137], v[160:161], v[98:99]
	ds_read2_b64 v[156:159], v211 offset0:13 offset1:14
	s_waitcnt vmcnt(24)
	v_fma_f64 v[130:131], -v[136:137], v[162:163], v[130:131]
	ds_read2_b64 v[160:163], v211 offset0:15 offset1:16
	s_waitcnt vmcnt(23) lgkmcnt(2)
	v_fma_f64 v[96:97], -v[136:137], v[152:153], v[96:97]
	s_waitcnt vmcnt(22)
	v_fma_f64 v[128:129], -v[136:137], v[154:155], v[128:129]
	s_waitcnt vmcnt(21) lgkmcnt(1)
	v_fma_f64 v[94:95], -v[136:137], v[156:157], v[94:95]
	ds_read2_b64 v[152:155], v211 offset0:17 offset1:18
	s_waitcnt vmcnt(20)
	v_fma_f64 v[126:127], -v[136:137], v[158:159], v[126:127]
	ds_read2_b64 v[156:159], v211 offset0:19 offset1:20
	s_waitcnt vmcnt(19) lgkmcnt(2)
	v_fma_f64 v[92:93], -v[136:137], v[160:161], v[92:93]
	s_waitcnt vmcnt(18)
	v_fma_f64 v[124:125], -v[136:137], v[162:163], v[124:125]
	ds_read2_b64 v[160:163], v211 offset0:21 offset1:22
	s_waitcnt vmcnt(17) lgkmcnt(2)
	v_fma_f64 v[90:91], -v[136:137], v[152:153], v[90:91]
	;; [unrolled: 5-line block ×3, first 2 shown]
	s_waitcnt vmcnt(14)
	v_fma_f64 v[120:121], -v[136:137], v[158:159], v[120:121]
	s_waitcnt vmcnt(13) lgkmcnt(1)
	v_fma_f64 v[86:87], -v[136:137], v[160:161], v[86:87]
	ds_read2_b64 v[156:159], v211 offset0:25 offset1:26
	s_waitcnt vmcnt(12)
	v_fma_f64 v[118:119], -v[136:137], v[162:163], v[118:119]
	ds_read2_b64 v[160:163], v211 offset0:27 offset1:28
	s_waitcnt vmcnt(11) lgkmcnt(2)
	v_fma_f64 v[84:85], -v[136:137], v[152:153], v[84:85]
	s_waitcnt vmcnt(10)
	v_fma_f64 v[116:117], -v[136:137], v[154:155], v[116:117]
	s_waitcnt vmcnt(9) lgkmcnt(1)
	v_fma_f64 v[82:83], -v[136:137], v[156:157], v[82:83]
	s_waitcnt vmcnt(8)
	v_fma_f64 v[114:115], -v[136:137], v[158:159], v[114:115]
	ds_read2_b64 v[152:155], v211 offset0:29 offset1:30
	ds_read2_b64 v[156:159], v211 offset0:31 offset1:32
	s_waitcnt vmcnt(7) lgkmcnt(2)
	v_fma_f64 v[80:81], -v[136:137], v[160:161], v[80:81]
	s_waitcnt vmcnt(6)
	v_fma_f64 v[112:113], -v[136:137], v[162:163], v[112:113]
	ds_read2_b64 v[160:163], v211 offset0:33 offset1:34
	s_waitcnt vmcnt(5) lgkmcnt(2)
	v_fma_f64 v[78:79], -v[136:137], v[152:153], v[78:79]
	s_waitcnt vmcnt(4)
	v_fma_f64 v[110:111], -v[136:137], v[154:155], v[110:111]
	s_waitcnt vmcnt(3) lgkmcnt(1)
	v_fma_f64 v[76:77], -v[136:137], v[156:157], v[76:77]
	s_waitcnt vmcnt(2)
	v_fma_f64 v[108:109], -v[136:137], v[158:159], v[108:109]
	;; [unrolled: 4-line block ×3, first 2 shown]
.LBB69_26:
	s_or_b64 exec, exec, s[2:3]
	v_cmp_eq_u32_e32 vcc, 5, v212
	s_waitcnt lgkmcnt(0)
	s_barrier
	s_and_saveexec_b64 s[2:3], vcc
	s_cbranch_execz .LBB69_29
; %bb.27:
	s_waitcnt vmcnt(28)
	v_mov_b32_e32 v152, v134
	v_mov_b32_e32 v153, v135
	s_waitcnt vmcnt(27)
	v_mov_b32_e32 v154, v100
	v_mov_b32_e32 v155, v101
	ds_write_b64 v210, v[102:103]
	ds_write2_b64 v211, v[152:153], v[154:155] offset0:6 offset1:7
	s_waitcnt vmcnt(26)
	v_mov_b32_e32 v152, v132
	v_mov_b32_e32 v153, v133
	s_waitcnt vmcnt(25)
	v_mov_b32_e32 v154, v98
	v_mov_b32_e32 v155, v99
	ds_write2_b64 v211, v[152:153], v[154:155] offset0:8 offset1:9
	s_waitcnt vmcnt(24)
	v_mov_b32_e32 v152, v130
	v_mov_b32_e32 v153, v131
	s_waitcnt vmcnt(23)
	v_mov_b32_e32 v154, v96
	v_mov_b32_e32 v155, v97
	;; [unrolled: 7-line block ×13, first 2 shown]
	ds_write2_b64 v211, v[152:153], v[154:155] offset0:32 offset1:33
	s_waitcnt vmcnt(0)
	ds_write_b64 v211, v[140:141] offset:272
	ds_read_b64 v[152:153], v210
	s_waitcnt lgkmcnt(0)
	v_cmp_neq_f64_e32 vcc, 0, v[152:153]
	s_and_b64 exec, exec, vcc
	s_cbranch_execz .LBB69_29
; %bb.28:
	v_div_scale_f64 v[154:155], s[6:7], v[152:153], v[152:153], 1.0
	v_rcp_f64_e32 v[156:157], v[154:155]
	v_div_scale_f64 v[158:159], vcc, 1.0, v[152:153], 1.0
	v_fma_f64 v[160:161], -v[154:155], v[156:157], 1.0
	v_fmac_f64_e32 v[156:157], v[156:157], v[160:161]
	v_fma_f64 v[160:161], -v[154:155], v[156:157], 1.0
	v_fmac_f64_e32 v[156:157], v[156:157], v[160:161]
	v_mul_f64 v[160:161], v[158:159], v[156:157]
	v_fma_f64 v[154:155], -v[154:155], v[160:161], v[158:159]
	v_div_fmas_f64 v[154:155], v[154:155], v[156:157], v[160:161]
	v_div_fixup_f64 v[152:153], v[154:155], v[152:153], 1.0
	ds_write_b64 v210, v[152:153]
.LBB69_29:
	s_or_b64 exec, exec, s[2:3]
	s_waitcnt lgkmcnt(0)
	s_barrier
	ds_read_b64 v[152:153], v210
	v_cmp_lt_u32_e32 vcc, 5, v212
	s_and_saveexec_b64 s[2:3], vcc
	s_cbranch_execz .LBB69_31
; %bb.30:
	ds_read2_b64 v[154:157], v211 offset0:6 offset1:7
	ds_read2_b64 v[158:161], v211 offset0:8 offset1:9
	;; [unrolled: 1-line block ×3, first 2 shown]
	s_waitcnt vmcnt(29) lgkmcnt(3)
	v_mul_f64 v[102:103], v[152:153], v[102:103]
	s_waitcnt vmcnt(28) lgkmcnt(2)
	v_fma_f64 v[134:135], -v[102:103], v[154:155], v[134:135]
	s_waitcnt vmcnt(27)
	v_fma_f64 v[100:101], -v[102:103], v[156:157], v[100:101]
	ds_read2_b64 v[154:157], v211 offset0:12 offset1:13
	s_waitcnt vmcnt(26) lgkmcnt(2)
	v_fma_f64 v[132:133], -v[102:103], v[158:159], v[132:133]
	s_waitcnt vmcnt(25)
	v_fma_f64 v[98:99], -v[102:103], v[160:161], v[98:99]
	s_waitcnt vmcnt(24) lgkmcnt(1)
	v_fma_f64 v[130:131], -v[102:103], v[162:163], v[130:131]
	ds_read2_b64 v[158:161], v211 offset0:14 offset1:15
	s_waitcnt vmcnt(23)
	v_fma_f64 v[96:97], -v[102:103], v[164:165], v[96:97]
	ds_read2_b64 v[162:165], v211 offset0:16 offset1:17
	s_waitcnt vmcnt(22) lgkmcnt(2)
	v_fma_f64 v[128:129], -v[102:103], v[154:155], v[128:129]
	s_waitcnt vmcnt(21)
	v_fma_f64 v[94:95], -v[102:103], v[156:157], v[94:95]
	s_waitcnt vmcnt(20) lgkmcnt(1)
	v_fma_f64 v[126:127], -v[102:103], v[158:159], v[126:127]
	ds_read2_b64 v[154:157], v211 offset0:18 offset1:19
	s_waitcnt vmcnt(19)
	v_fma_f64 v[92:93], -v[102:103], v[160:161], v[92:93]
	ds_read2_b64 v[158:161], v211 offset0:20 offset1:21
	s_waitcnt vmcnt(18) lgkmcnt(2)
	v_fma_f64 v[124:125], -v[102:103], v[162:163], v[124:125]
	s_waitcnt vmcnt(17)
	v_fma_f64 v[90:91], -v[102:103], v[164:165], v[90:91]
	ds_read2_b64 v[162:165], v211 offset0:22 offset1:23
	s_waitcnt vmcnt(16) lgkmcnt(2)
	v_fma_f64 v[122:123], -v[102:103], v[154:155], v[122:123]
	;; [unrolled: 5-line block ×3, first 2 shown]
	s_waitcnt vmcnt(13)
	v_fma_f64 v[86:87], -v[102:103], v[160:161], v[86:87]
	s_waitcnt vmcnt(12) lgkmcnt(1)
	v_fma_f64 v[118:119], -v[102:103], v[162:163], v[118:119]
	ds_read2_b64 v[158:161], v211 offset0:26 offset1:27
	s_waitcnt vmcnt(11)
	v_fma_f64 v[84:85], -v[102:103], v[164:165], v[84:85]
	ds_read2_b64 v[162:165], v211 offset0:28 offset1:29
	s_waitcnt vmcnt(10) lgkmcnt(2)
	v_fma_f64 v[116:117], -v[102:103], v[154:155], v[116:117]
	s_waitcnt vmcnt(9)
	v_fma_f64 v[82:83], -v[102:103], v[156:157], v[82:83]
	s_waitcnt vmcnt(8) lgkmcnt(1)
	v_fma_f64 v[114:115], -v[102:103], v[158:159], v[114:115]
	s_waitcnt vmcnt(7)
	v_fma_f64 v[80:81], -v[102:103], v[160:161], v[80:81]
	ds_read2_b64 v[154:157], v211 offset0:30 offset1:31
	ds_read2_b64 v[158:161], v211 offset0:32 offset1:33
	s_waitcnt vmcnt(6) lgkmcnt(2)
	v_fma_f64 v[112:113], -v[102:103], v[162:163], v[112:113]
	ds_read_b64 v[162:163], v211 offset:272
	s_waitcnt vmcnt(5)
	v_fma_f64 v[78:79], -v[102:103], v[164:165], v[78:79]
	s_waitcnt vmcnt(4) lgkmcnt(2)
	v_fma_f64 v[110:111], -v[102:103], v[154:155], v[110:111]
	s_waitcnt vmcnt(3)
	v_fma_f64 v[76:77], -v[102:103], v[156:157], v[76:77]
	s_waitcnt vmcnt(2) lgkmcnt(1)
	v_fma_f64 v[108:109], -v[102:103], v[158:159], v[108:109]
	;; [unrolled: 4-line block ×3, first 2 shown]
.LBB69_31:
	s_or_b64 exec, exec, s[2:3]
	v_cmp_eq_u32_e32 vcc, 6, v212
	s_waitcnt lgkmcnt(0)
	s_barrier
	s_and_saveexec_b64 s[2:3], vcc
	s_cbranch_execz .LBB69_34
; %bb.32:
	s_waitcnt vmcnt(28)
	ds_write_b64 v210, v[134:135]
	s_waitcnt vmcnt(26)
	ds_write2_b64 v211, v[100:101], v[132:133] offset0:7 offset1:8
	s_waitcnt vmcnt(24)
	ds_write2_b64 v211, v[98:99], v[130:131] offset0:9 offset1:10
	;; [unrolled: 2-line block ×14, first 2 shown]
	ds_read_b64 v[154:155], v210
	s_waitcnt lgkmcnt(0)
	v_cmp_neq_f64_e32 vcc, 0, v[154:155]
	s_and_b64 exec, exec, vcc
	s_cbranch_execz .LBB69_34
; %bb.33:
	v_div_scale_f64 v[156:157], s[6:7], v[154:155], v[154:155], 1.0
	v_rcp_f64_e32 v[158:159], v[156:157]
	v_div_scale_f64 v[160:161], vcc, 1.0, v[154:155], 1.0
	v_fma_f64 v[162:163], -v[156:157], v[158:159], 1.0
	v_fmac_f64_e32 v[158:159], v[158:159], v[162:163]
	v_fma_f64 v[162:163], -v[156:157], v[158:159], 1.0
	v_fmac_f64_e32 v[158:159], v[158:159], v[162:163]
	v_mul_f64 v[162:163], v[160:161], v[158:159]
	v_fma_f64 v[156:157], -v[156:157], v[162:163], v[160:161]
	v_div_fmas_f64 v[156:157], v[156:157], v[158:159], v[162:163]
	v_div_fixup_f64 v[154:155], v[156:157], v[154:155], 1.0
	ds_write_b64 v210, v[154:155]
.LBB69_34:
	s_or_b64 exec, exec, s[2:3]
	s_waitcnt lgkmcnt(0)
	s_barrier
	ds_read_b64 v[154:155], v210
	v_cmp_lt_u32_e32 vcc, 6, v212
	s_and_saveexec_b64 s[2:3], vcc
	s_cbranch_execz .LBB69_36
; %bb.35:
	ds_read2_b64 v[156:159], v211 offset0:7 offset1:8
	ds_read2_b64 v[160:163], v211 offset0:9 offset1:10
	s_waitcnt vmcnt(28) lgkmcnt(2)
	v_mul_f64 v[134:135], v[154:155], v[134:135]
	ds_read2_b64 v[164:167], v211 offset0:11 offset1:12
	s_waitcnt vmcnt(27) lgkmcnt(2)
	v_fma_f64 v[100:101], -v[134:135], v[156:157], v[100:101]
	s_waitcnt vmcnt(26)
	v_fma_f64 v[132:133], -v[134:135], v[158:159], v[132:133]
	ds_read2_b64 v[156:159], v211 offset0:13 offset1:14
	s_waitcnt vmcnt(25) lgkmcnt(2)
	v_fma_f64 v[98:99], -v[134:135], v[160:161], v[98:99]
	s_waitcnt vmcnt(24)
	v_fma_f64 v[130:131], -v[134:135], v[162:163], v[130:131]
	ds_read2_b64 v[160:163], v211 offset0:15 offset1:16
	s_waitcnt vmcnt(23) lgkmcnt(2)
	v_fma_f64 v[96:97], -v[134:135], v[164:165], v[96:97]
	s_waitcnt vmcnt(22)
	v_fma_f64 v[128:129], -v[134:135], v[166:167], v[128:129]
	ds_read2_b64 v[164:167], v211 offset0:17 offset1:18
	s_waitcnt vmcnt(21) lgkmcnt(2)
	v_fma_f64 v[94:95], -v[134:135], v[156:157], v[94:95]
	s_waitcnt vmcnt(20)
	v_fma_f64 v[126:127], -v[134:135], v[158:159], v[126:127]
	s_waitcnt vmcnt(19) lgkmcnt(1)
	v_fma_f64 v[92:93], -v[134:135], v[160:161], v[92:93]
	ds_read2_b64 v[156:159], v211 offset0:19 offset1:20
	s_waitcnt vmcnt(18)
	v_fma_f64 v[124:125], -v[134:135], v[162:163], v[124:125]
	ds_read2_b64 v[160:163], v211 offset0:21 offset1:22
	s_waitcnt vmcnt(17) lgkmcnt(2)
	v_fma_f64 v[90:91], -v[134:135], v[164:165], v[90:91]
	s_waitcnt vmcnt(16)
	v_fma_f64 v[122:123], -v[134:135], v[166:167], v[122:123]
	s_waitcnt vmcnt(15) lgkmcnt(1)
	v_fma_f64 v[88:89], -v[134:135], v[156:157], v[88:89]
	ds_read2_b64 v[164:167], v211 offset0:23 offset1:24
	s_waitcnt vmcnt(14)
	v_fma_f64 v[120:121], -v[134:135], v[158:159], v[120:121]
	ds_read2_b64 v[156:159], v211 offset0:25 offset1:26
	s_waitcnt vmcnt(13) lgkmcnt(2)
	v_fma_f64 v[86:87], -v[134:135], v[160:161], v[86:87]
	s_waitcnt vmcnt(12)
	v_fma_f64 v[118:119], -v[134:135], v[162:163], v[118:119]
	ds_read2_b64 v[160:163], v211 offset0:27 offset1:28
	s_waitcnt vmcnt(11) lgkmcnt(2)
	v_fma_f64 v[84:85], -v[134:135], v[164:165], v[84:85]
	s_waitcnt vmcnt(10)
	v_fma_f64 v[116:117], -v[134:135], v[166:167], v[116:117]
	s_waitcnt vmcnt(9) lgkmcnt(1)
	v_fma_f64 v[82:83], -v[134:135], v[156:157], v[82:83]
	s_waitcnt vmcnt(8)
	v_fma_f64 v[114:115], -v[134:135], v[158:159], v[114:115]
	ds_read2_b64 v[156:159], v211 offset0:29 offset1:30
	s_waitcnt vmcnt(7) lgkmcnt(1)
	v_fma_f64 v[80:81], -v[134:135], v[160:161], v[80:81]
	ds_read2_b64 v[164:167], v211 offset0:31 offset1:32
	s_waitcnt vmcnt(6)
	v_fma_f64 v[112:113], -v[134:135], v[162:163], v[112:113]
	ds_read2_b64 v[160:163], v211 offset0:33 offset1:34
	s_waitcnt vmcnt(5) lgkmcnt(2)
	v_fma_f64 v[78:79], -v[134:135], v[156:157], v[78:79]
	s_waitcnt vmcnt(4)
	v_fma_f64 v[110:111], -v[134:135], v[158:159], v[110:111]
	s_waitcnt vmcnt(3) lgkmcnt(1)
	v_fma_f64 v[76:77], -v[134:135], v[164:165], v[76:77]
	s_waitcnt vmcnt(2)
	v_fma_f64 v[108:109], -v[134:135], v[166:167], v[108:109]
	;; [unrolled: 4-line block ×3, first 2 shown]
.LBB69_36:
	s_or_b64 exec, exec, s[2:3]
	v_cmp_eq_u32_e32 vcc, 7, v212
	s_waitcnt lgkmcnt(0)
	s_barrier
	s_and_saveexec_b64 s[2:3], vcc
	s_cbranch_execz .LBB69_39
; %bb.37:
	s_waitcnt vmcnt(26)
	v_mov_b32_e32 v156, v132
	v_mov_b32_e32 v157, v133
	s_waitcnt vmcnt(25)
	v_mov_b32_e32 v158, v98
	v_mov_b32_e32 v159, v99
	ds_write_b64 v210, v[100:101]
	ds_write2_b64 v211, v[156:157], v[158:159] offset0:8 offset1:9
	s_waitcnt vmcnt(24)
	v_mov_b32_e32 v156, v130
	v_mov_b32_e32 v157, v131
	s_waitcnt vmcnt(23)
	v_mov_b32_e32 v158, v96
	v_mov_b32_e32 v159, v97
	ds_write2_b64 v211, v[156:157], v[158:159] offset0:10 offset1:11
	s_waitcnt vmcnt(22)
	v_mov_b32_e32 v156, v128
	v_mov_b32_e32 v157, v129
	s_waitcnt vmcnt(21)
	v_mov_b32_e32 v158, v94
	v_mov_b32_e32 v159, v95
	;; [unrolled: 7-line block ×12, first 2 shown]
	ds_write2_b64 v211, v[156:157], v[158:159] offset0:32 offset1:33
	s_waitcnt vmcnt(0)
	ds_write_b64 v211, v[140:141] offset:272
	ds_read_b64 v[156:157], v210
	s_waitcnt lgkmcnt(0)
	v_cmp_neq_f64_e32 vcc, 0, v[156:157]
	s_and_b64 exec, exec, vcc
	s_cbranch_execz .LBB69_39
; %bb.38:
	v_div_scale_f64 v[158:159], s[6:7], v[156:157], v[156:157], 1.0
	v_rcp_f64_e32 v[160:161], v[158:159]
	v_div_scale_f64 v[162:163], vcc, 1.0, v[156:157], 1.0
	v_fma_f64 v[164:165], -v[158:159], v[160:161], 1.0
	v_fmac_f64_e32 v[160:161], v[160:161], v[164:165]
	v_fma_f64 v[164:165], -v[158:159], v[160:161], 1.0
	v_fmac_f64_e32 v[160:161], v[160:161], v[164:165]
	v_mul_f64 v[164:165], v[162:163], v[160:161]
	v_fma_f64 v[158:159], -v[158:159], v[164:165], v[162:163]
	v_div_fmas_f64 v[158:159], v[158:159], v[160:161], v[164:165]
	v_div_fixup_f64 v[156:157], v[158:159], v[156:157], 1.0
	ds_write_b64 v210, v[156:157]
.LBB69_39:
	s_or_b64 exec, exec, s[2:3]
	s_waitcnt lgkmcnt(0)
	s_barrier
	ds_read_b64 v[156:157], v210
	v_cmp_lt_u32_e32 vcc, 7, v212
	s_and_saveexec_b64 s[2:3], vcc
	s_cbranch_execz .LBB69_41
; %bb.40:
	ds_read2_b64 v[158:161], v211 offset0:8 offset1:9
	ds_read2_b64 v[162:165], v211 offset0:10 offset1:11
	s_waitcnt vmcnt(27) lgkmcnt(2)
	v_mul_f64 v[100:101], v[156:157], v[100:101]
	ds_read2_b64 v[166:169], v211 offset0:12 offset1:13
	s_waitcnt vmcnt(26) lgkmcnt(2)
	v_fma_f64 v[132:133], -v[100:101], v[158:159], v[132:133]
	s_waitcnt vmcnt(25)
	v_fma_f64 v[98:99], -v[100:101], v[160:161], v[98:99]
	ds_read2_b64 v[158:161], v211 offset0:14 offset1:15
	s_waitcnt vmcnt(24) lgkmcnt(2)
	v_fma_f64 v[130:131], -v[100:101], v[162:163], v[130:131]
	s_waitcnt vmcnt(23)
	v_fma_f64 v[96:97], -v[100:101], v[164:165], v[96:97]
	;; [unrolled: 5-line block ×4, first 2 shown]
	s_waitcnt vmcnt(18) lgkmcnt(1)
	v_fma_f64 v[124:125], -v[100:101], v[162:163], v[124:125]
	ds_read2_b64 v[158:161], v211 offset0:20 offset1:21
	s_waitcnt vmcnt(17)
	v_fma_f64 v[90:91], -v[100:101], v[164:165], v[90:91]
	ds_read2_b64 v[162:165], v211 offset0:22 offset1:23
	s_waitcnt vmcnt(16) lgkmcnt(2)
	v_fma_f64 v[122:123], -v[100:101], v[166:167], v[122:123]
	s_waitcnt vmcnt(15)
	v_fma_f64 v[88:89], -v[100:101], v[168:169], v[88:89]
	s_waitcnt vmcnt(14) lgkmcnt(1)
	v_fma_f64 v[120:121], -v[100:101], v[158:159], v[120:121]
	ds_read2_b64 v[166:169], v211 offset0:24 offset1:25
	s_waitcnt vmcnt(13)
	v_fma_f64 v[86:87], -v[100:101], v[160:161], v[86:87]
	ds_read2_b64 v[158:161], v211 offset0:26 offset1:27
	s_waitcnt vmcnt(12) lgkmcnt(2)
	v_fma_f64 v[118:119], -v[100:101], v[162:163], v[118:119]
	s_waitcnt vmcnt(11)
	v_fma_f64 v[84:85], -v[100:101], v[164:165], v[84:85]
	ds_read2_b64 v[162:165], v211 offset0:28 offset1:29
	s_waitcnt vmcnt(10) lgkmcnt(2)
	v_fma_f64 v[116:117], -v[100:101], v[166:167], v[116:117]
	s_waitcnt vmcnt(9)
	v_fma_f64 v[82:83], -v[100:101], v[168:169], v[82:83]
	s_waitcnt vmcnt(8) lgkmcnt(1)
	v_fma_f64 v[114:115], -v[100:101], v[158:159], v[114:115]
	s_waitcnt vmcnt(7)
	v_fma_f64 v[80:81], -v[100:101], v[160:161], v[80:81]
	ds_read2_b64 v[158:161], v211 offset0:30 offset1:31
	s_waitcnt vmcnt(6) lgkmcnt(1)
	v_fma_f64 v[112:113], -v[100:101], v[162:163], v[112:113]
	ds_read2_b64 v[166:169], v211 offset0:32 offset1:33
	ds_read_b64 v[162:163], v211 offset:272
	s_waitcnt vmcnt(5)
	v_fma_f64 v[78:79], -v[100:101], v[164:165], v[78:79]
	s_waitcnt vmcnt(4) lgkmcnt(2)
	v_fma_f64 v[110:111], -v[100:101], v[158:159], v[110:111]
	s_waitcnt vmcnt(3)
	v_fma_f64 v[76:77], -v[100:101], v[160:161], v[76:77]
	s_waitcnt vmcnt(2) lgkmcnt(1)
	v_fma_f64 v[108:109], -v[100:101], v[166:167], v[108:109]
	;; [unrolled: 4-line block ×3, first 2 shown]
.LBB69_41:
	s_or_b64 exec, exec, s[2:3]
	v_cmp_eq_u32_e32 vcc, 8, v212
	s_waitcnt lgkmcnt(0)
	s_barrier
	s_and_saveexec_b64 s[2:3], vcc
	s_cbranch_execz .LBB69_44
; %bb.42:
	s_waitcnt vmcnt(26)
	ds_write_b64 v210, v[132:133]
	s_waitcnt vmcnt(24)
	ds_write2_b64 v211, v[98:99], v[130:131] offset0:9 offset1:10
	s_waitcnt vmcnt(22)
	ds_write2_b64 v211, v[96:97], v[128:129] offset0:11 offset1:12
	;; [unrolled: 2-line block ×13, first 2 shown]
	ds_read_b64 v[158:159], v210
	s_waitcnt lgkmcnt(0)
	v_cmp_neq_f64_e32 vcc, 0, v[158:159]
	s_and_b64 exec, exec, vcc
	s_cbranch_execz .LBB69_44
; %bb.43:
	v_div_scale_f64 v[160:161], s[6:7], v[158:159], v[158:159], 1.0
	v_rcp_f64_e32 v[162:163], v[160:161]
	v_div_scale_f64 v[164:165], vcc, 1.0, v[158:159], 1.0
	v_fma_f64 v[166:167], -v[160:161], v[162:163], 1.0
	v_fmac_f64_e32 v[162:163], v[162:163], v[166:167]
	v_fma_f64 v[166:167], -v[160:161], v[162:163], 1.0
	v_fmac_f64_e32 v[162:163], v[162:163], v[166:167]
	v_mul_f64 v[166:167], v[164:165], v[162:163]
	v_fma_f64 v[160:161], -v[160:161], v[166:167], v[164:165]
	v_div_fmas_f64 v[160:161], v[160:161], v[162:163], v[166:167]
	v_div_fixup_f64 v[158:159], v[160:161], v[158:159], 1.0
	ds_write_b64 v210, v[158:159]
.LBB69_44:
	s_or_b64 exec, exec, s[2:3]
	s_waitcnt lgkmcnt(0)
	s_barrier
	ds_read_b64 v[158:159], v210
	v_cmp_lt_u32_e32 vcc, 8, v212
	s_and_saveexec_b64 s[2:3], vcc
	s_cbranch_execz .LBB69_46
; %bb.45:
	ds_read2_b64 v[160:163], v211 offset0:9 offset1:10
	ds_read2_b64 v[164:167], v211 offset0:11 offset1:12
	s_waitcnt vmcnt(26) lgkmcnt(2)
	v_mul_f64 v[132:133], v[158:159], v[132:133]
	ds_read2_b64 v[168:171], v211 offset0:13 offset1:14
	s_waitcnt vmcnt(25) lgkmcnt(2)
	v_fma_f64 v[98:99], -v[132:133], v[160:161], v[98:99]
	s_waitcnt vmcnt(24)
	v_fma_f64 v[130:131], -v[132:133], v[162:163], v[130:131]
	ds_read2_b64 v[160:163], v211 offset0:15 offset1:16
	s_waitcnt vmcnt(23) lgkmcnt(2)
	v_fma_f64 v[96:97], -v[132:133], v[164:165], v[96:97]
	s_waitcnt vmcnt(22)
	v_fma_f64 v[128:129], -v[132:133], v[166:167], v[128:129]
	s_waitcnt vmcnt(21) lgkmcnt(1)
	v_fma_f64 v[94:95], -v[132:133], v[168:169], v[94:95]
	ds_read2_b64 v[164:167], v211 offset0:17 offset1:18
	s_waitcnt vmcnt(20)
	v_fma_f64 v[126:127], -v[132:133], v[170:171], v[126:127]
	ds_read2_b64 v[168:171], v211 offset0:19 offset1:20
	s_waitcnt vmcnt(19) lgkmcnt(2)
	v_fma_f64 v[92:93], -v[132:133], v[160:161], v[92:93]
	s_waitcnt vmcnt(18)
	v_fma_f64 v[124:125], -v[132:133], v[162:163], v[124:125]
	ds_read2_b64 v[160:163], v211 offset0:21 offset1:22
	s_waitcnt vmcnt(17) lgkmcnt(2)
	v_fma_f64 v[90:91], -v[132:133], v[164:165], v[90:91]
	;; [unrolled: 5-line block ×3, first 2 shown]
	s_waitcnt vmcnt(14)
	v_fma_f64 v[120:121], -v[132:133], v[170:171], v[120:121]
	s_waitcnt vmcnt(13) lgkmcnt(1)
	v_fma_f64 v[86:87], -v[132:133], v[160:161], v[86:87]
	ds_read2_b64 v[168:171], v211 offset0:25 offset1:26
	s_waitcnt vmcnt(12)
	v_fma_f64 v[118:119], -v[132:133], v[162:163], v[118:119]
	ds_read2_b64 v[160:163], v211 offset0:27 offset1:28
	s_waitcnt vmcnt(11) lgkmcnt(2)
	v_fma_f64 v[84:85], -v[132:133], v[164:165], v[84:85]
	s_waitcnt vmcnt(10)
	v_fma_f64 v[116:117], -v[132:133], v[166:167], v[116:117]
	s_waitcnt vmcnt(9) lgkmcnt(1)
	v_fma_f64 v[82:83], -v[132:133], v[168:169], v[82:83]
	s_waitcnt vmcnt(8)
	v_fma_f64 v[114:115], -v[132:133], v[170:171], v[114:115]
	ds_read2_b64 v[164:167], v211 offset0:29 offset1:30
	ds_read2_b64 v[168:171], v211 offset0:31 offset1:32
	s_waitcnt vmcnt(7) lgkmcnt(2)
	v_fma_f64 v[80:81], -v[132:133], v[160:161], v[80:81]
	s_waitcnt vmcnt(6)
	v_fma_f64 v[112:113], -v[132:133], v[162:163], v[112:113]
	ds_read2_b64 v[160:163], v211 offset0:33 offset1:34
	s_waitcnt vmcnt(5) lgkmcnt(2)
	v_fma_f64 v[78:79], -v[132:133], v[164:165], v[78:79]
	s_waitcnt vmcnt(4)
	v_fma_f64 v[110:111], -v[132:133], v[166:167], v[110:111]
	s_waitcnt vmcnt(3) lgkmcnt(1)
	v_fma_f64 v[76:77], -v[132:133], v[168:169], v[76:77]
	s_waitcnt vmcnt(2)
	v_fma_f64 v[108:109], -v[132:133], v[170:171], v[108:109]
	;; [unrolled: 4-line block ×3, first 2 shown]
.LBB69_46:
	s_or_b64 exec, exec, s[2:3]
	v_cmp_eq_u32_e32 vcc, 9, v212
	s_waitcnt lgkmcnt(0)
	s_barrier
	s_and_saveexec_b64 s[2:3], vcc
	s_cbranch_execz .LBB69_49
; %bb.47:
	s_waitcnt vmcnt(24)
	v_mov_b32_e32 v160, v130
	v_mov_b32_e32 v161, v131
	s_waitcnt vmcnt(23)
	v_mov_b32_e32 v162, v96
	v_mov_b32_e32 v163, v97
	ds_write_b64 v210, v[98:99]
	ds_write2_b64 v211, v[160:161], v[162:163] offset0:10 offset1:11
	s_waitcnt vmcnt(22)
	v_mov_b32_e32 v160, v128
	v_mov_b32_e32 v161, v129
	s_waitcnt vmcnt(21)
	v_mov_b32_e32 v162, v94
	v_mov_b32_e32 v163, v95
	ds_write2_b64 v211, v[160:161], v[162:163] offset0:12 offset1:13
	s_waitcnt vmcnt(20)
	v_mov_b32_e32 v160, v126
	v_mov_b32_e32 v161, v127
	s_waitcnt vmcnt(19)
	v_mov_b32_e32 v162, v92
	v_mov_b32_e32 v163, v93
	;; [unrolled: 7-line block ×11, first 2 shown]
	ds_write2_b64 v211, v[160:161], v[162:163] offset0:32 offset1:33
	s_waitcnt vmcnt(0)
	ds_write_b64 v211, v[140:141] offset:272
	ds_read_b64 v[160:161], v210
	s_waitcnt lgkmcnt(0)
	v_cmp_neq_f64_e32 vcc, 0, v[160:161]
	s_and_b64 exec, exec, vcc
	s_cbranch_execz .LBB69_49
; %bb.48:
	v_div_scale_f64 v[162:163], s[6:7], v[160:161], v[160:161], 1.0
	v_rcp_f64_e32 v[164:165], v[162:163]
	v_div_scale_f64 v[166:167], vcc, 1.0, v[160:161], 1.0
	v_fma_f64 v[168:169], -v[162:163], v[164:165], 1.0
	v_fmac_f64_e32 v[164:165], v[164:165], v[168:169]
	v_fma_f64 v[168:169], -v[162:163], v[164:165], 1.0
	v_fmac_f64_e32 v[164:165], v[164:165], v[168:169]
	v_mul_f64 v[168:169], v[166:167], v[164:165]
	v_fma_f64 v[162:163], -v[162:163], v[168:169], v[166:167]
	v_div_fmas_f64 v[162:163], v[162:163], v[164:165], v[168:169]
	v_div_fixup_f64 v[160:161], v[162:163], v[160:161], 1.0
	ds_write_b64 v210, v[160:161]
.LBB69_49:
	s_or_b64 exec, exec, s[2:3]
	s_waitcnt lgkmcnt(0)
	s_barrier
	ds_read_b64 v[160:161], v210
	v_cmp_lt_u32_e32 vcc, 9, v212
	s_and_saveexec_b64 s[2:3], vcc
	s_cbranch_execz .LBB69_51
; %bb.50:
	ds_read2_b64 v[162:165], v211 offset0:10 offset1:11
	ds_read2_b64 v[166:169], v211 offset0:12 offset1:13
	s_waitcnt vmcnt(25) lgkmcnt(2)
	v_mul_f64 v[98:99], v[160:161], v[98:99]
	ds_read2_b64 v[170:173], v211 offset0:14 offset1:15
	s_waitcnt vmcnt(24) lgkmcnt(2)
	v_fma_f64 v[130:131], -v[98:99], v[162:163], v[130:131]
	s_waitcnt vmcnt(23)
	v_fma_f64 v[96:97], -v[98:99], v[164:165], v[96:97]
	ds_read2_b64 v[162:165], v211 offset0:16 offset1:17
	s_waitcnt vmcnt(22) lgkmcnt(2)
	v_fma_f64 v[128:129], -v[98:99], v[166:167], v[128:129]
	s_waitcnt vmcnt(21)
	v_fma_f64 v[94:95], -v[98:99], v[168:169], v[94:95]
	s_waitcnt vmcnt(20) lgkmcnt(1)
	v_fma_f64 v[126:127], -v[98:99], v[170:171], v[126:127]
	ds_read2_b64 v[166:169], v211 offset0:18 offset1:19
	s_waitcnt vmcnt(19)
	v_fma_f64 v[92:93], -v[98:99], v[172:173], v[92:93]
	ds_read2_b64 v[170:173], v211 offset0:20 offset1:21
	s_waitcnt vmcnt(18) lgkmcnt(2)
	v_fma_f64 v[124:125], -v[98:99], v[162:163], v[124:125]
	s_waitcnt vmcnt(17)
	v_fma_f64 v[90:91], -v[98:99], v[164:165], v[90:91]
	ds_read2_b64 v[162:165], v211 offset0:22 offset1:23
	s_waitcnt vmcnt(16) lgkmcnt(2)
	v_fma_f64 v[122:123], -v[98:99], v[166:167], v[122:123]
	;; [unrolled: 5-line block ×3, first 2 shown]
	s_waitcnt vmcnt(13)
	v_fma_f64 v[86:87], -v[98:99], v[172:173], v[86:87]
	s_waitcnt vmcnt(12) lgkmcnt(1)
	v_fma_f64 v[118:119], -v[98:99], v[162:163], v[118:119]
	ds_read2_b64 v[170:173], v211 offset0:26 offset1:27
	s_waitcnt vmcnt(11)
	v_fma_f64 v[84:85], -v[98:99], v[164:165], v[84:85]
	ds_read2_b64 v[162:165], v211 offset0:28 offset1:29
	s_waitcnt vmcnt(10) lgkmcnt(2)
	v_fma_f64 v[116:117], -v[98:99], v[166:167], v[116:117]
	s_waitcnt vmcnt(9)
	v_fma_f64 v[82:83], -v[98:99], v[168:169], v[82:83]
	s_waitcnt vmcnt(8) lgkmcnt(1)
	v_fma_f64 v[114:115], -v[98:99], v[170:171], v[114:115]
	s_waitcnt vmcnt(7)
	v_fma_f64 v[80:81], -v[98:99], v[172:173], v[80:81]
	ds_read2_b64 v[166:169], v211 offset0:30 offset1:31
	ds_read2_b64 v[170:173], v211 offset0:32 offset1:33
	s_waitcnt vmcnt(6) lgkmcnt(2)
	v_fma_f64 v[112:113], -v[98:99], v[162:163], v[112:113]
	ds_read_b64 v[162:163], v211 offset:272
	s_waitcnt vmcnt(5)
	v_fma_f64 v[78:79], -v[98:99], v[164:165], v[78:79]
	s_waitcnt vmcnt(4) lgkmcnt(2)
	v_fma_f64 v[110:111], -v[98:99], v[166:167], v[110:111]
	s_waitcnt vmcnt(3)
	v_fma_f64 v[76:77], -v[98:99], v[168:169], v[76:77]
	s_waitcnt vmcnt(2) lgkmcnt(1)
	v_fma_f64 v[108:109], -v[98:99], v[170:171], v[108:109]
	;; [unrolled: 4-line block ×3, first 2 shown]
.LBB69_51:
	s_or_b64 exec, exec, s[2:3]
	v_cmp_eq_u32_e32 vcc, 10, v212
	s_waitcnt lgkmcnt(0)
	s_barrier
	s_and_saveexec_b64 s[2:3], vcc
	s_cbranch_execz .LBB69_54
; %bb.52:
	s_waitcnt vmcnt(24)
	ds_write_b64 v210, v[130:131]
	s_waitcnt vmcnt(22)
	ds_write2_b64 v211, v[96:97], v[128:129] offset0:11 offset1:12
	s_waitcnt vmcnt(20)
	ds_write2_b64 v211, v[94:95], v[126:127] offset0:13 offset1:14
	;; [unrolled: 2-line block ×12, first 2 shown]
	ds_read_b64 v[162:163], v210
	s_waitcnt lgkmcnt(0)
	v_cmp_neq_f64_e32 vcc, 0, v[162:163]
	s_and_b64 exec, exec, vcc
	s_cbranch_execz .LBB69_54
; %bb.53:
	v_div_scale_f64 v[164:165], s[6:7], v[162:163], v[162:163], 1.0
	v_rcp_f64_e32 v[166:167], v[164:165]
	v_div_scale_f64 v[168:169], vcc, 1.0, v[162:163], 1.0
	v_fma_f64 v[170:171], -v[164:165], v[166:167], 1.0
	v_fmac_f64_e32 v[166:167], v[166:167], v[170:171]
	v_fma_f64 v[170:171], -v[164:165], v[166:167], 1.0
	v_fmac_f64_e32 v[166:167], v[166:167], v[170:171]
	v_mul_f64 v[170:171], v[168:169], v[166:167]
	v_fma_f64 v[164:165], -v[164:165], v[170:171], v[168:169]
	v_div_fmas_f64 v[164:165], v[164:165], v[166:167], v[170:171]
	v_div_fixup_f64 v[162:163], v[164:165], v[162:163], 1.0
	ds_write_b64 v210, v[162:163]
.LBB69_54:
	s_or_b64 exec, exec, s[2:3]
	s_waitcnt lgkmcnt(0)
	s_barrier
	ds_read_b64 v[162:163], v210
	v_cmp_lt_u32_e32 vcc, 10, v212
	s_and_saveexec_b64 s[2:3], vcc
	s_cbranch_execz .LBB69_56
; %bb.55:
	ds_read2_b64 v[164:167], v211 offset0:11 offset1:12
	ds_read2_b64 v[168:171], v211 offset0:13 offset1:14
	;; [unrolled: 1-line block ×3, first 2 shown]
	s_waitcnt vmcnt(24) lgkmcnt(3)
	v_mul_f64 v[130:131], v[162:163], v[130:131]
	s_waitcnt vmcnt(23) lgkmcnt(2)
	v_fma_f64 v[96:97], -v[130:131], v[164:165], v[96:97]
	s_waitcnt vmcnt(22)
	v_fma_f64 v[128:129], -v[130:131], v[166:167], v[128:129]
	ds_read2_b64 v[164:167], v211 offset0:17 offset1:18
	s_waitcnt vmcnt(21) lgkmcnt(2)
	v_fma_f64 v[94:95], -v[130:131], v[168:169], v[94:95]
	s_waitcnt vmcnt(20)
	v_fma_f64 v[126:127], -v[130:131], v[170:171], v[126:127]
	s_waitcnt vmcnt(19) lgkmcnt(1)
	v_fma_f64 v[92:93], -v[130:131], v[172:173], v[92:93]
	ds_read2_b64 v[168:171], v211 offset0:19 offset1:20
	s_waitcnt vmcnt(18)
	v_fma_f64 v[124:125], -v[130:131], v[174:175], v[124:125]
	ds_read2_b64 v[172:175], v211 offset0:21 offset1:22
	s_waitcnt vmcnt(17) lgkmcnt(2)
	v_fma_f64 v[90:91], -v[130:131], v[164:165], v[90:91]
	s_waitcnt vmcnt(16)
	v_fma_f64 v[122:123], -v[130:131], v[166:167], v[122:123]
	s_waitcnt vmcnt(15) lgkmcnt(1)
	v_fma_f64 v[88:89], -v[130:131], v[168:169], v[88:89]
	ds_read2_b64 v[164:167], v211 offset0:23 offset1:24
	s_waitcnt vmcnt(14)
	v_fma_f64 v[120:121], -v[130:131], v[170:171], v[120:121]
	ds_read2_b64 v[168:171], v211 offset0:25 offset1:26
	s_waitcnt vmcnt(13) lgkmcnt(2)
	v_fma_f64 v[86:87], -v[130:131], v[172:173], v[86:87]
	s_waitcnt vmcnt(12)
	v_fma_f64 v[118:119], -v[130:131], v[174:175], v[118:119]
	ds_read2_b64 v[172:175], v211 offset0:27 offset1:28
	s_waitcnt vmcnt(11) lgkmcnt(2)
	v_fma_f64 v[84:85], -v[130:131], v[164:165], v[84:85]
	;; [unrolled: 5-line block ×3, first 2 shown]
	s_waitcnt vmcnt(8)
	v_fma_f64 v[114:115], -v[130:131], v[170:171], v[114:115]
	s_waitcnt vmcnt(7) lgkmcnt(1)
	v_fma_f64 v[80:81], -v[130:131], v[172:173], v[80:81]
	ds_read2_b64 v[168:171], v211 offset0:31 offset1:32
	s_waitcnt vmcnt(6)
	v_fma_f64 v[112:113], -v[130:131], v[174:175], v[112:113]
	ds_read2_b64 v[172:175], v211 offset0:33 offset1:34
	s_waitcnt vmcnt(5) lgkmcnt(2)
	v_fma_f64 v[78:79], -v[130:131], v[164:165], v[78:79]
	s_waitcnt vmcnt(4)
	v_fma_f64 v[110:111], -v[130:131], v[166:167], v[110:111]
	s_waitcnt vmcnt(3) lgkmcnt(1)
	v_fma_f64 v[76:77], -v[130:131], v[168:169], v[76:77]
	s_waitcnt vmcnt(2)
	v_fma_f64 v[108:109], -v[130:131], v[170:171], v[108:109]
	s_waitcnt vmcnt(1) lgkmcnt(0)
	v_fma_f64 v[74:75], -v[130:131], v[172:173], v[74:75]
	s_waitcnt vmcnt(0)
	v_fma_f64 v[140:141], -v[130:131], v[174:175], v[140:141]
.LBB69_56:
	s_or_b64 exec, exec, s[2:3]
	v_cmp_eq_u32_e32 vcc, 11, v212
	s_waitcnt lgkmcnt(0)
	s_barrier
	s_and_saveexec_b64 s[2:3], vcc
	s_cbranch_execz .LBB69_59
; %bb.57:
	s_waitcnt vmcnt(22)
	v_mov_b32_e32 v164, v128
	v_mov_b32_e32 v165, v129
	s_waitcnt vmcnt(21)
	v_mov_b32_e32 v166, v94
	v_mov_b32_e32 v167, v95
	ds_write_b64 v210, v[96:97]
	ds_write2_b64 v211, v[164:165], v[166:167] offset0:12 offset1:13
	s_waitcnt vmcnt(20)
	v_mov_b32_e32 v164, v126
	v_mov_b32_e32 v165, v127
	s_waitcnt vmcnt(19)
	v_mov_b32_e32 v166, v92
	v_mov_b32_e32 v167, v93
	ds_write2_b64 v211, v[164:165], v[166:167] offset0:14 offset1:15
	s_waitcnt vmcnt(18)
	v_mov_b32_e32 v164, v124
	v_mov_b32_e32 v165, v125
	s_waitcnt vmcnt(17)
	v_mov_b32_e32 v166, v90
	v_mov_b32_e32 v167, v91
	;; [unrolled: 7-line block ×10, first 2 shown]
	ds_write2_b64 v211, v[164:165], v[166:167] offset0:32 offset1:33
	s_waitcnt vmcnt(0)
	ds_write_b64 v211, v[140:141] offset:272
	ds_read_b64 v[164:165], v210
	s_waitcnt lgkmcnt(0)
	v_cmp_neq_f64_e32 vcc, 0, v[164:165]
	s_and_b64 exec, exec, vcc
	s_cbranch_execz .LBB69_59
; %bb.58:
	v_div_scale_f64 v[166:167], s[6:7], v[164:165], v[164:165], 1.0
	v_rcp_f64_e32 v[168:169], v[166:167]
	v_div_scale_f64 v[170:171], vcc, 1.0, v[164:165], 1.0
	v_fma_f64 v[172:173], -v[166:167], v[168:169], 1.0
	v_fmac_f64_e32 v[168:169], v[168:169], v[172:173]
	v_fma_f64 v[172:173], -v[166:167], v[168:169], 1.0
	v_fmac_f64_e32 v[168:169], v[168:169], v[172:173]
	v_mul_f64 v[172:173], v[170:171], v[168:169]
	v_fma_f64 v[166:167], -v[166:167], v[172:173], v[170:171]
	v_div_fmas_f64 v[166:167], v[166:167], v[168:169], v[172:173]
	v_div_fixup_f64 v[164:165], v[166:167], v[164:165], 1.0
	ds_write_b64 v210, v[164:165]
.LBB69_59:
	s_or_b64 exec, exec, s[2:3]
	s_waitcnt lgkmcnt(0)
	s_barrier
	ds_read_b64 v[164:165], v210
	v_cmp_lt_u32_e32 vcc, 11, v212
	s_and_saveexec_b64 s[2:3], vcc
	s_cbranch_execz .LBB69_61
; %bb.60:
	ds_read2_b64 v[166:169], v211 offset0:12 offset1:13
	ds_read2_b64 v[170:173], v211 offset0:14 offset1:15
	ds_read2_b64 v[174:177], v211 offset0:16 offset1:17
	s_waitcnt vmcnt(23) lgkmcnt(3)
	v_mul_f64 v[96:97], v[164:165], v[96:97]
	s_waitcnt vmcnt(22) lgkmcnt(2)
	v_fma_f64 v[128:129], -v[96:97], v[166:167], v[128:129]
	s_waitcnt vmcnt(21)
	v_fma_f64 v[94:95], -v[96:97], v[168:169], v[94:95]
	ds_read2_b64 v[166:169], v211 offset0:18 offset1:19
	s_waitcnt vmcnt(20) lgkmcnt(2)
	v_fma_f64 v[126:127], -v[96:97], v[170:171], v[126:127]
	s_waitcnt vmcnt(19)
	v_fma_f64 v[92:93], -v[96:97], v[172:173], v[92:93]
	s_waitcnt vmcnt(18) lgkmcnt(1)
	v_fma_f64 v[124:125], -v[96:97], v[174:175], v[124:125]
	ds_read2_b64 v[170:173], v211 offset0:20 offset1:21
	s_waitcnt vmcnt(17)
	v_fma_f64 v[90:91], -v[96:97], v[176:177], v[90:91]
	ds_read2_b64 v[174:177], v211 offset0:22 offset1:23
	s_waitcnt vmcnt(16) lgkmcnt(2)
	v_fma_f64 v[122:123], -v[96:97], v[166:167], v[122:123]
	s_waitcnt vmcnt(15)
	v_fma_f64 v[88:89], -v[96:97], v[168:169], v[88:89]
	s_waitcnt vmcnt(14) lgkmcnt(1)
	v_fma_f64 v[120:121], -v[96:97], v[170:171], v[120:121]
	ds_read2_b64 v[166:169], v211 offset0:24 offset1:25
	s_waitcnt vmcnt(13)
	v_fma_f64 v[86:87], -v[96:97], v[172:173], v[86:87]
	ds_read2_b64 v[170:173], v211 offset0:26 offset1:27
	s_waitcnt vmcnt(12) lgkmcnt(2)
	v_fma_f64 v[118:119], -v[96:97], v[174:175], v[118:119]
	s_waitcnt vmcnt(11)
	v_fma_f64 v[84:85], -v[96:97], v[176:177], v[84:85]
	ds_read2_b64 v[174:177], v211 offset0:28 offset1:29
	s_waitcnt vmcnt(10) lgkmcnt(2)
	v_fma_f64 v[116:117], -v[96:97], v[166:167], v[116:117]
	;; [unrolled: 5-line block ×3, first 2 shown]
	s_waitcnt vmcnt(7)
	v_fma_f64 v[80:81], -v[96:97], v[172:173], v[80:81]
	s_waitcnt vmcnt(6) lgkmcnt(1)
	v_fma_f64 v[112:113], -v[96:97], v[174:175], v[112:113]
	ds_read2_b64 v[170:173], v211 offset0:32 offset1:33
	ds_read_b64 v[174:175], v211 offset:272
	s_waitcnt vmcnt(5)
	v_fma_f64 v[78:79], -v[96:97], v[176:177], v[78:79]
	s_waitcnt vmcnt(4) lgkmcnt(2)
	v_fma_f64 v[110:111], -v[96:97], v[166:167], v[110:111]
	s_waitcnt vmcnt(3)
	v_fma_f64 v[76:77], -v[96:97], v[168:169], v[76:77]
	s_waitcnt vmcnt(2) lgkmcnt(1)
	v_fma_f64 v[108:109], -v[96:97], v[170:171], v[108:109]
	s_waitcnt vmcnt(1)
	v_fma_f64 v[74:75], -v[96:97], v[172:173], v[74:75]
	s_waitcnt vmcnt(0) lgkmcnt(0)
	v_fma_f64 v[140:141], -v[96:97], v[174:175], v[140:141]
.LBB69_61:
	s_or_b64 exec, exec, s[2:3]
	v_cmp_eq_u32_e32 vcc, 12, v212
	s_waitcnt lgkmcnt(0)
	s_barrier
	s_and_saveexec_b64 s[2:3], vcc
	s_cbranch_execz .LBB69_64
; %bb.62:
	s_waitcnt vmcnt(22)
	ds_write_b64 v210, v[128:129]
	s_waitcnt vmcnt(20)
	ds_write2_b64 v211, v[94:95], v[126:127] offset0:13 offset1:14
	s_waitcnt vmcnt(18)
	ds_write2_b64 v211, v[92:93], v[124:125] offset0:15 offset1:16
	;; [unrolled: 2-line block ×11, first 2 shown]
	ds_read_b64 v[166:167], v210
	s_waitcnt lgkmcnt(0)
	v_cmp_neq_f64_e32 vcc, 0, v[166:167]
	s_and_b64 exec, exec, vcc
	s_cbranch_execz .LBB69_64
; %bb.63:
	v_div_scale_f64 v[168:169], s[6:7], v[166:167], v[166:167], 1.0
	v_rcp_f64_e32 v[170:171], v[168:169]
	v_div_scale_f64 v[172:173], vcc, 1.0, v[166:167], 1.0
	v_fma_f64 v[174:175], -v[168:169], v[170:171], 1.0
	v_fmac_f64_e32 v[170:171], v[170:171], v[174:175]
	v_fma_f64 v[174:175], -v[168:169], v[170:171], 1.0
	v_fmac_f64_e32 v[170:171], v[170:171], v[174:175]
	v_mul_f64 v[174:175], v[172:173], v[170:171]
	v_fma_f64 v[168:169], -v[168:169], v[174:175], v[172:173]
	v_div_fmas_f64 v[168:169], v[168:169], v[170:171], v[174:175]
	v_div_fixup_f64 v[166:167], v[168:169], v[166:167], 1.0
	ds_write_b64 v210, v[166:167]
.LBB69_64:
	s_or_b64 exec, exec, s[2:3]
	s_waitcnt lgkmcnt(0)
	s_barrier
	ds_read_b64 v[166:167], v210
	v_cmp_lt_u32_e32 vcc, 12, v212
	s_and_saveexec_b64 s[2:3], vcc
	s_cbranch_execz .LBB69_66
; %bb.65:
	ds_read2_b64 v[168:171], v211 offset0:13 offset1:14
	ds_read2_b64 v[172:175], v211 offset0:15 offset1:16
	s_waitcnt vmcnt(22) lgkmcnt(2)
	v_mul_f64 v[128:129], v[166:167], v[128:129]
	ds_read2_b64 v[176:179], v211 offset0:17 offset1:18
	s_waitcnt vmcnt(21) lgkmcnt(2)
	v_fma_f64 v[94:95], -v[128:129], v[168:169], v[94:95]
	s_waitcnt vmcnt(20)
	v_fma_f64 v[126:127], -v[128:129], v[170:171], v[126:127]
	ds_read2_b64 v[168:171], v211 offset0:19 offset1:20
	s_waitcnt vmcnt(19) lgkmcnt(2)
	v_fma_f64 v[92:93], -v[128:129], v[172:173], v[92:93]
	s_waitcnt vmcnt(18)
	v_fma_f64 v[124:125], -v[128:129], v[174:175], v[124:125]
	;; [unrolled: 5-line block ×4, first 2 shown]
	s_waitcnt vmcnt(13) lgkmcnt(1)
	v_fma_f64 v[86:87], -v[128:129], v[172:173], v[86:87]
	ds_read2_b64 v[168:171], v211 offset0:25 offset1:26
	s_waitcnt vmcnt(12)
	v_fma_f64 v[118:119], -v[128:129], v[174:175], v[118:119]
	ds_read2_b64 v[172:175], v211 offset0:27 offset1:28
	s_waitcnt vmcnt(11) lgkmcnt(2)
	v_fma_f64 v[84:85], -v[128:129], v[176:177], v[84:85]
	s_waitcnt vmcnt(10)
	v_fma_f64 v[116:117], -v[128:129], v[178:179], v[116:117]
	s_waitcnt vmcnt(9) lgkmcnt(1)
	v_fma_f64 v[82:83], -v[128:129], v[168:169], v[82:83]
	s_waitcnt vmcnt(8)
	v_fma_f64 v[114:115], -v[128:129], v[170:171], v[114:115]
	ds_read2_b64 v[168:171], v211 offset0:29 offset1:30
	ds_read2_b64 v[176:179], v211 offset0:31 offset1:32
	s_waitcnt vmcnt(7) lgkmcnt(2)
	v_fma_f64 v[80:81], -v[128:129], v[172:173], v[80:81]
	s_waitcnt vmcnt(6)
	v_fma_f64 v[112:113], -v[128:129], v[174:175], v[112:113]
	ds_read2_b64 v[172:175], v211 offset0:33 offset1:34
	s_waitcnt vmcnt(5) lgkmcnt(2)
	v_fma_f64 v[78:79], -v[128:129], v[168:169], v[78:79]
	s_waitcnt vmcnt(4)
	v_fma_f64 v[110:111], -v[128:129], v[170:171], v[110:111]
	s_waitcnt vmcnt(3) lgkmcnt(1)
	v_fma_f64 v[76:77], -v[128:129], v[176:177], v[76:77]
	s_waitcnt vmcnt(2)
	v_fma_f64 v[108:109], -v[128:129], v[178:179], v[108:109]
	;; [unrolled: 4-line block ×3, first 2 shown]
.LBB69_66:
	s_or_b64 exec, exec, s[2:3]
	v_cmp_eq_u32_e32 vcc, 13, v212
	s_waitcnt lgkmcnt(0)
	s_barrier
	s_and_saveexec_b64 s[2:3], vcc
	s_cbranch_execz .LBB69_69
; %bb.67:
	s_waitcnt vmcnt(20)
	v_mov_b32_e32 v168, v126
	v_mov_b32_e32 v169, v127
	s_waitcnt vmcnt(19)
	v_mov_b32_e32 v170, v92
	v_mov_b32_e32 v171, v93
	ds_write_b64 v210, v[94:95]
	ds_write2_b64 v211, v[168:169], v[170:171] offset0:14 offset1:15
	s_waitcnt vmcnt(18)
	v_mov_b32_e32 v168, v124
	v_mov_b32_e32 v169, v125
	s_waitcnt vmcnt(17)
	v_mov_b32_e32 v170, v90
	v_mov_b32_e32 v171, v91
	ds_write2_b64 v211, v[168:169], v[170:171] offset0:16 offset1:17
	s_waitcnt vmcnt(16)
	v_mov_b32_e32 v168, v122
	v_mov_b32_e32 v169, v123
	s_waitcnt vmcnt(15)
	v_mov_b32_e32 v170, v88
	v_mov_b32_e32 v171, v89
	;; [unrolled: 7-line block ×9, first 2 shown]
	ds_write2_b64 v211, v[168:169], v[170:171] offset0:32 offset1:33
	s_waitcnt vmcnt(0)
	ds_write_b64 v211, v[140:141] offset:272
	ds_read_b64 v[168:169], v210
	s_waitcnt lgkmcnt(0)
	v_cmp_neq_f64_e32 vcc, 0, v[168:169]
	s_and_b64 exec, exec, vcc
	s_cbranch_execz .LBB69_69
; %bb.68:
	v_div_scale_f64 v[170:171], s[6:7], v[168:169], v[168:169], 1.0
	v_rcp_f64_e32 v[172:173], v[170:171]
	v_div_scale_f64 v[174:175], vcc, 1.0, v[168:169], 1.0
	v_fma_f64 v[176:177], -v[170:171], v[172:173], 1.0
	v_fmac_f64_e32 v[172:173], v[172:173], v[176:177]
	v_fma_f64 v[176:177], -v[170:171], v[172:173], 1.0
	v_fmac_f64_e32 v[172:173], v[172:173], v[176:177]
	v_mul_f64 v[176:177], v[174:175], v[172:173]
	v_fma_f64 v[170:171], -v[170:171], v[176:177], v[174:175]
	v_div_fmas_f64 v[170:171], v[170:171], v[172:173], v[176:177]
	v_div_fixup_f64 v[168:169], v[170:171], v[168:169], 1.0
	ds_write_b64 v210, v[168:169]
.LBB69_69:
	s_or_b64 exec, exec, s[2:3]
	s_waitcnt lgkmcnt(0)
	s_barrier
	ds_read_b64 v[168:169], v210
	v_cmp_lt_u32_e32 vcc, 13, v212
	s_and_saveexec_b64 s[2:3], vcc
	s_cbranch_execz .LBB69_71
; %bb.70:
	ds_read2_b64 v[170:173], v211 offset0:14 offset1:15
	ds_read2_b64 v[174:177], v211 offset0:16 offset1:17
	s_waitcnt vmcnt(21) lgkmcnt(2)
	v_mul_f64 v[94:95], v[168:169], v[94:95]
	ds_read2_b64 v[178:181], v211 offset0:18 offset1:19
	s_waitcnt vmcnt(20) lgkmcnt(2)
	v_fma_f64 v[126:127], -v[94:95], v[170:171], v[126:127]
	s_waitcnt vmcnt(19)
	v_fma_f64 v[92:93], -v[94:95], v[172:173], v[92:93]
	ds_read2_b64 v[170:173], v211 offset0:20 offset1:21
	s_waitcnt vmcnt(18) lgkmcnt(2)
	v_fma_f64 v[124:125], -v[94:95], v[174:175], v[124:125]
	s_waitcnt vmcnt(17)
	v_fma_f64 v[90:91], -v[94:95], v[176:177], v[90:91]
	;; [unrolled: 5-line block ×4, first 2 shown]
	s_waitcnt vmcnt(12) lgkmcnt(1)
	v_fma_f64 v[118:119], -v[94:95], v[174:175], v[118:119]
	ds_read2_b64 v[170:173], v211 offset0:26 offset1:27
	s_waitcnt vmcnt(11)
	v_fma_f64 v[84:85], -v[94:95], v[176:177], v[84:85]
	ds_read2_b64 v[174:177], v211 offset0:28 offset1:29
	s_waitcnt vmcnt(10) lgkmcnt(2)
	v_fma_f64 v[116:117], -v[94:95], v[178:179], v[116:117]
	s_waitcnt vmcnt(9)
	v_fma_f64 v[82:83], -v[94:95], v[180:181], v[82:83]
	s_waitcnt vmcnt(8) lgkmcnt(1)
	v_fma_f64 v[114:115], -v[94:95], v[170:171], v[114:115]
	s_waitcnt vmcnt(7)
	v_fma_f64 v[80:81], -v[94:95], v[172:173], v[80:81]
	ds_read2_b64 v[170:173], v211 offset0:30 offset1:31
	ds_read2_b64 v[178:181], v211 offset0:32 offset1:33
	s_waitcnt vmcnt(6) lgkmcnt(2)
	v_fma_f64 v[112:113], -v[94:95], v[174:175], v[112:113]
	ds_read_b64 v[174:175], v211 offset:272
	s_waitcnt vmcnt(5)
	v_fma_f64 v[78:79], -v[94:95], v[176:177], v[78:79]
	s_waitcnt vmcnt(4) lgkmcnt(2)
	v_fma_f64 v[110:111], -v[94:95], v[170:171], v[110:111]
	s_waitcnt vmcnt(3)
	v_fma_f64 v[76:77], -v[94:95], v[172:173], v[76:77]
	s_waitcnt vmcnt(2) lgkmcnt(1)
	v_fma_f64 v[108:109], -v[94:95], v[178:179], v[108:109]
	;; [unrolled: 4-line block ×3, first 2 shown]
.LBB69_71:
	s_or_b64 exec, exec, s[2:3]
	v_cmp_eq_u32_e32 vcc, 14, v212
	s_waitcnt lgkmcnt(0)
	s_barrier
	s_and_saveexec_b64 s[2:3], vcc
	s_cbranch_execz .LBB69_74
; %bb.72:
	s_waitcnt vmcnt(20)
	ds_write_b64 v210, v[126:127]
	s_waitcnt vmcnt(18)
	ds_write2_b64 v211, v[92:93], v[124:125] offset0:15 offset1:16
	s_waitcnt vmcnt(16)
	ds_write2_b64 v211, v[90:91], v[122:123] offset0:17 offset1:18
	;; [unrolled: 2-line block ×10, first 2 shown]
	ds_read_b64 v[170:171], v210
	s_waitcnt lgkmcnt(0)
	v_cmp_neq_f64_e32 vcc, 0, v[170:171]
	s_and_b64 exec, exec, vcc
	s_cbranch_execz .LBB69_74
; %bb.73:
	v_div_scale_f64 v[172:173], s[6:7], v[170:171], v[170:171], 1.0
	v_rcp_f64_e32 v[174:175], v[172:173]
	v_div_scale_f64 v[176:177], vcc, 1.0, v[170:171], 1.0
	v_fma_f64 v[178:179], -v[172:173], v[174:175], 1.0
	v_fmac_f64_e32 v[174:175], v[174:175], v[178:179]
	v_fma_f64 v[178:179], -v[172:173], v[174:175], 1.0
	v_fmac_f64_e32 v[174:175], v[174:175], v[178:179]
	v_mul_f64 v[178:179], v[176:177], v[174:175]
	v_fma_f64 v[172:173], -v[172:173], v[178:179], v[176:177]
	v_div_fmas_f64 v[172:173], v[172:173], v[174:175], v[178:179]
	v_div_fixup_f64 v[170:171], v[172:173], v[170:171], 1.0
	ds_write_b64 v210, v[170:171]
.LBB69_74:
	s_or_b64 exec, exec, s[2:3]
	s_waitcnt lgkmcnt(0)
	s_barrier
	ds_read_b64 v[170:171], v210
	v_cmp_lt_u32_e32 vcc, 14, v212
	s_and_saveexec_b64 s[2:3], vcc
	s_cbranch_execz .LBB69_76
; %bb.75:
	ds_read2_b64 v[172:175], v211 offset0:15 offset1:16
	ds_read2_b64 v[176:179], v211 offset0:17 offset1:18
	s_waitcnt vmcnt(20) lgkmcnt(2)
	v_mul_f64 v[126:127], v[170:171], v[126:127]
	ds_read2_b64 v[180:183], v211 offset0:19 offset1:20
	s_waitcnt vmcnt(19) lgkmcnt(2)
	v_fma_f64 v[92:93], -v[126:127], v[172:173], v[92:93]
	s_waitcnt vmcnt(18)
	v_fma_f64 v[124:125], -v[126:127], v[174:175], v[124:125]
	ds_read2_b64 v[172:175], v211 offset0:21 offset1:22
	s_waitcnt vmcnt(17) lgkmcnt(2)
	v_fma_f64 v[90:91], -v[126:127], v[176:177], v[90:91]
	s_waitcnt vmcnt(16)
	v_fma_f64 v[122:123], -v[126:127], v[178:179], v[122:123]
	s_waitcnt vmcnt(15) lgkmcnt(1)
	v_fma_f64 v[88:89], -v[126:127], v[180:181], v[88:89]
	ds_read2_b64 v[176:179], v211 offset0:23 offset1:24
	s_waitcnt vmcnt(14)
	v_fma_f64 v[120:121], -v[126:127], v[182:183], v[120:121]
	ds_read2_b64 v[180:183], v211 offset0:25 offset1:26
	s_waitcnt vmcnt(13) lgkmcnt(2)
	v_fma_f64 v[86:87], -v[126:127], v[172:173], v[86:87]
	s_waitcnt vmcnt(12)
	v_fma_f64 v[118:119], -v[126:127], v[174:175], v[118:119]
	ds_read2_b64 v[172:175], v211 offset0:27 offset1:28
	s_waitcnt vmcnt(11) lgkmcnt(2)
	v_fma_f64 v[84:85], -v[126:127], v[176:177], v[84:85]
	;; [unrolled: 5-line block ×3, first 2 shown]
	s_waitcnt vmcnt(8)
	v_fma_f64 v[114:115], -v[126:127], v[182:183], v[114:115]
	s_waitcnt vmcnt(7) lgkmcnt(1)
	v_fma_f64 v[80:81], -v[126:127], v[172:173], v[80:81]
	ds_read2_b64 v[180:183], v211 offset0:31 offset1:32
	s_waitcnt vmcnt(6)
	v_fma_f64 v[112:113], -v[126:127], v[174:175], v[112:113]
	ds_read2_b64 v[172:175], v211 offset0:33 offset1:34
	s_waitcnt vmcnt(5) lgkmcnt(2)
	v_fma_f64 v[78:79], -v[126:127], v[176:177], v[78:79]
	s_waitcnt vmcnt(4)
	v_fma_f64 v[110:111], -v[126:127], v[178:179], v[110:111]
	s_waitcnt vmcnt(3) lgkmcnt(1)
	v_fma_f64 v[76:77], -v[126:127], v[180:181], v[76:77]
	s_waitcnt vmcnt(2)
	v_fma_f64 v[108:109], -v[126:127], v[182:183], v[108:109]
	;; [unrolled: 4-line block ×3, first 2 shown]
.LBB69_76:
	s_or_b64 exec, exec, s[2:3]
	v_cmp_eq_u32_e32 vcc, 15, v212
	s_waitcnt lgkmcnt(0)
	s_barrier
	s_and_saveexec_b64 s[2:3], vcc
	s_cbranch_execz .LBB69_79
; %bb.77:
	s_waitcnt vmcnt(18)
	v_mov_b32_e32 v172, v124
	v_mov_b32_e32 v173, v125
	s_waitcnt vmcnt(17)
	v_mov_b32_e32 v174, v90
	v_mov_b32_e32 v175, v91
	ds_write_b64 v210, v[92:93]
	ds_write2_b64 v211, v[172:173], v[174:175] offset0:16 offset1:17
	s_waitcnt vmcnt(16)
	v_mov_b32_e32 v172, v122
	v_mov_b32_e32 v173, v123
	s_waitcnt vmcnt(15)
	v_mov_b32_e32 v174, v88
	v_mov_b32_e32 v175, v89
	ds_write2_b64 v211, v[172:173], v[174:175] offset0:18 offset1:19
	s_waitcnt vmcnt(14)
	v_mov_b32_e32 v172, v120
	v_mov_b32_e32 v173, v121
	s_waitcnt vmcnt(13)
	v_mov_b32_e32 v174, v86
	v_mov_b32_e32 v175, v87
	;; [unrolled: 7-line block ×8, first 2 shown]
	ds_write2_b64 v211, v[172:173], v[174:175] offset0:32 offset1:33
	s_waitcnt vmcnt(0)
	ds_write_b64 v211, v[140:141] offset:272
	ds_read_b64 v[172:173], v210
	s_waitcnt lgkmcnt(0)
	v_cmp_neq_f64_e32 vcc, 0, v[172:173]
	s_and_b64 exec, exec, vcc
	s_cbranch_execz .LBB69_79
; %bb.78:
	v_div_scale_f64 v[174:175], s[6:7], v[172:173], v[172:173], 1.0
	v_rcp_f64_e32 v[176:177], v[174:175]
	v_div_scale_f64 v[178:179], vcc, 1.0, v[172:173], 1.0
	v_fma_f64 v[180:181], -v[174:175], v[176:177], 1.0
	v_fmac_f64_e32 v[176:177], v[176:177], v[180:181]
	v_fma_f64 v[180:181], -v[174:175], v[176:177], 1.0
	v_fmac_f64_e32 v[176:177], v[176:177], v[180:181]
	v_mul_f64 v[180:181], v[178:179], v[176:177]
	v_fma_f64 v[174:175], -v[174:175], v[180:181], v[178:179]
	v_div_fmas_f64 v[174:175], v[174:175], v[176:177], v[180:181]
	v_div_fixup_f64 v[172:173], v[174:175], v[172:173], 1.0
	ds_write_b64 v210, v[172:173]
.LBB69_79:
	s_or_b64 exec, exec, s[2:3]
	s_waitcnt lgkmcnt(0)
	s_barrier
	ds_read_b64 v[172:173], v210
	v_cmp_lt_u32_e32 vcc, 15, v212
	s_and_saveexec_b64 s[2:3], vcc
	s_cbranch_execz .LBB69_81
; %bb.80:
	ds_read2_b64 v[174:177], v211 offset0:16 offset1:17
	ds_read2_b64 v[178:181], v211 offset0:18 offset1:19
	s_waitcnt vmcnt(19) lgkmcnt(2)
	v_mul_f64 v[92:93], v[172:173], v[92:93]
	ds_read2_b64 v[182:185], v211 offset0:20 offset1:21
	s_waitcnt vmcnt(18) lgkmcnt(2)
	v_fma_f64 v[124:125], -v[92:93], v[174:175], v[124:125]
	s_waitcnt vmcnt(17)
	v_fma_f64 v[90:91], -v[92:93], v[176:177], v[90:91]
	ds_read2_b64 v[174:177], v211 offset0:22 offset1:23
	s_waitcnt vmcnt(16) lgkmcnt(2)
	v_fma_f64 v[122:123], -v[92:93], v[178:179], v[122:123]
	s_waitcnt vmcnt(15)
	v_fma_f64 v[88:89], -v[92:93], v[180:181], v[88:89]
	s_waitcnt vmcnt(14) lgkmcnt(1)
	v_fma_f64 v[120:121], -v[92:93], v[182:183], v[120:121]
	ds_read2_b64 v[178:181], v211 offset0:24 offset1:25
	s_waitcnt vmcnt(13)
	v_fma_f64 v[86:87], -v[92:93], v[184:185], v[86:87]
	ds_read2_b64 v[182:185], v211 offset0:26 offset1:27
	s_waitcnt vmcnt(12) lgkmcnt(2)
	v_fma_f64 v[118:119], -v[92:93], v[174:175], v[118:119]
	s_waitcnt vmcnt(11)
	v_fma_f64 v[84:85], -v[92:93], v[176:177], v[84:85]
	ds_read2_b64 v[174:177], v211 offset0:28 offset1:29
	s_waitcnt vmcnt(10) lgkmcnt(2)
	v_fma_f64 v[116:117], -v[92:93], v[178:179], v[116:117]
	;; [unrolled: 5-line block ×3, first 2 shown]
	s_waitcnt vmcnt(7)
	v_fma_f64 v[80:81], -v[92:93], v[184:185], v[80:81]
	s_waitcnt vmcnt(6) lgkmcnt(1)
	v_fma_f64 v[112:113], -v[92:93], v[174:175], v[112:113]
	ds_read2_b64 v[182:185], v211 offset0:32 offset1:33
	ds_read_b64 v[174:175], v211 offset:272
	s_waitcnt vmcnt(5)
	v_fma_f64 v[78:79], -v[92:93], v[176:177], v[78:79]
	s_waitcnt vmcnt(4) lgkmcnt(2)
	v_fma_f64 v[110:111], -v[92:93], v[178:179], v[110:111]
	s_waitcnt vmcnt(3)
	v_fma_f64 v[76:77], -v[92:93], v[180:181], v[76:77]
	s_waitcnt vmcnt(2) lgkmcnt(1)
	v_fma_f64 v[108:109], -v[92:93], v[182:183], v[108:109]
	;; [unrolled: 4-line block ×3, first 2 shown]
.LBB69_81:
	s_or_b64 exec, exec, s[2:3]
	v_cmp_eq_u32_e32 vcc, 16, v212
	s_waitcnt lgkmcnt(0)
	s_barrier
	s_and_saveexec_b64 s[2:3], vcc
	s_cbranch_execz .LBB69_84
; %bb.82:
	s_waitcnt vmcnt(18)
	ds_write_b64 v210, v[124:125]
	s_waitcnt vmcnt(16)
	ds_write2_b64 v211, v[90:91], v[122:123] offset0:17 offset1:18
	s_waitcnt vmcnt(14)
	ds_write2_b64 v211, v[88:89], v[120:121] offset0:19 offset1:20
	;; [unrolled: 2-line block ×9, first 2 shown]
	ds_read_b64 v[174:175], v210
	s_waitcnt lgkmcnt(0)
	v_cmp_neq_f64_e32 vcc, 0, v[174:175]
	s_and_b64 exec, exec, vcc
	s_cbranch_execz .LBB69_84
; %bb.83:
	v_div_scale_f64 v[176:177], s[6:7], v[174:175], v[174:175], 1.0
	v_rcp_f64_e32 v[178:179], v[176:177]
	v_div_scale_f64 v[180:181], vcc, 1.0, v[174:175], 1.0
	v_fma_f64 v[182:183], -v[176:177], v[178:179], 1.0
	v_fmac_f64_e32 v[178:179], v[178:179], v[182:183]
	v_fma_f64 v[182:183], -v[176:177], v[178:179], 1.0
	v_fmac_f64_e32 v[178:179], v[178:179], v[182:183]
	v_mul_f64 v[182:183], v[180:181], v[178:179]
	v_fma_f64 v[176:177], -v[176:177], v[182:183], v[180:181]
	v_div_fmas_f64 v[176:177], v[176:177], v[178:179], v[182:183]
	v_div_fixup_f64 v[174:175], v[176:177], v[174:175], 1.0
	ds_write_b64 v210, v[174:175]
.LBB69_84:
	s_or_b64 exec, exec, s[2:3]
	s_waitcnt lgkmcnt(0)
	s_barrier
	ds_read_b64 v[174:175], v210
	v_cmp_lt_u32_e32 vcc, 16, v212
	s_and_saveexec_b64 s[2:3], vcc
	s_cbranch_execz .LBB69_86
; %bb.85:
	ds_read2_b64 v[176:179], v211 offset0:17 offset1:18
	ds_read2_b64 v[180:183], v211 offset0:19 offset1:20
	;; [unrolled: 1-line block ×3, first 2 shown]
	s_waitcnt vmcnt(18) lgkmcnt(3)
	v_mul_f64 v[124:125], v[174:175], v[124:125]
	s_waitcnt vmcnt(17) lgkmcnt(2)
	v_fma_f64 v[90:91], -v[124:125], v[176:177], v[90:91]
	s_waitcnt vmcnt(16)
	v_fma_f64 v[122:123], -v[124:125], v[178:179], v[122:123]
	ds_read2_b64 v[176:179], v211 offset0:23 offset1:24
	s_waitcnt vmcnt(15) lgkmcnt(2)
	v_fma_f64 v[88:89], -v[124:125], v[180:181], v[88:89]
	s_waitcnt vmcnt(14)
	v_fma_f64 v[120:121], -v[124:125], v[182:183], v[120:121]
	s_waitcnt vmcnt(13) lgkmcnt(1)
	v_fma_f64 v[86:87], -v[124:125], v[184:185], v[86:87]
	ds_read2_b64 v[180:183], v211 offset0:25 offset1:26
	s_waitcnt vmcnt(12)
	v_fma_f64 v[118:119], -v[124:125], v[186:187], v[118:119]
	ds_read2_b64 v[184:187], v211 offset0:27 offset1:28
	s_waitcnt vmcnt(11) lgkmcnt(2)
	v_fma_f64 v[84:85], -v[124:125], v[176:177], v[84:85]
	s_waitcnt vmcnt(10)
	v_fma_f64 v[116:117], -v[124:125], v[178:179], v[116:117]
	s_waitcnt vmcnt(9) lgkmcnt(1)
	v_fma_f64 v[82:83], -v[124:125], v[180:181], v[82:83]
	s_waitcnt vmcnt(8)
	v_fma_f64 v[114:115], -v[124:125], v[182:183], v[114:115]
	ds_read2_b64 v[176:179], v211 offset0:29 offset1:30
	ds_read2_b64 v[180:183], v211 offset0:31 offset1:32
	s_waitcnt vmcnt(7) lgkmcnt(2)
	v_fma_f64 v[80:81], -v[124:125], v[184:185], v[80:81]
	s_waitcnt vmcnt(6)
	v_fma_f64 v[112:113], -v[124:125], v[186:187], v[112:113]
	ds_read2_b64 v[184:187], v211 offset0:33 offset1:34
	s_waitcnt vmcnt(5) lgkmcnt(2)
	v_fma_f64 v[78:79], -v[124:125], v[176:177], v[78:79]
	s_waitcnt vmcnt(4)
	v_fma_f64 v[110:111], -v[124:125], v[178:179], v[110:111]
	s_waitcnt vmcnt(3) lgkmcnt(1)
	v_fma_f64 v[76:77], -v[124:125], v[180:181], v[76:77]
	s_waitcnt vmcnt(2)
	v_fma_f64 v[108:109], -v[124:125], v[182:183], v[108:109]
	;; [unrolled: 4-line block ×3, first 2 shown]
.LBB69_86:
	s_or_b64 exec, exec, s[2:3]
	v_cmp_eq_u32_e32 vcc, 17, v212
	s_waitcnt lgkmcnt(0)
	s_barrier
	s_and_saveexec_b64 s[2:3], vcc
	s_cbranch_execz .LBB69_89
; %bb.87:
	s_waitcnt vmcnt(16)
	v_mov_b32_e32 v176, v122
	v_mov_b32_e32 v177, v123
	s_waitcnt vmcnt(15)
	v_mov_b32_e32 v178, v88
	v_mov_b32_e32 v179, v89
	ds_write_b64 v210, v[90:91]
	ds_write2_b64 v211, v[176:177], v[178:179] offset0:18 offset1:19
	s_waitcnt vmcnt(14)
	v_mov_b32_e32 v176, v120
	v_mov_b32_e32 v177, v121
	s_waitcnt vmcnt(13)
	v_mov_b32_e32 v178, v86
	v_mov_b32_e32 v179, v87
	ds_write2_b64 v211, v[176:177], v[178:179] offset0:20 offset1:21
	s_waitcnt vmcnt(12)
	v_mov_b32_e32 v176, v118
	v_mov_b32_e32 v177, v119
	s_waitcnt vmcnt(11)
	v_mov_b32_e32 v178, v84
	v_mov_b32_e32 v179, v85
	ds_write2_b64 v211, v[176:177], v[178:179] offset0:22 offset1:23
	s_waitcnt vmcnt(10)
	v_mov_b32_e32 v176, v116
	v_mov_b32_e32 v177, v117
	s_waitcnt vmcnt(9)
	v_mov_b32_e32 v178, v82
	v_mov_b32_e32 v179, v83
	ds_write2_b64 v211, v[176:177], v[178:179] offset0:24 offset1:25
	s_waitcnt vmcnt(8)
	v_mov_b32_e32 v176, v114
	v_mov_b32_e32 v177, v115
	s_waitcnt vmcnt(7)
	v_mov_b32_e32 v178, v80
	v_mov_b32_e32 v179, v81
	ds_write2_b64 v211, v[176:177], v[178:179] offset0:26 offset1:27
	s_waitcnt vmcnt(6)
	v_mov_b32_e32 v176, v112
	v_mov_b32_e32 v177, v113
	s_waitcnt vmcnt(5)
	v_mov_b32_e32 v178, v78
	v_mov_b32_e32 v179, v79
	ds_write2_b64 v211, v[176:177], v[178:179] offset0:28 offset1:29
	s_waitcnt vmcnt(4)
	v_mov_b32_e32 v176, v110
	v_mov_b32_e32 v177, v111
	s_waitcnt vmcnt(3)
	v_mov_b32_e32 v178, v76
	v_mov_b32_e32 v179, v77
	ds_write2_b64 v211, v[176:177], v[178:179] offset0:30 offset1:31
	s_waitcnt vmcnt(2)
	v_mov_b32_e32 v176, v108
	v_mov_b32_e32 v177, v109
	s_waitcnt vmcnt(1)
	v_mov_b32_e32 v178, v74
	v_mov_b32_e32 v179, v75
	ds_write2_b64 v211, v[176:177], v[178:179] offset0:32 offset1:33
	s_waitcnt vmcnt(0)
	ds_write_b64 v211, v[140:141] offset:272
	ds_read_b64 v[176:177], v210
	s_waitcnt lgkmcnt(0)
	v_cmp_neq_f64_e32 vcc, 0, v[176:177]
	s_and_b64 exec, exec, vcc
	s_cbranch_execz .LBB69_89
; %bb.88:
	v_div_scale_f64 v[178:179], s[6:7], v[176:177], v[176:177], 1.0
	v_rcp_f64_e32 v[180:181], v[178:179]
	v_div_scale_f64 v[182:183], vcc, 1.0, v[176:177], 1.0
	v_fma_f64 v[184:185], -v[178:179], v[180:181], 1.0
	v_fmac_f64_e32 v[180:181], v[180:181], v[184:185]
	v_fma_f64 v[184:185], -v[178:179], v[180:181], 1.0
	v_fmac_f64_e32 v[180:181], v[180:181], v[184:185]
	v_mul_f64 v[184:185], v[182:183], v[180:181]
	v_fma_f64 v[178:179], -v[178:179], v[184:185], v[182:183]
	v_div_fmas_f64 v[178:179], v[178:179], v[180:181], v[184:185]
	v_div_fixup_f64 v[176:177], v[178:179], v[176:177], 1.0
	ds_write_b64 v210, v[176:177]
.LBB69_89:
	s_or_b64 exec, exec, s[2:3]
	s_waitcnt lgkmcnt(0)
	s_barrier
	ds_read_b64 v[176:177], v210
	v_cmp_lt_u32_e32 vcc, 17, v212
	s_and_saveexec_b64 s[2:3], vcc
	s_cbranch_execz .LBB69_91
; %bb.90:
	ds_read2_b64 v[178:181], v211 offset0:18 offset1:19
	ds_read2_b64 v[182:185], v211 offset0:20 offset1:21
	;; [unrolled: 1-line block ×3, first 2 shown]
	s_waitcnt vmcnt(17) lgkmcnt(3)
	v_mul_f64 v[90:91], v[176:177], v[90:91]
	s_waitcnt vmcnt(16) lgkmcnt(2)
	v_fma_f64 v[122:123], -v[90:91], v[178:179], v[122:123]
	s_waitcnt vmcnt(15)
	v_fma_f64 v[88:89], -v[90:91], v[180:181], v[88:89]
	ds_read2_b64 v[178:181], v211 offset0:24 offset1:25
	s_waitcnt vmcnt(14) lgkmcnt(2)
	v_fma_f64 v[120:121], -v[90:91], v[182:183], v[120:121]
	s_waitcnt vmcnt(13)
	v_fma_f64 v[86:87], -v[90:91], v[184:185], v[86:87]
	s_waitcnt vmcnt(12) lgkmcnt(1)
	v_fma_f64 v[118:119], -v[90:91], v[186:187], v[118:119]
	ds_read2_b64 v[182:185], v211 offset0:26 offset1:27
	s_waitcnt vmcnt(11)
	v_fma_f64 v[84:85], -v[90:91], v[188:189], v[84:85]
	ds_read2_b64 v[186:189], v211 offset0:28 offset1:29
	s_waitcnt vmcnt(10) lgkmcnt(2)
	v_fma_f64 v[116:117], -v[90:91], v[178:179], v[116:117]
	s_waitcnt vmcnt(9)
	v_fma_f64 v[82:83], -v[90:91], v[180:181], v[82:83]
	s_waitcnt vmcnt(8) lgkmcnt(1)
	v_fma_f64 v[114:115], -v[90:91], v[182:183], v[114:115]
	s_waitcnt vmcnt(7)
	v_fma_f64 v[80:81], -v[90:91], v[184:185], v[80:81]
	ds_read2_b64 v[178:181], v211 offset0:30 offset1:31
	ds_read2_b64 v[182:185], v211 offset0:32 offset1:33
	s_waitcnt vmcnt(6) lgkmcnt(2)
	v_fma_f64 v[112:113], -v[90:91], v[186:187], v[112:113]
	ds_read_b64 v[186:187], v211 offset:272
	s_waitcnt vmcnt(5)
	v_fma_f64 v[78:79], -v[90:91], v[188:189], v[78:79]
	s_waitcnt vmcnt(4) lgkmcnt(2)
	v_fma_f64 v[110:111], -v[90:91], v[178:179], v[110:111]
	s_waitcnt vmcnt(3)
	v_fma_f64 v[76:77], -v[90:91], v[180:181], v[76:77]
	s_waitcnt vmcnt(2) lgkmcnt(1)
	v_fma_f64 v[108:109], -v[90:91], v[182:183], v[108:109]
	;; [unrolled: 4-line block ×3, first 2 shown]
.LBB69_91:
	s_or_b64 exec, exec, s[2:3]
	v_cmp_eq_u32_e32 vcc, 18, v212
	s_waitcnt lgkmcnt(0)
	s_barrier
	s_and_saveexec_b64 s[2:3], vcc
	s_cbranch_execz .LBB69_94
; %bb.92:
	s_waitcnt vmcnt(16)
	ds_write_b64 v210, v[122:123]
	s_waitcnt vmcnt(14)
	ds_write2_b64 v211, v[88:89], v[120:121] offset0:19 offset1:20
	s_waitcnt vmcnt(12)
	ds_write2_b64 v211, v[86:87], v[118:119] offset0:21 offset1:22
	;; [unrolled: 2-line block ×8, first 2 shown]
	ds_read_b64 v[178:179], v210
	s_waitcnt lgkmcnt(0)
	v_cmp_neq_f64_e32 vcc, 0, v[178:179]
	s_and_b64 exec, exec, vcc
	s_cbranch_execz .LBB69_94
; %bb.93:
	v_div_scale_f64 v[180:181], s[6:7], v[178:179], v[178:179], 1.0
	v_rcp_f64_e32 v[182:183], v[180:181]
	v_div_scale_f64 v[184:185], vcc, 1.0, v[178:179], 1.0
	v_fma_f64 v[186:187], -v[180:181], v[182:183], 1.0
	v_fmac_f64_e32 v[182:183], v[182:183], v[186:187]
	v_fma_f64 v[186:187], -v[180:181], v[182:183], 1.0
	v_fmac_f64_e32 v[182:183], v[182:183], v[186:187]
	v_mul_f64 v[186:187], v[184:185], v[182:183]
	v_fma_f64 v[180:181], -v[180:181], v[186:187], v[184:185]
	v_div_fmas_f64 v[180:181], v[180:181], v[182:183], v[186:187]
	v_div_fixup_f64 v[178:179], v[180:181], v[178:179], 1.0
	ds_write_b64 v210, v[178:179]
.LBB69_94:
	s_or_b64 exec, exec, s[2:3]
	s_waitcnt lgkmcnt(0)
	s_barrier
	ds_read_b64 v[178:179], v210
	v_cmp_lt_u32_e32 vcc, 18, v212
	s_and_saveexec_b64 s[2:3], vcc
	s_cbranch_execz .LBB69_96
; %bb.95:
	ds_read2_b64 v[180:183], v211 offset0:19 offset1:20
	ds_read2_b64 v[184:187], v211 offset0:21 offset1:22
	s_waitcnt vmcnt(16) lgkmcnt(2)
	v_mul_f64 v[122:123], v[178:179], v[122:123]
	ds_read2_b64 v[188:191], v211 offset0:23 offset1:24
	s_waitcnt vmcnt(15) lgkmcnt(2)
	v_fma_f64 v[88:89], -v[122:123], v[180:181], v[88:89]
	s_waitcnt vmcnt(14)
	v_fma_f64 v[120:121], -v[122:123], v[182:183], v[120:121]
	ds_read2_b64 v[180:183], v211 offset0:25 offset1:26
	s_waitcnt vmcnt(13) lgkmcnt(2)
	v_fma_f64 v[86:87], -v[122:123], v[184:185], v[86:87]
	s_waitcnt vmcnt(12)
	v_fma_f64 v[118:119], -v[122:123], v[186:187], v[118:119]
	;; [unrolled: 5-line block ×3, first 2 shown]
	s_waitcnt vmcnt(9) lgkmcnt(1)
	v_fma_f64 v[82:83], -v[122:123], v[180:181], v[82:83]
	s_waitcnt vmcnt(8)
	v_fma_f64 v[114:115], -v[122:123], v[182:183], v[114:115]
	ds_read2_b64 v[180:183], v211 offset0:29 offset1:30
	s_waitcnt vmcnt(7) lgkmcnt(1)
	v_fma_f64 v[80:81], -v[122:123], v[184:185], v[80:81]
	ds_read2_b64 v[188:191], v211 offset0:31 offset1:32
	s_waitcnt vmcnt(6)
	v_fma_f64 v[112:113], -v[122:123], v[186:187], v[112:113]
	ds_read2_b64 v[184:187], v211 offset0:33 offset1:34
	s_waitcnt vmcnt(5) lgkmcnt(2)
	v_fma_f64 v[78:79], -v[122:123], v[180:181], v[78:79]
	s_waitcnt vmcnt(4)
	v_fma_f64 v[110:111], -v[122:123], v[182:183], v[110:111]
	s_waitcnt vmcnt(3) lgkmcnt(1)
	v_fma_f64 v[76:77], -v[122:123], v[188:189], v[76:77]
	s_waitcnt vmcnt(2)
	v_fma_f64 v[108:109], -v[122:123], v[190:191], v[108:109]
	;; [unrolled: 4-line block ×3, first 2 shown]
.LBB69_96:
	s_or_b64 exec, exec, s[2:3]
	v_cmp_eq_u32_e32 vcc, 19, v212
	s_waitcnt lgkmcnt(0)
	s_barrier
	s_and_saveexec_b64 s[2:3], vcc
	s_cbranch_execz .LBB69_99
; %bb.97:
	s_waitcnt vmcnt(14)
	v_mov_b32_e32 v180, v120
	v_mov_b32_e32 v181, v121
	s_waitcnt vmcnt(13)
	v_mov_b32_e32 v182, v86
	v_mov_b32_e32 v183, v87
	ds_write_b64 v210, v[88:89]
	ds_write2_b64 v211, v[180:181], v[182:183] offset0:20 offset1:21
	s_waitcnt vmcnt(12)
	v_mov_b32_e32 v180, v118
	v_mov_b32_e32 v181, v119
	s_waitcnt vmcnt(11)
	v_mov_b32_e32 v182, v84
	v_mov_b32_e32 v183, v85
	ds_write2_b64 v211, v[180:181], v[182:183] offset0:22 offset1:23
	s_waitcnt vmcnt(10)
	v_mov_b32_e32 v180, v116
	v_mov_b32_e32 v181, v117
	s_waitcnt vmcnt(9)
	v_mov_b32_e32 v182, v82
	v_mov_b32_e32 v183, v83
	;; [unrolled: 7-line block ×6, first 2 shown]
	ds_write2_b64 v211, v[180:181], v[182:183] offset0:32 offset1:33
	s_waitcnt vmcnt(0)
	ds_write_b64 v211, v[140:141] offset:272
	ds_read_b64 v[180:181], v210
	s_waitcnt lgkmcnt(0)
	v_cmp_neq_f64_e32 vcc, 0, v[180:181]
	s_and_b64 exec, exec, vcc
	s_cbranch_execz .LBB69_99
; %bb.98:
	v_div_scale_f64 v[182:183], s[6:7], v[180:181], v[180:181], 1.0
	v_rcp_f64_e32 v[184:185], v[182:183]
	v_div_scale_f64 v[186:187], vcc, 1.0, v[180:181], 1.0
	v_fma_f64 v[188:189], -v[182:183], v[184:185], 1.0
	v_fmac_f64_e32 v[184:185], v[184:185], v[188:189]
	v_fma_f64 v[188:189], -v[182:183], v[184:185], 1.0
	v_fmac_f64_e32 v[184:185], v[184:185], v[188:189]
	v_mul_f64 v[188:189], v[186:187], v[184:185]
	v_fma_f64 v[182:183], -v[182:183], v[188:189], v[186:187]
	v_div_fmas_f64 v[182:183], v[182:183], v[184:185], v[188:189]
	v_div_fixup_f64 v[180:181], v[182:183], v[180:181], 1.0
	ds_write_b64 v210, v[180:181]
.LBB69_99:
	s_or_b64 exec, exec, s[2:3]
	s_waitcnt lgkmcnt(0)
	s_barrier
	ds_read_b64 v[180:181], v210
	v_cmp_lt_u32_e32 vcc, 19, v212
	s_and_saveexec_b64 s[2:3], vcc
	s_cbranch_execz .LBB69_101
; %bb.100:
	ds_read2_b64 v[182:185], v211 offset0:20 offset1:21
	ds_read2_b64 v[186:189], v211 offset0:22 offset1:23
	s_waitcnt vmcnt(15) lgkmcnt(2)
	v_mul_f64 v[88:89], v[180:181], v[88:89]
	ds_read2_b64 v[190:193], v211 offset0:24 offset1:25
	s_waitcnt vmcnt(14) lgkmcnt(2)
	v_fma_f64 v[120:121], -v[88:89], v[182:183], v[120:121]
	s_waitcnt vmcnt(13)
	v_fma_f64 v[86:87], -v[88:89], v[184:185], v[86:87]
	ds_read2_b64 v[182:185], v211 offset0:26 offset1:27
	s_waitcnt vmcnt(12) lgkmcnt(2)
	v_fma_f64 v[118:119], -v[88:89], v[186:187], v[118:119]
	s_waitcnt vmcnt(11)
	v_fma_f64 v[84:85], -v[88:89], v[188:189], v[84:85]
	;; [unrolled: 5-line block ×3, first 2 shown]
	s_waitcnt vmcnt(8) lgkmcnt(1)
	v_fma_f64 v[114:115], -v[88:89], v[182:183], v[114:115]
	s_waitcnt vmcnt(7)
	v_fma_f64 v[80:81], -v[88:89], v[184:185], v[80:81]
	ds_read2_b64 v[182:185], v211 offset0:30 offset1:31
	s_waitcnt vmcnt(6) lgkmcnt(1)
	v_fma_f64 v[112:113], -v[88:89], v[186:187], v[112:113]
	ds_read2_b64 v[190:193], v211 offset0:32 offset1:33
	ds_read_b64 v[186:187], v211 offset:272
	s_waitcnt vmcnt(5)
	v_fma_f64 v[78:79], -v[88:89], v[188:189], v[78:79]
	s_waitcnt vmcnt(4) lgkmcnt(2)
	v_fma_f64 v[110:111], -v[88:89], v[182:183], v[110:111]
	s_waitcnt vmcnt(3)
	v_fma_f64 v[76:77], -v[88:89], v[184:185], v[76:77]
	s_waitcnt vmcnt(2) lgkmcnt(1)
	v_fma_f64 v[108:109], -v[88:89], v[190:191], v[108:109]
	;; [unrolled: 4-line block ×3, first 2 shown]
.LBB69_101:
	s_or_b64 exec, exec, s[2:3]
	v_cmp_eq_u32_e32 vcc, 20, v212
	s_waitcnt lgkmcnt(0)
	s_barrier
	s_and_saveexec_b64 s[2:3], vcc
	s_cbranch_execz .LBB69_104
; %bb.102:
	s_waitcnt vmcnt(14)
	ds_write_b64 v210, v[120:121]
	s_waitcnt vmcnt(12)
	ds_write2_b64 v211, v[86:87], v[118:119] offset0:21 offset1:22
	s_waitcnt vmcnt(10)
	ds_write2_b64 v211, v[84:85], v[116:117] offset0:23 offset1:24
	;; [unrolled: 2-line block ×7, first 2 shown]
	ds_read_b64 v[182:183], v210
	s_waitcnt lgkmcnt(0)
	v_cmp_neq_f64_e32 vcc, 0, v[182:183]
	s_and_b64 exec, exec, vcc
	s_cbranch_execz .LBB69_104
; %bb.103:
	v_div_scale_f64 v[184:185], s[6:7], v[182:183], v[182:183], 1.0
	v_rcp_f64_e32 v[186:187], v[184:185]
	v_div_scale_f64 v[188:189], vcc, 1.0, v[182:183], 1.0
	v_fma_f64 v[190:191], -v[184:185], v[186:187], 1.0
	v_fmac_f64_e32 v[186:187], v[186:187], v[190:191]
	v_fma_f64 v[190:191], -v[184:185], v[186:187], 1.0
	v_fmac_f64_e32 v[186:187], v[186:187], v[190:191]
	v_mul_f64 v[190:191], v[188:189], v[186:187]
	v_fma_f64 v[184:185], -v[184:185], v[190:191], v[188:189]
	v_div_fmas_f64 v[184:185], v[184:185], v[186:187], v[190:191]
	v_div_fixup_f64 v[182:183], v[184:185], v[182:183], 1.0
	ds_write_b64 v210, v[182:183]
.LBB69_104:
	s_or_b64 exec, exec, s[2:3]
	s_waitcnt lgkmcnt(0)
	s_barrier
	ds_read_b64 v[182:183], v210
	v_cmp_lt_u32_e32 vcc, 20, v212
	s_and_saveexec_b64 s[2:3], vcc
	s_cbranch_execz .LBB69_106
; %bb.105:
	ds_read2_b64 v[184:187], v211 offset0:21 offset1:22
	ds_read2_b64 v[188:191], v211 offset0:23 offset1:24
	s_waitcnt vmcnt(14) lgkmcnt(2)
	v_mul_f64 v[120:121], v[182:183], v[120:121]
	ds_read2_b64 v[192:195], v211 offset0:25 offset1:26
	s_waitcnt vmcnt(13) lgkmcnt(2)
	v_fma_f64 v[86:87], -v[120:121], v[184:185], v[86:87]
	s_waitcnt vmcnt(12)
	v_fma_f64 v[118:119], -v[120:121], v[186:187], v[118:119]
	ds_read2_b64 v[184:187], v211 offset0:27 offset1:28
	s_waitcnt vmcnt(11) lgkmcnt(2)
	v_fma_f64 v[84:85], -v[120:121], v[188:189], v[84:85]
	s_waitcnt vmcnt(10)
	v_fma_f64 v[116:117], -v[120:121], v[190:191], v[116:117]
	s_waitcnt vmcnt(9) lgkmcnt(1)
	v_fma_f64 v[82:83], -v[120:121], v[192:193], v[82:83]
	s_waitcnt vmcnt(8)
	v_fma_f64 v[114:115], -v[120:121], v[194:195], v[114:115]
	ds_read2_b64 v[188:191], v211 offset0:29 offset1:30
	ds_read2_b64 v[192:195], v211 offset0:31 offset1:32
	s_waitcnt vmcnt(7) lgkmcnt(2)
	v_fma_f64 v[80:81], -v[120:121], v[184:185], v[80:81]
	s_waitcnt vmcnt(6)
	v_fma_f64 v[112:113], -v[120:121], v[186:187], v[112:113]
	ds_read2_b64 v[184:187], v211 offset0:33 offset1:34
	s_waitcnt vmcnt(5) lgkmcnt(2)
	v_fma_f64 v[78:79], -v[120:121], v[188:189], v[78:79]
	s_waitcnt vmcnt(4)
	v_fma_f64 v[110:111], -v[120:121], v[190:191], v[110:111]
	s_waitcnt vmcnt(3) lgkmcnt(1)
	v_fma_f64 v[76:77], -v[120:121], v[192:193], v[76:77]
	s_waitcnt vmcnt(2)
	v_fma_f64 v[108:109], -v[120:121], v[194:195], v[108:109]
	;; [unrolled: 4-line block ×3, first 2 shown]
.LBB69_106:
	s_or_b64 exec, exec, s[2:3]
	v_cmp_eq_u32_e32 vcc, 21, v212
	s_waitcnt lgkmcnt(0)
	s_barrier
	s_and_saveexec_b64 s[2:3], vcc
	s_cbranch_execz .LBB69_109
; %bb.107:
	s_waitcnt vmcnt(12)
	v_mov_b32_e32 v184, v118
	v_mov_b32_e32 v185, v119
	s_waitcnt vmcnt(11)
	v_mov_b32_e32 v186, v84
	v_mov_b32_e32 v187, v85
	ds_write_b64 v210, v[86:87]
	ds_write2_b64 v211, v[184:185], v[186:187] offset0:22 offset1:23
	s_waitcnt vmcnt(10)
	v_mov_b32_e32 v184, v116
	v_mov_b32_e32 v185, v117
	s_waitcnt vmcnt(9)
	v_mov_b32_e32 v186, v82
	v_mov_b32_e32 v187, v83
	ds_write2_b64 v211, v[184:185], v[186:187] offset0:24 offset1:25
	s_waitcnt vmcnt(8)
	v_mov_b32_e32 v184, v114
	v_mov_b32_e32 v185, v115
	s_waitcnt vmcnt(7)
	v_mov_b32_e32 v186, v80
	v_mov_b32_e32 v187, v81
	;; [unrolled: 7-line block ×5, first 2 shown]
	ds_write2_b64 v211, v[184:185], v[186:187] offset0:32 offset1:33
	s_waitcnt vmcnt(0)
	ds_write_b64 v211, v[140:141] offset:272
	ds_read_b64 v[184:185], v210
	s_waitcnt lgkmcnt(0)
	v_cmp_neq_f64_e32 vcc, 0, v[184:185]
	s_and_b64 exec, exec, vcc
	s_cbranch_execz .LBB69_109
; %bb.108:
	v_div_scale_f64 v[186:187], s[6:7], v[184:185], v[184:185], 1.0
	v_rcp_f64_e32 v[188:189], v[186:187]
	v_div_scale_f64 v[190:191], vcc, 1.0, v[184:185], 1.0
	v_fma_f64 v[192:193], -v[186:187], v[188:189], 1.0
	v_fmac_f64_e32 v[188:189], v[188:189], v[192:193]
	v_fma_f64 v[192:193], -v[186:187], v[188:189], 1.0
	v_fmac_f64_e32 v[188:189], v[188:189], v[192:193]
	v_mul_f64 v[192:193], v[190:191], v[188:189]
	v_fma_f64 v[186:187], -v[186:187], v[192:193], v[190:191]
	v_div_fmas_f64 v[186:187], v[186:187], v[188:189], v[192:193]
	v_div_fixup_f64 v[184:185], v[186:187], v[184:185], 1.0
	ds_write_b64 v210, v[184:185]
.LBB69_109:
	s_or_b64 exec, exec, s[2:3]
	s_waitcnt lgkmcnt(0)
	s_barrier
	ds_read_b64 v[184:185], v210
	v_cmp_lt_u32_e32 vcc, 21, v212
	s_and_saveexec_b64 s[2:3], vcc
	s_cbranch_execz .LBB69_111
; %bb.110:
	ds_read2_b64 v[186:189], v211 offset0:22 offset1:23
	ds_read2_b64 v[190:193], v211 offset0:24 offset1:25
	s_waitcnt vmcnt(13) lgkmcnt(2)
	v_mul_f64 v[86:87], v[184:185], v[86:87]
	ds_read2_b64 v[194:197], v211 offset0:26 offset1:27
	s_waitcnt vmcnt(12) lgkmcnt(2)
	v_fma_f64 v[118:119], -v[86:87], v[186:187], v[118:119]
	s_waitcnt vmcnt(11)
	v_fma_f64 v[84:85], -v[86:87], v[188:189], v[84:85]
	ds_read2_b64 v[186:189], v211 offset0:28 offset1:29
	s_waitcnt vmcnt(10) lgkmcnt(2)
	v_fma_f64 v[116:117], -v[86:87], v[190:191], v[116:117]
	s_waitcnt vmcnt(9)
	v_fma_f64 v[82:83], -v[86:87], v[192:193], v[82:83]
	s_waitcnt vmcnt(8) lgkmcnt(1)
	v_fma_f64 v[114:115], -v[86:87], v[194:195], v[114:115]
	s_waitcnt vmcnt(7)
	v_fma_f64 v[80:81], -v[86:87], v[196:197], v[80:81]
	ds_read2_b64 v[190:193], v211 offset0:30 offset1:31
	ds_read2_b64 v[194:197], v211 offset0:32 offset1:33
	s_waitcnt vmcnt(6) lgkmcnt(2)
	v_fma_f64 v[112:113], -v[86:87], v[186:187], v[112:113]
	ds_read_b64 v[186:187], v211 offset:272
	s_waitcnt vmcnt(5)
	v_fma_f64 v[78:79], -v[86:87], v[188:189], v[78:79]
	s_waitcnt vmcnt(4) lgkmcnt(2)
	v_fma_f64 v[110:111], -v[86:87], v[190:191], v[110:111]
	s_waitcnt vmcnt(3)
	v_fma_f64 v[76:77], -v[86:87], v[192:193], v[76:77]
	s_waitcnt vmcnt(2) lgkmcnt(1)
	v_fma_f64 v[108:109], -v[86:87], v[194:195], v[108:109]
	;; [unrolled: 4-line block ×3, first 2 shown]
.LBB69_111:
	s_or_b64 exec, exec, s[2:3]
	v_cmp_eq_u32_e32 vcc, 22, v212
	s_waitcnt lgkmcnt(0)
	s_barrier
	s_and_saveexec_b64 s[2:3], vcc
	s_cbranch_execz .LBB69_114
; %bb.112:
	s_waitcnt vmcnt(12)
	ds_write_b64 v210, v[118:119]
	s_waitcnt vmcnt(10)
	ds_write2_b64 v211, v[84:85], v[116:117] offset0:23 offset1:24
	s_waitcnt vmcnt(8)
	ds_write2_b64 v211, v[82:83], v[114:115] offset0:25 offset1:26
	;; [unrolled: 2-line block ×6, first 2 shown]
	ds_read_b64 v[186:187], v210
	s_waitcnt lgkmcnt(0)
	v_cmp_neq_f64_e32 vcc, 0, v[186:187]
	s_and_b64 exec, exec, vcc
	s_cbranch_execz .LBB69_114
; %bb.113:
	v_div_scale_f64 v[188:189], s[6:7], v[186:187], v[186:187], 1.0
	v_rcp_f64_e32 v[190:191], v[188:189]
	v_div_scale_f64 v[192:193], vcc, 1.0, v[186:187], 1.0
	v_fma_f64 v[194:195], -v[188:189], v[190:191], 1.0
	v_fmac_f64_e32 v[190:191], v[190:191], v[194:195]
	v_fma_f64 v[194:195], -v[188:189], v[190:191], 1.0
	v_fmac_f64_e32 v[190:191], v[190:191], v[194:195]
	v_mul_f64 v[194:195], v[192:193], v[190:191]
	v_fma_f64 v[188:189], -v[188:189], v[194:195], v[192:193]
	v_div_fmas_f64 v[188:189], v[188:189], v[190:191], v[194:195]
	v_div_fixup_f64 v[186:187], v[188:189], v[186:187], 1.0
	ds_write_b64 v210, v[186:187]
.LBB69_114:
	s_or_b64 exec, exec, s[2:3]
	s_waitcnt lgkmcnt(0)
	s_barrier
	ds_read_b64 v[186:187], v210
	v_cmp_lt_u32_e32 vcc, 22, v212
	s_and_saveexec_b64 s[2:3], vcc
	s_cbranch_execz .LBB69_116
; %bb.115:
	ds_read2_b64 v[188:191], v211 offset0:23 offset1:24
	ds_read2_b64 v[192:195], v211 offset0:25 offset1:26
	;; [unrolled: 1-line block ×3, first 2 shown]
	s_waitcnt vmcnt(12) lgkmcnt(3)
	v_mul_f64 v[118:119], v[186:187], v[118:119]
	s_waitcnt vmcnt(11) lgkmcnt(2)
	v_fma_f64 v[84:85], -v[118:119], v[188:189], v[84:85]
	s_waitcnt vmcnt(10)
	v_fma_f64 v[116:117], -v[118:119], v[190:191], v[116:117]
	ds_read2_b64 v[188:191], v211 offset0:29 offset1:30
	s_waitcnt vmcnt(9) lgkmcnt(2)
	v_fma_f64 v[82:83], -v[118:119], v[192:193], v[82:83]
	s_waitcnt vmcnt(8)
	v_fma_f64 v[114:115], -v[118:119], v[194:195], v[114:115]
	s_waitcnt vmcnt(7) lgkmcnt(1)
	v_fma_f64 v[80:81], -v[118:119], v[196:197], v[80:81]
	ds_read2_b64 v[192:195], v211 offset0:31 offset1:32
	s_waitcnt vmcnt(6)
	v_fma_f64 v[112:113], -v[118:119], v[198:199], v[112:113]
	ds_read2_b64 v[196:199], v211 offset0:33 offset1:34
	s_waitcnt vmcnt(5) lgkmcnt(2)
	v_fma_f64 v[78:79], -v[118:119], v[188:189], v[78:79]
	s_waitcnt vmcnt(4)
	v_fma_f64 v[110:111], -v[118:119], v[190:191], v[110:111]
	s_waitcnt vmcnt(3) lgkmcnt(1)
	v_fma_f64 v[76:77], -v[118:119], v[192:193], v[76:77]
	s_waitcnt vmcnt(2)
	v_fma_f64 v[108:109], -v[118:119], v[194:195], v[108:109]
	;; [unrolled: 4-line block ×3, first 2 shown]
.LBB69_116:
	s_or_b64 exec, exec, s[2:3]
	v_cmp_eq_u32_e32 vcc, 23, v212
	s_waitcnt lgkmcnt(0)
	s_barrier
	s_and_saveexec_b64 s[2:3], vcc
	s_cbranch_execz .LBB69_119
; %bb.117:
	s_waitcnt vmcnt(10)
	v_mov_b32_e32 v188, v116
	v_mov_b32_e32 v189, v117
	s_waitcnt vmcnt(9)
	v_mov_b32_e32 v190, v82
	v_mov_b32_e32 v191, v83
	ds_write_b64 v210, v[84:85]
	ds_write2_b64 v211, v[188:189], v[190:191] offset0:24 offset1:25
	s_waitcnt vmcnt(8)
	v_mov_b32_e32 v188, v114
	v_mov_b32_e32 v189, v115
	s_waitcnt vmcnt(7)
	v_mov_b32_e32 v190, v80
	v_mov_b32_e32 v191, v81
	ds_write2_b64 v211, v[188:189], v[190:191] offset0:26 offset1:27
	s_waitcnt vmcnt(6)
	v_mov_b32_e32 v188, v112
	v_mov_b32_e32 v189, v113
	s_waitcnt vmcnt(5)
	v_mov_b32_e32 v190, v78
	v_mov_b32_e32 v191, v79
	;; [unrolled: 7-line block ×4, first 2 shown]
	ds_write2_b64 v211, v[188:189], v[190:191] offset0:32 offset1:33
	s_waitcnt vmcnt(0)
	ds_write_b64 v211, v[140:141] offset:272
	ds_read_b64 v[188:189], v210
	s_waitcnt lgkmcnt(0)
	v_cmp_neq_f64_e32 vcc, 0, v[188:189]
	s_and_b64 exec, exec, vcc
	s_cbranch_execz .LBB69_119
; %bb.118:
	v_div_scale_f64 v[190:191], s[6:7], v[188:189], v[188:189], 1.0
	v_rcp_f64_e32 v[192:193], v[190:191]
	v_div_scale_f64 v[194:195], vcc, 1.0, v[188:189], 1.0
	v_fma_f64 v[196:197], -v[190:191], v[192:193], 1.0
	v_fmac_f64_e32 v[192:193], v[192:193], v[196:197]
	v_fma_f64 v[196:197], -v[190:191], v[192:193], 1.0
	v_fmac_f64_e32 v[192:193], v[192:193], v[196:197]
	v_mul_f64 v[196:197], v[194:195], v[192:193]
	v_fma_f64 v[190:191], -v[190:191], v[196:197], v[194:195]
	v_div_fmas_f64 v[190:191], v[190:191], v[192:193], v[196:197]
	v_div_fixup_f64 v[188:189], v[190:191], v[188:189], 1.0
	ds_write_b64 v210, v[188:189]
.LBB69_119:
	s_or_b64 exec, exec, s[2:3]
	s_waitcnt lgkmcnt(0)
	s_barrier
	ds_read_b64 v[188:189], v210
	v_cmp_lt_u32_e32 vcc, 23, v212
	s_and_saveexec_b64 s[2:3], vcc
	s_cbranch_execz .LBB69_121
; %bb.120:
	ds_read2_b64 v[190:193], v211 offset0:24 offset1:25
	ds_read2_b64 v[194:197], v211 offset0:26 offset1:27
	;; [unrolled: 1-line block ×3, first 2 shown]
	s_waitcnt vmcnt(11) lgkmcnt(3)
	v_mul_f64 v[84:85], v[188:189], v[84:85]
	s_waitcnt vmcnt(10) lgkmcnt(2)
	v_fma_f64 v[116:117], -v[84:85], v[190:191], v[116:117]
	s_waitcnt vmcnt(9)
	v_fma_f64 v[82:83], -v[84:85], v[192:193], v[82:83]
	ds_read2_b64 v[190:193], v211 offset0:30 offset1:31
	s_waitcnt vmcnt(8) lgkmcnt(2)
	v_fma_f64 v[114:115], -v[84:85], v[194:195], v[114:115]
	s_waitcnt vmcnt(7)
	v_fma_f64 v[80:81], -v[84:85], v[196:197], v[80:81]
	s_waitcnt vmcnt(6) lgkmcnt(1)
	v_fma_f64 v[112:113], -v[84:85], v[198:199], v[112:113]
	ds_read2_b64 v[194:197], v211 offset0:32 offset1:33
	ds_read_b64 v[198:199], v211 offset:272
	s_waitcnt vmcnt(5)
	v_fma_f64 v[78:79], -v[84:85], v[200:201], v[78:79]
	s_waitcnt vmcnt(4) lgkmcnt(2)
	v_fma_f64 v[110:111], -v[84:85], v[190:191], v[110:111]
	s_waitcnt vmcnt(3)
	v_fma_f64 v[76:77], -v[84:85], v[192:193], v[76:77]
	s_waitcnt vmcnt(2) lgkmcnt(1)
	v_fma_f64 v[108:109], -v[84:85], v[194:195], v[108:109]
	;; [unrolled: 4-line block ×3, first 2 shown]
.LBB69_121:
	s_or_b64 exec, exec, s[2:3]
	v_cmp_eq_u32_e32 vcc, 24, v212
	s_waitcnt lgkmcnt(0)
	s_barrier
	s_and_saveexec_b64 s[2:3], vcc
	s_cbranch_execz .LBB69_124
; %bb.122:
	s_waitcnt vmcnt(10)
	ds_write_b64 v210, v[116:117]
	s_waitcnt vmcnt(8)
	ds_write2_b64 v211, v[82:83], v[114:115] offset0:25 offset1:26
	s_waitcnt vmcnt(6)
	ds_write2_b64 v211, v[80:81], v[112:113] offset0:27 offset1:28
	;; [unrolled: 2-line block ×5, first 2 shown]
	ds_read_b64 v[190:191], v210
	s_waitcnt lgkmcnt(0)
	v_cmp_neq_f64_e32 vcc, 0, v[190:191]
	s_and_b64 exec, exec, vcc
	s_cbranch_execz .LBB69_124
; %bb.123:
	v_div_scale_f64 v[192:193], s[6:7], v[190:191], v[190:191], 1.0
	v_rcp_f64_e32 v[194:195], v[192:193]
	v_div_scale_f64 v[196:197], vcc, 1.0, v[190:191], 1.0
	v_fma_f64 v[198:199], -v[192:193], v[194:195], 1.0
	v_fmac_f64_e32 v[194:195], v[194:195], v[198:199]
	v_fma_f64 v[198:199], -v[192:193], v[194:195], 1.0
	v_fmac_f64_e32 v[194:195], v[194:195], v[198:199]
	v_mul_f64 v[198:199], v[196:197], v[194:195]
	v_fma_f64 v[192:193], -v[192:193], v[198:199], v[196:197]
	v_div_fmas_f64 v[192:193], v[192:193], v[194:195], v[198:199]
	v_div_fixup_f64 v[190:191], v[192:193], v[190:191], 1.0
	ds_write_b64 v210, v[190:191]
.LBB69_124:
	s_or_b64 exec, exec, s[2:3]
	s_waitcnt lgkmcnt(0)
	s_barrier
	ds_read_b64 v[190:191], v210
	v_cmp_lt_u32_e32 vcc, 24, v212
	s_and_saveexec_b64 s[2:3], vcc
	s_cbranch_execz .LBB69_126
; %bb.125:
	ds_read2_b64 v[192:195], v211 offset0:25 offset1:26
	ds_read2_b64 v[196:199], v211 offset0:27 offset1:28
	s_waitcnt vmcnt(10) lgkmcnt(2)
	v_mul_f64 v[116:117], v[190:191], v[116:117]
	ds_read2_b64 v[200:203], v211 offset0:31 offset1:32
	s_waitcnt vmcnt(9) lgkmcnt(2)
	v_fma_f64 v[82:83], -v[116:117], v[192:193], v[82:83]
	s_waitcnt vmcnt(8)
	v_fma_f64 v[114:115], -v[116:117], v[194:195], v[114:115]
	ds_read2_b64 v[192:195], v211 offset0:29 offset1:30
	s_waitcnt vmcnt(7) lgkmcnt(2)
	v_fma_f64 v[80:81], -v[116:117], v[196:197], v[80:81]
	s_waitcnt vmcnt(6)
	v_fma_f64 v[112:113], -v[116:117], v[198:199], v[112:113]
	ds_read2_b64 v[196:199], v211 offset0:33 offset1:34
	s_waitcnt vmcnt(3) lgkmcnt(2)
	v_fma_f64 v[76:77], -v[116:117], v[200:201], v[76:77]
	s_waitcnt lgkmcnt(1)
	v_fma_f64 v[78:79], -v[116:117], v[192:193], v[78:79]
	v_fma_f64 v[110:111], -v[116:117], v[194:195], v[110:111]
	s_waitcnt vmcnt(2)
	v_fma_f64 v[108:109], -v[116:117], v[202:203], v[108:109]
	s_waitcnt vmcnt(1) lgkmcnt(0)
	v_fma_f64 v[74:75], -v[116:117], v[196:197], v[74:75]
	s_waitcnt vmcnt(0)
	v_fma_f64 v[140:141], -v[116:117], v[198:199], v[140:141]
.LBB69_126:
	s_or_b64 exec, exec, s[2:3]
	v_cmp_eq_u32_e32 vcc, 25, v212
	s_waitcnt lgkmcnt(0)
	s_barrier
	s_and_saveexec_b64 s[2:3], vcc
	s_cbranch_execz .LBB69_129
; %bb.127:
	s_waitcnt vmcnt(8)
	v_mov_b32_e32 v192, v114
	v_mov_b32_e32 v193, v115
	s_waitcnt vmcnt(7)
	v_mov_b32_e32 v194, v80
	v_mov_b32_e32 v195, v81
	ds_write_b64 v210, v[82:83]
	ds_write2_b64 v211, v[192:193], v[194:195] offset0:26 offset1:27
	s_waitcnt vmcnt(6)
	v_mov_b32_e32 v192, v112
	v_mov_b32_e32 v193, v113
	s_waitcnt vmcnt(5)
	v_mov_b32_e32 v194, v78
	v_mov_b32_e32 v195, v79
	ds_write2_b64 v211, v[192:193], v[194:195] offset0:28 offset1:29
	s_waitcnt vmcnt(4)
	v_mov_b32_e32 v192, v110
	v_mov_b32_e32 v193, v111
	s_waitcnt vmcnt(3)
	v_mov_b32_e32 v194, v76
	v_mov_b32_e32 v195, v77
	;; [unrolled: 7-line block ×3, first 2 shown]
	ds_write2_b64 v211, v[192:193], v[194:195] offset0:32 offset1:33
	s_waitcnt vmcnt(0)
	ds_write_b64 v211, v[140:141] offset:272
	ds_read_b64 v[192:193], v210
	s_waitcnt lgkmcnt(0)
	v_cmp_neq_f64_e32 vcc, 0, v[192:193]
	s_and_b64 exec, exec, vcc
	s_cbranch_execz .LBB69_129
; %bb.128:
	v_div_scale_f64 v[194:195], s[6:7], v[192:193], v[192:193], 1.0
	v_rcp_f64_e32 v[196:197], v[194:195]
	v_div_scale_f64 v[198:199], vcc, 1.0, v[192:193], 1.0
	v_fma_f64 v[200:201], -v[194:195], v[196:197], 1.0
	v_fmac_f64_e32 v[196:197], v[196:197], v[200:201]
	v_fma_f64 v[200:201], -v[194:195], v[196:197], 1.0
	v_fmac_f64_e32 v[196:197], v[196:197], v[200:201]
	v_mul_f64 v[200:201], v[198:199], v[196:197]
	v_fma_f64 v[194:195], -v[194:195], v[200:201], v[198:199]
	v_div_fmas_f64 v[194:195], v[194:195], v[196:197], v[200:201]
	v_div_fixup_f64 v[192:193], v[194:195], v[192:193], 1.0
	ds_write_b64 v210, v[192:193]
.LBB69_129:
	s_or_b64 exec, exec, s[2:3]
	s_waitcnt lgkmcnt(0)
	s_barrier
	ds_read_b64 v[192:193], v210
	v_cmp_lt_u32_e32 vcc, 25, v212
	s_and_saveexec_b64 s[2:3], vcc
	s_cbranch_execz .LBB69_131
; %bb.130:
	ds_read2_b64 v[194:197], v211 offset0:26 offset1:27
	ds_read2_b64 v[198:201], v211 offset0:28 offset1:29
	s_waitcnt vmcnt(9) lgkmcnt(2)
	v_mul_f64 v[82:83], v[192:193], v[82:83]
	ds_read2_b64 v[202:205], v211 offset0:32 offset1:33
	s_waitcnt vmcnt(8) lgkmcnt(2)
	v_fma_f64 v[114:115], -v[82:83], v[194:195], v[114:115]
	s_waitcnt vmcnt(7)
	v_fma_f64 v[80:81], -v[82:83], v[196:197], v[80:81]
	ds_read2_b64 v[194:197], v211 offset0:30 offset1:31
	s_waitcnt vmcnt(6) lgkmcnt(2)
	v_fma_f64 v[112:113], -v[82:83], v[198:199], v[112:113]
	ds_read_b64 v[198:199], v211 offset:272
	s_waitcnt vmcnt(5)
	v_fma_f64 v[78:79], -v[82:83], v[200:201], v[78:79]
	s_waitcnt vmcnt(2) lgkmcnt(2)
	v_fma_f64 v[108:109], -v[82:83], v[202:203], v[108:109]
	s_waitcnt lgkmcnt(1)
	v_fma_f64 v[110:111], -v[82:83], v[194:195], v[110:111]
	v_fma_f64 v[76:77], -v[82:83], v[196:197], v[76:77]
	s_waitcnt vmcnt(1)
	v_fma_f64 v[74:75], -v[82:83], v[204:205], v[74:75]
	s_waitcnt vmcnt(0) lgkmcnt(0)
	v_fma_f64 v[140:141], -v[82:83], v[198:199], v[140:141]
.LBB69_131:
	s_or_b64 exec, exec, s[2:3]
	v_cmp_eq_u32_e32 vcc, 26, v212
	s_waitcnt lgkmcnt(0)
	s_barrier
	s_and_saveexec_b64 s[2:3], vcc
	s_cbranch_execz .LBB69_134
; %bb.132:
	s_waitcnt vmcnt(8)
	ds_write_b64 v210, v[114:115]
	s_waitcnt vmcnt(6)
	ds_write2_b64 v211, v[80:81], v[112:113] offset0:27 offset1:28
	s_waitcnt vmcnt(4)
	ds_write2_b64 v211, v[78:79], v[110:111] offset0:29 offset1:30
	;; [unrolled: 2-line block ×4, first 2 shown]
	ds_read_b64 v[194:195], v210
	s_waitcnt lgkmcnt(0)
	v_cmp_neq_f64_e32 vcc, 0, v[194:195]
	s_and_b64 exec, exec, vcc
	s_cbranch_execz .LBB69_134
; %bb.133:
	v_div_scale_f64 v[196:197], s[6:7], v[194:195], v[194:195], 1.0
	v_rcp_f64_e32 v[198:199], v[196:197]
	v_div_scale_f64 v[200:201], vcc, 1.0, v[194:195], 1.0
	v_fma_f64 v[202:203], -v[196:197], v[198:199], 1.0
	v_fmac_f64_e32 v[198:199], v[198:199], v[202:203]
	v_fma_f64 v[202:203], -v[196:197], v[198:199], 1.0
	v_fmac_f64_e32 v[198:199], v[198:199], v[202:203]
	v_mul_f64 v[202:203], v[200:201], v[198:199]
	v_fma_f64 v[196:197], -v[196:197], v[202:203], v[200:201]
	v_div_fmas_f64 v[196:197], v[196:197], v[198:199], v[202:203]
	v_div_fixup_f64 v[194:195], v[196:197], v[194:195], 1.0
	ds_write_b64 v210, v[194:195]
.LBB69_134:
	s_or_b64 exec, exec, s[2:3]
	s_waitcnt lgkmcnt(0)
	s_barrier
	ds_read_b64 v[194:195], v210
	v_cmp_lt_u32_e32 vcc, 26, v212
	s_and_saveexec_b64 s[2:3], vcc
	s_cbranch_execz .LBB69_136
; %bb.135:
	ds_read2_b64 v[196:199], v211 offset0:27 offset1:28
	ds_read2_b64 v[200:203], v211 offset0:29 offset1:30
	s_waitcnt vmcnt(8) lgkmcnt(2)
	v_mul_f64 v[114:115], v[194:195], v[114:115]
	ds_read2_b64 v[204:207], v211 offset0:31 offset1:32
	s_waitcnt vmcnt(7) lgkmcnt(2)
	v_fma_f64 v[80:81], -v[114:115], v[196:197], v[80:81]
	s_waitcnt vmcnt(6)
	v_fma_f64 v[112:113], -v[114:115], v[198:199], v[112:113]
	ds_read2_b64 v[196:199], v211 offset0:33 offset1:34
	s_waitcnt vmcnt(5) lgkmcnt(2)
	v_fma_f64 v[78:79], -v[114:115], v[200:201], v[78:79]
	s_waitcnt vmcnt(4)
	v_fma_f64 v[110:111], -v[114:115], v[202:203], v[110:111]
	s_waitcnt vmcnt(3) lgkmcnt(1)
	v_fma_f64 v[76:77], -v[114:115], v[204:205], v[76:77]
	s_waitcnt vmcnt(2)
	v_fma_f64 v[108:109], -v[114:115], v[206:207], v[108:109]
	;; [unrolled: 4-line block ×3, first 2 shown]
.LBB69_136:
	s_or_b64 exec, exec, s[2:3]
	v_cmp_eq_u32_e32 vcc, 27, v212
	s_waitcnt lgkmcnt(0)
	s_barrier
	s_and_saveexec_b64 s[2:3], vcc
	s_cbranch_execz .LBB69_139
; %bb.137:
	s_waitcnt vmcnt(6)
	v_mov_b32_e32 v196, v112
	v_mov_b32_e32 v197, v113
	s_waitcnt vmcnt(5)
	v_mov_b32_e32 v198, v78
	v_mov_b32_e32 v199, v79
	ds_write_b64 v210, v[80:81]
	ds_write2_b64 v211, v[196:197], v[198:199] offset0:28 offset1:29
	s_waitcnt vmcnt(4)
	v_mov_b32_e32 v196, v110
	v_mov_b32_e32 v197, v111
	s_waitcnt vmcnt(3)
	v_mov_b32_e32 v198, v76
	v_mov_b32_e32 v199, v77
	ds_write2_b64 v211, v[196:197], v[198:199] offset0:30 offset1:31
	s_waitcnt vmcnt(2)
	v_mov_b32_e32 v196, v108
	v_mov_b32_e32 v197, v109
	s_waitcnt vmcnt(1)
	v_mov_b32_e32 v198, v74
	v_mov_b32_e32 v199, v75
	ds_write2_b64 v211, v[196:197], v[198:199] offset0:32 offset1:33
	s_waitcnt vmcnt(0)
	ds_write_b64 v211, v[140:141] offset:272
	ds_read_b64 v[196:197], v210
	s_waitcnt lgkmcnt(0)
	v_cmp_neq_f64_e32 vcc, 0, v[196:197]
	s_and_b64 exec, exec, vcc
	s_cbranch_execz .LBB69_139
; %bb.138:
	v_div_scale_f64 v[198:199], s[6:7], v[196:197], v[196:197], 1.0
	v_rcp_f64_e32 v[200:201], v[198:199]
	v_div_scale_f64 v[202:203], vcc, 1.0, v[196:197], 1.0
	v_fma_f64 v[204:205], -v[198:199], v[200:201], 1.0
	v_fmac_f64_e32 v[200:201], v[200:201], v[204:205]
	v_fma_f64 v[204:205], -v[198:199], v[200:201], 1.0
	v_fmac_f64_e32 v[200:201], v[200:201], v[204:205]
	v_mul_f64 v[204:205], v[202:203], v[200:201]
	v_fma_f64 v[198:199], -v[198:199], v[204:205], v[202:203]
	v_div_fmas_f64 v[198:199], v[198:199], v[200:201], v[204:205]
	v_div_fixup_f64 v[196:197], v[198:199], v[196:197], 1.0
	ds_write_b64 v210, v[196:197]
.LBB69_139:
	s_or_b64 exec, exec, s[2:3]
	s_waitcnt lgkmcnt(0)
	s_barrier
	ds_read_b64 v[196:197], v210
	v_cmp_lt_u32_e32 vcc, 27, v212
	s_and_saveexec_b64 s[2:3], vcc
	s_cbranch_execz .LBB69_141
; %bb.140:
	ds_read2_b64 v[198:201], v211 offset0:28 offset1:29
	ds_read2_b64 v[202:205], v211 offset0:30 offset1:31
	s_waitcnt vmcnt(7) lgkmcnt(2)
	v_mul_f64 v[80:81], v[196:197], v[80:81]
	ds_read2_b64 v[206:209], v211 offset0:32 offset1:33
	s_waitcnt vmcnt(6) lgkmcnt(2)
	v_fma_f64 v[112:113], -v[80:81], v[198:199], v[112:113]
	ds_read_b64 v[198:199], v211 offset:272
	s_waitcnt vmcnt(5)
	v_fma_f64 v[78:79], -v[80:81], v[200:201], v[78:79]
	s_waitcnt vmcnt(4) lgkmcnt(2)
	v_fma_f64 v[110:111], -v[80:81], v[202:203], v[110:111]
	s_waitcnt vmcnt(3)
	v_fma_f64 v[76:77], -v[80:81], v[204:205], v[76:77]
	s_waitcnt vmcnt(2) lgkmcnt(1)
	v_fma_f64 v[108:109], -v[80:81], v[206:207], v[108:109]
	;; [unrolled: 4-line block ×3, first 2 shown]
.LBB69_141:
	s_or_b64 exec, exec, s[2:3]
	v_cmp_eq_u32_e32 vcc, 28, v212
	s_waitcnt lgkmcnt(0)
	s_barrier
	s_and_saveexec_b64 s[2:3], vcc
	s_cbranch_execz .LBB69_144
; %bb.142:
	s_waitcnt vmcnt(6)
	ds_write_b64 v210, v[112:113]
	s_waitcnt vmcnt(4)
	ds_write2_b64 v211, v[78:79], v[110:111] offset0:29 offset1:30
	s_waitcnt vmcnt(2)
	ds_write2_b64 v211, v[76:77], v[108:109] offset0:31 offset1:32
	;; [unrolled: 2-line block ×3, first 2 shown]
	ds_read_b64 v[198:199], v210
	s_waitcnt lgkmcnt(0)
	v_cmp_neq_f64_e32 vcc, 0, v[198:199]
	s_and_b64 exec, exec, vcc
	s_cbranch_execz .LBB69_144
; %bb.143:
	v_div_scale_f64 v[200:201], s[6:7], v[198:199], v[198:199], 1.0
	v_rcp_f64_e32 v[202:203], v[200:201]
	v_div_scale_f64 v[204:205], vcc, 1.0, v[198:199], 1.0
	v_fma_f64 v[206:207], -v[200:201], v[202:203], 1.0
	v_fmac_f64_e32 v[202:203], v[202:203], v[206:207]
	v_fma_f64 v[206:207], -v[200:201], v[202:203], 1.0
	v_fmac_f64_e32 v[202:203], v[202:203], v[206:207]
	v_mul_f64 v[206:207], v[204:205], v[202:203]
	v_fma_f64 v[200:201], -v[200:201], v[206:207], v[204:205]
	v_div_fmas_f64 v[200:201], v[200:201], v[202:203], v[206:207]
	v_div_fixup_f64 v[198:199], v[200:201], v[198:199], 1.0
	ds_write_b64 v210, v[198:199]
.LBB69_144:
	s_or_b64 exec, exec, s[2:3]
	s_waitcnt lgkmcnt(0)
	s_barrier
	ds_read_b64 v[198:199], v210
	v_cmp_lt_u32_e32 vcc, 28, v212
	s_and_saveexec_b64 s[2:3], vcc
	s_cbranch_execz .LBB69_146
; %bb.145:
	ds_read2_b64 v[200:203], v211 offset0:29 offset1:30
	ds_read2_b64 v[204:207], v211 offset0:31 offset1:32
	;; [unrolled: 1-line block ×3, first 2 shown]
	s_waitcnt vmcnt(6) lgkmcnt(3)
	v_mul_f64 v[112:113], v[198:199], v[112:113]
	s_waitcnt vmcnt(5) lgkmcnt(2)
	v_fma_f64 v[78:79], -v[112:113], v[200:201], v[78:79]
	s_waitcnt vmcnt(4)
	v_fma_f64 v[110:111], -v[112:113], v[202:203], v[110:111]
	s_waitcnt vmcnt(3) lgkmcnt(1)
	v_fma_f64 v[76:77], -v[112:113], v[204:205], v[76:77]
	s_waitcnt vmcnt(2)
	v_fma_f64 v[108:109], -v[112:113], v[206:207], v[108:109]
	;; [unrolled: 4-line block ×3, first 2 shown]
.LBB69_146:
	s_or_b64 exec, exec, s[2:3]
	v_cmp_eq_u32_e32 vcc, 29, v212
	s_waitcnt lgkmcnt(0)
	s_barrier
	s_and_saveexec_b64 s[2:3], vcc
	s_cbranch_execz .LBB69_149
; %bb.147:
	s_waitcnt vmcnt(4)
	v_mov_b32_e32 v200, v110
	v_mov_b32_e32 v201, v111
	s_waitcnt vmcnt(3)
	v_mov_b32_e32 v202, v76
	v_mov_b32_e32 v203, v77
	ds_write_b64 v210, v[78:79]
	ds_write2_b64 v211, v[200:201], v[202:203] offset0:30 offset1:31
	s_waitcnt vmcnt(2)
	v_mov_b32_e32 v200, v108
	v_mov_b32_e32 v201, v109
	s_waitcnt vmcnt(1)
	v_mov_b32_e32 v202, v74
	v_mov_b32_e32 v203, v75
	ds_write2_b64 v211, v[200:201], v[202:203] offset0:32 offset1:33
	s_waitcnt vmcnt(0)
	ds_write_b64 v211, v[140:141] offset:272
	ds_read_b64 v[200:201], v210
	s_waitcnt lgkmcnt(0)
	v_cmp_neq_f64_e32 vcc, 0, v[200:201]
	s_and_b64 exec, exec, vcc
	s_cbranch_execz .LBB69_149
; %bb.148:
	v_div_scale_f64 v[202:203], s[6:7], v[200:201], v[200:201], 1.0
	v_rcp_f64_e32 v[204:205], v[202:203]
	v_div_scale_f64 v[206:207], vcc, 1.0, v[200:201], 1.0
	v_fma_f64 v[208:209], -v[202:203], v[204:205], 1.0
	v_fmac_f64_e32 v[204:205], v[204:205], v[208:209]
	v_fma_f64 v[208:209], -v[202:203], v[204:205], 1.0
	v_fmac_f64_e32 v[204:205], v[204:205], v[208:209]
	v_mul_f64 v[208:209], v[206:207], v[204:205]
	v_fma_f64 v[202:203], -v[202:203], v[208:209], v[206:207]
	v_div_fmas_f64 v[202:203], v[202:203], v[204:205], v[208:209]
	v_div_fixup_f64 v[200:201], v[202:203], v[200:201], 1.0
	ds_write_b64 v210, v[200:201]
.LBB69_149:
	s_or_b64 exec, exec, s[2:3]
	s_waitcnt lgkmcnt(0)
	s_barrier
	ds_read_b64 v[200:201], v210
	v_cmp_lt_u32_e32 vcc, 29, v212
	s_and_saveexec_b64 s[2:3], vcc
	s_cbranch_execz .LBB69_151
; %bb.150:
	ds_read2_b64 v[202:205], v211 offset0:30 offset1:31
	ds_read2_b64 v[206:209], v211 offset0:32 offset1:33
	ds_read_b64 v[214:215], v211 offset:272
	s_waitcnt vmcnt(5) lgkmcnt(3)
	v_mul_f64 v[78:79], v[200:201], v[78:79]
	s_waitcnt vmcnt(4) lgkmcnt(2)
	v_fma_f64 v[110:111], -v[78:79], v[202:203], v[110:111]
	s_waitcnt vmcnt(3)
	v_fma_f64 v[76:77], -v[78:79], v[204:205], v[76:77]
	s_waitcnt vmcnt(2) lgkmcnt(1)
	v_fma_f64 v[108:109], -v[78:79], v[206:207], v[108:109]
	s_waitcnt vmcnt(1)
	v_fma_f64 v[74:75], -v[78:79], v[208:209], v[74:75]
	s_waitcnt vmcnt(0) lgkmcnt(0)
	v_fma_f64 v[140:141], -v[78:79], v[214:215], v[140:141]
.LBB69_151:
	s_or_b64 exec, exec, s[2:3]
	v_cmp_eq_u32_e32 vcc, 30, v212
	s_waitcnt lgkmcnt(0)
	s_barrier
	s_and_saveexec_b64 s[2:3], vcc
	s_cbranch_execz .LBB69_154
; %bb.152:
	s_waitcnt vmcnt(4)
	ds_write_b64 v210, v[110:111]
	s_waitcnt vmcnt(2)
	ds_write2_b64 v211, v[76:77], v[108:109] offset0:31 offset1:32
	s_waitcnt vmcnt(0)
	ds_write2_b64 v211, v[74:75], v[140:141] offset0:33 offset1:34
	ds_read_b64 v[202:203], v210
	s_waitcnt lgkmcnt(0)
	v_cmp_neq_f64_e32 vcc, 0, v[202:203]
	s_and_b64 exec, exec, vcc
	s_cbranch_execz .LBB69_154
; %bb.153:
	v_div_scale_f64 v[204:205], s[6:7], v[202:203], v[202:203], 1.0
	v_rcp_f64_e32 v[206:207], v[204:205]
	v_div_scale_f64 v[208:209], vcc, 1.0, v[202:203], 1.0
	v_fma_f64 v[214:215], -v[204:205], v[206:207], 1.0
	v_fmac_f64_e32 v[206:207], v[206:207], v[214:215]
	v_fma_f64 v[214:215], -v[204:205], v[206:207], 1.0
	v_fmac_f64_e32 v[206:207], v[206:207], v[214:215]
	v_mul_f64 v[214:215], v[208:209], v[206:207]
	v_fma_f64 v[204:205], -v[204:205], v[214:215], v[208:209]
	v_div_fmas_f64 v[204:205], v[204:205], v[206:207], v[214:215]
	v_div_fixup_f64 v[202:203], v[204:205], v[202:203], 1.0
	ds_write_b64 v210, v[202:203]
.LBB69_154:
	s_or_b64 exec, exec, s[2:3]
	s_waitcnt lgkmcnt(0)
	s_barrier
	ds_read_b64 v[202:203], v210
	v_cmp_lt_u32_e32 vcc, 30, v212
	s_and_saveexec_b64 s[2:3], vcc
	s_cbranch_execz .LBB69_156
; %bb.155:
	ds_read2_b64 v[204:207], v211 offset0:31 offset1:32
	ds_read2_b64 v[214:217], v211 offset0:33 offset1:34
	s_waitcnt vmcnt(4) lgkmcnt(2)
	v_mul_f64 v[110:111], v[202:203], v[110:111]
	s_waitcnt vmcnt(3) lgkmcnt(1)
	v_fma_f64 v[76:77], -v[110:111], v[204:205], v[76:77]
	s_waitcnt vmcnt(2)
	v_fma_f64 v[108:109], -v[110:111], v[206:207], v[108:109]
	s_waitcnt vmcnt(1) lgkmcnt(0)
	v_fma_f64 v[74:75], -v[110:111], v[214:215], v[74:75]
	s_waitcnt vmcnt(0)
	v_fma_f64 v[140:141], -v[110:111], v[216:217], v[140:141]
.LBB69_156:
	s_or_b64 exec, exec, s[2:3]
	v_cmp_eq_u32_e32 vcc, 31, v212
	s_waitcnt lgkmcnt(0)
	s_barrier
	s_and_saveexec_b64 s[2:3], vcc
	s_cbranch_execz .LBB69_159
; %bb.157:
	s_waitcnt vmcnt(2)
	v_mov_b32_e32 v204, v108
	v_mov_b32_e32 v205, v109
	s_waitcnt vmcnt(1)
	v_mov_b32_e32 v206, v74
	v_mov_b32_e32 v207, v75
	ds_write_b64 v210, v[76:77]
	ds_write2_b64 v211, v[204:205], v[206:207] offset0:32 offset1:33
	s_waitcnt vmcnt(0)
	ds_write_b64 v211, v[140:141] offset:272
	ds_read_b64 v[204:205], v210
	s_waitcnt lgkmcnt(0)
	v_cmp_neq_f64_e32 vcc, 0, v[204:205]
	s_and_b64 exec, exec, vcc
	s_cbranch_execz .LBB69_159
; %bb.158:
	v_div_scale_f64 v[206:207], s[6:7], v[204:205], v[204:205], 1.0
	v_rcp_f64_e32 v[208:209], v[206:207]
	v_div_scale_f64 v[214:215], vcc, 1.0, v[204:205], 1.0
	v_fma_f64 v[216:217], -v[206:207], v[208:209], 1.0
	v_fmac_f64_e32 v[208:209], v[208:209], v[216:217]
	v_fma_f64 v[216:217], -v[206:207], v[208:209], 1.0
	v_fmac_f64_e32 v[208:209], v[208:209], v[216:217]
	v_mul_f64 v[216:217], v[214:215], v[208:209]
	v_fma_f64 v[206:207], -v[206:207], v[216:217], v[214:215]
	v_div_fmas_f64 v[206:207], v[206:207], v[208:209], v[216:217]
	v_div_fixup_f64 v[204:205], v[206:207], v[204:205], 1.0
	ds_write_b64 v210, v[204:205]
.LBB69_159:
	s_or_b64 exec, exec, s[2:3]
	s_waitcnt lgkmcnt(0)
	s_barrier
	ds_read_b64 v[204:205], v210
	v_cmp_lt_u32_e32 vcc, 31, v212
	s_and_saveexec_b64 s[2:3], vcc
	s_cbranch_execz .LBB69_161
; %bb.160:
	ds_read2_b64 v[206:209], v211 offset0:32 offset1:33
	ds_read_b64 v[214:215], v211 offset:272
	s_waitcnt vmcnt(3) lgkmcnt(2)
	v_mul_f64 v[76:77], v[204:205], v[76:77]
	s_waitcnt vmcnt(2) lgkmcnt(1)
	v_fma_f64 v[108:109], -v[76:77], v[206:207], v[108:109]
	s_waitcnt vmcnt(1)
	v_fma_f64 v[74:75], -v[76:77], v[208:209], v[74:75]
	s_waitcnt vmcnt(0) lgkmcnt(0)
	v_fma_f64 v[140:141], -v[76:77], v[214:215], v[140:141]
.LBB69_161:
	s_or_b64 exec, exec, s[2:3]
	v_cmp_eq_u32_e32 vcc, 32, v212
	s_waitcnt lgkmcnt(0)
	s_barrier
	s_and_saveexec_b64 s[2:3], vcc
	s_cbranch_execz .LBB69_164
; %bb.162:
	s_waitcnt vmcnt(2)
	ds_write_b64 v210, v[108:109]
	s_waitcnt vmcnt(0)
	ds_write2_b64 v211, v[74:75], v[140:141] offset0:33 offset1:34
	ds_read_b64 v[206:207], v210
	s_waitcnt lgkmcnt(0)
	v_cmp_neq_f64_e32 vcc, 0, v[206:207]
	s_and_b64 exec, exec, vcc
	s_cbranch_execz .LBB69_164
; %bb.163:
	v_div_scale_f64 v[208:209], s[6:7], v[206:207], v[206:207], 1.0
	v_rcp_f64_e32 v[214:215], v[208:209]
	v_div_scale_f64 v[216:217], vcc, 1.0, v[206:207], 1.0
	v_fma_f64 v[218:219], -v[208:209], v[214:215], 1.0
	v_fmac_f64_e32 v[214:215], v[214:215], v[218:219]
	v_fma_f64 v[218:219], -v[208:209], v[214:215], 1.0
	v_fmac_f64_e32 v[214:215], v[214:215], v[218:219]
	v_mul_f64 v[218:219], v[216:217], v[214:215]
	v_fma_f64 v[208:209], -v[208:209], v[218:219], v[216:217]
	v_div_fmas_f64 v[208:209], v[208:209], v[214:215], v[218:219]
	v_div_fixup_f64 v[206:207], v[208:209], v[206:207], 1.0
	ds_write_b64 v210, v[206:207]
.LBB69_164:
	s_or_b64 exec, exec, s[2:3]
	s_waitcnt lgkmcnt(0)
	s_barrier
	ds_read_b64 v[206:207], v210
	v_cmp_lt_u32_e32 vcc, 32, v212
	s_and_saveexec_b64 s[2:3], vcc
	s_cbranch_execz .LBB69_166
; %bb.165:
	ds_read2_b64 v[214:217], v211 offset0:33 offset1:34
	s_waitcnt vmcnt(2) lgkmcnt(1)
	v_mul_f64 v[108:109], v[206:207], v[108:109]
	s_waitcnt vmcnt(1) lgkmcnt(0)
	v_fma_f64 v[74:75], -v[108:109], v[214:215], v[74:75]
	s_waitcnt vmcnt(0)
	v_fma_f64 v[140:141], -v[108:109], v[216:217], v[140:141]
.LBB69_166:
	s_or_b64 exec, exec, s[2:3]
	v_cmp_eq_u32_e32 vcc, 33, v212
	s_waitcnt lgkmcnt(0)
	s_barrier
	s_and_saveexec_b64 s[2:3], vcc
	s_cbranch_execz .LBB69_169
; %bb.167:
	s_waitcnt vmcnt(1)
	ds_write_b64 v210, v[74:75]
	s_waitcnt vmcnt(0)
	ds_write_b64 v211, v[140:141] offset:272
	ds_read_b64 v[208:209], v210
	s_waitcnt lgkmcnt(0)
	v_cmp_neq_f64_e32 vcc, 0, v[208:209]
	s_and_b64 exec, exec, vcc
	s_cbranch_execz .LBB69_169
; %bb.168:
	v_div_scale_f64 v[214:215], s[6:7], v[208:209], v[208:209], 1.0
	v_rcp_f64_e32 v[216:217], v[214:215]
	v_div_scale_f64 v[218:219], vcc, 1.0, v[208:209], 1.0
	v_fma_f64 v[220:221], -v[214:215], v[216:217], 1.0
	v_fmac_f64_e32 v[216:217], v[216:217], v[220:221]
	v_fma_f64 v[220:221], -v[214:215], v[216:217], 1.0
	v_fmac_f64_e32 v[216:217], v[216:217], v[220:221]
	v_mul_f64 v[220:221], v[218:219], v[216:217]
	v_fma_f64 v[214:215], -v[214:215], v[220:221], v[218:219]
	v_div_fmas_f64 v[214:215], v[214:215], v[216:217], v[220:221]
	v_div_fixup_f64 v[208:209], v[214:215], v[208:209], 1.0
	ds_write_b64 v210, v[208:209]
.LBB69_169:
	s_or_b64 exec, exec, s[2:3]
	s_waitcnt lgkmcnt(0)
	s_barrier
	ds_read_b64 v[208:209], v210
	v_cmp_lt_u32_e32 vcc, 33, v212
	s_and_saveexec_b64 s[2:3], vcc
	s_cbranch_execz .LBB69_171
; %bb.170:
	ds_read_b64 v[214:215], v211 offset:272
	s_waitcnt vmcnt(1) lgkmcnt(1)
	v_mul_f64 v[74:75], v[208:209], v[74:75]
	s_waitcnt vmcnt(0) lgkmcnt(0)
	v_fma_f64 v[140:141], -v[74:75], v[214:215], v[140:141]
.LBB69_171:
	s_or_b64 exec, exec, s[2:3]
	v_cmp_eq_u32_e32 vcc, 34, v212
	s_waitcnt lgkmcnt(0)
	s_barrier
	s_and_saveexec_b64 s[2:3], vcc
	s_cbranch_execz .LBB69_174
; %bb.172:
	s_waitcnt vmcnt(0)
	v_cmp_neq_f64_e32 vcc, 0, v[140:141]
	ds_write_b64 v210, v[140:141]
	s_and_b64 exec, exec, vcc
	s_cbranch_execz .LBB69_174
; %bb.173:
	v_div_scale_f64 v[214:215], s[6:7], v[140:141], v[140:141], 1.0
	v_rcp_f64_e32 v[216:217], v[214:215]
	v_div_scale_f64 v[218:219], vcc, 1.0, v[140:141], 1.0
	v_fma_f64 v[220:221], -v[214:215], v[216:217], 1.0
	v_fmac_f64_e32 v[216:217], v[216:217], v[220:221]
	v_fma_f64 v[220:221], -v[214:215], v[216:217], 1.0
	v_fmac_f64_e32 v[216:217], v[216:217], v[220:221]
	v_mul_f64 v[220:221], v[218:219], v[216:217]
	v_fma_f64 v[214:215], -v[214:215], v[220:221], v[218:219]
	v_div_fmas_f64 v[214:215], v[214:215], v[216:217], v[220:221]
	v_div_fixup_f64 v[214:215], v[214:215], v[140:141], 1.0
	ds_write_b64 v210, v[214:215]
.LBB69_174:
	s_or_b64 exec, exec, s[2:3]
	s_waitcnt lgkmcnt(0)
	s_barrier
	ds_read_b64 v[210:211], v210
	s_waitcnt lgkmcnt(0)
	s_barrier
	s_and_saveexec_b64 s[2:3], s[0:1]
	s_cbranch_execz .LBB69_177
; %bb.175:
	v_cmp_eq_f64_e32 vcc, 0, v[142:143]
	v_cmp_neq_f64_e64 s[0:1], 0, v[144:145]
	v_cndmask_b32_e64 v142, 0, 1, vcc
	s_or_b64 vcc, s[0:1], vcc
	v_cndmask_b32_e32 v142, 2, v142, vcc
	v_cmp_eq_f64_e32 vcc, 0, v[146:147]
	v_cmp_eq_u32_e64 s[0:1], 0, v142
	s_and_b64 s[0:1], vcc, s[0:1]
	v_cndmask_b32_e64 v142, v142, 3, s[0:1]
	v_cmp_eq_f64_e32 vcc, 0, v[148:149]
	v_cmp_eq_u32_e64 s[0:1], 0, v142
	s_and_b64 s[0:1], vcc, s[0:1]
	v_cndmask_b32_e64 v142, v142, 4, s[0:1]
	;; [unrolled: 4-line block ×11, first 2 shown]
	v_cmp_eq_f64_e32 vcc, 0, v[168:169]
	v_cmp_eq_u32_e64 s[0:1], 0, v142
	s_load_dwordx2 s[4:5], s[4:5], 0x28
	s_and_b64 s[0:1], vcc, s[0:1]
	v_cndmask_b32_e64 v142, v142, 14, s[0:1]
	v_cmp_eq_f64_e32 vcc, 0, v[170:171]
	v_cmp_eq_u32_e64 s[0:1], 0, v142
	s_and_b64 s[0:1], vcc, s[0:1]
	v_lshlrev_b64 v[2:3], 2, v[2:3]
	v_cndmask_b32_e64 v142, v142, 15, s[0:1]
	s_waitcnt lgkmcnt(0)
	v_mov_b32_e32 v143, s5
	v_add_co_u32_e64 v2, s[0:1], s4, v2
	v_addc_co_u32_e64 v3, s[0:1], v143, v3, s[0:1]
	global_load_dword v143, v[2:3], off
	v_cmp_eq_f64_e32 vcc, 0, v[172:173]
	v_cmp_eq_u32_e64 s[0:1], 0, v142
	s_and_b64 s[0:1], vcc, s[0:1]
	v_cndmask_b32_e64 v142, v142, 16, s[0:1]
	v_cmp_eq_f64_e32 vcc, 0, v[174:175]
	v_cmp_eq_u32_e64 s[0:1], 0, v142
	s_and_b64 s[0:1], vcc, s[0:1]
	v_cndmask_b32_e64 v142, v142, 17, s[0:1]
	;; [unrolled: 4-line block ×20, first 2 shown]
	s_waitcnt vmcnt(0)
	v_cmp_eq_u32_e32 vcc, 0, v143
	v_cmp_ne_u32_e64 s[0:1], 0, v142
	s_and_b64 s[0:1], vcc, s[0:1]
	s_and_b64 exec, exec, s[0:1]
	s_cbranch_execz .LBB69_177
; %bb.176:
	v_add_u32_e32 v142, s9, v142
	global_store_dword v[2:3], v142, off
.LBB69_177:
	s_or_b64 exec, exec, s[2:3]
	s_waitcnt vmcnt(0)
	v_mul_f64 v[2:3], v[210:211], v[140:141]
	v_cmp_lt_u32_e32 vcc, 34, v212
	v_cndmask_b32_e32 v3, v141, v3, vcc
	v_cndmask_b32_e32 v2, v140, v2, vcc
	global_store_dwordx2 v[68:69], v[72:73], off
	global_store_dwordx2 v[70:71], v[106:107], off
	;; [unrolled: 1-line block ×35, first 2 shown]
.LBB69_178:
	s_endpgm
	.section	.rodata,"a",@progbits
	.p2align	6, 0x0
	.amdhsa_kernel _ZN9rocsolver6v33100L23getf2_npvt_small_kernelILi35EdiiPKPdEEvT1_T3_lS5_lPT2_S5_S5_
		.amdhsa_group_segment_fixed_size 0
		.amdhsa_private_segment_fixed_size 0
		.amdhsa_kernarg_size 312
		.amdhsa_user_sgpr_count 6
		.amdhsa_user_sgpr_private_segment_buffer 1
		.amdhsa_user_sgpr_dispatch_ptr 0
		.amdhsa_user_sgpr_queue_ptr 0
		.amdhsa_user_sgpr_kernarg_segment_ptr 1
		.amdhsa_user_sgpr_dispatch_id 0
		.amdhsa_user_sgpr_flat_scratch_init 0
		.amdhsa_user_sgpr_kernarg_preload_length 0
		.amdhsa_user_sgpr_kernarg_preload_offset 0
		.amdhsa_user_sgpr_private_segment_size 0
		.amdhsa_uses_dynamic_stack 0
		.amdhsa_system_sgpr_private_segment_wavefront_offset 0
		.amdhsa_system_sgpr_workgroup_id_x 1
		.amdhsa_system_sgpr_workgroup_id_y 1
		.amdhsa_system_sgpr_workgroup_id_z 0
		.amdhsa_system_sgpr_workgroup_info 0
		.amdhsa_system_vgpr_workitem_id 1
		.amdhsa_next_free_vgpr 222
		.amdhsa_next_free_sgpr 16
		.amdhsa_accum_offset 224
		.amdhsa_reserve_vcc 1
		.amdhsa_reserve_flat_scratch 0
		.amdhsa_float_round_mode_32 0
		.amdhsa_float_round_mode_16_64 0
		.amdhsa_float_denorm_mode_32 3
		.amdhsa_float_denorm_mode_16_64 3
		.amdhsa_dx10_clamp 1
		.amdhsa_ieee_mode 1
		.amdhsa_fp16_overflow 0
		.amdhsa_tg_split 0
		.amdhsa_exception_fp_ieee_invalid_op 0
		.amdhsa_exception_fp_denorm_src 0
		.amdhsa_exception_fp_ieee_div_zero 0
		.amdhsa_exception_fp_ieee_overflow 0
		.amdhsa_exception_fp_ieee_underflow 0
		.amdhsa_exception_fp_ieee_inexact 0
		.amdhsa_exception_int_div_zero 0
	.end_amdhsa_kernel
	.section	.text._ZN9rocsolver6v33100L23getf2_npvt_small_kernelILi35EdiiPKPdEEvT1_T3_lS5_lPT2_S5_S5_,"axG",@progbits,_ZN9rocsolver6v33100L23getf2_npvt_small_kernelILi35EdiiPKPdEEvT1_T3_lS5_lPT2_S5_S5_,comdat
.Lfunc_end69:
	.size	_ZN9rocsolver6v33100L23getf2_npvt_small_kernelILi35EdiiPKPdEEvT1_T3_lS5_lPT2_S5_S5_, .Lfunc_end69-_ZN9rocsolver6v33100L23getf2_npvt_small_kernelILi35EdiiPKPdEEvT1_T3_lS5_lPT2_S5_S5_
                                        ; -- End function
	.section	.AMDGPU.csdata,"",@progbits
; Kernel info:
; codeLenInByte = 24952
; NumSgprs: 20
; NumVgprs: 222
; NumAgprs: 0
; TotalNumVgprs: 222
; ScratchSize: 0
; MemoryBound: 0
; FloatMode: 240
; IeeeMode: 1
; LDSByteSize: 0 bytes/workgroup (compile time only)
; SGPRBlocks: 2
; VGPRBlocks: 27
; NumSGPRsForWavesPerEU: 20
; NumVGPRsForWavesPerEU: 222
; AccumOffset: 224
; Occupancy: 2
; WaveLimiterHint : 1
; COMPUTE_PGM_RSRC2:SCRATCH_EN: 0
; COMPUTE_PGM_RSRC2:USER_SGPR: 6
; COMPUTE_PGM_RSRC2:TRAP_HANDLER: 0
; COMPUTE_PGM_RSRC2:TGID_X_EN: 1
; COMPUTE_PGM_RSRC2:TGID_Y_EN: 1
; COMPUTE_PGM_RSRC2:TGID_Z_EN: 0
; COMPUTE_PGM_RSRC2:TIDIG_COMP_CNT: 1
; COMPUTE_PGM_RSRC3_GFX90A:ACCUM_OFFSET: 55
; COMPUTE_PGM_RSRC3_GFX90A:TG_SPLIT: 0
	.section	.text._ZN9rocsolver6v33100L18getf2_small_kernelILi36EdiiPKPdEEvT1_T3_lS5_lPS5_llPT2_S5_S5_S7_l,"axG",@progbits,_ZN9rocsolver6v33100L18getf2_small_kernelILi36EdiiPKPdEEvT1_T3_lS5_lPS5_llPT2_S5_S5_S7_l,comdat
	.globl	_ZN9rocsolver6v33100L18getf2_small_kernelILi36EdiiPKPdEEvT1_T3_lS5_lPS5_llPT2_S5_S5_S7_l ; -- Begin function _ZN9rocsolver6v33100L18getf2_small_kernelILi36EdiiPKPdEEvT1_T3_lS5_lPS5_llPT2_S5_S5_S7_l
	.p2align	8
	.type	_ZN9rocsolver6v33100L18getf2_small_kernelILi36EdiiPKPdEEvT1_T3_lS5_lPS5_llPT2_S5_S5_S7_l,@function
_ZN9rocsolver6v33100L18getf2_small_kernelILi36EdiiPKPdEEvT1_T3_lS5_lPS5_llPT2_S5_S5_S7_l: ; @_ZN9rocsolver6v33100L18getf2_small_kernelILi36EdiiPKPdEEvT1_T3_lS5_lPS5_llPT2_S5_S5_S7_l
; %bb.0:
	s_load_dword s0, s[4:5], 0x6c
	s_load_dwordx2 s[12:13], s[4:5], 0x48
	v_bfe_u32 v76, v0, 10, 10
	s_waitcnt lgkmcnt(0)
	s_lshr_b32 s0, s0, 16
	s_mul_i32 s7, s7, s0
	v_add_u32_e32 v2, s7, v76
	v_cmp_gt_i32_e32 vcc, s12, v2
	s_and_saveexec_b64 s[0:1], vcc
	s_cbranch_execz .LBB70_609
; %bb.1:
	s_load_dwordx4 s[0:3], s[4:5], 0x8
	s_load_dwordx4 s[8:11], s[4:5], 0x50
	v_ashrrev_i32_e32 v3, 31, v2
	v_lshlrev_b64 v[4:5], 3, v[2:3]
	s_waitcnt lgkmcnt(0)
	v_mov_b32_e32 v1, s1
	v_add_co_u32_e32 v4, vcc, s0, v4
	v_addc_co_u32_e32 v5, vcc, v1, v5, vcc
	global_load_dwordx2 v[6:7], v[4:5], off
	s_cmp_eq_u64 s[8:9], 0
	s_cselect_b64 s[6:7], -1, 0
	s_and_b64 vcc, exec, s[6:7]
	v_pk_mov_b32 v[4:5], 0, 0
	s_cbranch_vccnz .LBB70_3
; %bb.2:
	v_mul_lo_u32 v1, v3, s10
	v_mul_lo_u32 v8, v2, s11
	v_mad_u64_u32 v[4:5], s[0:1], v2, s10, 0
	v_add3_u32 v5, v5, v8, v1
	v_lshlrev_b64 v[4:5], 2, v[4:5]
	v_mov_b32_e32 v1, s9
	v_add_co_u32_e32 v4, vcc, s8, v4
	v_addc_co_u32_e32 v5, vcc, v1, v5, vcc
.LBB70_3:
	s_load_dword s8, s[4:5], 0x18
	s_load_dword s18, s[4:5], 0x0
	s_lshl_b64 s[0:1], s[2:3], 3
	v_and_b32_e32 v84, 0x3ff, v0
	v_mov_b32_e32 v1, s1
	s_waitcnt lgkmcnt(0)
	s_add_i32 s12, s8, s8
	s_waitcnt vmcnt(0)
	v_add_co_u32_e32 v82, vcc, s0, v6
	v_add_u32_e32 v0, s12, v84
	v_addc_co_u32_e32 v83, vcc, v7, v1, vcc
	v_ashrrev_i32_e32 v1, 31, v0
	v_lshlrev_b64 v[6:7], 3, v[0:1]
	v_add_u32_e32 v0, s8, v0
	v_add_co_u32_e32 v6, vcc, v82, v6
	v_ashrrev_i32_e32 v1, 31, v0
	v_addc_co_u32_e32 v7, vcc, v83, v7, vcc
	v_lshlrev_b64 v[8:9], 3, v[0:1]
	v_add_u32_e32 v0, s8, v0
	v_add_co_u32_e32 v8, vcc, v82, v8
	v_ashrrev_i32_e32 v1, 31, v0
	v_addc_co_u32_e32 v9, vcc, v83, v9, vcc
	;; [unrolled: 5-line block ×33, first 2 shown]
	v_lshlrev_b64 v[0:1], 3, v[0:1]
	v_add_co_u32_e32 v120, vcc, v82, v0
	v_addc_co_u32_e32 v121, vcc, v83, v1, vcc
	v_lshlrev_b32_e32 v77, 3, v84
	v_add_co_u32_e32 v0, vcc, v82, v77
	s_ashr_i32 s9, s8, 31
	v_addc_co_u32_e32 v1, vcc, 0, v83, vcc
	s_lshl_b64 s[10:11], s[8:9], 3
	v_mov_b32_e32 v33, s11
	v_add_co_u32_e32 v32, vcc, s10, v0
	v_addc_co_u32_e32 v33, vcc, v1, v33, vcc
	global_load_dwordx2 v[70:71], v[0:1], off
	global_load_dwordx2 v[72:73], v[32:33], off
	global_load_dwordx2 v[68:69], v[6:7], off
	global_load_dwordx2 v[66:67], v[8:9], off
	global_load_dwordx2 v[64:65], v[10:11], off
	global_load_dwordx2 v[62:63], v[12:13], off
	global_load_dwordx2 v[60:61], v[14:15], off
	global_load_dwordx2 v[58:59], v[16:17], off
	global_load_dwordx2 v[56:57], v[18:19], off
	global_load_dwordx2 v[54:55], v[20:21], off
	global_load_dwordx2 v[52:53], v[22:23], off
	global_load_dwordx2 v[50:51], v[24:25], off
	global_load_dwordx2 v[48:49], v[26:27], off
	global_load_dwordx2 v[46:47], v[28:29], off
	global_load_dwordx2 v[42:43], v[30:31], off
                                        ; kill: killed $vgpr16 killed $vgpr17
                                        ; kill: killed $vgpr20 killed $vgpr21
                                        ; kill: killed $vgpr24 killed $vgpr25
                                        ; kill: killed $vgpr28 killed $vgpr29
                                        ; kill: killed $vgpr0 killed $vgpr1
                                        ; kill: killed $vgpr6 killed $vgpr7
                                        ; kill: killed $vgpr32 killed $vgpr33
                                        ; kill: killed $vgpr10 killed $vgpr11
                                        ; kill: killed $vgpr14 killed $vgpr15
                                        ; kill: killed $vgpr18 killed $vgpr19
                                        ; kill: killed $vgpr22 killed $vgpr23
                                        ; kill: killed $vgpr26 killed $vgpr27
                                        ; kill: killed $vgpr30 killed $vgpr31
                                        ; kill: killed $vgpr8 killed $vgpr9
                                        ; kill: killed $vgpr12 killed $vgpr13
	global_load_dwordx2 v[44:45], v[74:75], off
	global_load_dwordx2 v[40:41], v[78:79], off
	;; [unrolled: 1-line block ×15, first 2 shown]
                                        ; kill: killed $vgpr98 killed $vgpr99
                                        ; kill: killed $vgpr102 killed $vgpr103
                                        ; kill: killed $vgpr106 killed $vgpr107
                                        ; kill: killed $vgpr74 killed $vgpr75
                                        ; kill: killed $vgpr80 killed $vgpr81
                                        ; kill: killed $vgpr88 killed $vgpr89
                                        ; kill: killed $vgpr92 killed $vgpr93
                                        ; kill: killed $vgpr96 killed $vgpr97
                                        ; kill: killed $vgpr100 killed $vgpr101
                                        ; kill: killed $vgpr104 killed $vgpr105
                                        ; kill: killed $vgpr108 killed $vgpr109
                                        ; kill: killed $vgpr78 killed $vgpr79
                                        ; kill: killed $vgpr86 killed $vgpr87
                                        ; kill: killed $vgpr90 killed $vgpr91
                                        ; kill: killed $vgpr94 killed $vgpr95
	global_load_dwordx2 v[14:15], v[110:111], off
	global_load_dwordx2 v[10:11], v[112:113], off
	;; [unrolled: 1-line block ×6, first 2 shown]
	s_max_i32 s0, s18, 36
	v_mul_lo_u32 v78, s0, v76
	v_lshl_add_u32 v80, v78, 3, 0
	v_add_u32_e32 v76, v80, v77
	s_cmp_lt_i32 s18, 2
	v_lshlrev_b32_e32 v85, 3, v78
	v_mov_b32_e32 v78, 0
	s_waitcnt vmcnt(35)
	ds_write_b64 v76, v[70:71]
	s_waitcnt lgkmcnt(0)
	s_barrier
	ds_read_b64 v[76:77], v80
	s_cbranch_scc1 .LBB70_6
; %bb.4:
	v_add3_u32 v79, v85, 0, 8
	s_mov_b32 s0, 1
	v_mov_b32_e32 v78, 0
.LBB70_5:                               ; =>This Inner Loop Header: Depth=1
	ds_read_b64 v[86:87], v79
	v_mov_b32_e32 v81, s0
	s_add_i32 s0, s0, 1
	v_add_u32_e32 v79, 8, v79
	s_cmp_eq_u32 s18, s0
	s_waitcnt lgkmcnt(0)
	v_cmp_lt_f64_e64 vcc, |v[76:77]|, |v[86:87]|
	v_cndmask_b32_e32 v77, v77, v87, vcc
	v_cndmask_b32_e32 v76, v76, v86, vcc
	;; [unrolled: 1-line block ×3, first 2 shown]
	s_cbranch_scc0 .LBB70_5
.LBB70_6:
	v_cmp_ne_u32_e32 vcc, v84, v78
                                        ; implicit-def: $vgpr81
	s_and_saveexec_b64 s[0:1], vcc
	s_xor_b64 s[0:1], exec, s[0:1]
	s_cbranch_execz .LBB70_12
; %bb.7:
	v_cmp_eq_u32_e32 vcc, 0, v84
	s_and_saveexec_b64 s[2:3], vcc
	s_cbranch_execz .LBB70_11
; %bb.8:
	v_cmp_ne_u32_e32 vcc, 0, v78
	s_xor_b64 s[14:15], s[6:7], -1
	s_and_b64 s[16:17], s[14:15], vcc
	s_and_saveexec_b64 s[14:15], s[16:17]
	s_cbranch_execz .LBB70_10
; %bb.9:
	v_ashrrev_i32_e32 v79, 31, v78
	v_lshlrev_b64 v[86:87], 2, v[78:79]
	v_add_co_u32_e32 v86, vcc, v4, v86
	v_addc_co_u32_e32 v87, vcc, v5, v87, vcc
	flat_load_dword v79, v[86:87]
	flat_load_dword v81, v[4:5]
	s_waitcnt vmcnt(0) lgkmcnt(0)
	flat_store_dword v[4:5], v79
	flat_store_dword v[86:87], v81
.LBB70_10:
	s_or_b64 exec, exec, s[14:15]
	v_mov_b32_e32 v84, v78
.LBB70_11:
	s_or_b64 exec, exec, s[2:3]
	v_mov_b32_e32 v81, v84
                                        ; implicit-def: $vgpr84
.LBB70_12:
	s_or_saveexec_b64 s[0:1], s[0:1]
	v_mov_b32_e32 v79, v81
	s_xor_b64 exec, exec, s[0:1]
	s_cbranch_execz .LBB70_14
; %bb.13:
	v_mov_b32_e32 v81, 0
	v_mov_b32_e32 v79, v84
	s_waitcnt vmcnt(0)
	ds_write2_b64 v80, v[72:73], v[68:69] offset0:1 offset1:2
	ds_write2_b64 v80, v[66:67], v[64:65] offset0:3 offset1:4
	;; [unrolled: 1-line block ×17, first 2 shown]
	ds_write_b64 v80, v[74:75] offset:280
.LBB70_14:
	s_or_b64 exec, exec, s[0:1]
	s_waitcnt lgkmcnt(0)
	v_cmp_eq_f64_e64 s[0:1], 0, v[76:77]
	v_cmp_lt_i32_e32 vcc, 0, v81
	s_barrier
	s_and_saveexec_b64 s[2:3], vcc
	s_cbranch_execz .LBB70_16
; %bb.15:
	v_div_scale_f64 v[86:87], s[14:15], v[76:77], v[76:77], 1.0
	v_rcp_f64_e32 v[88:89], v[86:87]
	v_div_scale_f64 v[90:91], vcc, 1.0, v[76:77], 1.0
	ds_read2_b64 v[94:97], v80 offset0:5 offset1:6
	v_fma_f64 v[92:93], -v[86:87], v[88:89], 1.0
	v_fmac_f64_e32 v[88:89], v[88:89], v[92:93]
	v_fma_f64 v[92:93], -v[86:87], v[88:89], 1.0
	v_fmac_f64_e32 v[88:89], v[88:89], v[92:93]
	v_mul_f64 v[92:93], v[90:91], v[88:89]
	v_fma_f64 v[86:87], -v[86:87], v[92:93], v[90:91]
	v_div_fmas_f64 v[86:87], v[86:87], v[88:89], v[92:93]
	v_div_fixup_f64 v[90:91], v[86:87], v[76:77], 1.0
	ds_read2_b64 v[86:89], v80 offset0:1 offset1:2
	v_cndmask_b32_e64 v77, v91, v77, s[0:1]
	v_cndmask_b32_e64 v76, v90, v76, s[0:1]
	ds_read2_b64 v[90:93], v80 offset0:3 offset1:4
	v_mul_f64 v[70:71], v[76:77], v[70:71]
	s_waitcnt vmcnt(0) lgkmcnt(0)
	v_fma_f64 v[72:73], -v[70:71], v[86:87], v[72:73]
	v_fma_f64 v[68:69], -v[70:71], v[88:89], v[68:69]
	ds_read2_b64 v[86:89], v80 offset0:7 offset1:8
	v_fma_f64 v[66:67], -v[70:71], v[90:91], v[66:67]
	v_fma_f64 v[64:65], -v[70:71], v[92:93], v[64:65]
	ds_read2_b64 v[90:93], v80 offset0:9 offset1:10
	;; [unrolled: 3-line block ×3, first 2 shown]
	s_waitcnt lgkmcnt(2)
	v_fma_f64 v[58:59], -v[70:71], v[86:87], v[58:59]
	v_fma_f64 v[56:57], -v[70:71], v[88:89], v[56:57]
	s_waitcnt lgkmcnt(1)
	v_fma_f64 v[54:55], -v[70:71], v[90:91], v[54:55]
	ds_read2_b64 v[86:89], v80 offset0:13 offset1:14
	v_fma_f64 v[52:53], -v[70:71], v[92:93], v[52:53]
	ds_read2_b64 v[90:93], v80 offset0:15 offset1:16
	s_waitcnt lgkmcnt(2)
	v_fma_f64 v[50:51], -v[70:71], v[94:95], v[50:51]
	v_fma_f64 v[48:49], -v[70:71], v[96:97], v[48:49]
	s_waitcnt lgkmcnt(1)
	v_fma_f64 v[46:47], -v[70:71], v[86:87], v[46:47]
	ds_read2_b64 v[94:97], v80 offset0:17 offset1:18
	v_fma_f64 v[42:43], -v[70:71], v[88:89], v[42:43]
	ds_read2_b64 v[86:89], v80 offset0:19 offset1:20
	s_waitcnt lgkmcnt(2)
	v_fma_f64 v[44:45], -v[70:71], v[90:91], v[44:45]
	v_fma_f64 v[40:41], -v[70:71], v[92:93], v[40:41]
	ds_read2_b64 v[90:93], v80 offset0:21 offset1:22
	s_waitcnt lgkmcnt(2)
	v_fma_f64 v[38:39], -v[70:71], v[94:95], v[38:39]
	;; [unrolled: 4-line block ×3, first 2 shown]
	v_fma_f64 v[32:33], -v[70:71], v[88:89], v[32:33]
	s_waitcnt lgkmcnt(1)
	v_fma_f64 v[30:31], -v[70:71], v[90:91], v[30:31]
	ds_read2_b64 v[86:89], v80 offset0:25 offset1:26
	v_fma_f64 v[28:29], -v[70:71], v[92:93], v[28:29]
	ds_read2_b64 v[90:93], v80 offset0:27 offset1:28
	s_waitcnt lgkmcnt(2)
	v_fma_f64 v[26:27], -v[70:71], v[94:95], v[26:27]
	v_fma_f64 v[24:25], -v[70:71], v[96:97], v[24:25]
	s_waitcnt lgkmcnt(1)
	v_fma_f64 v[22:23], -v[70:71], v[86:87], v[22:23]
	ds_read2_b64 v[94:97], v80 offset0:29 offset1:30
	v_fma_f64 v[20:21], -v[70:71], v[88:89], v[20:21]
	ds_read2_b64 v[86:89], v80 offset0:31 offset1:32
	s_waitcnt lgkmcnt(2)
	v_fma_f64 v[18:19], -v[70:71], v[90:91], v[18:19]
	v_fma_f64 v[16:17], -v[70:71], v[92:93], v[16:17]
	ds_read2_b64 v[90:93], v80 offset0:33 offset1:34
	ds_read_b64 v[76:77], v80 offset:280
	s_waitcnt lgkmcnt(3)
	v_fma_f64 v[12:13], -v[70:71], v[94:95], v[12:13]
	v_fma_f64 v[14:15], -v[70:71], v[96:97], v[14:15]
	s_waitcnt lgkmcnt(2)
	v_fma_f64 v[10:11], -v[70:71], v[86:87], v[10:11]
	v_fma_f64 v[8:9], -v[70:71], v[88:89], v[8:9]
	;; [unrolled: 3-line block ×3, first 2 shown]
	s_waitcnt lgkmcnt(0)
	v_fma_f64 v[74:75], -v[70:71], v[76:77], v[74:75]
.LBB70_16:
	s_or_b64 exec, exec, s[2:3]
	v_lshl_add_u32 v76, v81, 3, v80
	s_barrier
	s_waitcnt vmcnt(0)
	ds_write_b64 v76, v[72:73]
	s_waitcnt lgkmcnt(0)
	s_barrier
	ds_read_b64 v[76:77], v80 offset:8
	s_cmp_lt_i32 s18, 3
	v_mov_b32_e32 v78, 1
	s_cbranch_scc1 .LBB70_19
; %bb.17:
	v_add3_u32 v84, v85, 0, 16
	s_mov_b32 s2, 2
	v_mov_b32_e32 v78, 1
.LBB70_18:                              ; =>This Inner Loop Header: Depth=1
	ds_read_b64 v[86:87], v84
	v_mov_b32_e32 v88, s2
	s_add_i32 s2, s2, 1
	v_add_u32_e32 v84, 8, v84
	s_cmp_lg_u32 s18, s2
	s_waitcnt lgkmcnt(0)
	v_cmp_lt_f64_e64 vcc, |v[76:77]|, |v[86:87]|
	v_cndmask_b32_e32 v77, v77, v87, vcc
	v_cndmask_b32_e32 v76, v76, v86, vcc
	;; [unrolled: 1-line block ×3, first 2 shown]
	s_cbranch_scc1 .LBB70_18
.LBB70_19:
	v_cmp_ne_u32_e32 vcc, v81, v78
	s_and_saveexec_b64 s[2:3], vcc
	s_xor_b64 s[2:3], exec, s[2:3]
	s_cbranch_execz .LBB70_25
; %bb.20:
	v_cmp_eq_u32_e32 vcc, 1, v81
	s_and_saveexec_b64 s[14:15], vcc
	s_cbranch_execz .LBB70_24
; %bb.21:
	v_cmp_ne_u32_e32 vcc, 1, v78
	s_xor_b64 s[16:17], s[6:7], -1
	s_and_b64 s[20:21], s[16:17], vcc
	s_and_saveexec_b64 s[16:17], s[20:21]
	s_cbranch_execz .LBB70_23
; %bb.22:
	v_ashrrev_i32_e32 v79, 31, v78
	v_lshlrev_b64 v[86:87], 2, v[78:79]
	v_add_co_u32_e32 v86, vcc, v4, v86
	v_addc_co_u32_e32 v87, vcc, v5, v87, vcc
	flat_load_dword v79, v[86:87]
	flat_load_dword v81, v[4:5] offset:4
	s_waitcnt vmcnt(0) lgkmcnt(0)
	flat_store_dword v[4:5], v79 offset:4
	flat_store_dword v[86:87], v81
.LBB70_23:
	s_or_b64 exec, exec, s[16:17]
	v_mov_b32_e32 v79, v78
	v_mov_b32_e32 v81, v78
.LBB70_24:
	s_or_b64 exec, exec, s[14:15]
.LBB70_25:
	s_andn2_saveexec_b64 s[2:3], s[2:3]
	s_cbranch_execz .LBB70_27
; %bb.26:
	v_mov_b32_e32 v86, v68
	v_mov_b32_e32 v87, v69
	v_mov_b32_e32 v88, v66
	v_mov_b32_e32 v89, v67
	ds_write2_b64 v80, v[86:87], v[88:89] offset0:2 offset1:3
	v_mov_b32_e32 v86, v64
	v_mov_b32_e32 v87, v65
	v_mov_b32_e32 v88, v62
	v_mov_b32_e32 v89, v63
	ds_write2_b64 v80, v[86:87], v[88:89] offset0:4 offset1:5
	;; [unrolled: 5-line block ×16, first 2 shown]
	v_mov_b32_e32 v86, v0
	v_mov_b32_e32 v87, v1
	;; [unrolled: 1-line block ×3, first 2 shown]
	ds_write2_b64 v80, v[86:87], v[74:75] offset0:34 offset1:35
.LBB70_27:
	s_or_b64 exec, exec, s[2:3]
	s_waitcnt lgkmcnt(0)
	v_cmp_neq_f64_e64 s[2:3], 0, v[76:77]
	v_cmp_lt_i32_e32 vcc, 1, v81
	s_barrier
	s_and_saveexec_b64 s[14:15], vcc
	s_cbranch_execz .LBB70_29
; %bb.28:
	v_div_scale_f64 v[86:87], s[16:17], v[76:77], v[76:77], 1.0
	v_rcp_f64_e32 v[88:89], v[86:87]
	v_div_scale_f64 v[90:91], vcc, 1.0, v[76:77], 1.0
	ds_read2_b64 v[94:97], v80 offset0:6 offset1:7
	v_fma_f64 v[92:93], -v[86:87], v[88:89], 1.0
	v_fmac_f64_e32 v[88:89], v[88:89], v[92:93]
	v_fma_f64 v[92:93], -v[86:87], v[88:89], 1.0
	v_fmac_f64_e32 v[88:89], v[88:89], v[92:93]
	v_mul_f64 v[92:93], v[90:91], v[88:89]
	v_fma_f64 v[86:87], -v[86:87], v[92:93], v[90:91]
	v_div_fmas_f64 v[86:87], v[86:87], v[88:89], v[92:93]
	v_div_fixup_f64 v[90:91], v[86:87], v[76:77], 1.0
	ds_read2_b64 v[86:89], v80 offset0:2 offset1:3
	v_cndmask_b32_e64 v77, v77, v91, s[2:3]
	v_cndmask_b32_e64 v76, v76, v90, s[2:3]
	ds_read2_b64 v[90:93], v80 offset0:4 offset1:5
	v_mul_f64 v[72:73], v[76:77], v[72:73]
	s_waitcnt lgkmcnt(0)
	v_fma_f64 v[68:69], -v[72:73], v[86:87], v[68:69]
	v_fma_f64 v[66:67], -v[72:73], v[88:89], v[66:67]
	ds_read2_b64 v[86:89], v80 offset0:8 offset1:9
	v_fma_f64 v[64:65], -v[72:73], v[90:91], v[64:65]
	v_fma_f64 v[62:63], -v[72:73], v[92:93], v[62:63]
	ds_read2_b64 v[90:93], v80 offset0:10 offset1:11
	v_fma_f64 v[60:61], -v[72:73], v[94:95], v[60:61]
	v_fma_f64 v[58:59], -v[72:73], v[96:97], v[58:59]
	ds_read2_b64 v[94:97], v80 offset0:12 offset1:13
	s_waitcnt lgkmcnt(0)
	v_fma_f64 v[56:57], -v[72:73], v[86:87], v[56:57]
	v_fma_f64 v[54:55], -v[72:73], v[88:89], v[54:55]
	v_fma_f64 v[52:53], -v[72:73], v[90:91], v[52:53]
	ds_read2_b64 v[86:89], v80 offset0:14 offset1:15
	v_fma_f64 v[50:51], -v[72:73], v[92:93], v[50:51]
	ds_read2_b64 v[90:93], v80 offset0:16 offset1:17
	v_fma_f64 v[48:49], -v[72:73], v[94:95], v[48:49]
	v_fma_f64 v[46:47], -v[72:73], v[96:97], v[46:47]
	s_waitcnt lgkmcnt(0)
	v_fma_f64 v[42:43], -v[72:73], v[86:87], v[42:43]
	ds_read2_b64 v[94:97], v80 offset0:18 offset1:19
	v_fma_f64 v[44:45], -v[72:73], v[88:89], v[44:45]
	ds_read2_b64 v[86:89], v80 offset0:20 offset1:21
	v_fma_f64 v[40:41], -v[72:73], v[90:91], v[40:41]
	v_fma_f64 v[38:39], -v[72:73], v[92:93], v[38:39]
	ds_read2_b64 v[90:93], v80 offset0:22 offset1:23
	s_waitcnt lgkmcnt(0)
	v_fma_f64 v[36:37], -v[72:73], v[94:95], v[36:37]
	v_fma_f64 v[34:35], -v[72:73], v[96:97], v[34:35]
	ds_read2_b64 v[94:97], v80 offset0:24 offset1:25
	v_fma_f64 v[32:33], -v[72:73], v[86:87], v[32:33]
	v_fma_f64 v[30:31], -v[72:73], v[88:89], v[30:31]
	;; [unrolled: 1-line block ×3, first 2 shown]
	ds_read2_b64 v[86:89], v80 offset0:26 offset1:27
	v_fma_f64 v[26:27], -v[72:73], v[92:93], v[26:27]
	ds_read2_b64 v[90:93], v80 offset0:28 offset1:29
	s_waitcnt lgkmcnt(0)
	v_fma_f64 v[24:25], -v[72:73], v[94:95], v[24:25]
	v_fma_f64 v[22:23], -v[72:73], v[96:97], v[22:23]
	v_fma_f64 v[20:21], -v[72:73], v[86:87], v[20:21]
	v_fma_f64 v[18:19], -v[72:73], v[88:89], v[18:19]
	ds_read2_b64 v[86:89], v80 offset0:30 offset1:31
	ds_read2_b64 v[94:97], v80 offset0:32 offset1:33
	v_fma_f64 v[16:17], -v[72:73], v[90:91], v[16:17]
	v_fma_f64 v[12:13], -v[72:73], v[92:93], v[12:13]
	ds_read2_b64 v[90:93], v80 offset0:34 offset1:35
	s_waitcnt lgkmcnt(0)
	v_fma_f64 v[14:15], -v[72:73], v[86:87], v[14:15]
	v_fma_f64 v[10:11], -v[72:73], v[88:89], v[10:11]
	;; [unrolled: 1-line block ×6, first 2 shown]
.LBB70_29:
	s_or_b64 exec, exec, s[14:15]
	v_lshl_add_u32 v76, v81, 3, v80
	s_barrier
	ds_write_b64 v76, v[68:69]
	s_waitcnt lgkmcnt(0)
	s_barrier
	ds_read_b64 v[76:77], v80 offset:16
	s_mov_b32 s9, 3
	s_cmp_lt_i32 s18, 4
	v_mov_b32_e32 v78, 2
	s_cbranch_scc1 .LBB70_32
; %bb.30:
	v_add3_u32 v84, v85, 0, 24
	v_mov_b32_e32 v78, 2
.LBB70_31:                              ; =>This Inner Loop Header: Depth=1
	ds_read_b64 v[86:87], v84
	v_mov_b32_e32 v88, s9
	s_add_i32 s9, s9, 1
	v_add_u32_e32 v84, 8, v84
	s_cmp_lg_u32 s18, s9
	s_waitcnt lgkmcnt(0)
	v_cmp_lt_f64_e64 vcc, |v[76:77]|, |v[86:87]|
	v_cndmask_b32_e32 v77, v77, v87, vcc
	v_cndmask_b32_e32 v76, v76, v86, vcc
	;; [unrolled: 1-line block ×3, first 2 shown]
	s_cbranch_scc1 .LBB70_31
.LBB70_32:
	v_cndmask_b32_e64 v84, 2, 1, s[0:1]
	v_cndmask_b32_e64 v86, 0, 1, s[0:1]
	;; [unrolled: 1-line block ×3, first 2 shown]
	s_waitcnt lgkmcnt(0)
	v_cmp_eq_f64_e32 vcc, 0, v[76:77]
	s_and_saveexec_b64 s[0:1], vcc
	s_xor_b64 s[0:1], exec, s[0:1]
; %bb.33:
	v_cmp_ne_u32_e32 vcc, 0, v84
	v_cndmask_b32_e32 v84, 3, v84, vcc
; %bb.34:
	s_andn2_saveexec_b64 s[0:1], s[0:1]
; %bb.35:
	v_div_scale_f64 v[86:87], s[2:3], v[76:77], v[76:77], 1.0
	v_rcp_f64_e32 v[88:89], v[86:87]
	v_div_scale_f64 v[90:91], vcc, 1.0, v[76:77], 1.0
	v_fma_f64 v[92:93], -v[86:87], v[88:89], 1.0
	v_fmac_f64_e32 v[88:89], v[88:89], v[92:93]
	v_fma_f64 v[92:93], -v[86:87], v[88:89], 1.0
	v_fmac_f64_e32 v[88:89], v[88:89], v[92:93]
	v_mul_f64 v[92:93], v[90:91], v[88:89]
	v_fma_f64 v[86:87], -v[86:87], v[92:93], v[90:91]
	v_div_fmas_f64 v[86:87], v[86:87], v[88:89], v[92:93]
	v_div_fixup_f64 v[76:77], v[86:87], v[76:77], 1.0
; %bb.36:
	s_or_b64 exec, exec, s[0:1]
	v_cmp_ne_u32_e32 vcc, v81, v78
	s_and_saveexec_b64 s[0:1], vcc
	s_xor_b64 s[0:1], exec, s[0:1]
	s_cbranch_execz .LBB70_42
; %bb.37:
	v_cmp_eq_u32_e32 vcc, 2, v81
	s_and_saveexec_b64 s[2:3], vcc
	s_cbranch_execz .LBB70_41
; %bb.38:
	v_cmp_ne_u32_e32 vcc, 2, v78
	s_xor_b64 s[14:15], s[6:7], -1
	s_and_b64 s[16:17], s[14:15], vcc
	s_and_saveexec_b64 s[14:15], s[16:17]
	s_cbranch_execz .LBB70_40
; %bb.39:
	v_ashrrev_i32_e32 v79, 31, v78
	v_lshlrev_b64 v[86:87], 2, v[78:79]
	v_add_co_u32_e32 v86, vcc, v4, v86
	v_addc_co_u32_e32 v87, vcc, v5, v87, vcc
	flat_load_dword v79, v[86:87]
	flat_load_dword v81, v[4:5] offset:8
	s_waitcnt vmcnt(0) lgkmcnt(0)
	flat_store_dword v[4:5], v79 offset:8
	flat_store_dword v[86:87], v81
.LBB70_40:
	s_or_b64 exec, exec, s[14:15]
	v_mov_b32_e32 v79, v78
	v_mov_b32_e32 v81, v78
.LBB70_41:
	s_or_b64 exec, exec, s[2:3]
.LBB70_42:
	s_andn2_saveexec_b64 s[0:1], s[0:1]
	s_cbranch_execz .LBB70_44
; %bb.43:
	v_mov_b32_e32 v81, 2
	ds_write2_b64 v80, v[66:67], v[64:65] offset0:3 offset1:4
	ds_write2_b64 v80, v[62:63], v[60:61] offset0:5 offset1:6
	;; [unrolled: 1-line block ×16, first 2 shown]
	ds_write_b64 v80, v[74:75] offset:280
.LBB70_44:
	s_or_b64 exec, exec, s[0:1]
	v_cmp_lt_i32_e32 vcc, 2, v81
	s_waitcnt lgkmcnt(0)
	s_barrier
	s_and_saveexec_b64 s[0:1], vcc
	s_cbranch_execz .LBB70_46
; %bb.45:
	ds_read2_b64 v[86:89], v80 offset0:3 offset1:4
	ds_read2_b64 v[90:93], v80 offset0:5 offset1:6
	v_mul_f64 v[68:69], v[76:77], v[68:69]
	ds_read2_b64 v[94:97], v80 offset0:7 offset1:8
	ds_read_b64 v[76:77], v80 offset:280
	s_waitcnt lgkmcnt(0)
	v_fma_f64 v[66:67], -v[68:69], v[86:87], v[66:67]
	v_fma_f64 v[64:65], -v[68:69], v[88:89], v[64:65]
	ds_read2_b64 v[86:89], v80 offset0:9 offset1:10
	v_fma_f64 v[62:63], -v[68:69], v[90:91], v[62:63]
	v_fma_f64 v[60:61], -v[68:69], v[92:93], v[60:61]
	;; [unrolled: 1-line block ×3, first 2 shown]
	ds_read2_b64 v[90:93], v80 offset0:11 offset1:12
	v_fma_f64 v[56:57], -v[68:69], v[96:97], v[56:57]
	ds_read2_b64 v[94:97], v80 offset0:13 offset1:14
	s_waitcnt lgkmcnt(0)
	v_fma_f64 v[54:55], -v[68:69], v[86:87], v[54:55]
	v_fma_f64 v[52:53], -v[68:69], v[88:89], v[52:53]
	ds_read2_b64 v[86:89], v80 offset0:15 offset1:16
	v_fma_f64 v[50:51], -v[68:69], v[90:91], v[50:51]
	v_fma_f64 v[48:49], -v[68:69], v[92:93], v[48:49]
	ds_read2_b64 v[90:93], v80 offset0:17 offset1:18
	v_fma_f64 v[46:47], -v[68:69], v[94:95], v[46:47]
	v_fma_f64 v[42:43], -v[68:69], v[96:97], v[42:43]
	s_waitcnt lgkmcnt(0)
	v_fma_f64 v[44:45], -v[68:69], v[86:87], v[44:45]
	ds_read2_b64 v[94:97], v80 offset0:19 offset1:20
	v_fma_f64 v[40:41], -v[68:69], v[88:89], v[40:41]
	ds_read2_b64 v[86:89], v80 offset0:21 offset1:22
	v_fma_f64 v[38:39], -v[68:69], v[90:91], v[38:39]
	v_fma_f64 v[36:37], -v[68:69], v[92:93], v[36:37]
	s_waitcnt lgkmcnt(0)
	v_fma_f64 v[34:35], -v[68:69], v[94:95], v[34:35]
	ds_read2_b64 v[90:93], v80 offset0:23 offset1:24
	v_fma_f64 v[32:33], -v[68:69], v[96:97], v[32:33]
	ds_read2_b64 v[94:97], v80 offset0:25 offset1:26
	v_fma_f64 v[30:31], -v[68:69], v[86:87], v[30:31]
	v_fma_f64 v[28:29], -v[68:69], v[88:89], v[28:29]
	ds_read2_b64 v[86:89], v80 offset0:27 offset1:28
	s_waitcnt lgkmcnt(0)
	v_fma_f64 v[26:27], -v[68:69], v[90:91], v[26:27]
	v_fma_f64 v[24:25], -v[68:69], v[92:93], v[24:25]
	ds_read2_b64 v[90:93], v80 offset0:29 offset1:30
	v_fma_f64 v[22:23], -v[68:69], v[94:95], v[22:23]
	v_fma_f64 v[20:21], -v[68:69], v[96:97], v[20:21]
	;; [unrolled: 1-line block ×4, first 2 shown]
	ds_read2_b64 v[86:89], v80 offset0:31 offset1:32
	ds_read2_b64 v[94:97], v80 offset0:33 offset1:34
	s_waitcnt lgkmcnt(0)
	v_fma_f64 v[12:13], -v[68:69], v[90:91], v[12:13]
	v_fma_f64 v[14:15], -v[68:69], v[92:93], v[14:15]
	;; [unrolled: 1-line block ×7, first 2 shown]
.LBB70_46:
	s_or_b64 exec, exec, s[0:1]
	v_lshl_add_u32 v76, v81, 3, v80
	s_barrier
	ds_write_b64 v76, v[66:67]
	s_waitcnt lgkmcnt(0)
	s_barrier
	ds_read_b64 v[76:77], v80 offset:24
	s_cmp_lt_i32 s18, 5
	v_mov_b32_e32 v78, 3
	s_cbranch_scc1 .LBB70_49
; %bb.47:
	v_add3_u32 v86, v85, 0, 32
	s_mov_b32 s0, 4
	v_mov_b32_e32 v78, 3
.LBB70_48:                              ; =>This Inner Loop Header: Depth=1
	ds_read_b64 v[88:89], v86
	v_mov_b32_e32 v87, s0
	s_add_i32 s0, s0, 1
	v_add_u32_e32 v86, 8, v86
	s_cmp_lg_u32 s18, s0
	s_waitcnt lgkmcnt(0)
	v_cmp_lt_f64_e64 vcc, |v[76:77]|, |v[88:89]|
	v_cndmask_b32_e32 v77, v77, v89, vcc
	v_cndmask_b32_e32 v76, v76, v88, vcc
	;; [unrolled: 1-line block ×3, first 2 shown]
	s_cbranch_scc1 .LBB70_48
.LBB70_49:
	s_waitcnt lgkmcnt(0)
	v_cmp_eq_f64_e32 vcc, 0, v[76:77]
	s_and_saveexec_b64 s[0:1], vcc
	s_xor_b64 s[0:1], exec, s[0:1]
; %bb.50:
	v_cmp_ne_u32_e32 vcc, 0, v84
	v_cndmask_b32_e32 v84, 4, v84, vcc
; %bb.51:
	s_andn2_saveexec_b64 s[0:1], s[0:1]
; %bb.52:
	v_div_scale_f64 v[86:87], s[2:3], v[76:77], v[76:77], 1.0
	v_rcp_f64_e32 v[88:89], v[86:87]
	v_div_scale_f64 v[90:91], vcc, 1.0, v[76:77], 1.0
	v_fma_f64 v[92:93], -v[86:87], v[88:89], 1.0
	v_fmac_f64_e32 v[88:89], v[88:89], v[92:93]
	v_fma_f64 v[92:93], -v[86:87], v[88:89], 1.0
	v_fmac_f64_e32 v[88:89], v[88:89], v[92:93]
	v_mul_f64 v[92:93], v[90:91], v[88:89]
	v_fma_f64 v[86:87], -v[86:87], v[92:93], v[90:91]
	v_div_fmas_f64 v[86:87], v[86:87], v[88:89], v[92:93]
	v_div_fixup_f64 v[76:77], v[86:87], v[76:77], 1.0
; %bb.53:
	s_or_b64 exec, exec, s[0:1]
	v_cmp_ne_u32_e32 vcc, v81, v78
	s_and_saveexec_b64 s[0:1], vcc
	s_xor_b64 s[0:1], exec, s[0:1]
	s_cbranch_execz .LBB70_59
; %bb.54:
	v_cmp_eq_u32_e32 vcc, 3, v81
	s_and_saveexec_b64 s[2:3], vcc
	s_cbranch_execz .LBB70_58
; %bb.55:
	v_cmp_ne_u32_e32 vcc, 3, v78
	s_xor_b64 s[14:15], s[6:7], -1
	s_and_b64 s[16:17], s[14:15], vcc
	s_and_saveexec_b64 s[14:15], s[16:17]
	s_cbranch_execz .LBB70_57
; %bb.56:
	v_ashrrev_i32_e32 v79, 31, v78
	v_lshlrev_b64 v[86:87], 2, v[78:79]
	v_add_co_u32_e32 v86, vcc, v4, v86
	v_addc_co_u32_e32 v87, vcc, v5, v87, vcc
	flat_load_dword v79, v[86:87]
	flat_load_dword v81, v[4:5] offset:12
	s_waitcnt vmcnt(0) lgkmcnt(0)
	flat_store_dword v[4:5], v79 offset:12
	flat_store_dword v[86:87], v81
.LBB70_57:
	s_or_b64 exec, exec, s[14:15]
	v_mov_b32_e32 v79, v78
	v_mov_b32_e32 v81, v78
.LBB70_58:
	s_or_b64 exec, exec, s[2:3]
.LBB70_59:
	s_andn2_saveexec_b64 s[0:1], s[0:1]
	s_cbranch_execz .LBB70_61
; %bb.60:
	v_mov_b32_e32 v86, v64
	v_mov_b32_e32 v87, v65
	v_mov_b32_e32 v88, v62
	v_mov_b32_e32 v89, v63
	ds_write2_b64 v80, v[86:87], v[88:89] offset0:4 offset1:5
	v_mov_b32_e32 v86, v60
	v_mov_b32_e32 v87, v61
	v_mov_b32_e32 v88, v58
	v_mov_b32_e32 v89, v59
	ds_write2_b64 v80, v[86:87], v[88:89] offset0:6 offset1:7
	;; [unrolled: 5-line block ×15, first 2 shown]
	v_mov_b32_e32 v86, v0
	v_mov_b32_e32 v87, v1
	;; [unrolled: 1-line block ×3, first 2 shown]
	ds_write2_b64 v80, v[86:87], v[74:75] offset0:34 offset1:35
.LBB70_61:
	s_or_b64 exec, exec, s[0:1]
	v_cmp_lt_i32_e32 vcc, 3, v81
	s_waitcnt lgkmcnt(0)
	s_barrier
	s_and_saveexec_b64 s[0:1], vcc
	s_cbranch_execz .LBB70_63
; %bb.62:
	ds_read2_b64 v[86:89], v80 offset0:4 offset1:5
	ds_read2_b64 v[90:93], v80 offset0:6 offset1:7
	v_mul_f64 v[66:67], v[76:77], v[66:67]
	ds_read2_b64 v[94:97], v80 offset0:8 offset1:9
	s_waitcnt lgkmcnt(0)
	v_fma_f64 v[64:65], -v[66:67], v[86:87], v[64:65]
	v_fma_f64 v[62:63], -v[66:67], v[88:89], v[62:63]
	ds_read2_b64 v[86:89], v80 offset0:10 offset1:11
	v_fma_f64 v[60:61], -v[66:67], v[90:91], v[60:61]
	v_fma_f64 v[58:59], -v[66:67], v[92:93], v[58:59]
	;; [unrolled: 1-line block ×3, first 2 shown]
	ds_read2_b64 v[90:93], v80 offset0:12 offset1:13
	v_fma_f64 v[54:55], -v[66:67], v[96:97], v[54:55]
	ds_read2_b64 v[94:97], v80 offset0:14 offset1:15
	s_waitcnt lgkmcnt(0)
	v_fma_f64 v[52:53], -v[66:67], v[86:87], v[52:53]
	v_fma_f64 v[50:51], -v[66:67], v[88:89], v[50:51]
	ds_read2_b64 v[86:89], v80 offset0:16 offset1:17
	v_fma_f64 v[48:49], -v[66:67], v[90:91], v[48:49]
	v_fma_f64 v[46:47], -v[66:67], v[92:93], v[46:47]
	ds_read2_b64 v[90:93], v80 offset0:18 offset1:19
	v_fma_f64 v[42:43], -v[66:67], v[94:95], v[42:43]
	v_fma_f64 v[44:45], -v[66:67], v[96:97], v[44:45]
	s_waitcnt lgkmcnt(0)
	v_fma_f64 v[40:41], -v[66:67], v[86:87], v[40:41]
	ds_read2_b64 v[94:97], v80 offset0:20 offset1:21
	v_fma_f64 v[38:39], -v[66:67], v[88:89], v[38:39]
	ds_read2_b64 v[86:89], v80 offset0:22 offset1:23
	v_fma_f64 v[36:37], -v[66:67], v[90:91], v[36:37]
	v_fma_f64 v[34:35], -v[66:67], v[92:93], v[34:35]
	s_waitcnt lgkmcnt(0)
	v_fma_f64 v[32:33], -v[66:67], v[94:95], v[32:33]
	ds_read2_b64 v[90:93], v80 offset0:24 offset1:25
	v_fma_f64 v[30:31], -v[66:67], v[96:97], v[30:31]
	ds_read2_b64 v[94:97], v80 offset0:26 offset1:27
	v_fma_f64 v[28:29], -v[66:67], v[86:87], v[28:29]
	v_fma_f64 v[26:27], -v[66:67], v[88:89], v[26:27]
	ds_read2_b64 v[86:89], v80 offset0:28 offset1:29
	s_waitcnt lgkmcnt(0)
	v_fma_f64 v[24:25], -v[66:67], v[90:91], v[24:25]
	v_fma_f64 v[22:23], -v[66:67], v[92:93], v[22:23]
	ds_read2_b64 v[90:93], v80 offset0:30 offset1:31
	v_fma_f64 v[20:21], -v[66:67], v[94:95], v[20:21]
	v_fma_f64 v[18:19], -v[66:67], v[96:97], v[18:19]
	;; [unrolled: 1-line block ×3, first 2 shown]
	ds_read2_b64 v[94:97], v80 offset0:32 offset1:33
	v_fma_f64 v[12:13], -v[66:67], v[88:89], v[12:13]
	ds_read2_b64 v[86:89], v80 offset0:34 offset1:35
	s_waitcnt lgkmcnt(0)
	v_fma_f64 v[14:15], -v[66:67], v[90:91], v[14:15]
	v_fma_f64 v[10:11], -v[66:67], v[92:93], v[10:11]
	;; [unrolled: 1-line block ×6, first 2 shown]
.LBB70_63:
	s_or_b64 exec, exec, s[0:1]
	v_lshl_add_u32 v76, v81, 3, v80
	s_barrier
	ds_write_b64 v76, v[64:65]
	s_waitcnt lgkmcnt(0)
	s_barrier
	ds_read_b64 v[76:77], v80 offset:32
	s_cmp_lt_i32 s18, 6
	v_mov_b32_e32 v78, 4
	s_cbranch_scc1 .LBB70_66
; %bb.64:
	v_add3_u32 v86, v85, 0, 40
	s_mov_b32 s0, 5
	v_mov_b32_e32 v78, 4
.LBB70_65:                              ; =>This Inner Loop Header: Depth=1
	ds_read_b64 v[88:89], v86
	v_mov_b32_e32 v87, s0
	s_add_i32 s0, s0, 1
	v_add_u32_e32 v86, 8, v86
	s_cmp_lg_u32 s18, s0
	s_waitcnt lgkmcnt(0)
	v_cmp_lt_f64_e64 vcc, |v[76:77]|, |v[88:89]|
	v_cndmask_b32_e32 v77, v77, v89, vcc
	v_cndmask_b32_e32 v76, v76, v88, vcc
	v_cndmask_b32_e32 v78, v78, v87, vcc
	s_cbranch_scc1 .LBB70_65
.LBB70_66:
	s_waitcnt lgkmcnt(0)
	v_cmp_eq_f64_e32 vcc, 0, v[76:77]
	s_and_saveexec_b64 s[0:1], vcc
	s_xor_b64 s[0:1], exec, s[0:1]
; %bb.67:
	v_cmp_ne_u32_e32 vcc, 0, v84
	v_cndmask_b32_e32 v84, 5, v84, vcc
; %bb.68:
	s_andn2_saveexec_b64 s[0:1], s[0:1]
; %bb.69:
	v_div_scale_f64 v[86:87], s[2:3], v[76:77], v[76:77], 1.0
	v_rcp_f64_e32 v[88:89], v[86:87]
	v_div_scale_f64 v[90:91], vcc, 1.0, v[76:77], 1.0
	v_fma_f64 v[92:93], -v[86:87], v[88:89], 1.0
	v_fmac_f64_e32 v[88:89], v[88:89], v[92:93]
	v_fma_f64 v[92:93], -v[86:87], v[88:89], 1.0
	v_fmac_f64_e32 v[88:89], v[88:89], v[92:93]
	v_mul_f64 v[92:93], v[90:91], v[88:89]
	v_fma_f64 v[86:87], -v[86:87], v[92:93], v[90:91]
	v_div_fmas_f64 v[86:87], v[86:87], v[88:89], v[92:93]
	v_div_fixup_f64 v[76:77], v[86:87], v[76:77], 1.0
; %bb.70:
	s_or_b64 exec, exec, s[0:1]
	v_cmp_ne_u32_e32 vcc, v81, v78
	s_and_saveexec_b64 s[0:1], vcc
	s_xor_b64 s[0:1], exec, s[0:1]
	s_cbranch_execz .LBB70_76
; %bb.71:
	v_cmp_eq_u32_e32 vcc, 4, v81
	s_and_saveexec_b64 s[2:3], vcc
	s_cbranch_execz .LBB70_75
; %bb.72:
	v_cmp_ne_u32_e32 vcc, 4, v78
	s_xor_b64 s[14:15], s[6:7], -1
	s_and_b64 s[16:17], s[14:15], vcc
	s_and_saveexec_b64 s[14:15], s[16:17]
	s_cbranch_execz .LBB70_74
; %bb.73:
	v_ashrrev_i32_e32 v79, 31, v78
	v_lshlrev_b64 v[86:87], 2, v[78:79]
	v_add_co_u32_e32 v86, vcc, v4, v86
	v_addc_co_u32_e32 v87, vcc, v5, v87, vcc
	flat_load_dword v79, v[86:87]
	flat_load_dword v81, v[4:5] offset:16
	s_waitcnt vmcnt(0) lgkmcnt(0)
	flat_store_dword v[4:5], v79 offset:16
	flat_store_dword v[86:87], v81
.LBB70_74:
	s_or_b64 exec, exec, s[14:15]
	v_mov_b32_e32 v79, v78
	v_mov_b32_e32 v81, v78
.LBB70_75:
	s_or_b64 exec, exec, s[2:3]
.LBB70_76:
	s_andn2_saveexec_b64 s[0:1], s[0:1]
	s_cbranch_execz .LBB70_78
; %bb.77:
	v_mov_b32_e32 v81, 4
	ds_write2_b64 v80, v[62:63], v[60:61] offset0:5 offset1:6
	ds_write2_b64 v80, v[58:59], v[56:57] offset0:7 offset1:8
	;; [unrolled: 1-line block ×15, first 2 shown]
	ds_write_b64 v80, v[74:75] offset:280
.LBB70_78:
	s_or_b64 exec, exec, s[0:1]
	v_cmp_lt_i32_e32 vcc, 4, v81
	s_waitcnt lgkmcnt(0)
	s_barrier
	s_and_saveexec_b64 s[0:1], vcc
	s_cbranch_execz .LBB70_80
; %bb.79:
	ds_read2_b64 v[86:89], v80 offset0:5 offset1:6
	ds_read2_b64 v[90:93], v80 offset0:7 offset1:8
	;; [unrolled: 1-line block ×3, first 2 shown]
	v_mul_f64 v[64:65], v[76:77], v[64:65]
	ds_read_b64 v[76:77], v80 offset:280
	s_waitcnt lgkmcnt(0)
	v_fma_f64 v[62:63], -v[64:65], v[86:87], v[62:63]
	v_fma_f64 v[60:61], -v[64:65], v[88:89], v[60:61]
	ds_read2_b64 v[86:89], v80 offset0:11 offset1:12
	v_fma_f64 v[58:59], -v[64:65], v[90:91], v[58:59]
	v_fma_f64 v[56:57], -v[64:65], v[92:93], v[56:57]
	;; [unrolled: 1-line block ×3, first 2 shown]
	ds_read2_b64 v[90:93], v80 offset0:13 offset1:14
	v_fma_f64 v[52:53], -v[64:65], v[96:97], v[52:53]
	ds_read2_b64 v[94:97], v80 offset0:15 offset1:16
	s_waitcnt lgkmcnt(0)
	v_fma_f64 v[50:51], -v[64:65], v[86:87], v[50:51]
	v_fma_f64 v[48:49], -v[64:65], v[88:89], v[48:49]
	;; [unrolled: 1-line block ×3, first 2 shown]
	ds_read2_b64 v[86:89], v80 offset0:17 offset1:18
	v_fma_f64 v[42:43], -v[64:65], v[92:93], v[42:43]
	ds_read2_b64 v[90:93], v80 offset0:19 offset1:20
	v_fma_f64 v[44:45], -v[64:65], v[94:95], v[44:45]
	v_fma_f64 v[40:41], -v[64:65], v[96:97], v[40:41]
	ds_read2_b64 v[94:97], v80 offset0:21 offset1:22
	s_waitcnt lgkmcnt(0)
	v_fma_f64 v[38:39], -v[64:65], v[86:87], v[38:39]
	v_fma_f64 v[36:37], -v[64:65], v[88:89], v[36:37]
	ds_read2_b64 v[86:89], v80 offset0:23 offset1:24
	v_fma_f64 v[34:35], -v[64:65], v[90:91], v[34:35]
	v_fma_f64 v[32:33], -v[64:65], v[92:93], v[32:33]
	v_fma_f64 v[30:31], -v[64:65], v[94:95], v[30:31]
	ds_read2_b64 v[90:93], v80 offset0:25 offset1:26
	v_fma_f64 v[28:29], -v[64:65], v[96:97], v[28:29]
	ds_read2_b64 v[94:97], v80 offset0:27 offset1:28
	s_waitcnt lgkmcnt(0)
	v_fma_f64 v[26:27], -v[64:65], v[86:87], v[26:27]
	v_fma_f64 v[24:25], -v[64:65], v[88:89], v[24:25]
	;; [unrolled: 1-line block ×3, first 2 shown]
	ds_read2_b64 v[86:89], v80 offset0:29 offset1:30
	v_fma_f64 v[20:21], -v[64:65], v[92:93], v[20:21]
	ds_read2_b64 v[90:93], v80 offset0:31 offset1:32
	v_fma_f64 v[18:19], -v[64:65], v[94:95], v[18:19]
	v_fma_f64 v[16:17], -v[64:65], v[96:97], v[16:17]
	ds_read2_b64 v[94:97], v80 offset0:33 offset1:34
	s_waitcnt lgkmcnt(0)
	v_fma_f64 v[12:13], -v[64:65], v[86:87], v[12:13]
	v_fma_f64 v[14:15], -v[64:65], v[88:89], v[14:15]
	;; [unrolled: 1-line block ×7, first 2 shown]
.LBB70_80:
	s_or_b64 exec, exec, s[0:1]
	v_lshl_add_u32 v76, v81, 3, v80
	s_barrier
	ds_write_b64 v76, v[62:63]
	s_waitcnt lgkmcnt(0)
	s_barrier
	ds_read_b64 v[76:77], v80 offset:40
	s_cmp_lt_i32 s18, 7
	v_mov_b32_e32 v78, 5
	s_cbranch_scc1 .LBB70_83
; %bb.81:
	v_add3_u32 v86, v85, 0, 48
	s_mov_b32 s0, 6
	v_mov_b32_e32 v78, 5
.LBB70_82:                              ; =>This Inner Loop Header: Depth=1
	ds_read_b64 v[88:89], v86
	v_mov_b32_e32 v87, s0
	s_add_i32 s0, s0, 1
	v_add_u32_e32 v86, 8, v86
	s_cmp_lg_u32 s18, s0
	s_waitcnt lgkmcnt(0)
	v_cmp_lt_f64_e64 vcc, |v[76:77]|, |v[88:89]|
	v_cndmask_b32_e32 v77, v77, v89, vcc
	v_cndmask_b32_e32 v76, v76, v88, vcc
	;; [unrolled: 1-line block ×3, first 2 shown]
	s_cbranch_scc1 .LBB70_82
.LBB70_83:
	s_waitcnt lgkmcnt(0)
	v_cmp_eq_f64_e32 vcc, 0, v[76:77]
	s_and_saveexec_b64 s[0:1], vcc
	s_xor_b64 s[0:1], exec, s[0:1]
; %bb.84:
	v_cmp_ne_u32_e32 vcc, 0, v84
	v_cndmask_b32_e32 v84, 6, v84, vcc
; %bb.85:
	s_andn2_saveexec_b64 s[0:1], s[0:1]
; %bb.86:
	v_div_scale_f64 v[86:87], s[2:3], v[76:77], v[76:77], 1.0
	v_rcp_f64_e32 v[88:89], v[86:87]
	v_div_scale_f64 v[90:91], vcc, 1.0, v[76:77], 1.0
	v_fma_f64 v[92:93], -v[86:87], v[88:89], 1.0
	v_fmac_f64_e32 v[88:89], v[88:89], v[92:93]
	v_fma_f64 v[92:93], -v[86:87], v[88:89], 1.0
	v_fmac_f64_e32 v[88:89], v[88:89], v[92:93]
	v_mul_f64 v[92:93], v[90:91], v[88:89]
	v_fma_f64 v[86:87], -v[86:87], v[92:93], v[90:91]
	v_div_fmas_f64 v[86:87], v[86:87], v[88:89], v[92:93]
	v_div_fixup_f64 v[76:77], v[86:87], v[76:77], 1.0
; %bb.87:
	s_or_b64 exec, exec, s[0:1]
	v_cmp_ne_u32_e32 vcc, v81, v78
	s_and_saveexec_b64 s[0:1], vcc
	s_xor_b64 s[0:1], exec, s[0:1]
	s_cbranch_execz .LBB70_93
; %bb.88:
	v_cmp_eq_u32_e32 vcc, 5, v81
	s_and_saveexec_b64 s[2:3], vcc
	s_cbranch_execz .LBB70_92
; %bb.89:
	v_cmp_ne_u32_e32 vcc, 5, v78
	s_xor_b64 s[14:15], s[6:7], -1
	s_and_b64 s[16:17], s[14:15], vcc
	s_and_saveexec_b64 s[14:15], s[16:17]
	s_cbranch_execz .LBB70_91
; %bb.90:
	v_ashrrev_i32_e32 v79, 31, v78
	v_lshlrev_b64 v[86:87], 2, v[78:79]
	v_add_co_u32_e32 v86, vcc, v4, v86
	v_addc_co_u32_e32 v87, vcc, v5, v87, vcc
	flat_load_dword v79, v[86:87]
	flat_load_dword v81, v[4:5] offset:20
	s_waitcnt vmcnt(0) lgkmcnt(0)
	flat_store_dword v[4:5], v79 offset:20
	flat_store_dword v[86:87], v81
.LBB70_91:
	s_or_b64 exec, exec, s[14:15]
	v_mov_b32_e32 v79, v78
	v_mov_b32_e32 v81, v78
.LBB70_92:
	s_or_b64 exec, exec, s[2:3]
.LBB70_93:
	s_andn2_saveexec_b64 s[0:1], s[0:1]
	s_cbranch_execz .LBB70_95
; %bb.94:
	v_mov_b32_e32 v86, v60
	v_mov_b32_e32 v87, v61
	v_mov_b32_e32 v88, v58
	v_mov_b32_e32 v89, v59
	ds_write2_b64 v80, v[86:87], v[88:89] offset0:6 offset1:7
	v_mov_b32_e32 v86, v56
	v_mov_b32_e32 v87, v57
	v_mov_b32_e32 v88, v54
	v_mov_b32_e32 v89, v55
	ds_write2_b64 v80, v[86:87], v[88:89] offset0:8 offset1:9
	v_mov_b32_e32 v86, v52
	v_mov_b32_e32 v87, v53
	v_mov_b32_e32 v88, v50
	v_mov_b32_e32 v89, v51
	ds_write2_b64 v80, v[86:87], v[88:89] offset0:10 offset1:11
	v_mov_b32_e32 v86, v48
	v_mov_b32_e32 v87, v49
	v_mov_b32_e32 v88, v46
	v_mov_b32_e32 v89, v47
	ds_write2_b64 v80, v[86:87], v[88:89] offset0:12 offset1:13
	v_mov_b32_e32 v86, v42
	v_mov_b32_e32 v87, v43
	v_mov_b32_e32 v88, v44
	v_mov_b32_e32 v89, v45
	ds_write2_b64 v80, v[86:87], v[88:89] offset0:14 offset1:15
	v_mov_b32_e32 v86, v40
	v_mov_b32_e32 v87, v41
	v_mov_b32_e32 v88, v38
	v_mov_b32_e32 v89, v39
	ds_write2_b64 v80, v[86:87], v[88:89] offset0:16 offset1:17
	v_mov_b32_e32 v86, v36
	v_mov_b32_e32 v87, v37
	v_mov_b32_e32 v88, v34
	v_mov_b32_e32 v89, v35
	ds_write2_b64 v80, v[86:87], v[88:89] offset0:18 offset1:19
	v_mov_b32_e32 v86, v32
	v_mov_b32_e32 v87, v33
	v_mov_b32_e32 v88, v30
	v_mov_b32_e32 v89, v31
	ds_write2_b64 v80, v[86:87], v[88:89] offset0:20 offset1:21
	v_mov_b32_e32 v86, v28
	v_mov_b32_e32 v87, v29
	v_mov_b32_e32 v88, v26
	v_mov_b32_e32 v89, v27
	ds_write2_b64 v80, v[86:87], v[88:89] offset0:22 offset1:23
	v_mov_b32_e32 v86, v24
	v_mov_b32_e32 v87, v25
	v_mov_b32_e32 v88, v22
	v_mov_b32_e32 v89, v23
	ds_write2_b64 v80, v[86:87], v[88:89] offset0:24 offset1:25
	v_mov_b32_e32 v86, v20
	v_mov_b32_e32 v87, v21
	v_mov_b32_e32 v88, v18
	v_mov_b32_e32 v89, v19
	ds_write2_b64 v80, v[86:87], v[88:89] offset0:26 offset1:27
	v_mov_b32_e32 v86, v16
	v_mov_b32_e32 v87, v17
	v_mov_b32_e32 v88, v12
	v_mov_b32_e32 v89, v13
	ds_write2_b64 v80, v[86:87], v[88:89] offset0:28 offset1:29
	v_mov_b32_e32 v86, v14
	v_mov_b32_e32 v87, v15
	v_mov_b32_e32 v88, v10
	v_mov_b32_e32 v89, v11
	ds_write2_b64 v80, v[86:87], v[88:89] offset0:30 offset1:31
	v_mov_b32_e32 v86, v8
	v_mov_b32_e32 v87, v9
	v_mov_b32_e32 v88, v6
	v_mov_b32_e32 v89, v7
	ds_write2_b64 v80, v[86:87], v[88:89] offset0:32 offset1:33
	v_mov_b32_e32 v86, v0
	v_mov_b32_e32 v87, v1
	;; [unrolled: 1-line block ×3, first 2 shown]
	ds_write2_b64 v80, v[86:87], v[74:75] offset0:34 offset1:35
.LBB70_95:
	s_or_b64 exec, exec, s[0:1]
	v_cmp_lt_i32_e32 vcc, 5, v81
	s_waitcnt lgkmcnt(0)
	s_barrier
	s_and_saveexec_b64 s[0:1], vcc
	s_cbranch_execz .LBB70_97
; %bb.96:
	ds_read2_b64 v[86:89], v80 offset0:6 offset1:7
	ds_read2_b64 v[90:93], v80 offset0:8 offset1:9
	;; [unrolled: 1-line block ×3, first 2 shown]
	v_mul_f64 v[62:63], v[76:77], v[62:63]
	s_waitcnt lgkmcnt(0)
	v_fma_f64 v[60:61], -v[62:63], v[86:87], v[60:61]
	v_fma_f64 v[58:59], -v[62:63], v[88:89], v[58:59]
	ds_read2_b64 v[86:89], v80 offset0:12 offset1:13
	v_fma_f64 v[56:57], -v[62:63], v[90:91], v[56:57]
	v_fma_f64 v[54:55], -v[62:63], v[92:93], v[54:55]
	;; [unrolled: 1-line block ×3, first 2 shown]
	ds_read2_b64 v[90:93], v80 offset0:14 offset1:15
	v_fma_f64 v[50:51], -v[62:63], v[96:97], v[50:51]
	ds_read2_b64 v[94:97], v80 offset0:16 offset1:17
	s_waitcnt lgkmcnt(0)
	v_fma_f64 v[48:49], -v[62:63], v[86:87], v[48:49]
	v_fma_f64 v[46:47], -v[62:63], v[88:89], v[46:47]
	;; [unrolled: 1-line block ×3, first 2 shown]
	ds_read2_b64 v[86:89], v80 offset0:18 offset1:19
	v_fma_f64 v[44:45], -v[62:63], v[92:93], v[44:45]
	ds_read2_b64 v[90:93], v80 offset0:20 offset1:21
	v_fma_f64 v[40:41], -v[62:63], v[94:95], v[40:41]
	v_fma_f64 v[38:39], -v[62:63], v[96:97], v[38:39]
	ds_read2_b64 v[94:97], v80 offset0:22 offset1:23
	s_waitcnt lgkmcnt(0)
	v_fma_f64 v[36:37], -v[62:63], v[86:87], v[36:37]
	v_fma_f64 v[34:35], -v[62:63], v[88:89], v[34:35]
	ds_read2_b64 v[86:89], v80 offset0:24 offset1:25
	v_fma_f64 v[32:33], -v[62:63], v[90:91], v[32:33]
	v_fma_f64 v[30:31], -v[62:63], v[92:93], v[30:31]
	;; [unrolled: 1-line block ×3, first 2 shown]
	ds_read2_b64 v[90:93], v80 offset0:26 offset1:27
	v_fma_f64 v[26:27], -v[62:63], v[96:97], v[26:27]
	ds_read2_b64 v[94:97], v80 offset0:28 offset1:29
	s_waitcnt lgkmcnt(0)
	v_fma_f64 v[24:25], -v[62:63], v[86:87], v[24:25]
	v_fma_f64 v[22:23], -v[62:63], v[88:89], v[22:23]
	;; [unrolled: 1-line block ×4, first 2 shown]
	ds_read2_b64 v[86:89], v80 offset0:30 offset1:31
	ds_read2_b64 v[90:93], v80 offset0:32 offset1:33
	v_fma_f64 v[16:17], -v[62:63], v[94:95], v[16:17]
	v_fma_f64 v[12:13], -v[62:63], v[96:97], v[12:13]
	ds_read2_b64 v[94:97], v80 offset0:34 offset1:35
	s_waitcnt lgkmcnt(0)
	v_fma_f64 v[14:15], -v[62:63], v[86:87], v[14:15]
	v_fma_f64 v[10:11], -v[62:63], v[88:89], v[10:11]
	;; [unrolled: 1-line block ×6, first 2 shown]
.LBB70_97:
	s_or_b64 exec, exec, s[0:1]
	v_lshl_add_u32 v76, v81, 3, v80
	s_barrier
	ds_write_b64 v76, v[60:61]
	s_waitcnt lgkmcnt(0)
	s_barrier
	ds_read_b64 v[76:77], v80 offset:48
	s_cmp_lt_i32 s18, 8
	v_mov_b32_e32 v78, 6
	s_cbranch_scc1 .LBB70_100
; %bb.98:
	v_add3_u32 v86, v85, 0, 56
	s_mov_b32 s0, 7
	v_mov_b32_e32 v78, 6
.LBB70_99:                              ; =>This Inner Loop Header: Depth=1
	ds_read_b64 v[88:89], v86
	v_mov_b32_e32 v87, s0
	s_add_i32 s0, s0, 1
	v_add_u32_e32 v86, 8, v86
	s_cmp_lg_u32 s18, s0
	s_waitcnt lgkmcnt(0)
	v_cmp_lt_f64_e64 vcc, |v[76:77]|, |v[88:89]|
	v_cndmask_b32_e32 v77, v77, v89, vcc
	v_cndmask_b32_e32 v76, v76, v88, vcc
	;; [unrolled: 1-line block ×3, first 2 shown]
	s_cbranch_scc1 .LBB70_99
.LBB70_100:
	s_waitcnt lgkmcnt(0)
	v_cmp_eq_f64_e32 vcc, 0, v[76:77]
	s_and_saveexec_b64 s[0:1], vcc
	s_xor_b64 s[0:1], exec, s[0:1]
; %bb.101:
	v_cmp_ne_u32_e32 vcc, 0, v84
	v_cndmask_b32_e32 v84, 7, v84, vcc
; %bb.102:
	s_andn2_saveexec_b64 s[0:1], s[0:1]
; %bb.103:
	v_div_scale_f64 v[86:87], s[2:3], v[76:77], v[76:77], 1.0
	v_rcp_f64_e32 v[88:89], v[86:87]
	v_div_scale_f64 v[90:91], vcc, 1.0, v[76:77], 1.0
	v_fma_f64 v[92:93], -v[86:87], v[88:89], 1.0
	v_fmac_f64_e32 v[88:89], v[88:89], v[92:93]
	v_fma_f64 v[92:93], -v[86:87], v[88:89], 1.0
	v_fmac_f64_e32 v[88:89], v[88:89], v[92:93]
	v_mul_f64 v[92:93], v[90:91], v[88:89]
	v_fma_f64 v[86:87], -v[86:87], v[92:93], v[90:91]
	v_div_fmas_f64 v[86:87], v[86:87], v[88:89], v[92:93]
	v_div_fixup_f64 v[76:77], v[86:87], v[76:77], 1.0
; %bb.104:
	s_or_b64 exec, exec, s[0:1]
	v_cmp_ne_u32_e32 vcc, v81, v78
	s_and_saveexec_b64 s[0:1], vcc
	s_xor_b64 s[0:1], exec, s[0:1]
	s_cbranch_execz .LBB70_110
; %bb.105:
	v_cmp_eq_u32_e32 vcc, 6, v81
	s_and_saveexec_b64 s[2:3], vcc
	s_cbranch_execz .LBB70_109
; %bb.106:
	v_cmp_ne_u32_e32 vcc, 6, v78
	s_xor_b64 s[14:15], s[6:7], -1
	s_and_b64 s[16:17], s[14:15], vcc
	s_and_saveexec_b64 s[14:15], s[16:17]
	s_cbranch_execz .LBB70_108
; %bb.107:
	v_ashrrev_i32_e32 v79, 31, v78
	v_lshlrev_b64 v[86:87], 2, v[78:79]
	v_add_co_u32_e32 v86, vcc, v4, v86
	v_addc_co_u32_e32 v87, vcc, v5, v87, vcc
	flat_load_dword v79, v[86:87]
	flat_load_dword v81, v[4:5] offset:24
	s_waitcnt vmcnt(0) lgkmcnt(0)
	flat_store_dword v[4:5], v79 offset:24
	flat_store_dword v[86:87], v81
.LBB70_108:
	s_or_b64 exec, exec, s[14:15]
	v_mov_b32_e32 v79, v78
	v_mov_b32_e32 v81, v78
.LBB70_109:
	s_or_b64 exec, exec, s[2:3]
.LBB70_110:
	s_andn2_saveexec_b64 s[0:1], s[0:1]
	s_cbranch_execz .LBB70_112
; %bb.111:
	v_mov_b32_e32 v81, 6
	ds_write2_b64 v80, v[58:59], v[56:57] offset0:7 offset1:8
	ds_write2_b64 v80, v[54:55], v[52:53] offset0:9 offset1:10
	;; [unrolled: 1-line block ×14, first 2 shown]
	ds_write_b64 v80, v[74:75] offset:280
.LBB70_112:
	s_or_b64 exec, exec, s[0:1]
	v_cmp_lt_i32_e32 vcc, 6, v81
	s_waitcnt lgkmcnt(0)
	s_barrier
	s_and_saveexec_b64 s[0:1], vcc
	s_cbranch_execz .LBB70_114
; %bb.113:
	ds_read2_b64 v[86:89], v80 offset0:7 offset1:8
	ds_read2_b64 v[90:93], v80 offset0:9 offset1:10
	v_mul_f64 v[60:61], v[76:77], v[60:61]
	ds_read2_b64 v[94:97], v80 offset0:11 offset1:12
	ds_read_b64 v[76:77], v80 offset:280
	s_waitcnt lgkmcnt(0)
	v_fma_f64 v[58:59], -v[60:61], v[86:87], v[58:59]
	v_fma_f64 v[56:57], -v[60:61], v[88:89], v[56:57]
	ds_read2_b64 v[86:89], v80 offset0:13 offset1:14
	v_fma_f64 v[54:55], -v[60:61], v[90:91], v[54:55]
	v_fma_f64 v[52:53], -v[60:61], v[92:93], v[52:53]
	ds_read2_b64 v[90:93], v80 offset0:15 offset1:16
	;; [unrolled: 3-line block ×3, first 2 shown]
	s_waitcnt lgkmcnt(0)
	v_fma_f64 v[46:47], -v[60:61], v[86:87], v[46:47]
	v_fma_f64 v[42:43], -v[60:61], v[88:89], v[42:43]
	v_fma_f64 v[44:45], -v[60:61], v[90:91], v[44:45]
	ds_read2_b64 v[86:89], v80 offset0:19 offset1:20
	v_fma_f64 v[40:41], -v[60:61], v[92:93], v[40:41]
	ds_read2_b64 v[90:93], v80 offset0:21 offset1:22
	v_fma_f64 v[38:39], -v[60:61], v[94:95], v[38:39]
	v_fma_f64 v[36:37], -v[60:61], v[96:97], v[36:37]
	s_waitcnt lgkmcnt(0)
	v_fma_f64 v[34:35], -v[60:61], v[86:87], v[34:35]
	ds_read2_b64 v[94:97], v80 offset0:23 offset1:24
	v_fma_f64 v[32:33], -v[60:61], v[88:89], v[32:33]
	ds_read2_b64 v[86:89], v80 offset0:25 offset1:26
	v_fma_f64 v[30:31], -v[60:61], v[90:91], v[30:31]
	v_fma_f64 v[28:29], -v[60:61], v[92:93], v[28:29]
	ds_read2_b64 v[90:93], v80 offset0:27 offset1:28
	s_waitcnt lgkmcnt(0)
	v_fma_f64 v[26:27], -v[60:61], v[94:95], v[26:27]
	v_fma_f64 v[24:25], -v[60:61], v[96:97], v[24:25]
	ds_read2_b64 v[94:97], v80 offset0:29 offset1:30
	v_fma_f64 v[22:23], -v[60:61], v[86:87], v[22:23]
	v_fma_f64 v[20:21], -v[60:61], v[88:89], v[20:21]
	;; [unrolled: 1-line block ×4, first 2 shown]
	ds_read2_b64 v[86:89], v80 offset0:31 offset1:32
	ds_read2_b64 v[90:93], v80 offset0:33 offset1:34
	s_waitcnt lgkmcnt(0)
	v_fma_f64 v[12:13], -v[60:61], v[94:95], v[12:13]
	v_fma_f64 v[14:15], -v[60:61], v[96:97], v[14:15]
	;; [unrolled: 1-line block ×7, first 2 shown]
.LBB70_114:
	s_or_b64 exec, exec, s[0:1]
	v_lshl_add_u32 v76, v81, 3, v80
	s_barrier
	ds_write_b64 v76, v[58:59]
	s_waitcnt lgkmcnt(0)
	s_barrier
	ds_read_b64 v[76:77], v80 offset:56
	s_cmp_lt_i32 s18, 9
	v_mov_b32_e32 v78, 7
	s_cbranch_scc1 .LBB70_117
; %bb.115:
	v_add3_u32 v85, v85, 0, 64
	s_mov_b32 s0, 8
	v_mov_b32_e32 v78, 7
.LBB70_116:                             ; =>This Inner Loop Header: Depth=1
	ds_read_b64 v[86:87], v85
	v_mov_b32_e32 v88, s0
	s_add_i32 s0, s0, 1
	v_add_u32_e32 v85, 8, v85
	s_cmp_lg_u32 s18, s0
	s_waitcnt lgkmcnt(0)
	v_cmp_lt_f64_e64 vcc, |v[76:77]|, |v[86:87]|
	v_cndmask_b32_e32 v77, v77, v87, vcc
	v_cndmask_b32_e32 v76, v76, v86, vcc
	;; [unrolled: 1-line block ×3, first 2 shown]
	s_cbranch_scc1 .LBB70_116
.LBB70_117:
	s_waitcnt lgkmcnt(0)
	v_cmp_eq_f64_e32 vcc, 0, v[76:77]
	s_and_saveexec_b64 s[0:1], vcc
	s_xor_b64 s[0:1], exec, s[0:1]
; %bb.118:
	v_cmp_ne_u32_e32 vcc, 0, v84
	v_cndmask_b32_e32 v84, 8, v84, vcc
; %bb.119:
	s_andn2_saveexec_b64 s[0:1], s[0:1]
; %bb.120:
	v_div_scale_f64 v[86:87], s[2:3], v[76:77], v[76:77], 1.0
	v_rcp_f64_e32 v[88:89], v[86:87]
	v_div_scale_f64 v[90:91], vcc, 1.0, v[76:77], 1.0
	v_fma_f64 v[92:93], -v[86:87], v[88:89], 1.0
	v_fmac_f64_e32 v[88:89], v[88:89], v[92:93]
	v_fma_f64 v[92:93], -v[86:87], v[88:89], 1.0
	v_fmac_f64_e32 v[88:89], v[88:89], v[92:93]
	v_mul_f64 v[92:93], v[90:91], v[88:89]
	v_fma_f64 v[86:87], -v[86:87], v[92:93], v[90:91]
	v_div_fmas_f64 v[86:87], v[86:87], v[88:89], v[92:93]
	v_div_fixup_f64 v[76:77], v[86:87], v[76:77], 1.0
; %bb.121:
	s_or_b64 exec, exec, s[0:1]
	v_cmp_ne_u32_e32 vcc, v81, v78
	s_and_saveexec_b64 s[0:1], vcc
	s_xor_b64 s[0:1], exec, s[0:1]
	s_cbranch_execz .LBB70_127
; %bb.122:
	v_cmp_eq_u32_e32 vcc, 7, v81
	s_and_saveexec_b64 s[2:3], vcc
	s_cbranch_execz .LBB70_126
; %bb.123:
	v_cmp_ne_u32_e32 vcc, 7, v78
	s_xor_b64 s[14:15], s[6:7], -1
	s_and_b64 s[16:17], s[14:15], vcc
	s_and_saveexec_b64 s[14:15], s[16:17]
	s_cbranch_execz .LBB70_125
; %bb.124:
	v_ashrrev_i32_e32 v79, 31, v78
	v_lshlrev_b64 v[86:87], 2, v[78:79]
	v_add_co_u32_e32 v86, vcc, v4, v86
	v_addc_co_u32_e32 v87, vcc, v5, v87, vcc
	flat_load_dword v79, v[86:87]
	flat_load_dword v81, v[4:5] offset:28
	s_waitcnt vmcnt(0) lgkmcnt(0)
	flat_store_dword v[4:5], v79 offset:28
	flat_store_dword v[86:87], v81
.LBB70_125:
	s_or_b64 exec, exec, s[14:15]
	v_mov_b32_e32 v79, v78
	v_mov_b32_e32 v81, v78
.LBB70_126:
	s_or_b64 exec, exec, s[2:3]
.LBB70_127:
	s_andn2_saveexec_b64 s[0:1], s[0:1]
	s_cbranch_execz .LBB70_129
; %bb.128:
	v_mov_b32_e32 v86, v56
	v_mov_b32_e32 v87, v57
	v_mov_b32_e32 v88, v54
	v_mov_b32_e32 v89, v55
	ds_write2_b64 v80, v[86:87], v[88:89] offset0:8 offset1:9
	v_mov_b32_e32 v86, v52
	v_mov_b32_e32 v87, v53
	v_mov_b32_e32 v88, v50
	v_mov_b32_e32 v89, v51
	ds_write2_b64 v80, v[86:87], v[88:89] offset0:10 offset1:11
	;; [unrolled: 5-line block ×13, first 2 shown]
	v_mov_b32_e32 v86, v0
	v_mov_b32_e32 v87, v1
	;; [unrolled: 1-line block ×3, first 2 shown]
	ds_write2_b64 v80, v[86:87], v[74:75] offset0:34 offset1:35
.LBB70_129:
	s_or_b64 exec, exec, s[0:1]
	v_cmp_lt_i32_e32 vcc, 7, v81
	s_waitcnt lgkmcnt(0)
	s_barrier
	s_and_saveexec_b64 s[0:1], vcc
	s_cbranch_execz .LBB70_131
; %bb.130:
	ds_read2_b64 v[86:89], v80 offset0:8 offset1:9
	ds_read2_b64 v[90:93], v80 offset0:10 offset1:11
	v_mul_f64 v[58:59], v[76:77], v[58:59]
	ds_read2_b64 v[94:97], v80 offset0:12 offset1:13
	s_waitcnt lgkmcnt(0)
	v_fma_f64 v[56:57], -v[58:59], v[86:87], v[56:57]
	v_fma_f64 v[54:55], -v[58:59], v[88:89], v[54:55]
	ds_read2_b64 v[86:89], v80 offset0:14 offset1:15
	v_fma_f64 v[52:53], -v[58:59], v[90:91], v[52:53]
	v_fma_f64 v[50:51], -v[58:59], v[92:93], v[50:51]
	ds_read2_b64 v[90:93], v80 offset0:16 offset1:17
	;; [unrolled: 3-line block ×3, first 2 shown]
	s_waitcnt lgkmcnt(0)
	v_fma_f64 v[42:43], -v[58:59], v[86:87], v[42:43]
	v_fma_f64 v[44:45], -v[58:59], v[88:89], v[44:45]
	;; [unrolled: 1-line block ×3, first 2 shown]
	ds_read2_b64 v[86:89], v80 offset0:20 offset1:21
	v_fma_f64 v[38:39], -v[58:59], v[92:93], v[38:39]
	ds_read2_b64 v[90:93], v80 offset0:22 offset1:23
	v_fma_f64 v[36:37], -v[58:59], v[94:95], v[36:37]
	v_fma_f64 v[34:35], -v[58:59], v[96:97], v[34:35]
	s_waitcnt lgkmcnt(0)
	v_fma_f64 v[32:33], -v[58:59], v[86:87], v[32:33]
	ds_read2_b64 v[94:97], v80 offset0:24 offset1:25
	v_fma_f64 v[30:31], -v[58:59], v[88:89], v[30:31]
	ds_read2_b64 v[86:89], v80 offset0:26 offset1:27
	v_fma_f64 v[28:29], -v[58:59], v[90:91], v[28:29]
	v_fma_f64 v[26:27], -v[58:59], v[92:93], v[26:27]
	ds_read2_b64 v[90:93], v80 offset0:28 offset1:29
	s_waitcnt lgkmcnt(0)
	v_fma_f64 v[24:25], -v[58:59], v[94:95], v[24:25]
	v_fma_f64 v[22:23], -v[58:59], v[96:97], v[22:23]
	;; [unrolled: 1-line block ×4, first 2 shown]
	ds_read2_b64 v[86:89], v80 offset0:30 offset1:31
	v_fma_f64 v[16:17], -v[58:59], v[90:91], v[16:17]
	ds_read2_b64 v[94:97], v80 offset0:32 offset1:33
	v_fma_f64 v[12:13], -v[58:59], v[92:93], v[12:13]
	ds_read2_b64 v[90:93], v80 offset0:34 offset1:35
	s_waitcnt lgkmcnt(0)
	v_fma_f64 v[14:15], -v[58:59], v[86:87], v[14:15]
	v_fma_f64 v[10:11], -v[58:59], v[88:89], v[10:11]
	;; [unrolled: 1-line block ×6, first 2 shown]
.LBB70_131:
	s_or_b64 exec, exec, s[0:1]
	v_lshl_add_u32 v76, v81, 3, v80
	s_barrier
	ds_write_b64 v76, v[56:57]
	s_waitcnt lgkmcnt(0)
	s_barrier
	ds_read_b64 v[76:77], v80 offset:64
	s_cmp_lt_i32 s18, 10
	v_mov_b32_e32 v78, 8
	s_cbranch_scc1 .LBB70_134
; %bb.132:
	v_add_u32_e32 v85, 0x48, v80
	s_mov_b32 s0, 9
	v_mov_b32_e32 v78, 8
.LBB70_133:                             ; =>This Inner Loop Header: Depth=1
	ds_read_b64 v[86:87], v85
	v_mov_b32_e32 v88, s0
	s_add_i32 s0, s0, 1
	v_add_u32_e32 v85, 8, v85
	s_cmp_lg_u32 s18, s0
	s_waitcnt lgkmcnt(0)
	v_cmp_lt_f64_e64 vcc, |v[76:77]|, |v[86:87]|
	v_cndmask_b32_e32 v77, v77, v87, vcc
	v_cndmask_b32_e32 v76, v76, v86, vcc
	;; [unrolled: 1-line block ×3, first 2 shown]
	s_cbranch_scc1 .LBB70_133
.LBB70_134:
	s_waitcnt lgkmcnt(0)
	v_cmp_eq_f64_e32 vcc, 0, v[76:77]
	s_and_saveexec_b64 s[0:1], vcc
	s_xor_b64 s[0:1], exec, s[0:1]
; %bb.135:
	v_cmp_ne_u32_e32 vcc, 0, v84
	v_cndmask_b32_e32 v84, 9, v84, vcc
; %bb.136:
	s_andn2_saveexec_b64 s[0:1], s[0:1]
; %bb.137:
	v_div_scale_f64 v[86:87], s[2:3], v[76:77], v[76:77], 1.0
	v_rcp_f64_e32 v[88:89], v[86:87]
	v_div_scale_f64 v[90:91], vcc, 1.0, v[76:77], 1.0
	v_fma_f64 v[92:93], -v[86:87], v[88:89], 1.0
	v_fmac_f64_e32 v[88:89], v[88:89], v[92:93]
	v_fma_f64 v[92:93], -v[86:87], v[88:89], 1.0
	v_fmac_f64_e32 v[88:89], v[88:89], v[92:93]
	v_mul_f64 v[92:93], v[90:91], v[88:89]
	v_fma_f64 v[86:87], -v[86:87], v[92:93], v[90:91]
	v_div_fmas_f64 v[86:87], v[86:87], v[88:89], v[92:93]
	v_div_fixup_f64 v[76:77], v[86:87], v[76:77], 1.0
; %bb.138:
	s_or_b64 exec, exec, s[0:1]
	v_cmp_ne_u32_e32 vcc, v81, v78
	s_and_saveexec_b64 s[0:1], vcc
	s_xor_b64 s[0:1], exec, s[0:1]
	s_cbranch_execz .LBB70_144
; %bb.139:
	v_cmp_eq_u32_e32 vcc, 8, v81
	s_and_saveexec_b64 s[2:3], vcc
	s_cbranch_execz .LBB70_143
; %bb.140:
	v_cmp_ne_u32_e32 vcc, 8, v78
	s_xor_b64 s[14:15], s[6:7], -1
	s_and_b64 s[16:17], s[14:15], vcc
	s_and_saveexec_b64 s[14:15], s[16:17]
	s_cbranch_execz .LBB70_142
; %bb.141:
	v_ashrrev_i32_e32 v79, 31, v78
	v_lshlrev_b64 v[86:87], 2, v[78:79]
	v_add_co_u32_e32 v86, vcc, v4, v86
	v_addc_co_u32_e32 v87, vcc, v5, v87, vcc
	flat_load_dword v79, v[86:87]
	flat_load_dword v81, v[4:5] offset:32
	s_waitcnt vmcnt(0) lgkmcnt(0)
	flat_store_dword v[4:5], v79 offset:32
	flat_store_dword v[86:87], v81
.LBB70_142:
	s_or_b64 exec, exec, s[14:15]
	v_mov_b32_e32 v79, v78
	v_mov_b32_e32 v81, v78
.LBB70_143:
	s_or_b64 exec, exec, s[2:3]
.LBB70_144:
	s_andn2_saveexec_b64 s[0:1], s[0:1]
	s_cbranch_execz .LBB70_146
; %bb.145:
	v_mov_b32_e32 v81, 8
	ds_write2_b64 v80, v[54:55], v[52:53] offset0:9 offset1:10
	ds_write2_b64 v80, v[50:51], v[48:49] offset0:11 offset1:12
	;; [unrolled: 1-line block ×13, first 2 shown]
	ds_write_b64 v80, v[74:75] offset:280
.LBB70_146:
	s_or_b64 exec, exec, s[0:1]
	v_cmp_lt_i32_e32 vcc, 8, v81
	s_waitcnt lgkmcnt(0)
	s_barrier
	s_and_saveexec_b64 s[0:1], vcc
	s_cbranch_execz .LBB70_148
; %bb.147:
	ds_read2_b64 v[86:89], v80 offset0:9 offset1:10
	ds_read2_b64 v[90:93], v80 offset0:11 offset1:12
	v_mul_f64 v[56:57], v[76:77], v[56:57]
	ds_read2_b64 v[94:97], v80 offset0:13 offset1:14
	ds_read_b64 v[76:77], v80 offset:280
	s_waitcnt lgkmcnt(0)
	v_fma_f64 v[54:55], -v[56:57], v[86:87], v[54:55]
	v_fma_f64 v[52:53], -v[56:57], v[88:89], v[52:53]
	ds_read2_b64 v[86:89], v80 offset0:15 offset1:16
	v_fma_f64 v[50:51], -v[56:57], v[90:91], v[50:51]
	v_fma_f64 v[48:49], -v[56:57], v[92:93], v[48:49]
	;; [unrolled: 1-line block ×3, first 2 shown]
	ds_read2_b64 v[90:93], v80 offset0:17 offset1:18
	v_fma_f64 v[42:43], -v[56:57], v[96:97], v[42:43]
	ds_read2_b64 v[94:97], v80 offset0:19 offset1:20
	s_waitcnt lgkmcnt(0)
	v_fma_f64 v[44:45], -v[56:57], v[86:87], v[44:45]
	v_fma_f64 v[40:41], -v[56:57], v[88:89], v[40:41]
	ds_read2_b64 v[86:89], v80 offset0:21 offset1:22
	v_fma_f64 v[38:39], -v[56:57], v[90:91], v[38:39]
	v_fma_f64 v[36:37], -v[56:57], v[92:93], v[36:37]
	ds_read2_b64 v[90:93], v80 offset0:23 offset1:24
	v_fma_f64 v[34:35], -v[56:57], v[94:95], v[34:35]
	v_fma_f64 v[32:33], -v[56:57], v[96:97], v[32:33]
	s_waitcnt lgkmcnt(0)
	v_fma_f64 v[30:31], -v[56:57], v[86:87], v[30:31]
	ds_read2_b64 v[94:97], v80 offset0:25 offset1:26
	v_fma_f64 v[28:29], -v[56:57], v[88:89], v[28:29]
	ds_read2_b64 v[86:89], v80 offset0:27 offset1:28
	v_fma_f64 v[26:27], -v[56:57], v[90:91], v[26:27]
	v_fma_f64 v[24:25], -v[56:57], v[92:93], v[24:25]
	s_waitcnt lgkmcnt(0)
	v_fma_f64 v[22:23], -v[56:57], v[94:95], v[22:23]
	ds_read2_b64 v[90:93], v80 offset0:29 offset1:30
	v_fma_f64 v[20:21], -v[56:57], v[96:97], v[20:21]
	v_fma_f64 v[18:19], -v[56:57], v[86:87], v[18:19]
	;; [unrolled: 1-line block ×3, first 2 shown]
	ds_read2_b64 v[86:89], v80 offset0:31 offset1:32
	ds_read2_b64 v[94:97], v80 offset0:33 offset1:34
	s_waitcnt lgkmcnt(0)
	v_fma_f64 v[12:13], -v[56:57], v[90:91], v[12:13]
	v_fma_f64 v[14:15], -v[56:57], v[92:93], v[14:15]
	;; [unrolled: 1-line block ×7, first 2 shown]
.LBB70_148:
	s_or_b64 exec, exec, s[0:1]
	v_lshl_add_u32 v76, v81, 3, v80
	s_barrier
	ds_write_b64 v76, v[54:55]
	s_waitcnt lgkmcnt(0)
	s_barrier
	ds_read_b64 v[76:77], v80 offset:72
	s_cmp_lt_i32 s18, 11
	v_mov_b32_e32 v78, 9
	s_cbranch_scc1 .LBB70_151
; %bb.149:
	v_add_u32_e32 v85, 0x50, v80
	s_mov_b32 s0, 10
	v_mov_b32_e32 v78, 9
.LBB70_150:                             ; =>This Inner Loop Header: Depth=1
	ds_read_b64 v[86:87], v85
	v_mov_b32_e32 v88, s0
	s_add_i32 s0, s0, 1
	v_add_u32_e32 v85, 8, v85
	s_cmp_lg_u32 s18, s0
	s_waitcnt lgkmcnt(0)
	v_cmp_lt_f64_e64 vcc, |v[76:77]|, |v[86:87]|
	v_cndmask_b32_e32 v77, v77, v87, vcc
	v_cndmask_b32_e32 v76, v76, v86, vcc
	;; [unrolled: 1-line block ×3, first 2 shown]
	s_cbranch_scc1 .LBB70_150
.LBB70_151:
	s_waitcnt lgkmcnt(0)
	v_cmp_eq_f64_e32 vcc, 0, v[76:77]
	s_and_saveexec_b64 s[0:1], vcc
	s_xor_b64 s[0:1], exec, s[0:1]
; %bb.152:
	v_cmp_ne_u32_e32 vcc, 0, v84
	v_cndmask_b32_e32 v84, 10, v84, vcc
; %bb.153:
	s_andn2_saveexec_b64 s[0:1], s[0:1]
; %bb.154:
	v_div_scale_f64 v[86:87], s[2:3], v[76:77], v[76:77], 1.0
	v_rcp_f64_e32 v[88:89], v[86:87]
	v_div_scale_f64 v[90:91], vcc, 1.0, v[76:77], 1.0
	v_fma_f64 v[92:93], -v[86:87], v[88:89], 1.0
	v_fmac_f64_e32 v[88:89], v[88:89], v[92:93]
	v_fma_f64 v[92:93], -v[86:87], v[88:89], 1.0
	v_fmac_f64_e32 v[88:89], v[88:89], v[92:93]
	v_mul_f64 v[92:93], v[90:91], v[88:89]
	v_fma_f64 v[86:87], -v[86:87], v[92:93], v[90:91]
	v_div_fmas_f64 v[86:87], v[86:87], v[88:89], v[92:93]
	v_div_fixup_f64 v[76:77], v[86:87], v[76:77], 1.0
; %bb.155:
	s_or_b64 exec, exec, s[0:1]
	v_cmp_ne_u32_e32 vcc, v81, v78
	s_and_saveexec_b64 s[0:1], vcc
	s_xor_b64 s[0:1], exec, s[0:1]
	s_cbranch_execz .LBB70_161
; %bb.156:
	v_cmp_eq_u32_e32 vcc, 9, v81
	s_and_saveexec_b64 s[2:3], vcc
	s_cbranch_execz .LBB70_160
; %bb.157:
	v_cmp_ne_u32_e32 vcc, 9, v78
	s_xor_b64 s[14:15], s[6:7], -1
	s_and_b64 s[16:17], s[14:15], vcc
	s_and_saveexec_b64 s[14:15], s[16:17]
	s_cbranch_execz .LBB70_159
; %bb.158:
	v_ashrrev_i32_e32 v79, 31, v78
	v_lshlrev_b64 v[86:87], 2, v[78:79]
	v_add_co_u32_e32 v86, vcc, v4, v86
	v_addc_co_u32_e32 v87, vcc, v5, v87, vcc
	flat_load_dword v79, v[86:87]
	flat_load_dword v81, v[4:5] offset:36
	s_waitcnt vmcnt(0) lgkmcnt(0)
	flat_store_dword v[4:5], v79 offset:36
	flat_store_dword v[86:87], v81
.LBB70_159:
	s_or_b64 exec, exec, s[14:15]
	v_mov_b32_e32 v79, v78
	v_mov_b32_e32 v81, v78
.LBB70_160:
	s_or_b64 exec, exec, s[2:3]
.LBB70_161:
	s_andn2_saveexec_b64 s[0:1], s[0:1]
	s_cbranch_execz .LBB70_163
; %bb.162:
	v_mov_b32_e32 v86, v52
	v_mov_b32_e32 v87, v53
	v_mov_b32_e32 v88, v50
	v_mov_b32_e32 v89, v51
	ds_write2_b64 v80, v[86:87], v[88:89] offset0:10 offset1:11
	v_mov_b32_e32 v86, v48
	v_mov_b32_e32 v87, v49
	v_mov_b32_e32 v88, v46
	v_mov_b32_e32 v89, v47
	ds_write2_b64 v80, v[86:87], v[88:89] offset0:12 offset1:13
	;; [unrolled: 5-line block ×12, first 2 shown]
	v_mov_b32_e32 v86, v0
	v_mov_b32_e32 v87, v1
	v_mov_b32_e32 v81, 9
	ds_write2_b64 v80, v[86:87], v[74:75] offset0:34 offset1:35
.LBB70_163:
	s_or_b64 exec, exec, s[0:1]
	v_cmp_lt_i32_e32 vcc, 9, v81
	s_waitcnt lgkmcnt(0)
	s_barrier
	s_and_saveexec_b64 s[0:1], vcc
	s_cbranch_execz .LBB70_165
; %bb.164:
	ds_read2_b64 v[86:89], v80 offset0:10 offset1:11
	ds_read2_b64 v[90:93], v80 offset0:12 offset1:13
	v_mul_f64 v[54:55], v[76:77], v[54:55]
	ds_read2_b64 v[94:97], v80 offset0:14 offset1:15
	s_waitcnt lgkmcnt(0)
	v_fma_f64 v[52:53], -v[54:55], v[86:87], v[52:53]
	v_fma_f64 v[50:51], -v[54:55], v[88:89], v[50:51]
	ds_read2_b64 v[86:89], v80 offset0:16 offset1:17
	v_fma_f64 v[48:49], -v[54:55], v[90:91], v[48:49]
	v_fma_f64 v[46:47], -v[54:55], v[92:93], v[46:47]
	;; [unrolled: 1-line block ×3, first 2 shown]
	ds_read2_b64 v[90:93], v80 offset0:18 offset1:19
	v_fma_f64 v[44:45], -v[54:55], v[96:97], v[44:45]
	ds_read2_b64 v[94:97], v80 offset0:20 offset1:21
	s_waitcnt lgkmcnt(0)
	v_fma_f64 v[40:41], -v[54:55], v[86:87], v[40:41]
	v_fma_f64 v[38:39], -v[54:55], v[88:89], v[38:39]
	ds_read2_b64 v[86:89], v80 offset0:22 offset1:23
	v_fma_f64 v[36:37], -v[54:55], v[90:91], v[36:37]
	v_fma_f64 v[34:35], -v[54:55], v[92:93], v[34:35]
	ds_read2_b64 v[90:93], v80 offset0:24 offset1:25
	v_fma_f64 v[32:33], -v[54:55], v[94:95], v[32:33]
	v_fma_f64 v[30:31], -v[54:55], v[96:97], v[30:31]
	s_waitcnt lgkmcnt(0)
	v_fma_f64 v[28:29], -v[54:55], v[86:87], v[28:29]
	ds_read2_b64 v[94:97], v80 offset0:26 offset1:27
	v_fma_f64 v[26:27], -v[54:55], v[88:89], v[26:27]
	ds_read2_b64 v[86:89], v80 offset0:28 offset1:29
	v_fma_f64 v[24:25], -v[54:55], v[90:91], v[24:25]
	v_fma_f64 v[22:23], -v[54:55], v[92:93], v[22:23]
	s_waitcnt lgkmcnt(0)
	v_fma_f64 v[20:21], -v[54:55], v[94:95], v[20:21]
	v_fma_f64 v[18:19], -v[54:55], v[96:97], v[18:19]
	ds_read2_b64 v[90:93], v80 offset0:30 offset1:31
	ds_read2_b64 v[94:97], v80 offset0:32 offset1:33
	v_fma_f64 v[16:17], -v[54:55], v[86:87], v[16:17]
	v_fma_f64 v[12:13], -v[54:55], v[88:89], v[12:13]
	ds_read2_b64 v[86:89], v80 offset0:34 offset1:35
	s_waitcnt lgkmcnt(0)
	v_fma_f64 v[14:15], -v[54:55], v[90:91], v[14:15]
	v_fma_f64 v[10:11], -v[54:55], v[92:93], v[10:11]
	v_fma_f64 v[8:9], -v[54:55], v[94:95], v[8:9]
	v_fma_f64 v[6:7], -v[54:55], v[96:97], v[6:7]
	v_fma_f64 v[0:1], -v[54:55], v[86:87], v[0:1]
	v_fma_f64 v[74:75], -v[54:55], v[88:89], v[74:75]
.LBB70_165:
	s_or_b64 exec, exec, s[0:1]
	v_lshl_add_u32 v76, v81, 3, v80
	s_barrier
	ds_write_b64 v76, v[52:53]
	s_waitcnt lgkmcnt(0)
	s_barrier
	ds_read_b64 v[76:77], v80 offset:80
	s_cmp_lt_i32 s18, 12
	v_mov_b32_e32 v78, 10
	s_cbranch_scc1 .LBB70_168
; %bb.166:
	v_add_u32_e32 v85, 0x58, v80
	s_mov_b32 s0, 11
	v_mov_b32_e32 v78, 10
.LBB70_167:                             ; =>This Inner Loop Header: Depth=1
	ds_read_b64 v[86:87], v85
	v_mov_b32_e32 v88, s0
	s_add_i32 s0, s0, 1
	v_add_u32_e32 v85, 8, v85
	s_cmp_lg_u32 s18, s0
	s_waitcnt lgkmcnt(0)
	v_cmp_lt_f64_e64 vcc, |v[76:77]|, |v[86:87]|
	v_cndmask_b32_e32 v77, v77, v87, vcc
	v_cndmask_b32_e32 v76, v76, v86, vcc
	;; [unrolled: 1-line block ×3, first 2 shown]
	s_cbranch_scc1 .LBB70_167
.LBB70_168:
	s_waitcnt lgkmcnt(0)
	v_cmp_eq_f64_e32 vcc, 0, v[76:77]
	s_and_saveexec_b64 s[0:1], vcc
	s_xor_b64 s[0:1], exec, s[0:1]
; %bb.169:
	v_cmp_ne_u32_e32 vcc, 0, v84
	v_cndmask_b32_e32 v84, 11, v84, vcc
; %bb.170:
	s_andn2_saveexec_b64 s[0:1], s[0:1]
; %bb.171:
	v_div_scale_f64 v[86:87], s[2:3], v[76:77], v[76:77], 1.0
	v_rcp_f64_e32 v[88:89], v[86:87]
	v_div_scale_f64 v[90:91], vcc, 1.0, v[76:77], 1.0
	v_fma_f64 v[92:93], -v[86:87], v[88:89], 1.0
	v_fmac_f64_e32 v[88:89], v[88:89], v[92:93]
	v_fma_f64 v[92:93], -v[86:87], v[88:89], 1.0
	v_fmac_f64_e32 v[88:89], v[88:89], v[92:93]
	v_mul_f64 v[92:93], v[90:91], v[88:89]
	v_fma_f64 v[86:87], -v[86:87], v[92:93], v[90:91]
	v_div_fmas_f64 v[86:87], v[86:87], v[88:89], v[92:93]
	v_div_fixup_f64 v[76:77], v[86:87], v[76:77], 1.0
; %bb.172:
	s_or_b64 exec, exec, s[0:1]
	v_cmp_ne_u32_e32 vcc, v81, v78
	s_and_saveexec_b64 s[0:1], vcc
	s_xor_b64 s[0:1], exec, s[0:1]
	s_cbranch_execz .LBB70_178
; %bb.173:
	v_cmp_eq_u32_e32 vcc, 10, v81
	s_and_saveexec_b64 s[2:3], vcc
	s_cbranch_execz .LBB70_177
; %bb.174:
	v_cmp_ne_u32_e32 vcc, 10, v78
	s_xor_b64 s[14:15], s[6:7], -1
	s_and_b64 s[16:17], s[14:15], vcc
	s_and_saveexec_b64 s[14:15], s[16:17]
	s_cbranch_execz .LBB70_176
; %bb.175:
	v_ashrrev_i32_e32 v79, 31, v78
	v_lshlrev_b64 v[86:87], 2, v[78:79]
	v_add_co_u32_e32 v86, vcc, v4, v86
	v_addc_co_u32_e32 v87, vcc, v5, v87, vcc
	flat_load_dword v79, v[86:87]
	flat_load_dword v81, v[4:5] offset:40
	s_waitcnt vmcnt(0) lgkmcnt(0)
	flat_store_dword v[4:5], v79 offset:40
	flat_store_dword v[86:87], v81
.LBB70_176:
	s_or_b64 exec, exec, s[14:15]
	v_mov_b32_e32 v79, v78
	v_mov_b32_e32 v81, v78
.LBB70_177:
	s_or_b64 exec, exec, s[2:3]
.LBB70_178:
	s_andn2_saveexec_b64 s[0:1], s[0:1]
	s_cbranch_execz .LBB70_180
; %bb.179:
	v_mov_b32_e32 v81, 10
	ds_write2_b64 v80, v[50:51], v[48:49] offset0:11 offset1:12
	ds_write2_b64 v80, v[46:47], v[42:43] offset0:13 offset1:14
	;; [unrolled: 1-line block ×12, first 2 shown]
	ds_write_b64 v80, v[74:75] offset:280
.LBB70_180:
	s_or_b64 exec, exec, s[0:1]
	v_cmp_lt_i32_e32 vcc, 10, v81
	s_waitcnt lgkmcnt(0)
	s_barrier
	s_and_saveexec_b64 s[0:1], vcc
	s_cbranch_execz .LBB70_182
; %bb.181:
	ds_read2_b64 v[86:89], v80 offset0:11 offset1:12
	ds_read2_b64 v[90:93], v80 offset0:13 offset1:14
	;; [unrolled: 1-line block ×3, first 2 shown]
	v_mul_f64 v[52:53], v[76:77], v[52:53]
	ds_read_b64 v[76:77], v80 offset:280
	s_waitcnt lgkmcnt(0)
	v_fma_f64 v[50:51], -v[52:53], v[86:87], v[50:51]
	v_fma_f64 v[48:49], -v[52:53], v[88:89], v[48:49]
	ds_read2_b64 v[86:89], v80 offset0:17 offset1:18
	v_fma_f64 v[46:47], -v[52:53], v[90:91], v[46:47]
	v_fma_f64 v[42:43], -v[52:53], v[92:93], v[42:43]
	;; [unrolled: 1-line block ×3, first 2 shown]
	ds_read2_b64 v[90:93], v80 offset0:19 offset1:20
	v_fma_f64 v[40:41], -v[52:53], v[96:97], v[40:41]
	ds_read2_b64 v[94:97], v80 offset0:21 offset1:22
	s_waitcnt lgkmcnt(0)
	v_fma_f64 v[38:39], -v[52:53], v[86:87], v[38:39]
	v_fma_f64 v[36:37], -v[52:53], v[88:89], v[36:37]
	;; [unrolled: 1-line block ×3, first 2 shown]
	ds_read2_b64 v[86:89], v80 offset0:23 offset1:24
	v_fma_f64 v[32:33], -v[52:53], v[92:93], v[32:33]
	ds_read2_b64 v[90:93], v80 offset0:25 offset1:26
	v_fma_f64 v[30:31], -v[52:53], v[94:95], v[30:31]
	v_fma_f64 v[28:29], -v[52:53], v[96:97], v[28:29]
	ds_read2_b64 v[94:97], v80 offset0:27 offset1:28
	s_waitcnt lgkmcnt(0)
	v_fma_f64 v[26:27], -v[52:53], v[86:87], v[26:27]
	v_fma_f64 v[24:25], -v[52:53], v[88:89], v[24:25]
	ds_read2_b64 v[86:89], v80 offset0:29 offset1:30
	v_fma_f64 v[22:23], -v[52:53], v[90:91], v[22:23]
	v_fma_f64 v[20:21], -v[52:53], v[92:93], v[20:21]
	;; [unrolled: 1-line block ×4, first 2 shown]
	ds_read2_b64 v[90:93], v80 offset0:31 offset1:32
	ds_read2_b64 v[94:97], v80 offset0:33 offset1:34
	s_waitcnt lgkmcnt(0)
	v_fma_f64 v[12:13], -v[52:53], v[86:87], v[12:13]
	v_fma_f64 v[14:15], -v[52:53], v[88:89], v[14:15]
	;; [unrolled: 1-line block ×7, first 2 shown]
.LBB70_182:
	s_or_b64 exec, exec, s[0:1]
	v_lshl_add_u32 v76, v81, 3, v80
	s_barrier
	ds_write_b64 v76, v[50:51]
	s_waitcnt lgkmcnt(0)
	s_barrier
	ds_read_b64 v[76:77], v80 offset:88
	s_cmp_lt_i32 s18, 13
	v_mov_b32_e32 v78, 11
	s_cbranch_scc1 .LBB70_185
; %bb.183:
	v_add_u32_e32 v85, 0x60, v80
	s_mov_b32 s0, 12
	v_mov_b32_e32 v78, 11
.LBB70_184:                             ; =>This Inner Loop Header: Depth=1
	ds_read_b64 v[86:87], v85
	v_mov_b32_e32 v88, s0
	s_add_i32 s0, s0, 1
	v_add_u32_e32 v85, 8, v85
	s_cmp_lg_u32 s18, s0
	s_waitcnt lgkmcnt(0)
	v_cmp_lt_f64_e64 vcc, |v[76:77]|, |v[86:87]|
	v_cndmask_b32_e32 v77, v77, v87, vcc
	v_cndmask_b32_e32 v76, v76, v86, vcc
	;; [unrolled: 1-line block ×3, first 2 shown]
	s_cbranch_scc1 .LBB70_184
.LBB70_185:
	s_waitcnt lgkmcnt(0)
	v_cmp_eq_f64_e32 vcc, 0, v[76:77]
	s_and_saveexec_b64 s[0:1], vcc
	s_xor_b64 s[0:1], exec, s[0:1]
; %bb.186:
	v_cmp_ne_u32_e32 vcc, 0, v84
	v_cndmask_b32_e32 v84, 12, v84, vcc
; %bb.187:
	s_andn2_saveexec_b64 s[0:1], s[0:1]
; %bb.188:
	v_div_scale_f64 v[86:87], s[2:3], v[76:77], v[76:77], 1.0
	v_rcp_f64_e32 v[88:89], v[86:87]
	v_div_scale_f64 v[90:91], vcc, 1.0, v[76:77], 1.0
	v_fma_f64 v[92:93], -v[86:87], v[88:89], 1.0
	v_fmac_f64_e32 v[88:89], v[88:89], v[92:93]
	v_fma_f64 v[92:93], -v[86:87], v[88:89], 1.0
	v_fmac_f64_e32 v[88:89], v[88:89], v[92:93]
	v_mul_f64 v[92:93], v[90:91], v[88:89]
	v_fma_f64 v[86:87], -v[86:87], v[92:93], v[90:91]
	v_div_fmas_f64 v[86:87], v[86:87], v[88:89], v[92:93]
	v_div_fixup_f64 v[76:77], v[86:87], v[76:77], 1.0
; %bb.189:
	s_or_b64 exec, exec, s[0:1]
	v_cmp_ne_u32_e32 vcc, v81, v78
	s_and_saveexec_b64 s[0:1], vcc
	s_xor_b64 s[0:1], exec, s[0:1]
	s_cbranch_execz .LBB70_195
; %bb.190:
	v_cmp_eq_u32_e32 vcc, 11, v81
	s_and_saveexec_b64 s[2:3], vcc
	s_cbranch_execz .LBB70_194
; %bb.191:
	v_cmp_ne_u32_e32 vcc, 11, v78
	s_xor_b64 s[14:15], s[6:7], -1
	s_and_b64 s[16:17], s[14:15], vcc
	s_and_saveexec_b64 s[14:15], s[16:17]
	s_cbranch_execz .LBB70_193
; %bb.192:
	v_ashrrev_i32_e32 v79, 31, v78
	v_lshlrev_b64 v[86:87], 2, v[78:79]
	v_add_co_u32_e32 v86, vcc, v4, v86
	v_addc_co_u32_e32 v87, vcc, v5, v87, vcc
	flat_load_dword v79, v[86:87]
	flat_load_dword v81, v[4:5] offset:44
	s_waitcnt vmcnt(0) lgkmcnt(0)
	flat_store_dword v[4:5], v79 offset:44
	flat_store_dword v[86:87], v81
.LBB70_193:
	s_or_b64 exec, exec, s[14:15]
	v_mov_b32_e32 v79, v78
	v_mov_b32_e32 v81, v78
.LBB70_194:
	s_or_b64 exec, exec, s[2:3]
.LBB70_195:
	s_andn2_saveexec_b64 s[0:1], s[0:1]
	s_cbranch_execz .LBB70_197
; %bb.196:
	v_mov_b32_e32 v86, v48
	v_mov_b32_e32 v87, v49
	v_mov_b32_e32 v88, v46
	v_mov_b32_e32 v89, v47
	ds_write2_b64 v80, v[86:87], v[88:89] offset0:12 offset1:13
	v_mov_b32_e32 v86, v42
	v_mov_b32_e32 v87, v43
	v_mov_b32_e32 v88, v44
	v_mov_b32_e32 v89, v45
	ds_write2_b64 v80, v[86:87], v[88:89] offset0:14 offset1:15
	;; [unrolled: 5-line block ×11, first 2 shown]
	v_mov_b32_e32 v86, v0
	v_mov_b32_e32 v87, v1
	;; [unrolled: 1-line block ×3, first 2 shown]
	ds_write2_b64 v80, v[86:87], v[74:75] offset0:34 offset1:35
.LBB70_197:
	s_or_b64 exec, exec, s[0:1]
	v_cmp_lt_i32_e32 vcc, 11, v81
	s_waitcnt lgkmcnt(0)
	s_barrier
	s_and_saveexec_b64 s[0:1], vcc
	s_cbranch_execz .LBB70_199
; %bb.198:
	ds_read2_b64 v[86:89], v80 offset0:12 offset1:13
	ds_read2_b64 v[90:93], v80 offset0:14 offset1:15
	;; [unrolled: 1-line block ×3, first 2 shown]
	v_mul_f64 v[50:51], v[76:77], v[50:51]
	s_waitcnt lgkmcnt(0)
	v_fma_f64 v[48:49], -v[50:51], v[86:87], v[48:49]
	v_fma_f64 v[46:47], -v[50:51], v[88:89], v[46:47]
	ds_read2_b64 v[86:89], v80 offset0:18 offset1:19
	v_fma_f64 v[42:43], -v[50:51], v[90:91], v[42:43]
	v_fma_f64 v[44:45], -v[50:51], v[92:93], v[44:45]
	;; [unrolled: 1-line block ×3, first 2 shown]
	ds_read2_b64 v[90:93], v80 offset0:20 offset1:21
	v_fma_f64 v[38:39], -v[50:51], v[96:97], v[38:39]
	ds_read2_b64 v[94:97], v80 offset0:22 offset1:23
	s_waitcnt lgkmcnt(0)
	v_fma_f64 v[36:37], -v[50:51], v[86:87], v[36:37]
	v_fma_f64 v[34:35], -v[50:51], v[88:89], v[34:35]
	;; [unrolled: 1-line block ×3, first 2 shown]
	ds_read2_b64 v[86:89], v80 offset0:24 offset1:25
	v_fma_f64 v[30:31], -v[50:51], v[92:93], v[30:31]
	ds_read2_b64 v[90:93], v80 offset0:26 offset1:27
	v_fma_f64 v[28:29], -v[50:51], v[94:95], v[28:29]
	v_fma_f64 v[26:27], -v[50:51], v[96:97], v[26:27]
	ds_read2_b64 v[94:97], v80 offset0:28 offset1:29
	s_waitcnt lgkmcnt(0)
	v_fma_f64 v[24:25], -v[50:51], v[86:87], v[24:25]
	v_fma_f64 v[22:23], -v[50:51], v[88:89], v[22:23]
	ds_read2_b64 v[86:89], v80 offset0:30 offset1:31
	v_fma_f64 v[20:21], -v[50:51], v[90:91], v[20:21]
	v_fma_f64 v[18:19], -v[50:51], v[92:93], v[18:19]
	;; [unrolled: 1-line block ×3, first 2 shown]
	ds_read2_b64 v[90:93], v80 offset0:32 offset1:33
	v_fma_f64 v[12:13], -v[50:51], v[96:97], v[12:13]
	ds_read2_b64 v[94:97], v80 offset0:34 offset1:35
	s_waitcnt lgkmcnt(0)
	v_fma_f64 v[14:15], -v[50:51], v[86:87], v[14:15]
	v_fma_f64 v[10:11], -v[50:51], v[88:89], v[10:11]
	;; [unrolled: 1-line block ×6, first 2 shown]
.LBB70_199:
	s_or_b64 exec, exec, s[0:1]
	v_lshl_add_u32 v76, v81, 3, v80
	s_barrier
	ds_write_b64 v76, v[48:49]
	s_waitcnt lgkmcnt(0)
	s_barrier
	ds_read_b64 v[76:77], v80 offset:96
	s_cmp_lt_i32 s18, 14
	v_mov_b32_e32 v78, 12
	s_cbranch_scc1 .LBB70_202
; %bb.200:
	v_add_u32_e32 v85, 0x68, v80
	s_mov_b32 s0, 13
	v_mov_b32_e32 v78, 12
.LBB70_201:                             ; =>This Inner Loop Header: Depth=1
	ds_read_b64 v[86:87], v85
	v_mov_b32_e32 v88, s0
	s_add_i32 s0, s0, 1
	v_add_u32_e32 v85, 8, v85
	s_cmp_lg_u32 s18, s0
	s_waitcnt lgkmcnt(0)
	v_cmp_lt_f64_e64 vcc, |v[76:77]|, |v[86:87]|
	v_cndmask_b32_e32 v77, v77, v87, vcc
	v_cndmask_b32_e32 v76, v76, v86, vcc
	;; [unrolled: 1-line block ×3, first 2 shown]
	s_cbranch_scc1 .LBB70_201
.LBB70_202:
	s_waitcnt lgkmcnt(0)
	v_cmp_eq_f64_e32 vcc, 0, v[76:77]
	s_and_saveexec_b64 s[0:1], vcc
	s_xor_b64 s[0:1], exec, s[0:1]
; %bb.203:
	v_cmp_ne_u32_e32 vcc, 0, v84
	v_cndmask_b32_e32 v84, 13, v84, vcc
; %bb.204:
	s_andn2_saveexec_b64 s[0:1], s[0:1]
; %bb.205:
	v_div_scale_f64 v[86:87], s[2:3], v[76:77], v[76:77], 1.0
	v_rcp_f64_e32 v[88:89], v[86:87]
	v_div_scale_f64 v[90:91], vcc, 1.0, v[76:77], 1.0
	v_fma_f64 v[92:93], -v[86:87], v[88:89], 1.0
	v_fmac_f64_e32 v[88:89], v[88:89], v[92:93]
	v_fma_f64 v[92:93], -v[86:87], v[88:89], 1.0
	v_fmac_f64_e32 v[88:89], v[88:89], v[92:93]
	v_mul_f64 v[92:93], v[90:91], v[88:89]
	v_fma_f64 v[86:87], -v[86:87], v[92:93], v[90:91]
	v_div_fmas_f64 v[86:87], v[86:87], v[88:89], v[92:93]
	v_div_fixup_f64 v[76:77], v[86:87], v[76:77], 1.0
; %bb.206:
	s_or_b64 exec, exec, s[0:1]
	v_cmp_ne_u32_e32 vcc, v81, v78
	s_and_saveexec_b64 s[0:1], vcc
	s_xor_b64 s[0:1], exec, s[0:1]
	s_cbranch_execz .LBB70_212
; %bb.207:
	v_cmp_eq_u32_e32 vcc, 12, v81
	s_and_saveexec_b64 s[2:3], vcc
	s_cbranch_execz .LBB70_211
; %bb.208:
	v_cmp_ne_u32_e32 vcc, 12, v78
	s_xor_b64 s[14:15], s[6:7], -1
	s_and_b64 s[16:17], s[14:15], vcc
	s_and_saveexec_b64 s[14:15], s[16:17]
	s_cbranch_execz .LBB70_210
; %bb.209:
	v_ashrrev_i32_e32 v79, 31, v78
	v_lshlrev_b64 v[86:87], 2, v[78:79]
	v_add_co_u32_e32 v86, vcc, v4, v86
	v_addc_co_u32_e32 v87, vcc, v5, v87, vcc
	flat_load_dword v79, v[86:87]
	flat_load_dword v81, v[4:5] offset:48
	s_waitcnt vmcnt(0) lgkmcnt(0)
	flat_store_dword v[4:5], v79 offset:48
	flat_store_dword v[86:87], v81
.LBB70_210:
	s_or_b64 exec, exec, s[14:15]
	v_mov_b32_e32 v79, v78
	v_mov_b32_e32 v81, v78
.LBB70_211:
	s_or_b64 exec, exec, s[2:3]
.LBB70_212:
	s_andn2_saveexec_b64 s[0:1], s[0:1]
	s_cbranch_execz .LBB70_214
; %bb.213:
	v_mov_b32_e32 v81, 12
	ds_write2_b64 v80, v[46:47], v[42:43] offset0:13 offset1:14
	ds_write2_b64 v80, v[44:45], v[40:41] offset0:15 offset1:16
	;; [unrolled: 1-line block ×11, first 2 shown]
	ds_write_b64 v80, v[74:75] offset:280
.LBB70_214:
	s_or_b64 exec, exec, s[0:1]
	v_cmp_lt_i32_e32 vcc, 12, v81
	s_waitcnt lgkmcnt(0)
	s_barrier
	s_and_saveexec_b64 s[0:1], vcc
	s_cbranch_execz .LBB70_216
; %bb.215:
	ds_read2_b64 v[86:89], v80 offset0:13 offset1:14
	ds_read2_b64 v[90:93], v80 offset0:15 offset1:16
	v_mul_f64 v[48:49], v[76:77], v[48:49]
	ds_read2_b64 v[94:97], v80 offset0:17 offset1:18
	ds_read_b64 v[76:77], v80 offset:280
	s_waitcnt lgkmcnt(0)
	v_fma_f64 v[46:47], -v[48:49], v[86:87], v[46:47]
	v_fma_f64 v[42:43], -v[48:49], v[88:89], v[42:43]
	ds_read2_b64 v[86:89], v80 offset0:19 offset1:20
	v_fma_f64 v[44:45], -v[48:49], v[90:91], v[44:45]
	v_fma_f64 v[40:41], -v[48:49], v[92:93], v[40:41]
	ds_read2_b64 v[90:93], v80 offset0:21 offset1:22
	;; [unrolled: 3-line block ×3, first 2 shown]
	s_waitcnt lgkmcnt(0)
	v_fma_f64 v[34:35], -v[48:49], v[86:87], v[34:35]
	v_fma_f64 v[32:33], -v[48:49], v[88:89], v[32:33]
	;; [unrolled: 1-line block ×3, first 2 shown]
	ds_read2_b64 v[86:89], v80 offset0:25 offset1:26
	v_fma_f64 v[28:29], -v[48:49], v[92:93], v[28:29]
	ds_read2_b64 v[90:93], v80 offset0:27 offset1:28
	v_fma_f64 v[26:27], -v[48:49], v[94:95], v[26:27]
	v_fma_f64 v[24:25], -v[48:49], v[96:97], v[24:25]
	s_waitcnt lgkmcnt(0)
	v_fma_f64 v[22:23], -v[48:49], v[86:87], v[22:23]
	ds_read2_b64 v[94:97], v80 offset0:29 offset1:30
	v_fma_f64 v[20:21], -v[48:49], v[88:89], v[20:21]
	ds_read2_b64 v[86:89], v80 offset0:31 offset1:32
	v_fma_f64 v[18:19], -v[48:49], v[90:91], v[18:19]
	v_fma_f64 v[16:17], -v[48:49], v[92:93], v[16:17]
	ds_read2_b64 v[90:93], v80 offset0:33 offset1:34
	s_waitcnt lgkmcnt(0)
	v_fma_f64 v[12:13], -v[48:49], v[94:95], v[12:13]
	v_fma_f64 v[14:15], -v[48:49], v[96:97], v[14:15]
	;; [unrolled: 1-line block ×7, first 2 shown]
.LBB70_216:
	s_or_b64 exec, exec, s[0:1]
	v_lshl_add_u32 v76, v81, 3, v80
	s_barrier
	ds_write_b64 v76, v[46:47]
	s_waitcnt lgkmcnt(0)
	s_barrier
	ds_read_b64 v[76:77], v80 offset:104
	s_cmp_lt_i32 s18, 15
	v_mov_b32_e32 v78, 13
	s_cbranch_scc1 .LBB70_219
; %bb.217:
	v_add_u32_e32 v85, 0x70, v80
	s_mov_b32 s0, 14
	v_mov_b32_e32 v78, 13
.LBB70_218:                             ; =>This Inner Loop Header: Depth=1
	ds_read_b64 v[86:87], v85
	v_mov_b32_e32 v88, s0
	s_add_i32 s0, s0, 1
	v_add_u32_e32 v85, 8, v85
	s_cmp_lg_u32 s18, s0
	s_waitcnt lgkmcnt(0)
	v_cmp_lt_f64_e64 vcc, |v[76:77]|, |v[86:87]|
	v_cndmask_b32_e32 v77, v77, v87, vcc
	v_cndmask_b32_e32 v76, v76, v86, vcc
	;; [unrolled: 1-line block ×3, first 2 shown]
	s_cbranch_scc1 .LBB70_218
.LBB70_219:
	s_waitcnt lgkmcnt(0)
	v_cmp_eq_f64_e32 vcc, 0, v[76:77]
	s_and_saveexec_b64 s[0:1], vcc
	s_xor_b64 s[0:1], exec, s[0:1]
; %bb.220:
	v_cmp_ne_u32_e32 vcc, 0, v84
	v_cndmask_b32_e32 v84, 14, v84, vcc
; %bb.221:
	s_andn2_saveexec_b64 s[0:1], s[0:1]
; %bb.222:
	v_div_scale_f64 v[86:87], s[2:3], v[76:77], v[76:77], 1.0
	v_rcp_f64_e32 v[88:89], v[86:87]
	v_div_scale_f64 v[90:91], vcc, 1.0, v[76:77], 1.0
	v_fma_f64 v[92:93], -v[86:87], v[88:89], 1.0
	v_fmac_f64_e32 v[88:89], v[88:89], v[92:93]
	v_fma_f64 v[92:93], -v[86:87], v[88:89], 1.0
	v_fmac_f64_e32 v[88:89], v[88:89], v[92:93]
	v_mul_f64 v[92:93], v[90:91], v[88:89]
	v_fma_f64 v[86:87], -v[86:87], v[92:93], v[90:91]
	v_div_fmas_f64 v[86:87], v[86:87], v[88:89], v[92:93]
	v_div_fixup_f64 v[76:77], v[86:87], v[76:77], 1.0
; %bb.223:
	s_or_b64 exec, exec, s[0:1]
	v_cmp_ne_u32_e32 vcc, v81, v78
	s_and_saveexec_b64 s[0:1], vcc
	s_xor_b64 s[0:1], exec, s[0:1]
	s_cbranch_execz .LBB70_229
; %bb.224:
	v_cmp_eq_u32_e32 vcc, 13, v81
	s_and_saveexec_b64 s[2:3], vcc
	s_cbranch_execz .LBB70_228
; %bb.225:
	v_cmp_ne_u32_e32 vcc, 13, v78
	s_xor_b64 s[14:15], s[6:7], -1
	s_and_b64 s[16:17], s[14:15], vcc
	s_and_saveexec_b64 s[14:15], s[16:17]
	s_cbranch_execz .LBB70_227
; %bb.226:
	v_ashrrev_i32_e32 v79, 31, v78
	v_lshlrev_b64 v[86:87], 2, v[78:79]
	v_add_co_u32_e32 v86, vcc, v4, v86
	v_addc_co_u32_e32 v87, vcc, v5, v87, vcc
	flat_load_dword v79, v[86:87]
	flat_load_dword v81, v[4:5] offset:52
	s_waitcnt vmcnt(0) lgkmcnt(0)
	flat_store_dword v[4:5], v79 offset:52
	flat_store_dword v[86:87], v81
.LBB70_227:
	s_or_b64 exec, exec, s[14:15]
	v_mov_b32_e32 v79, v78
	v_mov_b32_e32 v81, v78
.LBB70_228:
	s_or_b64 exec, exec, s[2:3]
.LBB70_229:
	s_andn2_saveexec_b64 s[0:1], s[0:1]
	s_cbranch_execz .LBB70_231
; %bb.230:
	v_mov_b32_e32 v86, v42
	v_mov_b32_e32 v87, v43
	v_mov_b32_e32 v88, v44
	v_mov_b32_e32 v89, v45
	ds_write2_b64 v80, v[86:87], v[88:89] offset0:14 offset1:15
	v_mov_b32_e32 v86, v40
	v_mov_b32_e32 v87, v41
	v_mov_b32_e32 v88, v38
	v_mov_b32_e32 v89, v39
	ds_write2_b64 v80, v[86:87], v[88:89] offset0:16 offset1:17
	;; [unrolled: 5-line block ×10, first 2 shown]
	v_mov_b32_e32 v86, v0
	v_mov_b32_e32 v87, v1
	;; [unrolled: 1-line block ×3, first 2 shown]
	ds_write2_b64 v80, v[86:87], v[74:75] offset0:34 offset1:35
.LBB70_231:
	s_or_b64 exec, exec, s[0:1]
	v_cmp_lt_i32_e32 vcc, 13, v81
	s_waitcnt lgkmcnt(0)
	s_barrier
	s_and_saveexec_b64 s[0:1], vcc
	s_cbranch_execz .LBB70_233
; %bb.232:
	ds_read2_b64 v[86:89], v80 offset0:14 offset1:15
	ds_read2_b64 v[90:93], v80 offset0:16 offset1:17
	v_mul_f64 v[46:47], v[76:77], v[46:47]
	ds_read2_b64 v[94:97], v80 offset0:18 offset1:19
	s_waitcnt lgkmcnt(0)
	v_fma_f64 v[42:43], -v[46:47], v[86:87], v[42:43]
	v_fma_f64 v[44:45], -v[46:47], v[88:89], v[44:45]
	ds_read2_b64 v[86:89], v80 offset0:20 offset1:21
	v_fma_f64 v[40:41], -v[46:47], v[90:91], v[40:41]
	v_fma_f64 v[38:39], -v[46:47], v[92:93], v[38:39]
	ds_read2_b64 v[90:93], v80 offset0:22 offset1:23
	;; [unrolled: 3-line block ×3, first 2 shown]
	s_waitcnt lgkmcnt(0)
	v_fma_f64 v[32:33], -v[46:47], v[86:87], v[32:33]
	v_fma_f64 v[30:31], -v[46:47], v[88:89], v[30:31]
	;; [unrolled: 1-line block ×3, first 2 shown]
	ds_read2_b64 v[86:89], v80 offset0:26 offset1:27
	v_fma_f64 v[26:27], -v[46:47], v[92:93], v[26:27]
	ds_read2_b64 v[90:93], v80 offset0:28 offset1:29
	v_fma_f64 v[24:25], -v[46:47], v[94:95], v[24:25]
	v_fma_f64 v[22:23], -v[46:47], v[96:97], v[22:23]
	s_waitcnt lgkmcnt(0)
	v_fma_f64 v[20:21], -v[46:47], v[86:87], v[20:21]
	v_fma_f64 v[18:19], -v[46:47], v[88:89], v[18:19]
	ds_read2_b64 v[86:89], v80 offset0:30 offset1:31
	ds_read2_b64 v[94:97], v80 offset0:32 offset1:33
	v_fma_f64 v[16:17], -v[46:47], v[90:91], v[16:17]
	v_fma_f64 v[12:13], -v[46:47], v[92:93], v[12:13]
	ds_read2_b64 v[90:93], v80 offset0:34 offset1:35
	s_waitcnt lgkmcnt(0)
	v_fma_f64 v[14:15], -v[46:47], v[86:87], v[14:15]
	v_fma_f64 v[10:11], -v[46:47], v[88:89], v[10:11]
	;; [unrolled: 1-line block ×6, first 2 shown]
.LBB70_233:
	s_or_b64 exec, exec, s[0:1]
	v_lshl_add_u32 v76, v81, 3, v80
	s_barrier
	ds_write_b64 v76, v[42:43]
	s_waitcnt lgkmcnt(0)
	s_barrier
	ds_read_b64 v[76:77], v80 offset:112
	s_cmp_lt_i32 s18, 16
	v_mov_b32_e32 v78, 14
	s_cbranch_scc1 .LBB70_236
; %bb.234:
	v_add_u32_e32 v85, 0x78, v80
	s_mov_b32 s0, 15
	v_mov_b32_e32 v78, 14
.LBB70_235:                             ; =>This Inner Loop Header: Depth=1
	ds_read_b64 v[86:87], v85
	v_mov_b32_e32 v88, s0
	s_add_i32 s0, s0, 1
	v_add_u32_e32 v85, 8, v85
	s_cmp_lg_u32 s18, s0
	s_waitcnt lgkmcnt(0)
	v_cmp_lt_f64_e64 vcc, |v[76:77]|, |v[86:87]|
	v_cndmask_b32_e32 v77, v77, v87, vcc
	v_cndmask_b32_e32 v76, v76, v86, vcc
	;; [unrolled: 1-line block ×3, first 2 shown]
	s_cbranch_scc1 .LBB70_235
.LBB70_236:
	s_waitcnt lgkmcnt(0)
	v_cmp_eq_f64_e32 vcc, 0, v[76:77]
	s_and_saveexec_b64 s[0:1], vcc
	s_xor_b64 s[0:1], exec, s[0:1]
; %bb.237:
	v_cmp_ne_u32_e32 vcc, 0, v84
	v_cndmask_b32_e32 v84, 15, v84, vcc
; %bb.238:
	s_andn2_saveexec_b64 s[0:1], s[0:1]
; %bb.239:
	v_div_scale_f64 v[86:87], s[2:3], v[76:77], v[76:77], 1.0
	v_rcp_f64_e32 v[88:89], v[86:87]
	v_div_scale_f64 v[90:91], vcc, 1.0, v[76:77], 1.0
	v_fma_f64 v[92:93], -v[86:87], v[88:89], 1.0
	v_fmac_f64_e32 v[88:89], v[88:89], v[92:93]
	v_fma_f64 v[92:93], -v[86:87], v[88:89], 1.0
	v_fmac_f64_e32 v[88:89], v[88:89], v[92:93]
	v_mul_f64 v[92:93], v[90:91], v[88:89]
	v_fma_f64 v[86:87], -v[86:87], v[92:93], v[90:91]
	v_div_fmas_f64 v[86:87], v[86:87], v[88:89], v[92:93]
	v_div_fixup_f64 v[76:77], v[86:87], v[76:77], 1.0
; %bb.240:
	s_or_b64 exec, exec, s[0:1]
	v_cmp_ne_u32_e32 vcc, v81, v78
	s_and_saveexec_b64 s[0:1], vcc
	s_xor_b64 s[0:1], exec, s[0:1]
	s_cbranch_execz .LBB70_246
; %bb.241:
	v_cmp_eq_u32_e32 vcc, 14, v81
	s_and_saveexec_b64 s[2:3], vcc
	s_cbranch_execz .LBB70_245
; %bb.242:
	v_cmp_ne_u32_e32 vcc, 14, v78
	s_xor_b64 s[14:15], s[6:7], -1
	s_and_b64 s[16:17], s[14:15], vcc
	s_and_saveexec_b64 s[14:15], s[16:17]
	s_cbranch_execz .LBB70_244
; %bb.243:
	v_ashrrev_i32_e32 v79, 31, v78
	v_lshlrev_b64 v[86:87], 2, v[78:79]
	v_add_co_u32_e32 v86, vcc, v4, v86
	v_addc_co_u32_e32 v87, vcc, v5, v87, vcc
	flat_load_dword v79, v[86:87]
	flat_load_dword v81, v[4:5] offset:56
	s_waitcnt vmcnt(0) lgkmcnt(0)
	flat_store_dword v[4:5], v79 offset:56
	flat_store_dword v[86:87], v81
.LBB70_244:
	s_or_b64 exec, exec, s[14:15]
	v_mov_b32_e32 v79, v78
	v_mov_b32_e32 v81, v78
.LBB70_245:
	s_or_b64 exec, exec, s[2:3]
.LBB70_246:
	s_andn2_saveexec_b64 s[0:1], s[0:1]
	s_cbranch_execz .LBB70_248
; %bb.247:
	v_mov_b32_e32 v81, 14
	ds_write2_b64 v80, v[44:45], v[40:41] offset0:15 offset1:16
	ds_write2_b64 v80, v[38:39], v[36:37] offset0:17 offset1:18
	;; [unrolled: 1-line block ×10, first 2 shown]
	ds_write_b64 v80, v[74:75] offset:280
.LBB70_248:
	s_or_b64 exec, exec, s[0:1]
	v_cmp_lt_i32_e32 vcc, 14, v81
	s_waitcnt lgkmcnt(0)
	s_barrier
	s_and_saveexec_b64 s[0:1], vcc
	s_cbranch_execz .LBB70_250
; %bb.249:
	ds_read2_b64 v[86:89], v80 offset0:15 offset1:16
	ds_read2_b64 v[90:93], v80 offset0:17 offset1:18
	v_mul_f64 v[42:43], v[76:77], v[42:43]
	ds_read2_b64 v[94:97], v80 offset0:19 offset1:20
	ds_read_b64 v[76:77], v80 offset:280
	s_waitcnt lgkmcnt(0)
	v_fma_f64 v[44:45], -v[42:43], v[86:87], v[44:45]
	v_fma_f64 v[40:41], -v[42:43], v[88:89], v[40:41]
	ds_read2_b64 v[86:89], v80 offset0:21 offset1:22
	v_fma_f64 v[38:39], -v[42:43], v[90:91], v[38:39]
	v_fma_f64 v[36:37], -v[42:43], v[92:93], v[36:37]
	;; [unrolled: 1-line block ×3, first 2 shown]
	ds_read2_b64 v[90:93], v80 offset0:23 offset1:24
	v_fma_f64 v[32:33], -v[42:43], v[96:97], v[32:33]
	ds_read2_b64 v[94:97], v80 offset0:25 offset1:26
	s_waitcnt lgkmcnt(0)
	v_fma_f64 v[30:31], -v[42:43], v[86:87], v[30:31]
	v_fma_f64 v[28:29], -v[42:43], v[88:89], v[28:29]
	ds_read2_b64 v[86:89], v80 offset0:27 offset1:28
	v_fma_f64 v[26:27], -v[42:43], v[90:91], v[26:27]
	v_fma_f64 v[24:25], -v[42:43], v[92:93], v[24:25]
	ds_read2_b64 v[90:93], v80 offset0:29 offset1:30
	v_fma_f64 v[22:23], -v[42:43], v[94:95], v[22:23]
	v_fma_f64 v[20:21], -v[42:43], v[96:97], v[20:21]
	s_waitcnt lgkmcnt(0)
	v_fma_f64 v[18:19], -v[42:43], v[86:87], v[18:19]
	v_fma_f64 v[16:17], -v[42:43], v[88:89], v[16:17]
	ds_read2_b64 v[86:89], v80 offset0:31 offset1:32
	ds_read2_b64 v[94:97], v80 offset0:33 offset1:34
	v_fma_f64 v[12:13], -v[42:43], v[90:91], v[12:13]
	v_fma_f64 v[14:15], -v[42:43], v[92:93], v[14:15]
	;; [unrolled: 1-line block ×3, first 2 shown]
	s_waitcnt lgkmcnt(0)
	v_fma_f64 v[10:11], -v[42:43], v[86:87], v[10:11]
	v_fma_f64 v[8:9], -v[42:43], v[88:89], v[8:9]
	;; [unrolled: 1-line block ×4, first 2 shown]
.LBB70_250:
	s_or_b64 exec, exec, s[0:1]
	v_lshl_add_u32 v76, v81, 3, v80
	s_barrier
	ds_write_b64 v76, v[44:45]
	s_waitcnt lgkmcnt(0)
	s_barrier
	ds_read_b64 v[76:77], v80 offset:120
	s_cmp_lt_i32 s18, 17
	v_mov_b32_e32 v78, 15
	s_cbranch_scc1 .LBB70_253
; %bb.251:
	v_add_u32_e32 v85, 0x80, v80
	s_mov_b32 s0, 16
	v_mov_b32_e32 v78, 15
.LBB70_252:                             ; =>This Inner Loop Header: Depth=1
	ds_read_b64 v[86:87], v85
	v_mov_b32_e32 v88, s0
	s_add_i32 s0, s0, 1
	v_add_u32_e32 v85, 8, v85
	s_cmp_lg_u32 s18, s0
	s_waitcnt lgkmcnt(0)
	v_cmp_lt_f64_e64 vcc, |v[76:77]|, |v[86:87]|
	v_cndmask_b32_e32 v77, v77, v87, vcc
	v_cndmask_b32_e32 v76, v76, v86, vcc
	;; [unrolled: 1-line block ×3, first 2 shown]
	s_cbranch_scc1 .LBB70_252
.LBB70_253:
	s_waitcnt lgkmcnt(0)
	v_cmp_eq_f64_e32 vcc, 0, v[76:77]
	s_and_saveexec_b64 s[0:1], vcc
	s_xor_b64 s[0:1], exec, s[0:1]
; %bb.254:
	v_cmp_ne_u32_e32 vcc, 0, v84
	v_cndmask_b32_e32 v84, 16, v84, vcc
; %bb.255:
	s_andn2_saveexec_b64 s[0:1], s[0:1]
; %bb.256:
	v_div_scale_f64 v[86:87], s[2:3], v[76:77], v[76:77], 1.0
	v_rcp_f64_e32 v[88:89], v[86:87]
	v_div_scale_f64 v[90:91], vcc, 1.0, v[76:77], 1.0
	v_fma_f64 v[92:93], -v[86:87], v[88:89], 1.0
	v_fmac_f64_e32 v[88:89], v[88:89], v[92:93]
	v_fma_f64 v[92:93], -v[86:87], v[88:89], 1.0
	v_fmac_f64_e32 v[88:89], v[88:89], v[92:93]
	v_mul_f64 v[92:93], v[90:91], v[88:89]
	v_fma_f64 v[86:87], -v[86:87], v[92:93], v[90:91]
	v_div_fmas_f64 v[86:87], v[86:87], v[88:89], v[92:93]
	v_div_fixup_f64 v[76:77], v[86:87], v[76:77], 1.0
; %bb.257:
	s_or_b64 exec, exec, s[0:1]
	v_cmp_ne_u32_e32 vcc, v81, v78
	s_and_saveexec_b64 s[0:1], vcc
	s_xor_b64 s[0:1], exec, s[0:1]
	s_cbranch_execz .LBB70_263
; %bb.258:
	v_cmp_eq_u32_e32 vcc, 15, v81
	s_and_saveexec_b64 s[2:3], vcc
	s_cbranch_execz .LBB70_262
; %bb.259:
	v_cmp_ne_u32_e32 vcc, 15, v78
	s_xor_b64 s[14:15], s[6:7], -1
	s_and_b64 s[16:17], s[14:15], vcc
	s_and_saveexec_b64 s[14:15], s[16:17]
	s_cbranch_execz .LBB70_261
; %bb.260:
	v_ashrrev_i32_e32 v79, 31, v78
	v_lshlrev_b64 v[86:87], 2, v[78:79]
	v_add_co_u32_e32 v86, vcc, v4, v86
	v_addc_co_u32_e32 v87, vcc, v5, v87, vcc
	flat_load_dword v79, v[86:87]
	flat_load_dword v81, v[4:5] offset:60
	s_waitcnt vmcnt(0) lgkmcnt(0)
	flat_store_dword v[4:5], v79 offset:60
	flat_store_dword v[86:87], v81
.LBB70_261:
	s_or_b64 exec, exec, s[14:15]
	v_mov_b32_e32 v79, v78
	v_mov_b32_e32 v81, v78
.LBB70_262:
	s_or_b64 exec, exec, s[2:3]
.LBB70_263:
	s_andn2_saveexec_b64 s[0:1], s[0:1]
	s_cbranch_execz .LBB70_265
; %bb.264:
	v_mov_b32_e32 v86, v40
	v_mov_b32_e32 v87, v41
	v_mov_b32_e32 v88, v38
	v_mov_b32_e32 v89, v39
	ds_write2_b64 v80, v[86:87], v[88:89] offset0:16 offset1:17
	v_mov_b32_e32 v86, v36
	v_mov_b32_e32 v87, v37
	v_mov_b32_e32 v88, v34
	v_mov_b32_e32 v89, v35
	ds_write2_b64 v80, v[86:87], v[88:89] offset0:18 offset1:19
	v_mov_b32_e32 v86, v32
	v_mov_b32_e32 v87, v33
	v_mov_b32_e32 v88, v30
	v_mov_b32_e32 v89, v31
	ds_write2_b64 v80, v[86:87], v[88:89] offset0:20 offset1:21
	v_mov_b32_e32 v86, v28
	v_mov_b32_e32 v87, v29
	v_mov_b32_e32 v88, v26
	v_mov_b32_e32 v89, v27
	ds_write2_b64 v80, v[86:87], v[88:89] offset0:22 offset1:23
	v_mov_b32_e32 v86, v24
	v_mov_b32_e32 v87, v25
	v_mov_b32_e32 v88, v22
	v_mov_b32_e32 v89, v23
	ds_write2_b64 v80, v[86:87], v[88:89] offset0:24 offset1:25
	v_mov_b32_e32 v86, v20
	v_mov_b32_e32 v87, v21
	v_mov_b32_e32 v88, v18
	v_mov_b32_e32 v89, v19
	ds_write2_b64 v80, v[86:87], v[88:89] offset0:26 offset1:27
	v_mov_b32_e32 v86, v16
	v_mov_b32_e32 v87, v17
	v_mov_b32_e32 v88, v12
	v_mov_b32_e32 v89, v13
	ds_write2_b64 v80, v[86:87], v[88:89] offset0:28 offset1:29
	v_mov_b32_e32 v86, v14
	v_mov_b32_e32 v87, v15
	v_mov_b32_e32 v88, v10
	v_mov_b32_e32 v89, v11
	ds_write2_b64 v80, v[86:87], v[88:89] offset0:30 offset1:31
	v_mov_b32_e32 v86, v8
	v_mov_b32_e32 v87, v9
	v_mov_b32_e32 v88, v6
	v_mov_b32_e32 v89, v7
	ds_write2_b64 v80, v[86:87], v[88:89] offset0:32 offset1:33
	v_mov_b32_e32 v86, v0
	v_mov_b32_e32 v87, v1
	;; [unrolled: 1-line block ×3, first 2 shown]
	ds_write2_b64 v80, v[86:87], v[74:75] offset0:34 offset1:35
.LBB70_265:
	s_or_b64 exec, exec, s[0:1]
	v_cmp_lt_i32_e32 vcc, 15, v81
	s_waitcnt lgkmcnt(0)
	s_barrier
	s_and_saveexec_b64 s[0:1], vcc
	s_cbranch_execz .LBB70_267
; %bb.266:
	ds_read2_b64 v[86:89], v80 offset0:16 offset1:17
	ds_read2_b64 v[90:93], v80 offset0:18 offset1:19
	v_mul_f64 v[44:45], v[76:77], v[44:45]
	ds_read2_b64 v[94:97], v80 offset0:20 offset1:21
	s_waitcnt lgkmcnt(0)
	v_fma_f64 v[40:41], -v[44:45], v[86:87], v[40:41]
	v_fma_f64 v[38:39], -v[44:45], v[88:89], v[38:39]
	ds_read2_b64 v[86:89], v80 offset0:22 offset1:23
	v_fma_f64 v[36:37], -v[44:45], v[90:91], v[36:37]
	v_fma_f64 v[34:35], -v[44:45], v[92:93], v[34:35]
	;; [unrolled: 1-line block ×3, first 2 shown]
	ds_read2_b64 v[90:93], v80 offset0:24 offset1:25
	v_fma_f64 v[30:31], -v[44:45], v[96:97], v[30:31]
	ds_read2_b64 v[94:97], v80 offset0:26 offset1:27
	s_waitcnt lgkmcnt(0)
	v_fma_f64 v[28:29], -v[44:45], v[86:87], v[28:29]
	v_fma_f64 v[26:27], -v[44:45], v[88:89], v[26:27]
	ds_read2_b64 v[86:89], v80 offset0:28 offset1:29
	v_fma_f64 v[24:25], -v[44:45], v[90:91], v[24:25]
	v_fma_f64 v[22:23], -v[44:45], v[92:93], v[22:23]
	ds_read2_b64 v[90:93], v80 offset0:30 offset1:31
	v_fma_f64 v[20:21], -v[44:45], v[94:95], v[20:21]
	v_fma_f64 v[18:19], -v[44:45], v[96:97], v[18:19]
	s_waitcnt lgkmcnt(0)
	v_fma_f64 v[16:17], -v[44:45], v[86:87], v[16:17]
	ds_read2_b64 v[94:97], v80 offset0:32 offset1:33
	v_fma_f64 v[12:13], -v[44:45], v[88:89], v[12:13]
	ds_read2_b64 v[86:89], v80 offset0:34 offset1:35
	v_fma_f64 v[14:15], -v[44:45], v[90:91], v[14:15]
	v_fma_f64 v[10:11], -v[44:45], v[92:93], v[10:11]
	s_waitcnt lgkmcnt(0)
	v_fma_f64 v[8:9], -v[44:45], v[94:95], v[8:9]
	v_fma_f64 v[6:7], -v[44:45], v[96:97], v[6:7]
	;; [unrolled: 1-line block ×4, first 2 shown]
.LBB70_267:
	s_or_b64 exec, exec, s[0:1]
	v_lshl_add_u32 v76, v81, 3, v80
	s_barrier
	ds_write_b64 v76, v[40:41]
	s_waitcnt lgkmcnt(0)
	s_barrier
	ds_read_b64 v[76:77], v80 offset:128
	s_cmp_lt_i32 s18, 18
	v_mov_b32_e32 v78, 16
	s_cbranch_scc1 .LBB70_270
; %bb.268:
	v_add_u32_e32 v85, 0x88, v80
	s_mov_b32 s0, 17
	v_mov_b32_e32 v78, 16
.LBB70_269:                             ; =>This Inner Loop Header: Depth=1
	ds_read_b64 v[86:87], v85
	v_mov_b32_e32 v88, s0
	s_add_i32 s0, s0, 1
	v_add_u32_e32 v85, 8, v85
	s_cmp_lg_u32 s18, s0
	s_waitcnt lgkmcnt(0)
	v_cmp_lt_f64_e64 vcc, |v[76:77]|, |v[86:87]|
	v_cndmask_b32_e32 v77, v77, v87, vcc
	v_cndmask_b32_e32 v76, v76, v86, vcc
	;; [unrolled: 1-line block ×3, first 2 shown]
	s_cbranch_scc1 .LBB70_269
.LBB70_270:
	s_waitcnt lgkmcnt(0)
	v_cmp_eq_f64_e32 vcc, 0, v[76:77]
	s_and_saveexec_b64 s[0:1], vcc
	s_xor_b64 s[0:1], exec, s[0:1]
; %bb.271:
	v_cmp_ne_u32_e32 vcc, 0, v84
	v_cndmask_b32_e32 v84, 17, v84, vcc
; %bb.272:
	s_andn2_saveexec_b64 s[0:1], s[0:1]
; %bb.273:
	v_div_scale_f64 v[86:87], s[2:3], v[76:77], v[76:77], 1.0
	v_rcp_f64_e32 v[88:89], v[86:87]
	v_div_scale_f64 v[90:91], vcc, 1.0, v[76:77], 1.0
	v_fma_f64 v[92:93], -v[86:87], v[88:89], 1.0
	v_fmac_f64_e32 v[88:89], v[88:89], v[92:93]
	v_fma_f64 v[92:93], -v[86:87], v[88:89], 1.0
	v_fmac_f64_e32 v[88:89], v[88:89], v[92:93]
	v_mul_f64 v[92:93], v[90:91], v[88:89]
	v_fma_f64 v[86:87], -v[86:87], v[92:93], v[90:91]
	v_div_fmas_f64 v[86:87], v[86:87], v[88:89], v[92:93]
	v_div_fixup_f64 v[76:77], v[86:87], v[76:77], 1.0
; %bb.274:
	s_or_b64 exec, exec, s[0:1]
	v_cmp_ne_u32_e32 vcc, v81, v78
	s_and_saveexec_b64 s[0:1], vcc
	s_xor_b64 s[0:1], exec, s[0:1]
	s_cbranch_execz .LBB70_280
; %bb.275:
	v_cmp_eq_u32_e32 vcc, 16, v81
	s_and_saveexec_b64 s[2:3], vcc
	s_cbranch_execz .LBB70_279
; %bb.276:
	v_cmp_ne_u32_e32 vcc, 16, v78
	s_xor_b64 s[14:15], s[6:7], -1
	s_and_b64 s[16:17], s[14:15], vcc
	s_and_saveexec_b64 s[14:15], s[16:17]
	s_cbranch_execz .LBB70_278
; %bb.277:
	v_ashrrev_i32_e32 v79, 31, v78
	v_lshlrev_b64 v[86:87], 2, v[78:79]
	v_add_co_u32_e32 v86, vcc, v4, v86
	v_addc_co_u32_e32 v87, vcc, v5, v87, vcc
	flat_load_dword v79, v[86:87]
	flat_load_dword v81, v[4:5] offset:64
	s_waitcnt vmcnt(0) lgkmcnt(0)
	flat_store_dword v[4:5], v79 offset:64
	flat_store_dword v[86:87], v81
.LBB70_278:
	s_or_b64 exec, exec, s[14:15]
	v_mov_b32_e32 v79, v78
	v_mov_b32_e32 v81, v78
.LBB70_279:
	s_or_b64 exec, exec, s[2:3]
.LBB70_280:
	s_andn2_saveexec_b64 s[0:1], s[0:1]
	s_cbranch_execz .LBB70_282
; %bb.281:
	v_mov_b32_e32 v81, 16
	ds_write2_b64 v80, v[38:39], v[36:37] offset0:17 offset1:18
	ds_write2_b64 v80, v[34:35], v[32:33] offset0:19 offset1:20
	ds_write2_b64 v80, v[30:31], v[28:29] offset0:21 offset1:22
	ds_write2_b64 v80, v[26:27], v[24:25] offset0:23 offset1:24
	ds_write2_b64 v80, v[22:23], v[20:21] offset0:25 offset1:26
	ds_write2_b64 v80, v[18:19], v[16:17] offset0:27 offset1:28
	ds_write2_b64 v80, v[12:13], v[14:15] offset0:29 offset1:30
	ds_write2_b64 v80, v[10:11], v[8:9] offset0:31 offset1:32
	ds_write2_b64 v80, v[6:7], v[0:1] offset0:33 offset1:34
	ds_write_b64 v80, v[74:75] offset:280
.LBB70_282:
	s_or_b64 exec, exec, s[0:1]
	v_cmp_lt_i32_e32 vcc, 16, v81
	s_waitcnt lgkmcnt(0)
	s_barrier
	s_and_saveexec_b64 s[0:1], vcc
	s_cbranch_execz .LBB70_284
; %bb.283:
	ds_read2_b64 v[86:89], v80 offset0:17 offset1:18
	ds_read2_b64 v[90:93], v80 offset0:19 offset1:20
	;; [unrolled: 1-line block ×3, first 2 shown]
	v_mul_f64 v[40:41], v[76:77], v[40:41]
	ds_read_b64 v[76:77], v80 offset:280
	s_waitcnt lgkmcnt(0)
	v_fma_f64 v[38:39], -v[40:41], v[86:87], v[38:39]
	v_fma_f64 v[36:37], -v[40:41], v[88:89], v[36:37]
	ds_read2_b64 v[86:89], v80 offset0:23 offset1:24
	v_fma_f64 v[34:35], -v[40:41], v[90:91], v[34:35]
	v_fma_f64 v[32:33], -v[40:41], v[92:93], v[32:33]
	v_fma_f64 v[30:31], -v[40:41], v[94:95], v[30:31]
	ds_read2_b64 v[90:93], v80 offset0:25 offset1:26
	v_fma_f64 v[28:29], -v[40:41], v[96:97], v[28:29]
	ds_read2_b64 v[94:97], v80 offset0:27 offset1:28
	s_waitcnt lgkmcnt(0)
	v_fma_f64 v[26:27], -v[40:41], v[86:87], v[26:27]
	v_fma_f64 v[24:25], -v[40:41], v[88:89], v[24:25]
	;; [unrolled: 1-line block ×3, first 2 shown]
	ds_read2_b64 v[86:89], v80 offset0:29 offset1:30
	v_fma_f64 v[20:21], -v[40:41], v[92:93], v[20:21]
	ds_read2_b64 v[90:93], v80 offset0:31 offset1:32
	v_fma_f64 v[18:19], -v[40:41], v[94:95], v[18:19]
	v_fma_f64 v[16:17], -v[40:41], v[96:97], v[16:17]
	ds_read2_b64 v[94:97], v80 offset0:33 offset1:34
	s_waitcnt lgkmcnt(0)
	v_fma_f64 v[12:13], -v[40:41], v[86:87], v[12:13]
	v_fma_f64 v[14:15], -v[40:41], v[88:89], v[14:15]
	;; [unrolled: 1-line block ×7, first 2 shown]
.LBB70_284:
	s_or_b64 exec, exec, s[0:1]
	v_lshl_add_u32 v76, v81, 3, v80
	s_barrier
	ds_write_b64 v76, v[38:39]
	s_waitcnt lgkmcnt(0)
	s_barrier
	ds_read_b64 v[76:77], v80 offset:136
	s_cmp_lt_i32 s18, 19
	v_mov_b32_e32 v78, 17
	s_cbranch_scc1 .LBB70_287
; %bb.285:
	v_add_u32_e32 v85, 0x90, v80
	s_mov_b32 s0, 18
	v_mov_b32_e32 v78, 17
.LBB70_286:                             ; =>This Inner Loop Header: Depth=1
	ds_read_b64 v[86:87], v85
	v_mov_b32_e32 v88, s0
	s_add_i32 s0, s0, 1
	v_add_u32_e32 v85, 8, v85
	s_cmp_lg_u32 s18, s0
	s_waitcnt lgkmcnt(0)
	v_cmp_lt_f64_e64 vcc, |v[76:77]|, |v[86:87]|
	v_cndmask_b32_e32 v77, v77, v87, vcc
	v_cndmask_b32_e32 v76, v76, v86, vcc
	;; [unrolled: 1-line block ×3, first 2 shown]
	s_cbranch_scc1 .LBB70_286
.LBB70_287:
	s_waitcnt lgkmcnt(0)
	v_cmp_eq_f64_e32 vcc, 0, v[76:77]
	s_and_saveexec_b64 s[0:1], vcc
	s_xor_b64 s[0:1], exec, s[0:1]
; %bb.288:
	v_cmp_ne_u32_e32 vcc, 0, v84
	v_cndmask_b32_e32 v84, 18, v84, vcc
; %bb.289:
	s_andn2_saveexec_b64 s[0:1], s[0:1]
; %bb.290:
	v_div_scale_f64 v[86:87], s[2:3], v[76:77], v[76:77], 1.0
	v_rcp_f64_e32 v[88:89], v[86:87]
	v_div_scale_f64 v[90:91], vcc, 1.0, v[76:77], 1.0
	v_fma_f64 v[92:93], -v[86:87], v[88:89], 1.0
	v_fmac_f64_e32 v[88:89], v[88:89], v[92:93]
	v_fma_f64 v[92:93], -v[86:87], v[88:89], 1.0
	v_fmac_f64_e32 v[88:89], v[88:89], v[92:93]
	v_mul_f64 v[92:93], v[90:91], v[88:89]
	v_fma_f64 v[86:87], -v[86:87], v[92:93], v[90:91]
	v_div_fmas_f64 v[86:87], v[86:87], v[88:89], v[92:93]
	v_div_fixup_f64 v[76:77], v[86:87], v[76:77], 1.0
; %bb.291:
	s_or_b64 exec, exec, s[0:1]
	v_cmp_ne_u32_e32 vcc, v81, v78
	s_and_saveexec_b64 s[0:1], vcc
	s_xor_b64 s[0:1], exec, s[0:1]
	s_cbranch_execz .LBB70_297
; %bb.292:
	v_cmp_eq_u32_e32 vcc, 17, v81
	s_and_saveexec_b64 s[2:3], vcc
	s_cbranch_execz .LBB70_296
; %bb.293:
	v_cmp_ne_u32_e32 vcc, 17, v78
	s_xor_b64 s[14:15], s[6:7], -1
	s_and_b64 s[16:17], s[14:15], vcc
	s_and_saveexec_b64 s[14:15], s[16:17]
	s_cbranch_execz .LBB70_295
; %bb.294:
	v_ashrrev_i32_e32 v79, 31, v78
	v_lshlrev_b64 v[86:87], 2, v[78:79]
	v_add_co_u32_e32 v86, vcc, v4, v86
	v_addc_co_u32_e32 v87, vcc, v5, v87, vcc
	flat_load_dword v79, v[86:87]
	flat_load_dword v81, v[4:5] offset:68
	s_waitcnt vmcnt(0) lgkmcnt(0)
	flat_store_dword v[4:5], v79 offset:68
	flat_store_dword v[86:87], v81
.LBB70_295:
	s_or_b64 exec, exec, s[14:15]
	v_mov_b32_e32 v79, v78
	v_mov_b32_e32 v81, v78
.LBB70_296:
	s_or_b64 exec, exec, s[2:3]
.LBB70_297:
	s_andn2_saveexec_b64 s[0:1], s[0:1]
	s_cbranch_execz .LBB70_299
; %bb.298:
	v_mov_b32_e32 v86, v36
	v_mov_b32_e32 v87, v37
	v_mov_b32_e32 v88, v34
	v_mov_b32_e32 v89, v35
	ds_write2_b64 v80, v[86:87], v[88:89] offset0:18 offset1:19
	v_mov_b32_e32 v86, v32
	v_mov_b32_e32 v87, v33
	v_mov_b32_e32 v88, v30
	v_mov_b32_e32 v89, v31
	ds_write2_b64 v80, v[86:87], v[88:89] offset0:20 offset1:21
	;; [unrolled: 5-line block ×8, first 2 shown]
	v_mov_b32_e32 v86, v0
	v_mov_b32_e32 v87, v1
	;; [unrolled: 1-line block ×3, first 2 shown]
	ds_write2_b64 v80, v[86:87], v[74:75] offset0:34 offset1:35
.LBB70_299:
	s_or_b64 exec, exec, s[0:1]
	v_cmp_lt_i32_e32 vcc, 17, v81
	s_waitcnt lgkmcnt(0)
	s_barrier
	s_and_saveexec_b64 s[0:1], vcc
	s_cbranch_execz .LBB70_301
; %bb.300:
	ds_read2_b64 v[86:89], v80 offset0:18 offset1:19
	ds_read2_b64 v[90:93], v80 offset0:20 offset1:21
	;; [unrolled: 1-line block ×3, first 2 shown]
	v_mul_f64 v[38:39], v[76:77], v[38:39]
	s_waitcnt lgkmcnt(0)
	v_fma_f64 v[36:37], -v[38:39], v[86:87], v[36:37]
	v_fma_f64 v[34:35], -v[38:39], v[88:89], v[34:35]
	ds_read2_b64 v[86:89], v80 offset0:24 offset1:25
	v_fma_f64 v[32:33], -v[38:39], v[90:91], v[32:33]
	v_fma_f64 v[30:31], -v[38:39], v[92:93], v[30:31]
	;; [unrolled: 1-line block ×3, first 2 shown]
	ds_read2_b64 v[90:93], v80 offset0:26 offset1:27
	v_fma_f64 v[26:27], -v[38:39], v[96:97], v[26:27]
	ds_read2_b64 v[94:97], v80 offset0:28 offset1:29
	s_waitcnt lgkmcnt(0)
	v_fma_f64 v[24:25], -v[38:39], v[86:87], v[24:25]
	v_fma_f64 v[22:23], -v[38:39], v[88:89], v[22:23]
	;; [unrolled: 1-line block ×4, first 2 shown]
	ds_read2_b64 v[86:89], v80 offset0:30 offset1:31
	ds_read2_b64 v[90:93], v80 offset0:32 offset1:33
	v_fma_f64 v[16:17], -v[38:39], v[94:95], v[16:17]
	v_fma_f64 v[12:13], -v[38:39], v[96:97], v[12:13]
	ds_read2_b64 v[94:97], v80 offset0:34 offset1:35
	s_waitcnt lgkmcnt(0)
	v_fma_f64 v[14:15], -v[38:39], v[86:87], v[14:15]
	v_fma_f64 v[10:11], -v[38:39], v[88:89], v[10:11]
	;; [unrolled: 1-line block ×6, first 2 shown]
.LBB70_301:
	s_or_b64 exec, exec, s[0:1]
	v_lshl_add_u32 v76, v81, 3, v80
	s_barrier
	ds_write_b64 v76, v[36:37]
	s_waitcnt lgkmcnt(0)
	s_barrier
	ds_read_b64 v[76:77], v80 offset:144
	s_cmp_lt_i32 s18, 20
	v_mov_b32_e32 v78, 18
	s_cbranch_scc1 .LBB70_304
; %bb.302:
	v_add_u32_e32 v85, 0x98, v80
	s_mov_b32 s0, 19
	v_mov_b32_e32 v78, 18
.LBB70_303:                             ; =>This Inner Loop Header: Depth=1
	ds_read_b64 v[86:87], v85
	v_mov_b32_e32 v88, s0
	s_add_i32 s0, s0, 1
	v_add_u32_e32 v85, 8, v85
	s_cmp_lg_u32 s18, s0
	s_waitcnt lgkmcnt(0)
	v_cmp_lt_f64_e64 vcc, |v[76:77]|, |v[86:87]|
	v_cndmask_b32_e32 v77, v77, v87, vcc
	v_cndmask_b32_e32 v76, v76, v86, vcc
	;; [unrolled: 1-line block ×3, first 2 shown]
	s_cbranch_scc1 .LBB70_303
.LBB70_304:
	s_waitcnt lgkmcnt(0)
	v_cmp_eq_f64_e32 vcc, 0, v[76:77]
	s_and_saveexec_b64 s[0:1], vcc
	s_xor_b64 s[0:1], exec, s[0:1]
; %bb.305:
	v_cmp_ne_u32_e32 vcc, 0, v84
	v_cndmask_b32_e32 v84, 19, v84, vcc
; %bb.306:
	s_andn2_saveexec_b64 s[0:1], s[0:1]
; %bb.307:
	v_div_scale_f64 v[86:87], s[2:3], v[76:77], v[76:77], 1.0
	v_rcp_f64_e32 v[88:89], v[86:87]
	v_div_scale_f64 v[90:91], vcc, 1.0, v[76:77], 1.0
	v_fma_f64 v[92:93], -v[86:87], v[88:89], 1.0
	v_fmac_f64_e32 v[88:89], v[88:89], v[92:93]
	v_fma_f64 v[92:93], -v[86:87], v[88:89], 1.0
	v_fmac_f64_e32 v[88:89], v[88:89], v[92:93]
	v_mul_f64 v[92:93], v[90:91], v[88:89]
	v_fma_f64 v[86:87], -v[86:87], v[92:93], v[90:91]
	v_div_fmas_f64 v[86:87], v[86:87], v[88:89], v[92:93]
	v_div_fixup_f64 v[76:77], v[86:87], v[76:77], 1.0
; %bb.308:
	s_or_b64 exec, exec, s[0:1]
	v_cmp_ne_u32_e32 vcc, v81, v78
	s_and_saveexec_b64 s[0:1], vcc
	s_xor_b64 s[0:1], exec, s[0:1]
	s_cbranch_execz .LBB70_314
; %bb.309:
	v_cmp_eq_u32_e32 vcc, 18, v81
	s_and_saveexec_b64 s[2:3], vcc
	s_cbranch_execz .LBB70_313
; %bb.310:
	v_cmp_ne_u32_e32 vcc, 18, v78
	s_xor_b64 s[14:15], s[6:7], -1
	s_and_b64 s[16:17], s[14:15], vcc
	s_and_saveexec_b64 s[14:15], s[16:17]
	s_cbranch_execz .LBB70_312
; %bb.311:
	v_ashrrev_i32_e32 v79, 31, v78
	v_lshlrev_b64 v[86:87], 2, v[78:79]
	v_add_co_u32_e32 v86, vcc, v4, v86
	v_addc_co_u32_e32 v87, vcc, v5, v87, vcc
	flat_load_dword v79, v[86:87]
	flat_load_dword v81, v[4:5] offset:72
	s_waitcnt vmcnt(0) lgkmcnt(0)
	flat_store_dword v[4:5], v79 offset:72
	flat_store_dword v[86:87], v81
.LBB70_312:
	s_or_b64 exec, exec, s[14:15]
	v_mov_b32_e32 v79, v78
	v_mov_b32_e32 v81, v78
.LBB70_313:
	s_or_b64 exec, exec, s[2:3]
.LBB70_314:
	s_andn2_saveexec_b64 s[0:1], s[0:1]
	s_cbranch_execz .LBB70_316
; %bb.315:
	v_mov_b32_e32 v81, 18
	ds_write2_b64 v80, v[34:35], v[32:33] offset0:19 offset1:20
	ds_write2_b64 v80, v[30:31], v[28:29] offset0:21 offset1:22
	;; [unrolled: 1-line block ×8, first 2 shown]
	ds_write_b64 v80, v[74:75] offset:280
.LBB70_316:
	s_or_b64 exec, exec, s[0:1]
	v_cmp_lt_i32_e32 vcc, 18, v81
	s_waitcnt lgkmcnt(0)
	s_barrier
	s_and_saveexec_b64 s[0:1], vcc
	s_cbranch_execz .LBB70_318
; %bb.317:
	ds_read2_b64 v[86:89], v80 offset0:19 offset1:20
	ds_read2_b64 v[90:93], v80 offset0:21 offset1:22
	v_mul_f64 v[36:37], v[76:77], v[36:37]
	ds_read2_b64 v[94:97], v80 offset0:23 offset1:24
	ds_read_b64 v[76:77], v80 offset:280
	s_waitcnt lgkmcnt(0)
	v_fma_f64 v[34:35], -v[36:37], v[86:87], v[34:35]
	v_fma_f64 v[32:33], -v[36:37], v[88:89], v[32:33]
	ds_read2_b64 v[86:89], v80 offset0:25 offset1:26
	v_fma_f64 v[30:31], -v[36:37], v[90:91], v[30:31]
	v_fma_f64 v[28:29], -v[36:37], v[92:93], v[28:29]
	ds_read2_b64 v[90:93], v80 offset0:27 offset1:28
	;; [unrolled: 3-line block ×3, first 2 shown]
	s_waitcnt lgkmcnt(0)
	v_fma_f64 v[22:23], -v[36:37], v[86:87], v[22:23]
	v_fma_f64 v[20:21], -v[36:37], v[88:89], v[20:21]
	;; [unrolled: 1-line block ×4, first 2 shown]
	ds_read2_b64 v[86:89], v80 offset0:31 offset1:32
	ds_read2_b64 v[90:93], v80 offset0:33 offset1:34
	v_fma_f64 v[12:13], -v[36:37], v[94:95], v[12:13]
	v_fma_f64 v[14:15], -v[36:37], v[96:97], v[14:15]
	;; [unrolled: 1-line block ×3, first 2 shown]
	s_waitcnt lgkmcnt(0)
	v_fma_f64 v[10:11], -v[36:37], v[86:87], v[10:11]
	v_fma_f64 v[8:9], -v[36:37], v[88:89], v[8:9]
	;; [unrolled: 1-line block ×4, first 2 shown]
.LBB70_318:
	s_or_b64 exec, exec, s[0:1]
	v_lshl_add_u32 v76, v81, 3, v80
	s_barrier
	ds_write_b64 v76, v[34:35]
	s_waitcnt lgkmcnt(0)
	s_barrier
	ds_read_b64 v[76:77], v80 offset:152
	s_cmp_lt_i32 s18, 21
	v_mov_b32_e32 v78, 19
	s_cbranch_scc1 .LBB70_321
; %bb.319:
	v_add_u32_e32 v85, 0xa0, v80
	s_mov_b32 s0, 20
	v_mov_b32_e32 v78, 19
.LBB70_320:                             ; =>This Inner Loop Header: Depth=1
	ds_read_b64 v[86:87], v85
	v_mov_b32_e32 v88, s0
	s_add_i32 s0, s0, 1
	v_add_u32_e32 v85, 8, v85
	s_cmp_lg_u32 s18, s0
	s_waitcnt lgkmcnt(0)
	v_cmp_lt_f64_e64 vcc, |v[76:77]|, |v[86:87]|
	v_cndmask_b32_e32 v77, v77, v87, vcc
	v_cndmask_b32_e32 v76, v76, v86, vcc
	;; [unrolled: 1-line block ×3, first 2 shown]
	s_cbranch_scc1 .LBB70_320
.LBB70_321:
	s_waitcnt lgkmcnt(0)
	v_cmp_eq_f64_e32 vcc, 0, v[76:77]
	s_and_saveexec_b64 s[0:1], vcc
	s_xor_b64 s[0:1], exec, s[0:1]
; %bb.322:
	v_cmp_ne_u32_e32 vcc, 0, v84
	v_cndmask_b32_e32 v84, 20, v84, vcc
; %bb.323:
	s_andn2_saveexec_b64 s[0:1], s[0:1]
; %bb.324:
	v_div_scale_f64 v[86:87], s[2:3], v[76:77], v[76:77], 1.0
	v_rcp_f64_e32 v[88:89], v[86:87]
	v_div_scale_f64 v[90:91], vcc, 1.0, v[76:77], 1.0
	v_fma_f64 v[92:93], -v[86:87], v[88:89], 1.0
	v_fmac_f64_e32 v[88:89], v[88:89], v[92:93]
	v_fma_f64 v[92:93], -v[86:87], v[88:89], 1.0
	v_fmac_f64_e32 v[88:89], v[88:89], v[92:93]
	v_mul_f64 v[92:93], v[90:91], v[88:89]
	v_fma_f64 v[86:87], -v[86:87], v[92:93], v[90:91]
	v_div_fmas_f64 v[86:87], v[86:87], v[88:89], v[92:93]
	v_div_fixup_f64 v[76:77], v[86:87], v[76:77], 1.0
; %bb.325:
	s_or_b64 exec, exec, s[0:1]
	v_cmp_ne_u32_e32 vcc, v81, v78
	s_and_saveexec_b64 s[0:1], vcc
	s_xor_b64 s[0:1], exec, s[0:1]
	s_cbranch_execz .LBB70_331
; %bb.326:
	v_cmp_eq_u32_e32 vcc, 19, v81
	s_and_saveexec_b64 s[2:3], vcc
	s_cbranch_execz .LBB70_330
; %bb.327:
	v_cmp_ne_u32_e32 vcc, 19, v78
	s_xor_b64 s[14:15], s[6:7], -1
	s_and_b64 s[16:17], s[14:15], vcc
	s_and_saveexec_b64 s[14:15], s[16:17]
	s_cbranch_execz .LBB70_329
; %bb.328:
	v_ashrrev_i32_e32 v79, 31, v78
	v_lshlrev_b64 v[86:87], 2, v[78:79]
	v_add_co_u32_e32 v86, vcc, v4, v86
	v_addc_co_u32_e32 v87, vcc, v5, v87, vcc
	flat_load_dword v79, v[86:87]
	flat_load_dword v81, v[4:5] offset:76
	s_waitcnt vmcnt(0) lgkmcnt(0)
	flat_store_dword v[4:5], v79 offset:76
	flat_store_dword v[86:87], v81
.LBB70_329:
	s_or_b64 exec, exec, s[14:15]
	v_mov_b32_e32 v79, v78
	v_mov_b32_e32 v81, v78
.LBB70_330:
	s_or_b64 exec, exec, s[2:3]
.LBB70_331:
	s_andn2_saveexec_b64 s[0:1], s[0:1]
	s_cbranch_execz .LBB70_333
; %bb.332:
	v_mov_b32_e32 v86, v32
	v_mov_b32_e32 v87, v33
	v_mov_b32_e32 v88, v30
	v_mov_b32_e32 v89, v31
	ds_write2_b64 v80, v[86:87], v[88:89] offset0:20 offset1:21
	v_mov_b32_e32 v86, v28
	v_mov_b32_e32 v87, v29
	v_mov_b32_e32 v88, v26
	v_mov_b32_e32 v89, v27
	ds_write2_b64 v80, v[86:87], v[88:89] offset0:22 offset1:23
	v_mov_b32_e32 v86, v24
	v_mov_b32_e32 v87, v25
	v_mov_b32_e32 v88, v22
	v_mov_b32_e32 v89, v23
	ds_write2_b64 v80, v[86:87], v[88:89] offset0:24 offset1:25
	v_mov_b32_e32 v86, v20
	v_mov_b32_e32 v87, v21
	v_mov_b32_e32 v88, v18
	v_mov_b32_e32 v89, v19
	ds_write2_b64 v80, v[86:87], v[88:89] offset0:26 offset1:27
	v_mov_b32_e32 v86, v16
	v_mov_b32_e32 v87, v17
	v_mov_b32_e32 v88, v12
	v_mov_b32_e32 v89, v13
	ds_write2_b64 v80, v[86:87], v[88:89] offset0:28 offset1:29
	v_mov_b32_e32 v86, v14
	v_mov_b32_e32 v87, v15
	v_mov_b32_e32 v88, v10
	v_mov_b32_e32 v89, v11
	ds_write2_b64 v80, v[86:87], v[88:89] offset0:30 offset1:31
	v_mov_b32_e32 v86, v8
	v_mov_b32_e32 v87, v9
	v_mov_b32_e32 v88, v6
	v_mov_b32_e32 v89, v7
	ds_write2_b64 v80, v[86:87], v[88:89] offset0:32 offset1:33
	v_mov_b32_e32 v86, v0
	v_mov_b32_e32 v87, v1
	;; [unrolled: 1-line block ×3, first 2 shown]
	ds_write2_b64 v80, v[86:87], v[74:75] offset0:34 offset1:35
.LBB70_333:
	s_or_b64 exec, exec, s[0:1]
	v_cmp_lt_i32_e32 vcc, 19, v81
	s_waitcnt lgkmcnt(0)
	s_barrier
	s_and_saveexec_b64 s[0:1], vcc
	s_cbranch_execz .LBB70_335
; %bb.334:
	ds_read2_b64 v[86:89], v80 offset0:20 offset1:21
	ds_read2_b64 v[90:93], v80 offset0:22 offset1:23
	v_mul_f64 v[34:35], v[76:77], v[34:35]
	ds_read2_b64 v[94:97], v80 offset0:24 offset1:25
	s_waitcnt lgkmcnt(0)
	v_fma_f64 v[32:33], -v[34:35], v[86:87], v[32:33]
	v_fma_f64 v[30:31], -v[34:35], v[88:89], v[30:31]
	ds_read2_b64 v[86:89], v80 offset0:26 offset1:27
	v_fma_f64 v[28:29], -v[34:35], v[90:91], v[28:29]
	v_fma_f64 v[26:27], -v[34:35], v[92:93], v[26:27]
	ds_read2_b64 v[90:93], v80 offset0:28 offset1:29
	v_fma_f64 v[24:25], -v[34:35], v[94:95], v[24:25]
	v_fma_f64 v[22:23], -v[34:35], v[96:97], v[22:23]
	s_waitcnt lgkmcnt(0)
	v_fma_f64 v[20:21], -v[34:35], v[86:87], v[20:21]
	v_fma_f64 v[18:19], -v[34:35], v[88:89], v[18:19]
	ds_read2_b64 v[86:89], v80 offset0:30 offset1:31
	v_fma_f64 v[16:17], -v[34:35], v[90:91], v[16:17]
	ds_read2_b64 v[94:97], v80 offset0:32 offset1:33
	;; [unrolled: 2-line block ×3, first 2 shown]
	s_waitcnt lgkmcnt(0)
	v_fma_f64 v[14:15], -v[34:35], v[86:87], v[14:15]
	v_fma_f64 v[10:11], -v[34:35], v[88:89], v[10:11]
	;; [unrolled: 1-line block ×6, first 2 shown]
.LBB70_335:
	s_or_b64 exec, exec, s[0:1]
	v_lshl_add_u32 v76, v81, 3, v80
	s_barrier
	ds_write_b64 v76, v[32:33]
	s_waitcnt lgkmcnt(0)
	s_barrier
	ds_read_b64 v[76:77], v80 offset:160
	s_cmp_lt_i32 s18, 22
	v_mov_b32_e32 v78, 20
	s_cbranch_scc1 .LBB70_338
; %bb.336:
	v_add_u32_e32 v85, 0xa8, v80
	s_mov_b32 s0, 21
	v_mov_b32_e32 v78, 20
.LBB70_337:                             ; =>This Inner Loop Header: Depth=1
	ds_read_b64 v[86:87], v85
	v_mov_b32_e32 v88, s0
	s_add_i32 s0, s0, 1
	v_add_u32_e32 v85, 8, v85
	s_cmp_lg_u32 s18, s0
	s_waitcnt lgkmcnt(0)
	v_cmp_lt_f64_e64 vcc, |v[76:77]|, |v[86:87]|
	v_cndmask_b32_e32 v77, v77, v87, vcc
	v_cndmask_b32_e32 v76, v76, v86, vcc
	;; [unrolled: 1-line block ×3, first 2 shown]
	s_cbranch_scc1 .LBB70_337
.LBB70_338:
	s_waitcnt lgkmcnt(0)
	v_cmp_eq_f64_e32 vcc, 0, v[76:77]
	s_and_saveexec_b64 s[0:1], vcc
	s_xor_b64 s[0:1], exec, s[0:1]
; %bb.339:
	v_cmp_ne_u32_e32 vcc, 0, v84
	v_cndmask_b32_e32 v84, 21, v84, vcc
; %bb.340:
	s_andn2_saveexec_b64 s[0:1], s[0:1]
; %bb.341:
	v_div_scale_f64 v[86:87], s[2:3], v[76:77], v[76:77], 1.0
	v_rcp_f64_e32 v[88:89], v[86:87]
	v_div_scale_f64 v[90:91], vcc, 1.0, v[76:77], 1.0
	v_fma_f64 v[92:93], -v[86:87], v[88:89], 1.0
	v_fmac_f64_e32 v[88:89], v[88:89], v[92:93]
	v_fma_f64 v[92:93], -v[86:87], v[88:89], 1.0
	v_fmac_f64_e32 v[88:89], v[88:89], v[92:93]
	v_mul_f64 v[92:93], v[90:91], v[88:89]
	v_fma_f64 v[86:87], -v[86:87], v[92:93], v[90:91]
	v_div_fmas_f64 v[86:87], v[86:87], v[88:89], v[92:93]
	v_div_fixup_f64 v[76:77], v[86:87], v[76:77], 1.0
; %bb.342:
	s_or_b64 exec, exec, s[0:1]
	v_cmp_ne_u32_e32 vcc, v81, v78
	s_and_saveexec_b64 s[0:1], vcc
	s_xor_b64 s[0:1], exec, s[0:1]
	s_cbranch_execz .LBB70_348
; %bb.343:
	v_cmp_eq_u32_e32 vcc, 20, v81
	s_and_saveexec_b64 s[2:3], vcc
	s_cbranch_execz .LBB70_347
; %bb.344:
	v_cmp_ne_u32_e32 vcc, 20, v78
	s_xor_b64 s[14:15], s[6:7], -1
	s_and_b64 s[16:17], s[14:15], vcc
	s_and_saveexec_b64 s[14:15], s[16:17]
	s_cbranch_execz .LBB70_346
; %bb.345:
	v_ashrrev_i32_e32 v79, 31, v78
	v_lshlrev_b64 v[86:87], 2, v[78:79]
	v_add_co_u32_e32 v86, vcc, v4, v86
	v_addc_co_u32_e32 v87, vcc, v5, v87, vcc
	flat_load_dword v79, v[86:87]
	flat_load_dword v81, v[4:5] offset:80
	s_waitcnt vmcnt(0) lgkmcnt(0)
	flat_store_dword v[4:5], v79 offset:80
	flat_store_dword v[86:87], v81
.LBB70_346:
	s_or_b64 exec, exec, s[14:15]
	v_mov_b32_e32 v79, v78
	v_mov_b32_e32 v81, v78
.LBB70_347:
	s_or_b64 exec, exec, s[2:3]
.LBB70_348:
	s_andn2_saveexec_b64 s[0:1], s[0:1]
	s_cbranch_execz .LBB70_350
; %bb.349:
	v_mov_b32_e32 v81, 20
	ds_write2_b64 v80, v[30:31], v[28:29] offset0:21 offset1:22
	ds_write2_b64 v80, v[26:27], v[24:25] offset0:23 offset1:24
	;; [unrolled: 1-line block ×7, first 2 shown]
	ds_write_b64 v80, v[74:75] offset:280
.LBB70_350:
	s_or_b64 exec, exec, s[0:1]
	v_cmp_lt_i32_e32 vcc, 20, v81
	s_waitcnt lgkmcnt(0)
	s_barrier
	s_and_saveexec_b64 s[0:1], vcc
	s_cbranch_execz .LBB70_352
; %bb.351:
	ds_read2_b64 v[86:89], v80 offset0:21 offset1:22
	ds_read2_b64 v[90:93], v80 offset0:23 offset1:24
	v_mul_f64 v[32:33], v[76:77], v[32:33]
	ds_read2_b64 v[94:97], v80 offset0:25 offset1:26
	ds_read_b64 v[76:77], v80 offset:280
	s_waitcnt lgkmcnt(0)
	v_fma_f64 v[30:31], -v[32:33], v[86:87], v[30:31]
	v_fma_f64 v[28:29], -v[32:33], v[88:89], v[28:29]
	ds_read2_b64 v[86:89], v80 offset0:27 offset1:28
	v_fma_f64 v[26:27], -v[32:33], v[90:91], v[26:27]
	v_fma_f64 v[24:25], -v[32:33], v[92:93], v[24:25]
	;; [unrolled: 1-line block ×3, first 2 shown]
	ds_read2_b64 v[90:93], v80 offset0:29 offset1:30
	v_fma_f64 v[20:21], -v[32:33], v[96:97], v[20:21]
	s_waitcnt lgkmcnt(0)
	v_fma_f64 v[18:19], -v[32:33], v[86:87], v[18:19]
	v_fma_f64 v[16:17], -v[32:33], v[88:89], v[16:17]
	ds_read2_b64 v[86:89], v80 offset0:31 offset1:32
	ds_read2_b64 v[94:97], v80 offset0:33 offset1:34
	v_fma_f64 v[12:13], -v[32:33], v[90:91], v[12:13]
	v_fma_f64 v[14:15], -v[32:33], v[92:93], v[14:15]
	;; [unrolled: 1-line block ×3, first 2 shown]
	s_waitcnt lgkmcnt(0)
	v_fma_f64 v[10:11], -v[32:33], v[86:87], v[10:11]
	v_fma_f64 v[8:9], -v[32:33], v[88:89], v[8:9]
	;; [unrolled: 1-line block ×4, first 2 shown]
.LBB70_352:
	s_or_b64 exec, exec, s[0:1]
	v_lshl_add_u32 v76, v81, 3, v80
	s_barrier
	ds_write_b64 v76, v[30:31]
	s_waitcnt lgkmcnt(0)
	s_barrier
	ds_read_b64 v[76:77], v80 offset:168
	s_cmp_lt_i32 s18, 23
	v_mov_b32_e32 v78, 21
	s_cbranch_scc1 .LBB70_355
; %bb.353:
	v_add_u32_e32 v85, 0xb0, v80
	s_mov_b32 s0, 22
	v_mov_b32_e32 v78, 21
.LBB70_354:                             ; =>This Inner Loop Header: Depth=1
	ds_read_b64 v[86:87], v85
	v_mov_b32_e32 v88, s0
	s_add_i32 s0, s0, 1
	v_add_u32_e32 v85, 8, v85
	s_cmp_lg_u32 s18, s0
	s_waitcnt lgkmcnt(0)
	v_cmp_lt_f64_e64 vcc, |v[76:77]|, |v[86:87]|
	v_cndmask_b32_e32 v77, v77, v87, vcc
	v_cndmask_b32_e32 v76, v76, v86, vcc
	;; [unrolled: 1-line block ×3, first 2 shown]
	s_cbranch_scc1 .LBB70_354
.LBB70_355:
	s_waitcnt lgkmcnt(0)
	v_cmp_eq_f64_e32 vcc, 0, v[76:77]
	s_and_saveexec_b64 s[0:1], vcc
	s_xor_b64 s[0:1], exec, s[0:1]
; %bb.356:
	v_cmp_ne_u32_e32 vcc, 0, v84
	v_cndmask_b32_e32 v84, 22, v84, vcc
; %bb.357:
	s_andn2_saveexec_b64 s[0:1], s[0:1]
; %bb.358:
	v_div_scale_f64 v[86:87], s[2:3], v[76:77], v[76:77], 1.0
	v_rcp_f64_e32 v[88:89], v[86:87]
	v_div_scale_f64 v[90:91], vcc, 1.0, v[76:77], 1.0
	v_fma_f64 v[92:93], -v[86:87], v[88:89], 1.0
	v_fmac_f64_e32 v[88:89], v[88:89], v[92:93]
	v_fma_f64 v[92:93], -v[86:87], v[88:89], 1.0
	v_fmac_f64_e32 v[88:89], v[88:89], v[92:93]
	v_mul_f64 v[92:93], v[90:91], v[88:89]
	v_fma_f64 v[86:87], -v[86:87], v[92:93], v[90:91]
	v_div_fmas_f64 v[86:87], v[86:87], v[88:89], v[92:93]
	v_div_fixup_f64 v[76:77], v[86:87], v[76:77], 1.0
; %bb.359:
	s_or_b64 exec, exec, s[0:1]
	v_cmp_ne_u32_e32 vcc, v81, v78
	s_and_saveexec_b64 s[0:1], vcc
	s_xor_b64 s[0:1], exec, s[0:1]
	s_cbranch_execz .LBB70_365
; %bb.360:
	v_cmp_eq_u32_e32 vcc, 21, v81
	s_and_saveexec_b64 s[2:3], vcc
	s_cbranch_execz .LBB70_364
; %bb.361:
	v_cmp_ne_u32_e32 vcc, 21, v78
	s_xor_b64 s[14:15], s[6:7], -1
	s_and_b64 s[16:17], s[14:15], vcc
	s_and_saveexec_b64 s[14:15], s[16:17]
	s_cbranch_execz .LBB70_363
; %bb.362:
	v_ashrrev_i32_e32 v79, 31, v78
	v_lshlrev_b64 v[86:87], 2, v[78:79]
	v_add_co_u32_e32 v86, vcc, v4, v86
	v_addc_co_u32_e32 v87, vcc, v5, v87, vcc
	flat_load_dword v79, v[86:87]
	flat_load_dword v81, v[4:5] offset:84
	s_waitcnt vmcnt(0) lgkmcnt(0)
	flat_store_dword v[4:5], v79 offset:84
	flat_store_dword v[86:87], v81
.LBB70_363:
	s_or_b64 exec, exec, s[14:15]
	v_mov_b32_e32 v79, v78
	v_mov_b32_e32 v81, v78
.LBB70_364:
	s_or_b64 exec, exec, s[2:3]
.LBB70_365:
	s_andn2_saveexec_b64 s[0:1], s[0:1]
	s_cbranch_execz .LBB70_367
; %bb.366:
	v_mov_b32_e32 v86, v28
	v_mov_b32_e32 v87, v29
	v_mov_b32_e32 v88, v26
	v_mov_b32_e32 v89, v27
	ds_write2_b64 v80, v[86:87], v[88:89] offset0:22 offset1:23
	v_mov_b32_e32 v86, v24
	v_mov_b32_e32 v87, v25
	v_mov_b32_e32 v88, v22
	v_mov_b32_e32 v89, v23
	ds_write2_b64 v80, v[86:87], v[88:89] offset0:24 offset1:25
	;; [unrolled: 5-line block ×6, first 2 shown]
	v_mov_b32_e32 v86, v0
	v_mov_b32_e32 v87, v1
	;; [unrolled: 1-line block ×3, first 2 shown]
	ds_write2_b64 v80, v[86:87], v[74:75] offset0:34 offset1:35
.LBB70_367:
	s_or_b64 exec, exec, s[0:1]
	v_cmp_lt_i32_e32 vcc, 21, v81
	s_waitcnt lgkmcnt(0)
	s_barrier
	s_and_saveexec_b64 s[0:1], vcc
	s_cbranch_execz .LBB70_369
; %bb.368:
	ds_read2_b64 v[86:89], v80 offset0:22 offset1:23
	ds_read2_b64 v[90:93], v80 offset0:24 offset1:25
	v_mul_f64 v[30:31], v[76:77], v[30:31]
	ds_read2_b64 v[94:97], v80 offset0:26 offset1:27
	s_waitcnt lgkmcnt(0)
	v_fma_f64 v[28:29], -v[30:31], v[86:87], v[28:29]
	v_fma_f64 v[26:27], -v[30:31], v[88:89], v[26:27]
	ds_read2_b64 v[86:89], v80 offset0:28 offset1:29
	v_fma_f64 v[24:25], -v[30:31], v[90:91], v[24:25]
	v_fma_f64 v[22:23], -v[30:31], v[92:93], v[22:23]
	;; [unrolled: 1-line block ×4, first 2 shown]
	ds_read2_b64 v[90:93], v80 offset0:30 offset1:31
	ds_read2_b64 v[94:97], v80 offset0:32 offset1:33
	s_waitcnt lgkmcnt(0)
	v_fma_f64 v[16:17], -v[30:31], v[86:87], v[16:17]
	v_fma_f64 v[12:13], -v[30:31], v[88:89], v[12:13]
	ds_read2_b64 v[86:89], v80 offset0:34 offset1:35
	v_fma_f64 v[14:15], -v[30:31], v[90:91], v[14:15]
	v_fma_f64 v[10:11], -v[30:31], v[92:93], v[10:11]
	;; [unrolled: 1-line block ×4, first 2 shown]
	s_waitcnt lgkmcnt(0)
	v_fma_f64 v[0:1], -v[30:31], v[86:87], v[0:1]
	v_fma_f64 v[74:75], -v[30:31], v[88:89], v[74:75]
.LBB70_369:
	s_or_b64 exec, exec, s[0:1]
	v_lshl_add_u32 v76, v81, 3, v80
	s_barrier
	ds_write_b64 v76, v[28:29]
	s_waitcnt lgkmcnt(0)
	s_barrier
	ds_read_b64 v[76:77], v80 offset:176
	s_cmp_lt_i32 s18, 24
	v_mov_b32_e32 v78, 22
	s_cbranch_scc1 .LBB70_372
; %bb.370:
	v_add_u32_e32 v85, 0xb8, v80
	s_mov_b32 s0, 23
	v_mov_b32_e32 v78, 22
.LBB70_371:                             ; =>This Inner Loop Header: Depth=1
	ds_read_b64 v[86:87], v85
	v_mov_b32_e32 v88, s0
	s_add_i32 s0, s0, 1
	v_add_u32_e32 v85, 8, v85
	s_cmp_lg_u32 s18, s0
	s_waitcnt lgkmcnt(0)
	v_cmp_lt_f64_e64 vcc, |v[76:77]|, |v[86:87]|
	v_cndmask_b32_e32 v77, v77, v87, vcc
	v_cndmask_b32_e32 v76, v76, v86, vcc
	;; [unrolled: 1-line block ×3, first 2 shown]
	s_cbranch_scc1 .LBB70_371
.LBB70_372:
	s_waitcnt lgkmcnt(0)
	v_cmp_eq_f64_e32 vcc, 0, v[76:77]
	s_and_saveexec_b64 s[0:1], vcc
	s_xor_b64 s[0:1], exec, s[0:1]
; %bb.373:
	v_cmp_ne_u32_e32 vcc, 0, v84
	v_cndmask_b32_e32 v84, 23, v84, vcc
; %bb.374:
	s_andn2_saveexec_b64 s[0:1], s[0:1]
; %bb.375:
	v_div_scale_f64 v[86:87], s[2:3], v[76:77], v[76:77], 1.0
	v_rcp_f64_e32 v[88:89], v[86:87]
	v_div_scale_f64 v[90:91], vcc, 1.0, v[76:77], 1.0
	v_fma_f64 v[92:93], -v[86:87], v[88:89], 1.0
	v_fmac_f64_e32 v[88:89], v[88:89], v[92:93]
	v_fma_f64 v[92:93], -v[86:87], v[88:89], 1.0
	v_fmac_f64_e32 v[88:89], v[88:89], v[92:93]
	v_mul_f64 v[92:93], v[90:91], v[88:89]
	v_fma_f64 v[86:87], -v[86:87], v[92:93], v[90:91]
	v_div_fmas_f64 v[86:87], v[86:87], v[88:89], v[92:93]
	v_div_fixup_f64 v[76:77], v[86:87], v[76:77], 1.0
; %bb.376:
	s_or_b64 exec, exec, s[0:1]
	v_cmp_ne_u32_e32 vcc, v81, v78
	s_and_saveexec_b64 s[0:1], vcc
	s_xor_b64 s[0:1], exec, s[0:1]
	s_cbranch_execz .LBB70_382
; %bb.377:
	v_cmp_eq_u32_e32 vcc, 22, v81
	s_and_saveexec_b64 s[2:3], vcc
	s_cbranch_execz .LBB70_381
; %bb.378:
	v_cmp_ne_u32_e32 vcc, 22, v78
	s_xor_b64 s[14:15], s[6:7], -1
	s_and_b64 s[16:17], s[14:15], vcc
	s_and_saveexec_b64 s[14:15], s[16:17]
	s_cbranch_execz .LBB70_380
; %bb.379:
	v_ashrrev_i32_e32 v79, 31, v78
	v_lshlrev_b64 v[86:87], 2, v[78:79]
	v_add_co_u32_e32 v86, vcc, v4, v86
	v_addc_co_u32_e32 v87, vcc, v5, v87, vcc
	flat_load_dword v79, v[86:87]
	flat_load_dword v81, v[4:5] offset:88
	s_waitcnt vmcnt(0) lgkmcnt(0)
	flat_store_dword v[4:5], v79 offset:88
	flat_store_dword v[86:87], v81
.LBB70_380:
	s_or_b64 exec, exec, s[14:15]
	v_mov_b32_e32 v79, v78
	v_mov_b32_e32 v81, v78
.LBB70_381:
	s_or_b64 exec, exec, s[2:3]
.LBB70_382:
	s_andn2_saveexec_b64 s[0:1], s[0:1]
	s_cbranch_execz .LBB70_384
; %bb.383:
	v_mov_b32_e32 v81, 22
	ds_write2_b64 v80, v[26:27], v[24:25] offset0:23 offset1:24
	ds_write2_b64 v80, v[22:23], v[20:21] offset0:25 offset1:26
	;; [unrolled: 1-line block ×6, first 2 shown]
	ds_write_b64 v80, v[74:75] offset:280
.LBB70_384:
	s_or_b64 exec, exec, s[0:1]
	v_cmp_lt_i32_e32 vcc, 22, v81
	s_waitcnt lgkmcnt(0)
	s_barrier
	s_and_saveexec_b64 s[0:1], vcc
	s_cbranch_execz .LBB70_386
; %bb.385:
	ds_read2_b64 v[86:89], v80 offset0:23 offset1:24
	ds_read2_b64 v[90:93], v80 offset0:25 offset1:26
	;; [unrolled: 1-line block ×3, first 2 shown]
	v_mul_f64 v[28:29], v[76:77], v[28:29]
	ds_read_b64 v[76:77], v80 offset:280
	s_waitcnt lgkmcnt(0)
	v_fma_f64 v[26:27], -v[28:29], v[86:87], v[26:27]
	v_fma_f64 v[24:25], -v[28:29], v[88:89], v[24:25]
	ds_read2_b64 v[86:89], v80 offset0:29 offset1:30
	v_fma_f64 v[22:23], -v[28:29], v[90:91], v[22:23]
	v_fma_f64 v[20:21], -v[28:29], v[92:93], v[20:21]
	;; [unrolled: 1-line block ×4, first 2 shown]
	ds_read2_b64 v[90:93], v80 offset0:31 offset1:32
	ds_read2_b64 v[94:97], v80 offset0:33 offset1:34
	s_waitcnt lgkmcnt(0)
	v_fma_f64 v[12:13], -v[28:29], v[86:87], v[12:13]
	v_fma_f64 v[14:15], -v[28:29], v[88:89], v[14:15]
	;; [unrolled: 1-line block ×7, first 2 shown]
.LBB70_386:
	s_or_b64 exec, exec, s[0:1]
	v_lshl_add_u32 v76, v81, 3, v80
	s_barrier
	ds_write_b64 v76, v[26:27]
	s_waitcnt lgkmcnt(0)
	s_barrier
	ds_read_b64 v[76:77], v80 offset:184
	s_cmp_lt_i32 s18, 25
	v_mov_b32_e32 v78, 23
	s_cbranch_scc1 .LBB70_389
; %bb.387:
	v_add_u32_e32 v85, 0xc0, v80
	s_mov_b32 s0, 24
	v_mov_b32_e32 v78, 23
.LBB70_388:                             ; =>This Inner Loop Header: Depth=1
	ds_read_b64 v[86:87], v85
	v_mov_b32_e32 v88, s0
	s_add_i32 s0, s0, 1
	v_add_u32_e32 v85, 8, v85
	s_cmp_lg_u32 s18, s0
	s_waitcnt lgkmcnt(0)
	v_cmp_lt_f64_e64 vcc, |v[76:77]|, |v[86:87]|
	v_cndmask_b32_e32 v77, v77, v87, vcc
	v_cndmask_b32_e32 v76, v76, v86, vcc
	;; [unrolled: 1-line block ×3, first 2 shown]
	s_cbranch_scc1 .LBB70_388
.LBB70_389:
	s_waitcnt lgkmcnt(0)
	v_cmp_eq_f64_e32 vcc, 0, v[76:77]
	s_and_saveexec_b64 s[0:1], vcc
	s_xor_b64 s[0:1], exec, s[0:1]
; %bb.390:
	v_cmp_ne_u32_e32 vcc, 0, v84
	v_cndmask_b32_e32 v84, 24, v84, vcc
; %bb.391:
	s_andn2_saveexec_b64 s[0:1], s[0:1]
; %bb.392:
	v_div_scale_f64 v[86:87], s[2:3], v[76:77], v[76:77], 1.0
	v_rcp_f64_e32 v[88:89], v[86:87]
	v_div_scale_f64 v[90:91], vcc, 1.0, v[76:77], 1.0
	v_fma_f64 v[92:93], -v[86:87], v[88:89], 1.0
	v_fmac_f64_e32 v[88:89], v[88:89], v[92:93]
	v_fma_f64 v[92:93], -v[86:87], v[88:89], 1.0
	v_fmac_f64_e32 v[88:89], v[88:89], v[92:93]
	v_mul_f64 v[92:93], v[90:91], v[88:89]
	v_fma_f64 v[86:87], -v[86:87], v[92:93], v[90:91]
	v_div_fmas_f64 v[86:87], v[86:87], v[88:89], v[92:93]
	v_div_fixup_f64 v[76:77], v[86:87], v[76:77], 1.0
; %bb.393:
	s_or_b64 exec, exec, s[0:1]
	v_cmp_ne_u32_e32 vcc, v81, v78
	s_and_saveexec_b64 s[0:1], vcc
	s_xor_b64 s[0:1], exec, s[0:1]
	s_cbranch_execz .LBB70_399
; %bb.394:
	v_cmp_eq_u32_e32 vcc, 23, v81
	s_and_saveexec_b64 s[2:3], vcc
	s_cbranch_execz .LBB70_398
; %bb.395:
	v_cmp_ne_u32_e32 vcc, 23, v78
	s_xor_b64 s[14:15], s[6:7], -1
	s_and_b64 s[16:17], s[14:15], vcc
	s_and_saveexec_b64 s[14:15], s[16:17]
	s_cbranch_execz .LBB70_397
; %bb.396:
	v_ashrrev_i32_e32 v79, 31, v78
	v_lshlrev_b64 v[86:87], 2, v[78:79]
	v_add_co_u32_e32 v86, vcc, v4, v86
	v_addc_co_u32_e32 v87, vcc, v5, v87, vcc
	flat_load_dword v79, v[86:87]
	flat_load_dword v81, v[4:5] offset:92
	s_waitcnt vmcnt(0) lgkmcnt(0)
	flat_store_dword v[4:5], v79 offset:92
	flat_store_dword v[86:87], v81
.LBB70_397:
	s_or_b64 exec, exec, s[14:15]
	v_mov_b32_e32 v79, v78
	v_mov_b32_e32 v81, v78
.LBB70_398:
	s_or_b64 exec, exec, s[2:3]
.LBB70_399:
	s_andn2_saveexec_b64 s[0:1], s[0:1]
	s_cbranch_execz .LBB70_401
; %bb.400:
	v_mov_b32_e32 v86, v24
	v_mov_b32_e32 v87, v25
	v_mov_b32_e32 v88, v22
	v_mov_b32_e32 v89, v23
	ds_write2_b64 v80, v[86:87], v[88:89] offset0:24 offset1:25
	v_mov_b32_e32 v86, v20
	v_mov_b32_e32 v87, v21
	v_mov_b32_e32 v88, v18
	v_mov_b32_e32 v89, v19
	ds_write2_b64 v80, v[86:87], v[88:89] offset0:26 offset1:27
	;; [unrolled: 5-line block ×5, first 2 shown]
	v_mov_b32_e32 v86, v0
	v_mov_b32_e32 v87, v1
	;; [unrolled: 1-line block ×3, first 2 shown]
	ds_write2_b64 v80, v[86:87], v[74:75] offset0:34 offset1:35
.LBB70_401:
	s_or_b64 exec, exec, s[0:1]
	v_cmp_lt_i32_e32 vcc, 23, v81
	s_waitcnt lgkmcnt(0)
	s_barrier
	s_and_saveexec_b64 s[0:1], vcc
	s_cbranch_execz .LBB70_403
; %bb.402:
	ds_read2_b64 v[86:89], v80 offset0:24 offset1:25
	ds_read2_b64 v[90:93], v80 offset0:26 offset1:27
	ds_read2_b64 v[94:97], v80 offset0:28 offset1:29
	v_mul_f64 v[26:27], v[76:77], v[26:27]
	s_waitcnt lgkmcnt(0)
	v_fma_f64 v[24:25], -v[26:27], v[86:87], v[24:25]
	v_fma_f64 v[22:23], -v[26:27], v[88:89], v[22:23]
	ds_read2_b64 v[86:89], v80 offset0:30 offset1:31
	v_fma_f64 v[20:21], -v[26:27], v[90:91], v[20:21]
	v_fma_f64 v[18:19], -v[26:27], v[92:93], v[18:19]
	;; [unrolled: 1-line block ×3, first 2 shown]
	ds_read2_b64 v[90:93], v80 offset0:32 offset1:33
	v_fma_f64 v[12:13], -v[26:27], v[96:97], v[12:13]
	ds_read2_b64 v[94:97], v80 offset0:34 offset1:35
	s_waitcnt lgkmcnt(0)
	v_fma_f64 v[14:15], -v[26:27], v[86:87], v[14:15]
	v_fma_f64 v[10:11], -v[26:27], v[88:89], v[10:11]
	;; [unrolled: 1-line block ×6, first 2 shown]
.LBB70_403:
	s_or_b64 exec, exec, s[0:1]
	v_lshl_add_u32 v76, v81, 3, v80
	s_barrier
	ds_write_b64 v76, v[24:25]
	s_waitcnt lgkmcnt(0)
	s_barrier
	ds_read_b64 v[76:77], v80 offset:192
	s_cmp_lt_i32 s18, 26
	v_mov_b32_e32 v78, 24
	s_cbranch_scc1 .LBB70_406
; %bb.404:
	v_add_u32_e32 v85, 0xc8, v80
	s_mov_b32 s0, 25
	v_mov_b32_e32 v78, 24
.LBB70_405:                             ; =>This Inner Loop Header: Depth=1
	ds_read_b64 v[86:87], v85
	v_mov_b32_e32 v88, s0
	s_add_i32 s0, s0, 1
	v_add_u32_e32 v85, 8, v85
	s_cmp_lg_u32 s18, s0
	s_waitcnt lgkmcnt(0)
	v_cmp_lt_f64_e64 vcc, |v[76:77]|, |v[86:87]|
	v_cndmask_b32_e32 v77, v77, v87, vcc
	v_cndmask_b32_e32 v76, v76, v86, vcc
	;; [unrolled: 1-line block ×3, first 2 shown]
	s_cbranch_scc1 .LBB70_405
.LBB70_406:
	s_waitcnt lgkmcnt(0)
	v_cmp_eq_f64_e32 vcc, 0, v[76:77]
	s_and_saveexec_b64 s[0:1], vcc
	s_xor_b64 s[0:1], exec, s[0:1]
; %bb.407:
	v_cmp_ne_u32_e32 vcc, 0, v84
	v_cndmask_b32_e32 v84, 25, v84, vcc
; %bb.408:
	s_andn2_saveexec_b64 s[0:1], s[0:1]
; %bb.409:
	v_div_scale_f64 v[86:87], s[2:3], v[76:77], v[76:77], 1.0
	v_rcp_f64_e32 v[88:89], v[86:87]
	v_div_scale_f64 v[90:91], vcc, 1.0, v[76:77], 1.0
	v_fma_f64 v[92:93], -v[86:87], v[88:89], 1.0
	v_fmac_f64_e32 v[88:89], v[88:89], v[92:93]
	v_fma_f64 v[92:93], -v[86:87], v[88:89], 1.0
	v_fmac_f64_e32 v[88:89], v[88:89], v[92:93]
	v_mul_f64 v[92:93], v[90:91], v[88:89]
	v_fma_f64 v[86:87], -v[86:87], v[92:93], v[90:91]
	v_div_fmas_f64 v[86:87], v[86:87], v[88:89], v[92:93]
	v_div_fixup_f64 v[76:77], v[86:87], v[76:77], 1.0
; %bb.410:
	s_or_b64 exec, exec, s[0:1]
	v_cmp_ne_u32_e32 vcc, v81, v78
	s_and_saveexec_b64 s[0:1], vcc
	s_xor_b64 s[0:1], exec, s[0:1]
	s_cbranch_execz .LBB70_416
; %bb.411:
	v_cmp_eq_u32_e32 vcc, 24, v81
	s_and_saveexec_b64 s[2:3], vcc
	s_cbranch_execz .LBB70_415
; %bb.412:
	v_cmp_ne_u32_e32 vcc, 24, v78
	s_xor_b64 s[14:15], s[6:7], -1
	s_and_b64 s[16:17], s[14:15], vcc
	s_and_saveexec_b64 s[14:15], s[16:17]
	s_cbranch_execz .LBB70_414
; %bb.413:
	v_ashrrev_i32_e32 v79, 31, v78
	v_lshlrev_b64 v[86:87], 2, v[78:79]
	v_add_co_u32_e32 v86, vcc, v4, v86
	v_addc_co_u32_e32 v87, vcc, v5, v87, vcc
	flat_load_dword v79, v[86:87]
	flat_load_dword v81, v[4:5] offset:96
	s_waitcnt vmcnt(0) lgkmcnt(0)
	flat_store_dword v[4:5], v79 offset:96
	flat_store_dword v[86:87], v81
.LBB70_414:
	s_or_b64 exec, exec, s[14:15]
	v_mov_b32_e32 v79, v78
	v_mov_b32_e32 v81, v78
.LBB70_415:
	s_or_b64 exec, exec, s[2:3]
.LBB70_416:
	s_andn2_saveexec_b64 s[0:1], s[0:1]
	s_cbranch_execz .LBB70_418
; %bb.417:
	v_mov_b32_e32 v81, 24
	ds_write2_b64 v80, v[22:23], v[20:21] offset0:25 offset1:26
	ds_write2_b64 v80, v[18:19], v[16:17] offset0:27 offset1:28
	ds_write2_b64 v80, v[12:13], v[14:15] offset0:29 offset1:30
	ds_write2_b64 v80, v[10:11], v[8:9] offset0:31 offset1:32
	ds_write2_b64 v80, v[6:7], v[0:1] offset0:33 offset1:34
	ds_write_b64 v80, v[74:75] offset:280
.LBB70_418:
	s_or_b64 exec, exec, s[0:1]
	v_cmp_lt_i32_e32 vcc, 24, v81
	s_waitcnt lgkmcnt(0)
	s_barrier
	s_and_saveexec_b64 s[0:1], vcc
	s_cbranch_execz .LBB70_420
; %bb.419:
	ds_read2_b64 v[86:89], v80 offset0:25 offset1:26
	ds_read2_b64 v[90:93], v80 offset0:27 offset1:28
	v_mul_f64 v[24:25], v[76:77], v[24:25]
	ds_read2_b64 v[94:97], v80 offset0:29 offset1:30
	ds_read_b64 v[76:77], v80 offset:280
	s_waitcnt lgkmcnt(0)
	v_fma_f64 v[22:23], -v[24:25], v[86:87], v[22:23]
	v_fma_f64 v[20:21], -v[24:25], v[88:89], v[20:21]
	ds_read2_b64 v[86:89], v80 offset0:31 offset1:32
	v_fma_f64 v[18:19], -v[24:25], v[90:91], v[18:19]
	v_fma_f64 v[16:17], -v[24:25], v[92:93], v[16:17]
	ds_read2_b64 v[90:93], v80 offset0:33 offset1:34
	v_fma_f64 v[12:13], -v[24:25], v[94:95], v[12:13]
	v_fma_f64 v[14:15], -v[24:25], v[96:97], v[14:15]
	s_waitcnt lgkmcnt(0)
	v_fma_f64 v[10:11], -v[24:25], v[86:87], v[10:11]
	v_fma_f64 v[8:9], -v[24:25], v[88:89], v[8:9]
	;; [unrolled: 1-line block ×5, first 2 shown]
.LBB70_420:
	s_or_b64 exec, exec, s[0:1]
	v_lshl_add_u32 v76, v81, 3, v80
	s_barrier
	ds_write_b64 v76, v[22:23]
	s_waitcnt lgkmcnt(0)
	s_barrier
	ds_read_b64 v[76:77], v80 offset:200
	s_cmp_lt_i32 s18, 27
	v_mov_b32_e32 v78, 25
	s_cbranch_scc1 .LBB70_423
; %bb.421:
	v_add_u32_e32 v85, 0xd0, v80
	s_mov_b32 s0, 26
	v_mov_b32_e32 v78, 25
.LBB70_422:                             ; =>This Inner Loop Header: Depth=1
	ds_read_b64 v[86:87], v85
	v_mov_b32_e32 v88, s0
	s_add_i32 s0, s0, 1
	v_add_u32_e32 v85, 8, v85
	s_cmp_lg_u32 s18, s0
	s_waitcnt lgkmcnt(0)
	v_cmp_lt_f64_e64 vcc, |v[76:77]|, |v[86:87]|
	v_cndmask_b32_e32 v77, v77, v87, vcc
	v_cndmask_b32_e32 v76, v76, v86, vcc
	;; [unrolled: 1-line block ×3, first 2 shown]
	s_cbranch_scc1 .LBB70_422
.LBB70_423:
	s_waitcnt lgkmcnt(0)
	v_cmp_eq_f64_e32 vcc, 0, v[76:77]
	s_and_saveexec_b64 s[0:1], vcc
	s_xor_b64 s[0:1], exec, s[0:1]
; %bb.424:
	v_cmp_ne_u32_e32 vcc, 0, v84
	v_cndmask_b32_e32 v84, 26, v84, vcc
; %bb.425:
	s_andn2_saveexec_b64 s[0:1], s[0:1]
; %bb.426:
	v_div_scale_f64 v[86:87], s[2:3], v[76:77], v[76:77], 1.0
	v_rcp_f64_e32 v[88:89], v[86:87]
	v_div_scale_f64 v[90:91], vcc, 1.0, v[76:77], 1.0
	v_fma_f64 v[92:93], -v[86:87], v[88:89], 1.0
	v_fmac_f64_e32 v[88:89], v[88:89], v[92:93]
	v_fma_f64 v[92:93], -v[86:87], v[88:89], 1.0
	v_fmac_f64_e32 v[88:89], v[88:89], v[92:93]
	v_mul_f64 v[92:93], v[90:91], v[88:89]
	v_fma_f64 v[86:87], -v[86:87], v[92:93], v[90:91]
	v_div_fmas_f64 v[86:87], v[86:87], v[88:89], v[92:93]
	v_div_fixup_f64 v[76:77], v[86:87], v[76:77], 1.0
; %bb.427:
	s_or_b64 exec, exec, s[0:1]
	v_cmp_ne_u32_e32 vcc, v81, v78
	s_and_saveexec_b64 s[0:1], vcc
	s_xor_b64 s[0:1], exec, s[0:1]
	s_cbranch_execz .LBB70_433
; %bb.428:
	v_cmp_eq_u32_e32 vcc, 25, v81
	s_and_saveexec_b64 s[2:3], vcc
	s_cbranch_execz .LBB70_432
; %bb.429:
	v_cmp_ne_u32_e32 vcc, 25, v78
	s_xor_b64 s[14:15], s[6:7], -1
	s_and_b64 s[16:17], s[14:15], vcc
	s_and_saveexec_b64 s[14:15], s[16:17]
	s_cbranch_execz .LBB70_431
; %bb.430:
	v_ashrrev_i32_e32 v79, 31, v78
	v_lshlrev_b64 v[86:87], 2, v[78:79]
	v_add_co_u32_e32 v86, vcc, v4, v86
	v_addc_co_u32_e32 v87, vcc, v5, v87, vcc
	flat_load_dword v79, v[86:87]
	flat_load_dword v81, v[4:5] offset:100
	s_waitcnt vmcnt(0) lgkmcnt(0)
	flat_store_dword v[4:5], v79 offset:100
	flat_store_dword v[86:87], v81
.LBB70_431:
	s_or_b64 exec, exec, s[14:15]
	v_mov_b32_e32 v79, v78
	v_mov_b32_e32 v81, v78
.LBB70_432:
	s_or_b64 exec, exec, s[2:3]
.LBB70_433:
	s_andn2_saveexec_b64 s[0:1], s[0:1]
	s_cbranch_execz .LBB70_435
; %bb.434:
	v_mov_b32_e32 v86, v20
	v_mov_b32_e32 v87, v21
	v_mov_b32_e32 v88, v18
	v_mov_b32_e32 v89, v19
	ds_write2_b64 v80, v[86:87], v[88:89] offset0:26 offset1:27
	v_mov_b32_e32 v86, v16
	v_mov_b32_e32 v87, v17
	v_mov_b32_e32 v88, v12
	v_mov_b32_e32 v89, v13
	ds_write2_b64 v80, v[86:87], v[88:89] offset0:28 offset1:29
	;; [unrolled: 5-line block ×4, first 2 shown]
	v_mov_b32_e32 v86, v0
	v_mov_b32_e32 v87, v1
	;; [unrolled: 1-line block ×3, first 2 shown]
	ds_write2_b64 v80, v[86:87], v[74:75] offset0:34 offset1:35
.LBB70_435:
	s_or_b64 exec, exec, s[0:1]
	v_cmp_lt_i32_e32 vcc, 25, v81
	s_waitcnt lgkmcnt(0)
	s_barrier
	s_and_saveexec_b64 s[0:1], vcc
	s_cbranch_execz .LBB70_437
; %bb.436:
	ds_read2_b64 v[86:89], v80 offset0:26 offset1:27
	ds_read2_b64 v[90:93], v80 offset0:28 offset1:29
	v_mul_f64 v[22:23], v[76:77], v[22:23]
	ds_read2_b64 v[94:97], v80 offset0:32 offset1:33
	s_waitcnt lgkmcnt(0)
	v_fma_f64 v[20:21], -v[22:23], v[86:87], v[20:21]
	v_fma_f64 v[18:19], -v[22:23], v[88:89], v[18:19]
	ds_read2_b64 v[86:89], v80 offset0:30 offset1:31
	v_fma_f64 v[16:17], -v[22:23], v[90:91], v[16:17]
	v_fma_f64 v[12:13], -v[22:23], v[92:93], v[12:13]
	ds_read2_b64 v[90:93], v80 offset0:34 offset1:35
	v_fma_f64 v[8:9], -v[22:23], v[94:95], v[8:9]
	s_waitcnt lgkmcnt(0)
	v_fma_f64 v[14:15], -v[22:23], v[86:87], v[14:15]
	v_fma_f64 v[10:11], -v[22:23], v[88:89], v[10:11]
	;; [unrolled: 1-line block ×5, first 2 shown]
.LBB70_437:
	s_or_b64 exec, exec, s[0:1]
	v_lshl_add_u32 v76, v81, 3, v80
	s_barrier
	ds_write_b64 v76, v[20:21]
	s_waitcnt lgkmcnt(0)
	s_barrier
	ds_read_b64 v[76:77], v80 offset:208
	s_cmp_lt_i32 s18, 28
	v_mov_b32_e32 v78, 26
	s_cbranch_scc1 .LBB70_440
; %bb.438:
	v_add_u32_e32 v85, 0xd8, v80
	s_mov_b32 s0, 27
	v_mov_b32_e32 v78, 26
.LBB70_439:                             ; =>This Inner Loop Header: Depth=1
	ds_read_b64 v[86:87], v85
	v_mov_b32_e32 v88, s0
	s_add_i32 s0, s0, 1
	v_add_u32_e32 v85, 8, v85
	s_cmp_lg_u32 s18, s0
	s_waitcnt lgkmcnt(0)
	v_cmp_lt_f64_e64 vcc, |v[76:77]|, |v[86:87]|
	v_cndmask_b32_e32 v77, v77, v87, vcc
	v_cndmask_b32_e32 v76, v76, v86, vcc
	;; [unrolled: 1-line block ×3, first 2 shown]
	s_cbranch_scc1 .LBB70_439
.LBB70_440:
	s_waitcnt lgkmcnt(0)
	v_cmp_eq_f64_e32 vcc, 0, v[76:77]
	s_and_saveexec_b64 s[0:1], vcc
	s_xor_b64 s[0:1], exec, s[0:1]
; %bb.441:
	v_cmp_ne_u32_e32 vcc, 0, v84
	v_cndmask_b32_e32 v84, 27, v84, vcc
; %bb.442:
	s_andn2_saveexec_b64 s[0:1], s[0:1]
; %bb.443:
	v_div_scale_f64 v[86:87], s[2:3], v[76:77], v[76:77], 1.0
	v_rcp_f64_e32 v[88:89], v[86:87]
	v_div_scale_f64 v[90:91], vcc, 1.0, v[76:77], 1.0
	v_fma_f64 v[92:93], -v[86:87], v[88:89], 1.0
	v_fmac_f64_e32 v[88:89], v[88:89], v[92:93]
	v_fma_f64 v[92:93], -v[86:87], v[88:89], 1.0
	v_fmac_f64_e32 v[88:89], v[88:89], v[92:93]
	v_mul_f64 v[92:93], v[90:91], v[88:89]
	v_fma_f64 v[86:87], -v[86:87], v[92:93], v[90:91]
	v_div_fmas_f64 v[86:87], v[86:87], v[88:89], v[92:93]
	v_div_fixup_f64 v[76:77], v[86:87], v[76:77], 1.0
; %bb.444:
	s_or_b64 exec, exec, s[0:1]
	v_cmp_ne_u32_e32 vcc, v81, v78
	s_and_saveexec_b64 s[0:1], vcc
	s_xor_b64 s[0:1], exec, s[0:1]
	s_cbranch_execz .LBB70_450
; %bb.445:
	v_cmp_eq_u32_e32 vcc, 26, v81
	s_and_saveexec_b64 s[2:3], vcc
	s_cbranch_execz .LBB70_449
; %bb.446:
	v_cmp_ne_u32_e32 vcc, 26, v78
	s_xor_b64 s[14:15], s[6:7], -1
	s_and_b64 s[16:17], s[14:15], vcc
	s_and_saveexec_b64 s[14:15], s[16:17]
	s_cbranch_execz .LBB70_448
; %bb.447:
	v_ashrrev_i32_e32 v79, 31, v78
	v_lshlrev_b64 v[86:87], 2, v[78:79]
	v_add_co_u32_e32 v86, vcc, v4, v86
	v_addc_co_u32_e32 v87, vcc, v5, v87, vcc
	flat_load_dword v79, v[86:87]
	flat_load_dword v81, v[4:5] offset:104
	s_waitcnt vmcnt(0) lgkmcnt(0)
	flat_store_dword v[4:5], v79 offset:104
	flat_store_dword v[86:87], v81
.LBB70_448:
	s_or_b64 exec, exec, s[14:15]
	v_mov_b32_e32 v79, v78
	v_mov_b32_e32 v81, v78
.LBB70_449:
	s_or_b64 exec, exec, s[2:3]
.LBB70_450:
	s_andn2_saveexec_b64 s[0:1], s[0:1]
	s_cbranch_execz .LBB70_452
; %bb.451:
	v_mov_b32_e32 v81, 26
	ds_write2_b64 v80, v[18:19], v[16:17] offset0:27 offset1:28
	ds_write2_b64 v80, v[12:13], v[14:15] offset0:29 offset1:30
	;; [unrolled: 1-line block ×4, first 2 shown]
	ds_write_b64 v80, v[74:75] offset:280
.LBB70_452:
	s_or_b64 exec, exec, s[0:1]
	v_cmp_lt_i32_e32 vcc, 26, v81
	s_waitcnt lgkmcnt(0)
	s_barrier
	s_and_saveexec_b64 s[0:1], vcc
	s_cbranch_execz .LBB70_454
; %bb.453:
	ds_read2_b64 v[86:89], v80 offset0:27 offset1:28
	ds_read2_b64 v[90:93], v80 offset0:29 offset1:30
	v_mul_f64 v[20:21], v[76:77], v[20:21]
	ds_read_b64 v[76:77], v80 offset:280
	ds_read2_b64 v[94:97], v80 offset0:33 offset1:34
	s_waitcnt lgkmcnt(0)
	v_fma_f64 v[18:19], -v[20:21], v[86:87], v[18:19]
	v_fma_f64 v[16:17], -v[20:21], v[88:89], v[16:17]
	ds_read2_b64 v[86:89], v80 offset0:31 offset1:32
	v_fma_f64 v[12:13], -v[20:21], v[90:91], v[12:13]
	v_fma_f64 v[14:15], -v[20:21], v[92:93], v[14:15]
	;; [unrolled: 1-line block ×4, first 2 shown]
	s_waitcnt lgkmcnt(0)
	v_fma_f64 v[10:11], -v[20:21], v[86:87], v[10:11]
	v_fma_f64 v[8:9], -v[20:21], v[88:89], v[8:9]
	;; [unrolled: 1-line block ×3, first 2 shown]
.LBB70_454:
	s_or_b64 exec, exec, s[0:1]
	v_lshl_add_u32 v76, v81, 3, v80
	s_barrier
	ds_write_b64 v76, v[18:19]
	s_waitcnt lgkmcnt(0)
	s_barrier
	ds_read_b64 v[76:77], v80 offset:216
	s_cmp_lt_i32 s18, 29
	v_mov_b32_e32 v78, 27
	s_cbranch_scc1 .LBB70_457
; %bb.455:
	v_add_u32_e32 v85, 0xe0, v80
	s_mov_b32 s0, 28
	v_mov_b32_e32 v78, 27
.LBB70_456:                             ; =>This Inner Loop Header: Depth=1
	ds_read_b64 v[86:87], v85
	v_mov_b32_e32 v88, s0
	s_add_i32 s0, s0, 1
	v_add_u32_e32 v85, 8, v85
	s_cmp_lg_u32 s18, s0
	s_waitcnt lgkmcnt(0)
	v_cmp_lt_f64_e64 vcc, |v[76:77]|, |v[86:87]|
	v_cndmask_b32_e32 v77, v77, v87, vcc
	v_cndmask_b32_e32 v76, v76, v86, vcc
	;; [unrolled: 1-line block ×3, first 2 shown]
	s_cbranch_scc1 .LBB70_456
.LBB70_457:
	s_waitcnt lgkmcnt(0)
	v_cmp_eq_f64_e32 vcc, 0, v[76:77]
	s_and_saveexec_b64 s[0:1], vcc
	s_xor_b64 s[0:1], exec, s[0:1]
; %bb.458:
	v_cmp_ne_u32_e32 vcc, 0, v84
	v_cndmask_b32_e32 v84, 28, v84, vcc
; %bb.459:
	s_andn2_saveexec_b64 s[0:1], s[0:1]
; %bb.460:
	v_div_scale_f64 v[86:87], s[2:3], v[76:77], v[76:77], 1.0
	v_rcp_f64_e32 v[88:89], v[86:87]
	v_div_scale_f64 v[90:91], vcc, 1.0, v[76:77], 1.0
	v_fma_f64 v[92:93], -v[86:87], v[88:89], 1.0
	v_fmac_f64_e32 v[88:89], v[88:89], v[92:93]
	v_fma_f64 v[92:93], -v[86:87], v[88:89], 1.0
	v_fmac_f64_e32 v[88:89], v[88:89], v[92:93]
	v_mul_f64 v[92:93], v[90:91], v[88:89]
	v_fma_f64 v[86:87], -v[86:87], v[92:93], v[90:91]
	v_div_fmas_f64 v[86:87], v[86:87], v[88:89], v[92:93]
	v_div_fixup_f64 v[76:77], v[86:87], v[76:77], 1.0
; %bb.461:
	s_or_b64 exec, exec, s[0:1]
	v_cmp_ne_u32_e32 vcc, v81, v78
	s_and_saveexec_b64 s[0:1], vcc
	s_xor_b64 s[0:1], exec, s[0:1]
	s_cbranch_execz .LBB70_467
; %bb.462:
	v_cmp_eq_u32_e32 vcc, 27, v81
	s_and_saveexec_b64 s[2:3], vcc
	s_cbranch_execz .LBB70_466
; %bb.463:
	v_cmp_ne_u32_e32 vcc, 27, v78
	s_xor_b64 s[14:15], s[6:7], -1
	s_and_b64 s[16:17], s[14:15], vcc
	s_and_saveexec_b64 s[14:15], s[16:17]
	s_cbranch_execz .LBB70_465
; %bb.464:
	v_ashrrev_i32_e32 v79, 31, v78
	v_lshlrev_b64 v[86:87], 2, v[78:79]
	v_add_co_u32_e32 v86, vcc, v4, v86
	v_addc_co_u32_e32 v87, vcc, v5, v87, vcc
	flat_load_dword v79, v[86:87]
	flat_load_dword v81, v[4:5] offset:108
	s_waitcnt vmcnt(0) lgkmcnt(0)
	flat_store_dword v[4:5], v79 offset:108
	flat_store_dword v[86:87], v81
.LBB70_465:
	s_or_b64 exec, exec, s[14:15]
	v_mov_b32_e32 v79, v78
	v_mov_b32_e32 v81, v78
.LBB70_466:
	s_or_b64 exec, exec, s[2:3]
.LBB70_467:
	s_andn2_saveexec_b64 s[0:1], s[0:1]
	s_cbranch_execz .LBB70_469
; %bb.468:
	v_mov_b32_e32 v86, v16
	v_mov_b32_e32 v87, v17
	v_mov_b32_e32 v88, v12
	v_mov_b32_e32 v89, v13
	ds_write2_b64 v80, v[86:87], v[88:89] offset0:28 offset1:29
	v_mov_b32_e32 v86, v14
	v_mov_b32_e32 v87, v15
	v_mov_b32_e32 v88, v10
	v_mov_b32_e32 v89, v11
	ds_write2_b64 v80, v[86:87], v[88:89] offset0:30 offset1:31
	;; [unrolled: 5-line block ×3, first 2 shown]
	v_mov_b32_e32 v86, v0
	v_mov_b32_e32 v87, v1
	;; [unrolled: 1-line block ×3, first 2 shown]
	ds_write2_b64 v80, v[86:87], v[74:75] offset0:34 offset1:35
.LBB70_469:
	s_or_b64 exec, exec, s[0:1]
	v_cmp_lt_i32_e32 vcc, 27, v81
	s_waitcnt lgkmcnt(0)
	s_barrier
	s_and_saveexec_b64 s[0:1], vcc
	s_cbranch_execz .LBB70_471
; %bb.470:
	ds_read2_b64 v[86:89], v80 offset0:28 offset1:29
	ds_read2_b64 v[90:93], v80 offset0:30 offset1:31
	v_mul_f64 v[18:19], v[76:77], v[18:19]
	ds_read2_b64 v[94:97], v80 offset0:32 offset1:33
	s_waitcnt lgkmcnt(0)
	v_fma_f64 v[16:17], -v[18:19], v[86:87], v[16:17]
	v_fma_f64 v[12:13], -v[18:19], v[88:89], v[12:13]
	ds_read2_b64 v[86:89], v80 offset0:34 offset1:35
	v_fma_f64 v[14:15], -v[18:19], v[90:91], v[14:15]
	v_fma_f64 v[10:11], -v[18:19], v[92:93], v[10:11]
	;; [unrolled: 1-line block ×4, first 2 shown]
	s_waitcnt lgkmcnt(0)
	v_fma_f64 v[0:1], -v[18:19], v[86:87], v[0:1]
	v_fma_f64 v[74:75], -v[18:19], v[88:89], v[74:75]
.LBB70_471:
	s_or_b64 exec, exec, s[0:1]
	v_lshl_add_u32 v76, v81, 3, v80
	s_barrier
	ds_write_b64 v76, v[16:17]
	s_waitcnt lgkmcnt(0)
	s_barrier
	ds_read_b64 v[76:77], v80 offset:224
	s_cmp_lt_i32 s18, 30
	v_mov_b32_e32 v78, 28
	s_cbranch_scc1 .LBB70_474
; %bb.472:
	v_add_u32_e32 v85, 0xe8, v80
	s_mov_b32 s0, 29
	v_mov_b32_e32 v78, 28
.LBB70_473:                             ; =>This Inner Loop Header: Depth=1
	ds_read_b64 v[86:87], v85
	v_mov_b32_e32 v88, s0
	s_add_i32 s0, s0, 1
	v_add_u32_e32 v85, 8, v85
	s_cmp_lg_u32 s18, s0
	s_waitcnt lgkmcnt(0)
	v_cmp_lt_f64_e64 vcc, |v[76:77]|, |v[86:87]|
	v_cndmask_b32_e32 v77, v77, v87, vcc
	v_cndmask_b32_e32 v76, v76, v86, vcc
	;; [unrolled: 1-line block ×3, first 2 shown]
	s_cbranch_scc1 .LBB70_473
.LBB70_474:
	s_waitcnt lgkmcnt(0)
	v_cmp_eq_f64_e32 vcc, 0, v[76:77]
	s_and_saveexec_b64 s[0:1], vcc
	s_xor_b64 s[0:1], exec, s[0:1]
; %bb.475:
	v_cmp_ne_u32_e32 vcc, 0, v84
	v_cndmask_b32_e32 v84, 29, v84, vcc
; %bb.476:
	s_andn2_saveexec_b64 s[0:1], s[0:1]
; %bb.477:
	v_div_scale_f64 v[86:87], s[2:3], v[76:77], v[76:77], 1.0
	v_rcp_f64_e32 v[88:89], v[86:87]
	v_div_scale_f64 v[90:91], vcc, 1.0, v[76:77], 1.0
	v_fma_f64 v[92:93], -v[86:87], v[88:89], 1.0
	v_fmac_f64_e32 v[88:89], v[88:89], v[92:93]
	v_fma_f64 v[92:93], -v[86:87], v[88:89], 1.0
	v_fmac_f64_e32 v[88:89], v[88:89], v[92:93]
	v_mul_f64 v[92:93], v[90:91], v[88:89]
	v_fma_f64 v[86:87], -v[86:87], v[92:93], v[90:91]
	v_div_fmas_f64 v[86:87], v[86:87], v[88:89], v[92:93]
	v_div_fixup_f64 v[76:77], v[86:87], v[76:77], 1.0
; %bb.478:
	s_or_b64 exec, exec, s[0:1]
	v_cmp_ne_u32_e32 vcc, v81, v78
	s_and_saveexec_b64 s[0:1], vcc
	s_xor_b64 s[0:1], exec, s[0:1]
	s_cbranch_execz .LBB70_484
; %bb.479:
	v_cmp_eq_u32_e32 vcc, 28, v81
	s_and_saveexec_b64 s[2:3], vcc
	s_cbranch_execz .LBB70_483
; %bb.480:
	v_cmp_ne_u32_e32 vcc, 28, v78
	s_xor_b64 s[14:15], s[6:7], -1
	s_and_b64 s[16:17], s[14:15], vcc
	s_and_saveexec_b64 s[14:15], s[16:17]
	s_cbranch_execz .LBB70_482
; %bb.481:
	v_ashrrev_i32_e32 v79, 31, v78
	v_lshlrev_b64 v[86:87], 2, v[78:79]
	v_add_co_u32_e32 v86, vcc, v4, v86
	v_addc_co_u32_e32 v87, vcc, v5, v87, vcc
	flat_load_dword v79, v[86:87]
	flat_load_dword v81, v[4:5] offset:112
	s_waitcnt vmcnt(0) lgkmcnt(0)
	flat_store_dword v[4:5], v79 offset:112
	flat_store_dword v[86:87], v81
.LBB70_482:
	s_or_b64 exec, exec, s[14:15]
	v_mov_b32_e32 v79, v78
	v_mov_b32_e32 v81, v78
.LBB70_483:
	s_or_b64 exec, exec, s[2:3]
.LBB70_484:
	s_andn2_saveexec_b64 s[0:1], s[0:1]
	s_cbranch_execz .LBB70_486
; %bb.485:
	v_mov_b32_e32 v81, 28
	ds_write2_b64 v80, v[12:13], v[14:15] offset0:29 offset1:30
	ds_write2_b64 v80, v[10:11], v[8:9] offset0:31 offset1:32
	;; [unrolled: 1-line block ×3, first 2 shown]
	ds_write_b64 v80, v[74:75] offset:280
.LBB70_486:
	s_or_b64 exec, exec, s[0:1]
	v_cmp_lt_i32_e32 vcc, 28, v81
	s_waitcnt lgkmcnt(0)
	s_barrier
	s_and_saveexec_b64 s[0:1], vcc
	s_cbranch_execz .LBB70_488
; %bb.487:
	ds_read2_b64 v[86:89], v80 offset0:29 offset1:30
	ds_read2_b64 v[90:93], v80 offset0:31 offset1:32
	v_mul_f64 v[16:17], v[76:77], v[16:17]
	ds_read2_b64 v[94:97], v80 offset0:33 offset1:34
	ds_read_b64 v[76:77], v80 offset:280
	s_waitcnt lgkmcnt(0)
	v_fma_f64 v[12:13], -v[16:17], v[86:87], v[12:13]
	v_fma_f64 v[14:15], -v[16:17], v[88:89], v[14:15]
	;; [unrolled: 1-line block ×7, first 2 shown]
.LBB70_488:
	s_or_b64 exec, exec, s[0:1]
	v_lshl_add_u32 v76, v81, 3, v80
	s_barrier
	ds_write_b64 v76, v[12:13]
	s_waitcnt lgkmcnt(0)
	s_barrier
	ds_read_b64 v[76:77], v80 offset:232
	s_cmp_lt_i32 s18, 31
	v_mov_b32_e32 v78, 29
	s_cbranch_scc1 .LBB70_491
; %bb.489:
	v_add_u32_e32 v85, 0xf0, v80
	s_mov_b32 s0, 30
	v_mov_b32_e32 v78, 29
.LBB70_490:                             ; =>This Inner Loop Header: Depth=1
	ds_read_b64 v[86:87], v85
	v_mov_b32_e32 v88, s0
	s_add_i32 s0, s0, 1
	v_add_u32_e32 v85, 8, v85
	s_cmp_lg_u32 s18, s0
	s_waitcnt lgkmcnt(0)
	v_cmp_lt_f64_e64 vcc, |v[76:77]|, |v[86:87]|
	v_cndmask_b32_e32 v77, v77, v87, vcc
	v_cndmask_b32_e32 v76, v76, v86, vcc
	;; [unrolled: 1-line block ×3, first 2 shown]
	s_cbranch_scc1 .LBB70_490
.LBB70_491:
	s_waitcnt lgkmcnt(0)
	v_cmp_eq_f64_e32 vcc, 0, v[76:77]
	s_and_saveexec_b64 s[0:1], vcc
	s_xor_b64 s[0:1], exec, s[0:1]
; %bb.492:
	v_cmp_ne_u32_e32 vcc, 0, v84
	v_cndmask_b32_e32 v84, 30, v84, vcc
; %bb.493:
	s_andn2_saveexec_b64 s[0:1], s[0:1]
; %bb.494:
	v_div_scale_f64 v[86:87], s[2:3], v[76:77], v[76:77], 1.0
	v_rcp_f64_e32 v[88:89], v[86:87]
	v_div_scale_f64 v[90:91], vcc, 1.0, v[76:77], 1.0
	v_fma_f64 v[92:93], -v[86:87], v[88:89], 1.0
	v_fmac_f64_e32 v[88:89], v[88:89], v[92:93]
	v_fma_f64 v[92:93], -v[86:87], v[88:89], 1.0
	v_fmac_f64_e32 v[88:89], v[88:89], v[92:93]
	v_mul_f64 v[92:93], v[90:91], v[88:89]
	v_fma_f64 v[86:87], -v[86:87], v[92:93], v[90:91]
	v_div_fmas_f64 v[86:87], v[86:87], v[88:89], v[92:93]
	v_div_fixup_f64 v[76:77], v[86:87], v[76:77], 1.0
; %bb.495:
	s_or_b64 exec, exec, s[0:1]
	v_cmp_ne_u32_e32 vcc, v81, v78
	s_and_saveexec_b64 s[0:1], vcc
	s_xor_b64 s[0:1], exec, s[0:1]
	s_cbranch_execz .LBB70_501
; %bb.496:
	v_cmp_eq_u32_e32 vcc, 29, v81
	s_and_saveexec_b64 s[2:3], vcc
	s_cbranch_execz .LBB70_500
; %bb.497:
	v_cmp_ne_u32_e32 vcc, 29, v78
	s_xor_b64 s[14:15], s[6:7], -1
	s_and_b64 s[16:17], s[14:15], vcc
	s_and_saveexec_b64 s[14:15], s[16:17]
	s_cbranch_execz .LBB70_499
; %bb.498:
	v_ashrrev_i32_e32 v79, 31, v78
	v_lshlrev_b64 v[86:87], 2, v[78:79]
	v_add_co_u32_e32 v86, vcc, v4, v86
	v_addc_co_u32_e32 v87, vcc, v5, v87, vcc
	flat_load_dword v79, v[86:87]
	flat_load_dword v81, v[4:5] offset:116
	s_waitcnt vmcnt(0) lgkmcnt(0)
	flat_store_dword v[4:5], v79 offset:116
	flat_store_dword v[86:87], v81
.LBB70_499:
	s_or_b64 exec, exec, s[14:15]
	v_mov_b32_e32 v79, v78
	v_mov_b32_e32 v81, v78
.LBB70_500:
	s_or_b64 exec, exec, s[2:3]
.LBB70_501:
	s_andn2_saveexec_b64 s[0:1], s[0:1]
	s_cbranch_execz .LBB70_503
; %bb.502:
	v_mov_b32_e32 v86, v14
	v_mov_b32_e32 v87, v15
	;; [unrolled: 1-line block ×4, first 2 shown]
	ds_write2_b64 v80, v[86:87], v[88:89] offset0:30 offset1:31
	v_mov_b32_e32 v86, v8
	v_mov_b32_e32 v87, v9
	;; [unrolled: 1-line block ×4, first 2 shown]
	ds_write2_b64 v80, v[86:87], v[88:89] offset0:32 offset1:33
	v_mov_b32_e32 v86, v0
	v_mov_b32_e32 v87, v1
	;; [unrolled: 1-line block ×3, first 2 shown]
	ds_write2_b64 v80, v[86:87], v[74:75] offset0:34 offset1:35
.LBB70_503:
	s_or_b64 exec, exec, s[0:1]
	v_cmp_lt_i32_e32 vcc, 29, v81
	s_waitcnt lgkmcnt(0)
	s_barrier
	s_and_saveexec_b64 s[0:1], vcc
	s_cbranch_execz .LBB70_505
; %bb.504:
	ds_read2_b64 v[86:89], v80 offset0:30 offset1:31
	ds_read2_b64 v[90:93], v80 offset0:32 offset1:33
	;; [unrolled: 1-line block ×3, first 2 shown]
	v_mul_f64 v[12:13], v[76:77], v[12:13]
	s_waitcnt lgkmcnt(0)
	v_fma_f64 v[14:15], -v[12:13], v[86:87], v[14:15]
	v_fma_f64 v[10:11], -v[12:13], v[88:89], v[10:11]
	;; [unrolled: 1-line block ×6, first 2 shown]
.LBB70_505:
	s_or_b64 exec, exec, s[0:1]
	v_lshl_add_u32 v76, v81, 3, v80
	s_barrier
	ds_write_b64 v76, v[14:15]
	s_waitcnt lgkmcnt(0)
	s_barrier
	ds_read_b64 v[76:77], v80 offset:240
	s_cmp_lt_i32 s18, 32
	v_mov_b32_e32 v78, 30
	s_cbranch_scc1 .LBB70_508
; %bb.506:
	v_add_u32_e32 v85, 0xf8, v80
	s_mov_b32 s0, 31
	v_mov_b32_e32 v78, 30
.LBB70_507:                             ; =>This Inner Loop Header: Depth=1
	ds_read_b64 v[86:87], v85
	v_mov_b32_e32 v88, s0
	s_add_i32 s0, s0, 1
	v_add_u32_e32 v85, 8, v85
	s_cmp_lg_u32 s18, s0
	s_waitcnt lgkmcnt(0)
	v_cmp_lt_f64_e64 vcc, |v[76:77]|, |v[86:87]|
	v_cndmask_b32_e32 v77, v77, v87, vcc
	v_cndmask_b32_e32 v76, v76, v86, vcc
	;; [unrolled: 1-line block ×3, first 2 shown]
	s_cbranch_scc1 .LBB70_507
.LBB70_508:
	s_waitcnt lgkmcnt(0)
	v_cmp_eq_f64_e32 vcc, 0, v[76:77]
	s_and_saveexec_b64 s[0:1], vcc
	s_xor_b64 s[0:1], exec, s[0:1]
; %bb.509:
	v_cmp_ne_u32_e32 vcc, 0, v84
	v_cndmask_b32_e32 v84, 31, v84, vcc
; %bb.510:
	s_andn2_saveexec_b64 s[0:1], s[0:1]
; %bb.511:
	v_div_scale_f64 v[86:87], s[2:3], v[76:77], v[76:77], 1.0
	v_rcp_f64_e32 v[88:89], v[86:87]
	v_div_scale_f64 v[90:91], vcc, 1.0, v[76:77], 1.0
	v_fma_f64 v[92:93], -v[86:87], v[88:89], 1.0
	v_fmac_f64_e32 v[88:89], v[88:89], v[92:93]
	v_fma_f64 v[92:93], -v[86:87], v[88:89], 1.0
	v_fmac_f64_e32 v[88:89], v[88:89], v[92:93]
	v_mul_f64 v[92:93], v[90:91], v[88:89]
	v_fma_f64 v[86:87], -v[86:87], v[92:93], v[90:91]
	v_div_fmas_f64 v[86:87], v[86:87], v[88:89], v[92:93]
	v_div_fixup_f64 v[76:77], v[86:87], v[76:77], 1.0
; %bb.512:
	s_or_b64 exec, exec, s[0:1]
	v_cmp_ne_u32_e32 vcc, v81, v78
	s_and_saveexec_b64 s[0:1], vcc
	s_xor_b64 s[0:1], exec, s[0:1]
	s_cbranch_execz .LBB70_518
; %bb.513:
	v_cmp_eq_u32_e32 vcc, 30, v81
	s_and_saveexec_b64 s[2:3], vcc
	s_cbranch_execz .LBB70_517
; %bb.514:
	v_cmp_ne_u32_e32 vcc, 30, v78
	s_xor_b64 s[14:15], s[6:7], -1
	s_and_b64 s[16:17], s[14:15], vcc
	s_and_saveexec_b64 s[14:15], s[16:17]
	s_cbranch_execz .LBB70_516
; %bb.515:
	v_ashrrev_i32_e32 v79, 31, v78
	v_lshlrev_b64 v[86:87], 2, v[78:79]
	v_add_co_u32_e32 v86, vcc, v4, v86
	v_addc_co_u32_e32 v87, vcc, v5, v87, vcc
	flat_load_dword v79, v[86:87]
	flat_load_dword v81, v[4:5] offset:120
	s_waitcnt vmcnt(0) lgkmcnt(0)
	flat_store_dword v[4:5], v79 offset:120
	flat_store_dword v[86:87], v81
.LBB70_516:
	s_or_b64 exec, exec, s[14:15]
	v_mov_b32_e32 v79, v78
	v_mov_b32_e32 v81, v78
.LBB70_517:
	s_or_b64 exec, exec, s[2:3]
.LBB70_518:
	s_andn2_saveexec_b64 s[0:1], s[0:1]
	s_cbranch_execz .LBB70_520
; %bb.519:
	v_mov_b32_e32 v81, 30
	ds_write2_b64 v80, v[10:11], v[8:9] offset0:31 offset1:32
	ds_write2_b64 v80, v[6:7], v[0:1] offset0:33 offset1:34
	ds_write_b64 v80, v[74:75] offset:280
.LBB70_520:
	s_or_b64 exec, exec, s[0:1]
	v_cmp_lt_i32_e32 vcc, 30, v81
	s_waitcnt lgkmcnt(0)
	s_barrier
	s_and_saveexec_b64 s[0:1], vcc
	s_cbranch_execz .LBB70_522
; %bb.521:
	ds_read2_b64 v[86:89], v80 offset0:31 offset1:32
	ds_read2_b64 v[90:93], v80 offset0:33 offset1:34
	v_mul_f64 v[14:15], v[76:77], v[14:15]
	ds_read_b64 v[76:77], v80 offset:280
	s_waitcnt lgkmcnt(0)
	v_fma_f64 v[10:11], -v[14:15], v[86:87], v[10:11]
	v_fma_f64 v[8:9], -v[14:15], v[88:89], v[8:9]
	;; [unrolled: 1-line block ×5, first 2 shown]
.LBB70_522:
	s_or_b64 exec, exec, s[0:1]
	v_lshl_add_u32 v76, v81, 3, v80
	s_barrier
	ds_write_b64 v76, v[10:11]
	s_waitcnt lgkmcnt(0)
	s_barrier
	ds_read_b64 v[76:77], v80 offset:248
	s_cmp_lt_i32 s18, 33
	v_mov_b32_e32 v78, 31
	s_cbranch_scc1 .LBB70_525
; %bb.523:
	v_add_u32_e32 v85, 0x100, v80
	s_mov_b32 s0, 32
	v_mov_b32_e32 v78, 31
.LBB70_524:                             ; =>This Inner Loop Header: Depth=1
	ds_read_b64 v[86:87], v85
	v_mov_b32_e32 v88, s0
	s_add_i32 s0, s0, 1
	v_add_u32_e32 v85, 8, v85
	s_cmp_lg_u32 s18, s0
	s_waitcnt lgkmcnt(0)
	v_cmp_lt_f64_e64 vcc, |v[76:77]|, |v[86:87]|
	v_cndmask_b32_e32 v77, v77, v87, vcc
	v_cndmask_b32_e32 v76, v76, v86, vcc
	;; [unrolled: 1-line block ×3, first 2 shown]
	s_cbranch_scc1 .LBB70_524
.LBB70_525:
	s_waitcnt lgkmcnt(0)
	v_cmp_eq_f64_e32 vcc, 0, v[76:77]
	s_and_saveexec_b64 s[0:1], vcc
	s_xor_b64 s[0:1], exec, s[0:1]
; %bb.526:
	v_cmp_ne_u32_e32 vcc, 0, v84
	v_cndmask_b32_e32 v84, 32, v84, vcc
; %bb.527:
	s_andn2_saveexec_b64 s[0:1], s[0:1]
; %bb.528:
	v_div_scale_f64 v[86:87], s[2:3], v[76:77], v[76:77], 1.0
	v_rcp_f64_e32 v[88:89], v[86:87]
	v_div_scale_f64 v[90:91], vcc, 1.0, v[76:77], 1.0
	v_fma_f64 v[92:93], -v[86:87], v[88:89], 1.0
	v_fmac_f64_e32 v[88:89], v[88:89], v[92:93]
	v_fma_f64 v[92:93], -v[86:87], v[88:89], 1.0
	v_fmac_f64_e32 v[88:89], v[88:89], v[92:93]
	v_mul_f64 v[92:93], v[90:91], v[88:89]
	v_fma_f64 v[86:87], -v[86:87], v[92:93], v[90:91]
	v_div_fmas_f64 v[86:87], v[86:87], v[88:89], v[92:93]
	v_div_fixup_f64 v[76:77], v[86:87], v[76:77], 1.0
; %bb.529:
	s_or_b64 exec, exec, s[0:1]
	v_cmp_ne_u32_e32 vcc, v81, v78
	s_and_saveexec_b64 s[0:1], vcc
	s_xor_b64 s[0:1], exec, s[0:1]
	s_cbranch_execz .LBB70_535
; %bb.530:
	v_cmp_eq_u32_e32 vcc, 31, v81
	s_and_saveexec_b64 s[2:3], vcc
	s_cbranch_execz .LBB70_534
; %bb.531:
	v_cmp_ne_u32_e32 vcc, 31, v78
	s_xor_b64 s[14:15], s[6:7], -1
	s_and_b64 s[16:17], s[14:15], vcc
	s_and_saveexec_b64 s[14:15], s[16:17]
	s_cbranch_execz .LBB70_533
; %bb.532:
	v_ashrrev_i32_e32 v79, 31, v78
	v_lshlrev_b64 v[86:87], 2, v[78:79]
	v_add_co_u32_e32 v86, vcc, v4, v86
	v_addc_co_u32_e32 v87, vcc, v5, v87, vcc
	flat_load_dword v79, v[86:87]
	flat_load_dword v81, v[4:5] offset:124
	s_waitcnt vmcnt(0) lgkmcnt(0)
	flat_store_dword v[4:5], v79 offset:124
	flat_store_dword v[86:87], v81
.LBB70_533:
	s_or_b64 exec, exec, s[14:15]
	v_mov_b32_e32 v79, v78
	v_mov_b32_e32 v81, v78
.LBB70_534:
	s_or_b64 exec, exec, s[2:3]
.LBB70_535:
	s_andn2_saveexec_b64 s[0:1], s[0:1]
	s_cbranch_execz .LBB70_537
; %bb.536:
	v_mov_b32_e32 v86, v8
	v_mov_b32_e32 v87, v9
	;; [unrolled: 1-line block ×4, first 2 shown]
	ds_write2_b64 v80, v[86:87], v[88:89] offset0:32 offset1:33
	v_mov_b32_e32 v86, v0
	v_mov_b32_e32 v87, v1
	;; [unrolled: 1-line block ×3, first 2 shown]
	ds_write2_b64 v80, v[86:87], v[74:75] offset0:34 offset1:35
.LBB70_537:
	s_or_b64 exec, exec, s[0:1]
	v_cmp_lt_i32_e32 vcc, 31, v81
	s_waitcnt lgkmcnt(0)
	s_barrier
	s_and_saveexec_b64 s[0:1], vcc
	s_cbranch_execz .LBB70_539
; %bb.538:
	ds_read2_b64 v[86:89], v80 offset0:32 offset1:33
	ds_read2_b64 v[90:93], v80 offset0:34 offset1:35
	v_mul_f64 v[10:11], v[76:77], v[10:11]
	s_waitcnt lgkmcnt(0)
	v_fma_f64 v[8:9], -v[10:11], v[86:87], v[8:9]
	v_fma_f64 v[6:7], -v[10:11], v[88:89], v[6:7]
	;; [unrolled: 1-line block ×4, first 2 shown]
.LBB70_539:
	s_or_b64 exec, exec, s[0:1]
	v_lshl_add_u32 v76, v81, 3, v80
	s_barrier
	ds_write_b64 v76, v[8:9]
	s_waitcnt lgkmcnt(0)
	s_barrier
	ds_read_b64 v[76:77], v80 offset:256
	s_cmp_lt_i32 s18, 34
	v_mov_b32_e32 v78, 32
	s_cbranch_scc1 .LBB70_542
; %bb.540:
	v_add_u32_e32 v85, 0x108, v80
	s_mov_b32 s0, 33
	v_mov_b32_e32 v78, 32
.LBB70_541:                             ; =>This Inner Loop Header: Depth=1
	ds_read_b64 v[86:87], v85
	v_mov_b32_e32 v88, s0
	s_add_i32 s0, s0, 1
	v_add_u32_e32 v85, 8, v85
	s_cmp_lg_u32 s18, s0
	s_waitcnt lgkmcnt(0)
	v_cmp_lt_f64_e64 vcc, |v[76:77]|, |v[86:87]|
	v_cndmask_b32_e32 v77, v77, v87, vcc
	v_cndmask_b32_e32 v76, v76, v86, vcc
	;; [unrolled: 1-line block ×3, first 2 shown]
	s_cbranch_scc1 .LBB70_541
.LBB70_542:
	s_waitcnt lgkmcnt(0)
	v_cmp_eq_f64_e32 vcc, 0, v[76:77]
	s_and_saveexec_b64 s[0:1], vcc
	s_xor_b64 s[0:1], exec, s[0:1]
; %bb.543:
	v_cmp_ne_u32_e32 vcc, 0, v84
	v_cndmask_b32_e32 v84, 33, v84, vcc
; %bb.544:
	s_andn2_saveexec_b64 s[0:1], s[0:1]
; %bb.545:
	v_div_scale_f64 v[86:87], s[2:3], v[76:77], v[76:77], 1.0
	v_rcp_f64_e32 v[88:89], v[86:87]
	v_div_scale_f64 v[90:91], vcc, 1.0, v[76:77], 1.0
	v_fma_f64 v[92:93], -v[86:87], v[88:89], 1.0
	v_fmac_f64_e32 v[88:89], v[88:89], v[92:93]
	v_fma_f64 v[92:93], -v[86:87], v[88:89], 1.0
	v_fmac_f64_e32 v[88:89], v[88:89], v[92:93]
	v_mul_f64 v[92:93], v[90:91], v[88:89]
	v_fma_f64 v[86:87], -v[86:87], v[92:93], v[90:91]
	v_div_fmas_f64 v[86:87], v[86:87], v[88:89], v[92:93]
	v_div_fixup_f64 v[76:77], v[86:87], v[76:77], 1.0
; %bb.546:
	s_or_b64 exec, exec, s[0:1]
	v_cmp_ne_u32_e32 vcc, v81, v78
	s_and_saveexec_b64 s[0:1], vcc
	s_xor_b64 s[0:1], exec, s[0:1]
	s_cbranch_execz .LBB70_552
; %bb.547:
	v_cmp_eq_u32_e32 vcc, 32, v81
	s_and_saveexec_b64 s[2:3], vcc
	s_cbranch_execz .LBB70_551
; %bb.548:
	v_cmp_ne_u32_e32 vcc, 32, v78
	s_xor_b64 s[14:15], s[6:7], -1
	s_and_b64 s[16:17], s[14:15], vcc
	s_and_saveexec_b64 s[14:15], s[16:17]
	s_cbranch_execz .LBB70_550
; %bb.549:
	v_ashrrev_i32_e32 v79, 31, v78
	v_lshlrev_b64 v[86:87], 2, v[78:79]
	v_add_co_u32_e32 v86, vcc, v4, v86
	v_addc_co_u32_e32 v87, vcc, v5, v87, vcc
	flat_load_dword v79, v[86:87]
	flat_load_dword v81, v[4:5] offset:128
	s_waitcnt vmcnt(0) lgkmcnt(0)
	flat_store_dword v[4:5], v79 offset:128
	flat_store_dword v[86:87], v81
.LBB70_550:
	s_or_b64 exec, exec, s[14:15]
	v_mov_b32_e32 v79, v78
	v_mov_b32_e32 v81, v78
.LBB70_551:
	s_or_b64 exec, exec, s[2:3]
.LBB70_552:
	s_andn2_saveexec_b64 s[0:1], s[0:1]
	s_cbranch_execz .LBB70_554
; %bb.553:
	v_mov_b32_e32 v81, 32
	ds_write2_b64 v80, v[6:7], v[0:1] offset0:33 offset1:34
	ds_write_b64 v80, v[74:75] offset:280
.LBB70_554:
	s_or_b64 exec, exec, s[0:1]
	v_cmp_lt_i32_e32 vcc, 32, v81
	s_waitcnt lgkmcnt(0)
	s_barrier
	s_and_saveexec_b64 s[0:1], vcc
	s_cbranch_execz .LBB70_556
; %bb.555:
	ds_read2_b64 v[86:89], v80 offset0:33 offset1:34
	ds_read_b64 v[90:91], v80 offset:280
	v_mul_f64 v[8:9], v[76:77], v[8:9]
	s_waitcnt lgkmcnt(0)
	v_fma_f64 v[6:7], -v[8:9], v[86:87], v[6:7]
	v_fma_f64 v[0:1], -v[8:9], v[88:89], v[0:1]
	;; [unrolled: 1-line block ×3, first 2 shown]
.LBB70_556:
	s_or_b64 exec, exec, s[0:1]
	v_lshl_add_u32 v76, v81, 3, v80
	s_barrier
	ds_write_b64 v76, v[6:7]
	s_waitcnt lgkmcnt(0)
	s_barrier
	ds_read_b64 v[76:77], v80 offset:264
	s_cmp_lt_i32 s18, 35
	v_mov_b32_e32 v78, 33
	s_cbranch_scc1 .LBB70_559
; %bb.557:
	v_add_u32_e32 v85, 0x110, v80
	s_mov_b32 s0, 34
	v_mov_b32_e32 v78, 33
.LBB70_558:                             ; =>This Inner Loop Header: Depth=1
	ds_read_b64 v[86:87], v85
	v_mov_b32_e32 v88, s0
	s_add_i32 s0, s0, 1
	v_add_u32_e32 v85, 8, v85
	s_cmp_lg_u32 s18, s0
	s_waitcnt lgkmcnt(0)
	v_cmp_lt_f64_e64 vcc, |v[76:77]|, |v[86:87]|
	v_cndmask_b32_e32 v77, v77, v87, vcc
	v_cndmask_b32_e32 v76, v76, v86, vcc
	;; [unrolled: 1-line block ×3, first 2 shown]
	s_cbranch_scc1 .LBB70_558
.LBB70_559:
	s_waitcnt lgkmcnt(0)
	v_cmp_eq_f64_e32 vcc, 0, v[76:77]
	s_and_saveexec_b64 s[0:1], vcc
	s_xor_b64 s[0:1], exec, s[0:1]
; %bb.560:
	v_cmp_ne_u32_e32 vcc, 0, v84
	v_cndmask_b32_e32 v84, 34, v84, vcc
; %bb.561:
	s_andn2_saveexec_b64 s[0:1], s[0:1]
; %bb.562:
	v_div_scale_f64 v[86:87], s[2:3], v[76:77], v[76:77], 1.0
	v_rcp_f64_e32 v[88:89], v[86:87]
	v_div_scale_f64 v[90:91], vcc, 1.0, v[76:77], 1.0
	v_fma_f64 v[92:93], -v[86:87], v[88:89], 1.0
	v_fmac_f64_e32 v[88:89], v[88:89], v[92:93]
	v_fma_f64 v[92:93], -v[86:87], v[88:89], 1.0
	v_fmac_f64_e32 v[88:89], v[88:89], v[92:93]
	v_mul_f64 v[92:93], v[90:91], v[88:89]
	v_fma_f64 v[86:87], -v[86:87], v[92:93], v[90:91]
	v_div_fmas_f64 v[86:87], v[86:87], v[88:89], v[92:93]
	v_div_fixup_f64 v[76:77], v[86:87], v[76:77], 1.0
; %bb.563:
	s_or_b64 exec, exec, s[0:1]
	v_cmp_ne_u32_e32 vcc, v81, v78
	s_and_saveexec_b64 s[0:1], vcc
	s_xor_b64 s[0:1], exec, s[0:1]
	s_cbranch_execz .LBB70_569
; %bb.564:
	v_cmp_eq_u32_e32 vcc, 33, v81
	s_and_saveexec_b64 s[2:3], vcc
	s_cbranch_execz .LBB70_568
; %bb.565:
	v_cmp_ne_u32_e32 vcc, 33, v78
	s_xor_b64 s[14:15], s[6:7], -1
	s_and_b64 s[16:17], s[14:15], vcc
	s_and_saveexec_b64 s[14:15], s[16:17]
	s_cbranch_execz .LBB70_567
; %bb.566:
	v_ashrrev_i32_e32 v79, 31, v78
	v_lshlrev_b64 v[86:87], 2, v[78:79]
	v_add_co_u32_e32 v86, vcc, v4, v86
	v_addc_co_u32_e32 v87, vcc, v5, v87, vcc
	flat_load_dword v79, v[86:87]
	flat_load_dword v81, v[4:5] offset:132
	s_waitcnt vmcnt(0) lgkmcnt(0)
	flat_store_dword v[4:5], v79 offset:132
	flat_store_dword v[86:87], v81
.LBB70_567:
	s_or_b64 exec, exec, s[14:15]
	v_mov_b32_e32 v79, v78
	v_mov_b32_e32 v81, v78
.LBB70_568:
	s_or_b64 exec, exec, s[2:3]
.LBB70_569:
	s_andn2_saveexec_b64 s[0:1], s[0:1]
	s_cbranch_execz .LBB70_571
; %bb.570:
	v_mov_b32_e32 v86, v0
	v_mov_b32_e32 v87, v1
	;; [unrolled: 1-line block ×3, first 2 shown]
	ds_write2_b64 v80, v[86:87], v[74:75] offset0:34 offset1:35
.LBB70_571:
	s_or_b64 exec, exec, s[0:1]
	v_cmp_lt_i32_e32 vcc, 33, v81
	s_waitcnt lgkmcnt(0)
	s_barrier
	s_and_saveexec_b64 s[0:1], vcc
	s_cbranch_execz .LBB70_573
; %bb.572:
	ds_read2_b64 v[86:89], v80 offset0:34 offset1:35
	v_mul_f64 v[6:7], v[76:77], v[6:7]
	s_waitcnt lgkmcnt(0)
	v_fma_f64 v[0:1], -v[6:7], v[86:87], v[0:1]
	v_fma_f64 v[74:75], -v[6:7], v[88:89], v[74:75]
.LBB70_573:
	s_or_b64 exec, exec, s[0:1]
	v_lshl_add_u32 v76, v81, 3, v80
	s_barrier
	ds_write_b64 v76, v[0:1]
	s_waitcnt lgkmcnt(0)
	s_barrier
	ds_read_b64 v[76:77], v80 offset:272
	s_cmp_lt_i32 s18, 36
	v_mov_b32_e32 v78, 34
	s_cbranch_scc1 .LBB70_576
; %bb.574:
	v_add_u32_e32 v85, 0x118, v80
	s_mov_b32 s0, 35
	v_mov_b32_e32 v78, 34
.LBB70_575:                             ; =>This Inner Loop Header: Depth=1
	ds_read_b64 v[86:87], v85
	v_mov_b32_e32 v88, s0
	s_add_i32 s0, s0, 1
	v_add_u32_e32 v85, 8, v85
	s_cmp_lg_u32 s18, s0
	s_waitcnt lgkmcnt(0)
	v_cmp_lt_f64_e64 vcc, |v[76:77]|, |v[86:87]|
	v_cndmask_b32_e32 v77, v77, v87, vcc
	v_cndmask_b32_e32 v76, v76, v86, vcc
	;; [unrolled: 1-line block ×3, first 2 shown]
	s_cbranch_scc1 .LBB70_575
.LBB70_576:
	s_waitcnt lgkmcnt(0)
	v_cmp_eq_f64_e32 vcc, 0, v[76:77]
	s_and_saveexec_b64 s[0:1], vcc
	s_xor_b64 s[0:1], exec, s[0:1]
; %bb.577:
	v_cmp_ne_u32_e32 vcc, 0, v84
	v_cndmask_b32_e32 v84, 35, v84, vcc
; %bb.578:
	s_andn2_saveexec_b64 s[0:1], s[0:1]
; %bb.579:
	v_div_scale_f64 v[86:87], s[2:3], v[76:77], v[76:77], 1.0
	v_rcp_f64_e32 v[88:89], v[86:87]
	v_div_scale_f64 v[90:91], vcc, 1.0, v[76:77], 1.0
	v_fma_f64 v[92:93], -v[86:87], v[88:89], 1.0
	v_fmac_f64_e32 v[88:89], v[88:89], v[92:93]
	v_fma_f64 v[92:93], -v[86:87], v[88:89], 1.0
	v_fmac_f64_e32 v[88:89], v[88:89], v[92:93]
	v_mul_f64 v[92:93], v[90:91], v[88:89]
	v_fma_f64 v[86:87], -v[86:87], v[92:93], v[90:91]
	v_div_fmas_f64 v[86:87], v[86:87], v[88:89], v[92:93]
	v_div_fixup_f64 v[76:77], v[86:87], v[76:77], 1.0
; %bb.580:
	s_or_b64 exec, exec, s[0:1]
	v_cmp_ne_u32_e32 vcc, v81, v78
	s_and_saveexec_b64 s[0:1], vcc
	s_xor_b64 s[0:1], exec, s[0:1]
	s_cbranch_execz .LBB70_586
; %bb.581:
	v_cmp_eq_u32_e32 vcc, 34, v81
	s_and_saveexec_b64 s[2:3], vcc
	s_cbranch_execz .LBB70_585
; %bb.582:
	v_cmp_ne_u32_e32 vcc, 34, v78
	s_xor_b64 s[14:15], s[6:7], -1
	s_and_b64 s[16:17], s[14:15], vcc
	s_and_saveexec_b64 s[14:15], s[16:17]
	s_cbranch_execz .LBB70_584
; %bb.583:
	v_ashrrev_i32_e32 v79, 31, v78
	v_lshlrev_b64 v[86:87], 2, v[78:79]
	v_add_co_u32_e32 v86, vcc, v4, v86
	v_addc_co_u32_e32 v87, vcc, v5, v87, vcc
	flat_load_dword v79, v[86:87]
	flat_load_dword v81, v[4:5] offset:136
	s_waitcnt vmcnt(0) lgkmcnt(0)
	flat_store_dword v[4:5], v79 offset:136
	flat_store_dword v[86:87], v81
.LBB70_584:
	s_or_b64 exec, exec, s[14:15]
	v_mov_b32_e32 v79, v78
	v_mov_b32_e32 v81, v78
.LBB70_585:
	s_or_b64 exec, exec, s[2:3]
.LBB70_586:
	s_andn2_saveexec_b64 s[0:1], s[0:1]
	s_cbranch_execz .LBB70_588
; %bb.587:
	v_mov_b32_e32 v81, 34
	ds_write_b64 v80, v[74:75] offset:280
.LBB70_588:
	s_or_b64 exec, exec, s[0:1]
	v_cmp_lt_i32_e32 vcc, 34, v81
	s_waitcnt lgkmcnt(0)
	s_barrier
	s_and_saveexec_b64 s[0:1], vcc
	s_cbranch_execz .LBB70_590
; %bb.589:
	ds_read_b64 v[86:87], v80 offset:280
	v_mul_f64 v[0:1], v[76:77], v[0:1]
	s_waitcnt lgkmcnt(0)
	v_fma_f64 v[74:75], -v[0:1], v[86:87], v[74:75]
.LBB70_590:
	s_or_b64 exec, exec, s[0:1]
	v_lshl_add_u32 v76, v81, 3, v80
	s_barrier
	ds_write_b64 v76, v[74:75]
	s_waitcnt lgkmcnt(0)
	s_barrier
	ds_read_b64 v[76:77], v80 offset:280
	s_cmp_lt_i32 s18, 37
	v_mov_b32_e32 v78, 35
	s_cbranch_scc1 .LBB70_593
; %bb.591:
	v_add_u32_e32 v80, 0x120, v80
	s_mov_b32 s0, 36
	v_mov_b32_e32 v78, 35
.LBB70_592:                             ; =>This Inner Loop Header: Depth=1
	ds_read_b64 v[86:87], v80
	v_mov_b32_e32 v85, s0
	s_add_i32 s0, s0, 1
	v_add_u32_e32 v80, 8, v80
	s_cmp_lg_u32 s18, s0
	s_waitcnt lgkmcnt(0)
	v_cmp_lt_f64_e64 vcc, |v[76:77]|, |v[86:87]|
	v_cndmask_b32_e32 v77, v77, v87, vcc
	v_cndmask_b32_e32 v76, v76, v86, vcc
	;; [unrolled: 1-line block ×3, first 2 shown]
	s_cbranch_scc1 .LBB70_592
.LBB70_593:
	s_waitcnt lgkmcnt(0)
	v_cmp_eq_f64_e32 vcc, 0, v[76:77]
	s_and_saveexec_b64 s[0:1], vcc
	s_xor_b64 s[0:1], exec, s[0:1]
; %bb.594:
	v_cmp_ne_u32_e32 vcc, 0, v84
	v_cndmask_b32_e32 v84, 36, v84, vcc
; %bb.595:
	s_andn2_saveexec_b64 s[0:1], s[0:1]
; %bb.596:
	v_div_scale_f64 v[86:87], s[2:3], v[76:77], v[76:77], 1.0
	v_rcp_f64_e32 v[88:89], v[86:87]
	v_div_scale_f64 v[90:91], vcc, 1.0, v[76:77], 1.0
	v_fma_f64 v[92:93], -v[86:87], v[88:89], 1.0
	v_fmac_f64_e32 v[88:89], v[88:89], v[92:93]
	v_fma_f64 v[92:93], -v[86:87], v[88:89], 1.0
	v_fmac_f64_e32 v[88:89], v[88:89], v[92:93]
	v_mul_f64 v[92:93], v[90:91], v[88:89]
	v_fma_f64 v[86:87], -v[86:87], v[92:93], v[90:91]
	v_div_fmas_f64 v[86:87], v[86:87], v[88:89], v[92:93]
	v_div_fixup_f64 v[76:77], v[86:87], v[76:77], 1.0
; %bb.597:
	s_or_b64 exec, exec, s[0:1]
	v_cmp_ne_u32_e32 vcc, v81, v78
	v_mov_b32_e32 v80, 35
	s_and_saveexec_b64 s[0:1], vcc
	s_cbranch_execz .LBB70_603
; %bb.598:
	v_cmp_eq_u32_e32 vcc, 35, v81
	s_and_saveexec_b64 s[2:3], vcc
	s_cbranch_execz .LBB70_602
; %bb.599:
	v_cmp_ne_u32_e32 vcc, 35, v78
	s_xor_b64 s[6:7], s[6:7], -1
	s_and_b64 s[14:15], s[6:7], vcc
	s_and_saveexec_b64 s[6:7], s[14:15]
	s_cbranch_execz .LBB70_601
; %bb.600:
	v_ashrrev_i32_e32 v79, 31, v78
	v_lshlrev_b64 v[80:81], 2, v[78:79]
	v_add_co_u32_e32 v80, vcc, v4, v80
	v_addc_co_u32_e32 v81, vcc, v5, v81, vcc
	flat_load_dword v79, v[80:81]
	flat_load_dword v85, v[4:5] offset:140
	s_waitcnt vmcnt(0) lgkmcnt(0)
	flat_store_dword v[4:5], v79 offset:140
	flat_store_dword v[80:81], v85
.LBB70_601:
	s_or_b64 exec, exec, s[6:7]
	v_mov_b32_e32 v79, v78
	v_mov_b32_e32 v81, v78
.LBB70_602:
	s_or_b64 exec, exec, s[2:3]
	v_mov_b32_e32 v80, v81
.LBB70_603:
	s_or_b64 exec, exec, s[0:1]
	s_load_dwordx8 s[0:7], s[4:5], 0x28
	v_cmp_gt_i32_e32 vcc, 36, v80
	v_ashrrev_i32_e32 v81, 31, v80
	s_waitcnt lgkmcnt(0)
	s_barrier
	s_barrier
	s_and_saveexec_b64 s[14:15], vcc
	s_cbranch_execz .LBB70_605
; %bb.604:
	v_mul_lo_u32 v78, v3, s4
	v_mul_lo_u32 v85, v2, s5
	v_mad_u64_u32 v[4:5], s[4:5], v2, s4, 0
	s_lshl_b64 s[2:3], s[2:3], 2
	v_add3_u32 v5, v5, v85, v78
	s_add_u32 s0, s2, s0
	v_lshlrev_b64 v[4:5], 2, v[4:5]
	s_addc_u32 s1, s3, s1
	v_mov_b32_e32 v78, s1
	v_add_co_u32_e32 v85, vcc, s0, v4
	v_addc_co_u32_e32 v78, vcc, v78, v5, vcc
	v_lshlrev_b64 v[4:5], 2, v[80:81]
	v_add_co_u32_e32 v4, vcc, v85, v4
	v_addc_co_u32_e32 v5, vcc, v78, v5, vcc
	v_add3_u32 v78, v79, s13, 1
	global_store_dword v[4:5], v78, off
.LBB70_605:
	s_or_b64 exec, exec, s[14:15]
	v_cmp_eq_u32_e32 vcc, 0, v80
	s_and_saveexec_b64 s[2:3], vcc
	s_cbranch_execz .LBB70_608
; %bb.606:
	v_lshlrev_b64 v[2:3], 2, v[2:3]
	v_mov_b32_e32 v4, s7
	v_add_co_u32_e32 v2, vcc, s6, v2
	v_addc_co_u32_e32 v3, vcc, v4, v3, vcc
	global_load_dword v4, v[2:3], off
	v_cmp_lt_i32_e64 s[0:1], 0, v84
	s_waitcnt vmcnt(0)
	v_cmp_eq_u32_e32 vcc, 0, v4
	s_and_b64 s[0:1], vcc, s[0:1]
	s_and_b64 exec, exec, s[0:1]
	s_cbranch_execz .LBB70_608
; %bb.607:
	v_add_u32_e32 v4, s13, v84
	global_store_dword v[2:3], v4, off
.LBB70_608:
	s_or_b64 exec, exec, s[2:3]
	v_mul_f64 v[2:3], v[76:77], v[74:75]
	v_cmp_lt_i32_e32 vcc, 35, v80
	v_lshlrev_b64 v[4:5], 3, v[80:81]
	v_cndmask_b32_e32 v3, v75, v3, vcc
	v_cndmask_b32_e32 v2, v74, v2, vcc
	v_add_co_u32_e32 v4, vcc, v82, v4
	v_addc_co_u32_e32 v5, vcc, v83, v5, vcc
	global_store_dwordx2 v[4:5], v[70:71], off
	v_mov_b32_e32 v70, s11
	v_add_co_u32_e32 v4, vcc, s10, v4
	v_addc_co_u32_e32 v5, vcc, v5, v70, vcc
	global_store_dwordx2 v[4:5], v[72:73], off
	v_add_u32_e32 v4, s12, v80
	v_ashrrev_i32_e32 v5, 31, v4
	v_lshlrev_b64 v[70:71], 3, v[4:5]
	v_add_co_u32_e32 v70, vcc, v82, v70
	v_add_u32_e32 v4, s8, v4
	v_addc_co_u32_e32 v71, vcc, v83, v71, vcc
	v_ashrrev_i32_e32 v5, 31, v4
	global_store_dwordx2 v[70:71], v[68:69], off
	v_lshlrev_b64 v[68:69], 3, v[4:5]
	v_add_co_u32_e32 v68, vcc, v82, v68
	v_add_u32_e32 v4, s8, v4
	v_addc_co_u32_e32 v69, vcc, v83, v69, vcc
	v_ashrrev_i32_e32 v5, 31, v4
	global_store_dwordx2 v[68:69], v[66:67], off
	;; [unrolled: 6-line block ×32, first 2 shown]
	v_lshlrev_b64 v[6:7], 3, v[4:5]
	v_add_co_u32_e32 v6, vcc, v82, v6
	v_addc_co_u32_e32 v7, vcc, v83, v7, vcc
	global_store_dwordx2 v[6:7], v[0:1], off
	v_add_u32_e32 v0, s8, v4
	v_ashrrev_i32_e32 v1, 31, v0
	v_lshlrev_b64 v[0:1], 3, v[0:1]
	v_add_co_u32_e32 v0, vcc, v82, v0
	v_addc_co_u32_e32 v1, vcc, v83, v1, vcc
	global_store_dwordx2 v[0:1], v[2:3], off
.LBB70_609:
	s_endpgm
	.section	.rodata,"a",@progbits
	.p2align	6, 0x0
	.amdhsa_kernel _ZN9rocsolver6v33100L18getf2_small_kernelILi36EdiiPKPdEEvT1_T3_lS5_lPS5_llPT2_S5_S5_S7_l
		.amdhsa_group_segment_fixed_size 0
		.amdhsa_private_segment_fixed_size 0
		.amdhsa_kernarg_size 352
		.amdhsa_user_sgpr_count 6
		.amdhsa_user_sgpr_private_segment_buffer 1
		.amdhsa_user_sgpr_dispatch_ptr 0
		.amdhsa_user_sgpr_queue_ptr 0
		.amdhsa_user_sgpr_kernarg_segment_ptr 1
		.amdhsa_user_sgpr_dispatch_id 0
		.amdhsa_user_sgpr_flat_scratch_init 0
		.amdhsa_user_sgpr_kernarg_preload_length 0
		.amdhsa_user_sgpr_kernarg_preload_offset 0
		.amdhsa_user_sgpr_private_segment_size 0
		.amdhsa_uses_dynamic_stack 0
		.amdhsa_system_sgpr_private_segment_wavefront_offset 0
		.amdhsa_system_sgpr_workgroup_id_x 1
		.amdhsa_system_sgpr_workgroup_id_y 1
		.amdhsa_system_sgpr_workgroup_id_z 0
		.amdhsa_system_sgpr_workgroup_info 0
		.amdhsa_system_vgpr_workitem_id 1
		.amdhsa_next_free_vgpr 122
		.amdhsa_next_free_sgpr 22
		.amdhsa_accum_offset 124
		.amdhsa_reserve_vcc 1
		.amdhsa_reserve_flat_scratch 0
		.amdhsa_float_round_mode_32 0
		.amdhsa_float_round_mode_16_64 0
		.amdhsa_float_denorm_mode_32 3
		.amdhsa_float_denorm_mode_16_64 3
		.amdhsa_dx10_clamp 1
		.amdhsa_ieee_mode 1
		.amdhsa_fp16_overflow 0
		.amdhsa_tg_split 0
		.amdhsa_exception_fp_ieee_invalid_op 0
		.amdhsa_exception_fp_denorm_src 0
		.amdhsa_exception_fp_ieee_div_zero 0
		.amdhsa_exception_fp_ieee_overflow 0
		.amdhsa_exception_fp_ieee_underflow 0
		.amdhsa_exception_fp_ieee_inexact 0
		.amdhsa_exception_int_div_zero 0
	.end_amdhsa_kernel
	.section	.text._ZN9rocsolver6v33100L18getf2_small_kernelILi36EdiiPKPdEEvT1_T3_lS5_lPS5_llPT2_S5_S5_S7_l,"axG",@progbits,_ZN9rocsolver6v33100L18getf2_small_kernelILi36EdiiPKPdEEvT1_T3_lS5_lPS5_llPT2_S5_S5_S7_l,comdat
.Lfunc_end70:
	.size	_ZN9rocsolver6v33100L18getf2_small_kernelILi36EdiiPKPdEEvT1_T3_lS5_lPS5_llPT2_S5_S5_S7_l, .Lfunc_end70-_ZN9rocsolver6v33100L18getf2_small_kernelILi36EdiiPKPdEEvT1_T3_lS5_lPS5_llPT2_S5_S5_S7_l
                                        ; -- End function
	.section	.AMDGPU.csdata,"",@progbits
; Kernel info:
; codeLenInByte = 29900
; NumSgprs: 26
; NumVgprs: 122
; NumAgprs: 0
; TotalNumVgprs: 122
; ScratchSize: 0
; MemoryBound: 0
; FloatMode: 240
; IeeeMode: 1
; LDSByteSize: 0 bytes/workgroup (compile time only)
; SGPRBlocks: 3
; VGPRBlocks: 15
; NumSGPRsForWavesPerEU: 26
; NumVGPRsForWavesPerEU: 122
; AccumOffset: 124
; Occupancy: 4
; WaveLimiterHint : 1
; COMPUTE_PGM_RSRC2:SCRATCH_EN: 0
; COMPUTE_PGM_RSRC2:USER_SGPR: 6
; COMPUTE_PGM_RSRC2:TRAP_HANDLER: 0
; COMPUTE_PGM_RSRC2:TGID_X_EN: 1
; COMPUTE_PGM_RSRC2:TGID_Y_EN: 1
; COMPUTE_PGM_RSRC2:TGID_Z_EN: 0
; COMPUTE_PGM_RSRC2:TIDIG_COMP_CNT: 1
; COMPUTE_PGM_RSRC3_GFX90A:ACCUM_OFFSET: 30
; COMPUTE_PGM_RSRC3_GFX90A:TG_SPLIT: 0
	.section	.text._ZN9rocsolver6v33100L23getf2_npvt_small_kernelILi36EdiiPKPdEEvT1_T3_lS5_lPT2_S5_S5_,"axG",@progbits,_ZN9rocsolver6v33100L23getf2_npvt_small_kernelILi36EdiiPKPdEEvT1_T3_lS5_lPT2_S5_S5_,comdat
	.globl	_ZN9rocsolver6v33100L23getf2_npvt_small_kernelILi36EdiiPKPdEEvT1_T3_lS5_lPT2_S5_S5_ ; -- Begin function _ZN9rocsolver6v33100L23getf2_npvt_small_kernelILi36EdiiPKPdEEvT1_T3_lS5_lPT2_S5_S5_
	.p2align	8
	.type	_ZN9rocsolver6v33100L23getf2_npvt_small_kernelILi36EdiiPKPdEEvT1_T3_lS5_lPT2_S5_S5_,@function
_ZN9rocsolver6v33100L23getf2_npvt_small_kernelILi36EdiiPKPdEEvT1_T3_lS5_lPT2_S5_S5_: ; @_ZN9rocsolver6v33100L23getf2_npvt_small_kernelILi36EdiiPKPdEEvT1_T3_lS5_lPT2_S5_S5_
; %bb.0:
	s_load_dword s0, s[4:5], 0x44
	s_load_dwordx2 s[8:9], s[4:5], 0x30
	v_bfe_u32 v146, v0, 10, 10
	s_waitcnt lgkmcnt(0)
	s_lshr_b32 s6, s0, 16
	s_mul_i32 s7, s7, s6
	v_add_u32_e32 v2, s7, v146
	v_cmp_gt_i32_e32 vcc, s8, v2
	s_and_saveexec_b64 s[0:1], vcc
	s_cbranch_execz .LBB71_183
; %bb.1:
	s_load_dwordx4 s[12:15], s[4:5], 0x8
	s_load_dword s0, s[4:5], 0x18
	v_ashrrev_i32_e32 v3, 31, v2
	v_lshlrev_b64 v[4:5], 3, v[2:3]
	v_and_b32_e32 v218, 0x3ff, v0
	s_waitcnt lgkmcnt(0)
	v_mov_b32_e32 v1, s13
	v_add_co_u32_e32 v4, vcc, s12, v4
	v_addc_co_u32_e32 v5, vcc, v1, v5, vcc
	global_load_dwordx2 v[4:5], v[4:5], off
	s_add_i32 s1, s0, s0
	s_lshl_b64 s[2:3], s[14:15], 3
	v_add_u32_e32 v0, s1, v218
	v_mov_b32_e32 v25, s3
	v_ashrrev_i32_e32 v1, 31, v0
	v_add_u32_e32 v6, s0, v0
	v_lshlrev_b64 v[0:1], 3, v[0:1]
	v_ashrrev_i32_e32 v7, 31, v6
	v_add_u32_e32 v8, s0, v6
	v_lshlrev_b64 v[6:7], 3, v[6:7]
	;; [unrolled: 3-line block ×10, first 2 shown]
	v_add_u32_e32 v26, s0, v24
	v_ashrrev_i32_e32 v27, 31, v26
	v_add_u32_e32 v28, s0, v26
	v_ashrrev_i32_e32 v29, 31, v28
	;; [unrolled: 2-line block ×22, first 2 shown]
	v_lshlrev_b32_e32 v72, 3, v218
	s_waitcnt vmcnt(0)
	v_add_co_u32_e32 v70, vcc, s2, v4
	v_addc_co_u32_e32 v71, vcc, v5, v25, vcc
	v_add_co_u32_e32 v0, vcc, v70, v0
	v_addc_co_u32_e32 v1, vcc, v71, v1, vcc
	v_add_co_u32_e32 v4, vcc, v70, v6
	v_addc_co_u32_e32 v5, vcc, v71, v7, vcc
	v_add_co_u32_e32 v6, vcc, v70, v8
	v_addc_co_u32_e32 v7, vcc, v71, v9, vcc
	v_add_co_u32_e32 v8, vcc, v70, v10
	v_addc_co_u32_e32 v9, vcc, v71, v11, vcc
	v_add_co_u32_e32 v10, vcc, v70, v12
	v_addc_co_u32_e32 v11, vcc, v71, v13, vcc
	v_add_co_u32_e32 v12, vcc, v70, v14
	v_addc_co_u32_e32 v13, vcc, v71, v15, vcc
	v_add_co_u32_e32 v14, vcc, v70, v16
	v_addc_co_u32_e32 v15, vcc, v71, v17, vcc
	v_add_co_u32_e32 v16, vcc, v70, v18
	v_addc_co_u32_e32 v17, vcc, v71, v19, vcc
	v_add_co_u32_e32 v18, vcc, v70, v20
	v_addc_co_u32_e32 v19, vcc, v71, v21, vcc
	v_add_co_u32_e32 v20, vcc, v70, v22
	v_ashrrev_i32_e32 v25, 31, v24
	v_addc_co_u32_e32 v21, vcc, v71, v23, vcc
	v_lshlrev_b64 v[22:23], 3, v[24:25]
	v_add_co_u32_e32 v22, vcc, v70, v22
	v_addc_co_u32_e32 v23, vcc, v71, v23, vcc
	v_lshlrev_b64 v[24:25], 3, v[26:27]
	v_add_co_u32_e32 v24, vcc, v70, v24
	;; [unrolled: 3-line block ×22, first 2 shown]
	v_addc_co_u32_e32 v65, vcc, v71, v65, vcc
	v_lshlrev_b64 v[66:67], 3, v[68:69]
	v_add_u32_e32 v68, s0, v68
	v_add_co_u32_e32 v66, vcc, v70, v66
	v_ashrrev_i32_e32 v69, 31, v68
	v_addc_co_u32_e32 v67, vcc, v71, v67, vcc
	v_lshlrev_b64 v[68:69], 3, v[68:69]
	v_add_co_u32_e32 v68, vcc, v70, v68
	v_addc_co_u32_e32 v69, vcc, v71, v69, vcc
	v_add_co_u32_e32 v70, vcc, v70, v72
	s_ashr_i32 s1, s0, 31
	v_addc_co_u32_e32 v71, vcc, 0, v71, vcc
	s_lshl_b64 s[0:1], s[0:1], 3
	v_mov_b32_e32 v73, s1
	v_add_co_u32_e32 v72, vcc, s0, v70
	v_addc_co_u32_e32 v73, vcc, v71, v73, vcc
	global_load_dwordx2 v[74:75], v[70:71], off
	global_load_dwordx2 v[108:109], v[72:73], off
	;; [unrolled: 1-line block ×36, first 2 shown]
	s_mulk_i32 s6, 0x120
	s_movk_i32 s0, 0x120
	s_add_i32 s1, s6, 0
	v_mad_u32_u24 v217, v146, s0, 0
	v_lshl_add_u32 v216, v146, 3, s1
	v_cmp_ne_u32_e64 s[2:3], 0, v218
	v_cmp_eq_u32_e64 s[0:1], 0, v218
	s_and_saveexec_b64 s[6:7], s[0:1]
	s_cbranch_execz .LBB71_4
; %bb.2:
	s_waitcnt vmcnt(35)
	ds_write_b64 v216, v[74:75]
	s_waitcnt vmcnt(33)
	ds_write2_b64 v217, v[108:109], v[142:143] offset0:1 offset1:2
	s_waitcnt vmcnt(31)
	ds_write2_b64 v217, v[106:107], v[140:141] offset0:3 offset1:4
	;; [unrolled: 2-line block ×17, first 2 shown]
	s_waitcnt vmcnt(0)
	ds_write_b64 v217, v[144:145] offset:280
	ds_read_b64 v[146:147], v216
	s_waitcnt lgkmcnt(0)
	v_cmp_neq_f64_e32 vcc, 0, v[146:147]
	s_and_b64 exec, exec, vcc
	s_cbranch_execz .LBB71_4
; %bb.3:
	v_div_scale_f64 v[148:149], s[10:11], v[146:147], v[146:147], 1.0
	v_rcp_f64_e32 v[150:151], v[148:149]
	v_div_scale_f64 v[152:153], vcc, 1.0, v[146:147], 1.0
	v_fma_f64 v[154:155], -v[148:149], v[150:151], 1.0
	v_fmac_f64_e32 v[150:151], v[150:151], v[154:155]
	v_fma_f64 v[154:155], -v[148:149], v[150:151], 1.0
	v_fmac_f64_e32 v[150:151], v[150:151], v[154:155]
	v_mul_f64 v[154:155], v[152:153], v[150:151]
	v_fma_f64 v[148:149], -v[148:149], v[154:155], v[152:153]
	v_div_fmas_f64 v[148:149], v[148:149], v[150:151], v[154:155]
	v_div_fixup_f64 v[146:147], v[148:149], v[146:147], 1.0
	ds_write_b64 v216, v[146:147]
.LBB71_4:
	s_or_b64 exec, exec, s[6:7]
	s_waitcnt lgkmcnt(0)
	s_barrier
	ds_read_b64 v[146:147], v216
	s_and_saveexec_b64 s[6:7], s[2:3]
	s_cbranch_execz .LBB71_6
; %bb.5:
	ds_read2_b64 v[148:151], v217 offset0:1 offset1:2
	ds_read2_b64 v[152:155], v217 offset0:3 offset1:4
	;; [unrolled: 1-line block ×3, first 2 shown]
	s_waitcnt vmcnt(35) lgkmcnt(3)
	v_mul_f64 v[74:75], v[146:147], v[74:75]
	s_waitcnt vmcnt(34) lgkmcnt(2)
	v_fma_f64 v[108:109], -v[74:75], v[148:149], v[108:109]
	s_waitcnt vmcnt(33)
	v_fma_f64 v[142:143], -v[74:75], v[150:151], v[142:143]
	ds_read2_b64 v[148:151], v217 offset0:7 offset1:8
	s_waitcnt vmcnt(32) lgkmcnt(2)
	v_fma_f64 v[106:107], -v[74:75], v[152:153], v[106:107]
	s_waitcnt vmcnt(31)
	v_fma_f64 v[140:141], -v[74:75], v[154:155], v[140:141]
	s_waitcnt vmcnt(30) lgkmcnt(1)
	v_fma_f64 v[104:105], -v[74:75], v[156:157], v[104:105]
	ds_read2_b64 v[152:155], v217 offset0:9 offset1:10
	s_waitcnt vmcnt(29)
	v_fma_f64 v[138:139], -v[74:75], v[158:159], v[138:139]
	ds_read2_b64 v[156:159], v217 offset0:11 offset1:12
	s_waitcnt vmcnt(28) lgkmcnt(2)
	v_fma_f64 v[102:103], -v[74:75], v[148:149], v[102:103]
	s_waitcnt vmcnt(27)
	v_fma_f64 v[136:137], -v[74:75], v[150:151], v[136:137]
	s_waitcnt vmcnt(26) lgkmcnt(1)
	v_fma_f64 v[100:101], -v[74:75], v[152:153], v[100:101]
	ds_read2_b64 v[148:151], v217 offset0:13 offset1:14
	s_waitcnt vmcnt(25)
	v_fma_f64 v[134:135], -v[74:75], v[154:155], v[134:135]
	ds_read2_b64 v[152:155], v217 offset0:15 offset1:16
	s_waitcnt vmcnt(24) lgkmcnt(2)
	v_fma_f64 v[98:99], -v[74:75], v[156:157], v[98:99]
	s_waitcnt vmcnt(23)
	v_fma_f64 v[132:133], -v[74:75], v[158:159], v[132:133]
	ds_read2_b64 v[156:159], v217 offset0:17 offset1:18
	s_waitcnt vmcnt(22) lgkmcnt(2)
	v_fma_f64 v[96:97], -v[74:75], v[148:149], v[96:97]
	;; [unrolled: 5-line block ×3, first 2 shown]
	s_waitcnt vmcnt(19)
	v_fma_f64 v[128:129], -v[74:75], v[154:155], v[128:129]
	s_waitcnt vmcnt(18) lgkmcnt(1)
	v_fma_f64 v[92:93], -v[74:75], v[156:157], v[92:93]
	ds_read2_b64 v[152:155], v217 offset0:21 offset1:22
	s_waitcnt vmcnt(17)
	v_fma_f64 v[126:127], -v[74:75], v[158:159], v[126:127]
	ds_read2_b64 v[156:159], v217 offset0:23 offset1:24
	s_waitcnt vmcnt(16) lgkmcnt(2)
	v_fma_f64 v[90:91], -v[74:75], v[148:149], v[90:91]
	s_waitcnt vmcnt(15)
	v_fma_f64 v[124:125], -v[74:75], v[150:151], v[124:125]
	s_waitcnt vmcnt(14) lgkmcnt(1)
	v_fma_f64 v[88:89], -v[74:75], v[152:153], v[88:89]
	ds_read2_b64 v[148:151], v217 offset0:25 offset1:26
	s_waitcnt vmcnt(13)
	v_fma_f64 v[122:123], -v[74:75], v[154:155], v[122:123]
	ds_read2_b64 v[152:155], v217 offset0:27 offset1:28
	s_waitcnt vmcnt(12) lgkmcnt(2)
	v_fma_f64 v[86:87], -v[74:75], v[156:157], v[86:87]
	s_waitcnt vmcnt(11)
	v_fma_f64 v[120:121], -v[74:75], v[158:159], v[120:121]
	ds_read2_b64 v[156:159], v217 offset0:29 offset1:30
	s_waitcnt vmcnt(10) lgkmcnt(2)
	v_fma_f64 v[84:85], -v[74:75], v[148:149], v[84:85]
	;; [unrolled: 5-line block ×3, first 2 shown]
	s_waitcnt vmcnt(7)
	v_fma_f64 v[116:117], -v[74:75], v[154:155], v[116:117]
	s_waitcnt vmcnt(6) lgkmcnt(1)
	v_fma_f64 v[80:81], -v[74:75], v[156:157], v[80:81]
	ds_read2_b64 v[152:155], v217 offset0:33 offset1:34
	ds_read_b64 v[156:157], v217 offset:280
	s_waitcnt vmcnt(5)
	v_fma_f64 v[114:115], -v[74:75], v[158:159], v[114:115]
	s_waitcnt vmcnt(4) lgkmcnt(2)
	v_fma_f64 v[78:79], -v[74:75], v[148:149], v[78:79]
	s_waitcnt vmcnt(3)
	v_fma_f64 v[112:113], -v[74:75], v[150:151], v[112:113]
	s_waitcnt vmcnt(2) lgkmcnt(1)
	v_fma_f64 v[76:77], -v[74:75], v[152:153], v[76:77]
	;; [unrolled: 4-line block ×3, first 2 shown]
.LBB71_6:
	s_or_b64 exec, exec, s[6:7]
	v_cmp_eq_u32_e32 vcc, 1, v218
	s_waitcnt lgkmcnt(0)
	s_barrier
	s_and_saveexec_b64 s[2:3], vcc
	s_cbranch_execz .LBB71_9
; %bb.7:
	s_waitcnt vmcnt(33)
	v_mov_b32_e32 v148, v142
	v_mov_b32_e32 v149, v143
	s_waitcnt vmcnt(32)
	v_mov_b32_e32 v150, v106
	v_mov_b32_e32 v151, v107
	ds_write_b64 v216, v[108:109]
	ds_write2_b64 v217, v[148:149], v[150:151] offset0:2 offset1:3
	s_waitcnt vmcnt(31)
	v_mov_b32_e32 v148, v140
	v_mov_b32_e32 v149, v141
	s_waitcnt vmcnt(30)
	v_mov_b32_e32 v150, v104
	v_mov_b32_e32 v151, v105
	ds_write2_b64 v217, v[148:149], v[150:151] offset0:4 offset1:5
	s_waitcnt vmcnt(29)
	v_mov_b32_e32 v148, v138
	v_mov_b32_e32 v149, v139
	s_waitcnt vmcnt(28)
	v_mov_b32_e32 v150, v102
	v_mov_b32_e32 v151, v103
	;; [unrolled: 7-line block ×15, first 2 shown]
	ds_write2_b64 v217, v[148:149], v[150:151] offset0:32 offset1:33
	s_waitcnt vmcnt(1)
	v_mov_b32_e32 v148, v110
	v_mov_b32_e32 v149, v111
	s_waitcnt vmcnt(0)
	ds_write2_b64 v217, v[148:149], v[144:145] offset0:34 offset1:35
	ds_read_b64 v[148:149], v216
	s_waitcnt lgkmcnt(0)
	v_cmp_neq_f64_e32 vcc, 0, v[148:149]
	s_and_b64 exec, exec, vcc
	s_cbranch_execz .LBB71_9
; %bb.8:
	v_div_scale_f64 v[150:151], s[6:7], v[148:149], v[148:149], 1.0
	v_rcp_f64_e32 v[152:153], v[150:151]
	v_div_scale_f64 v[154:155], vcc, 1.0, v[148:149], 1.0
	v_fma_f64 v[156:157], -v[150:151], v[152:153], 1.0
	v_fmac_f64_e32 v[152:153], v[152:153], v[156:157]
	v_fma_f64 v[156:157], -v[150:151], v[152:153], 1.0
	v_fmac_f64_e32 v[152:153], v[152:153], v[156:157]
	v_mul_f64 v[156:157], v[154:155], v[152:153]
	v_fma_f64 v[150:151], -v[150:151], v[156:157], v[154:155]
	v_div_fmas_f64 v[150:151], v[150:151], v[152:153], v[156:157]
	v_div_fixup_f64 v[148:149], v[150:151], v[148:149], 1.0
	ds_write_b64 v216, v[148:149]
.LBB71_9:
	s_or_b64 exec, exec, s[2:3]
	s_waitcnt lgkmcnt(0)
	s_barrier
	ds_read_b64 v[148:149], v216
	v_cmp_lt_u32_e32 vcc, 1, v218
	s_and_saveexec_b64 s[2:3], vcc
	s_cbranch_execz .LBB71_11
; %bb.10:
	ds_read2_b64 v[150:153], v217 offset0:2 offset1:3
	ds_read2_b64 v[154:157], v217 offset0:4 offset1:5
	s_waitcnt vmcnt(34) lgkmcnt(2)
	v_mul_f64 v[108:109], v[148:149], v[108:109]
	ds_read2_b64 v[158:161], v217 offset0:6 offset1:7
	s_waitcnt vmcnt(33) lgkmcnt(2)
	v_fma_f64 v[142:143], -v[108:109], v[150:151], v[142:143]
	s_waitcnt vmcnt(32)
	v_fma_f64 v[106:107], -v[108:109], v[152:153], v[106:107]
	ds_read2_b64 v[150:153], v217 offset0:8 offset1:9
	s_waitcnt vmcnt(31) lgkmcnt(2)
	v_fma_f64 v[140:141], -v[108:109], v[154:155], v[140:141]
	s_waitcnt vmcnt(30)
	v_fma_f64 v[104:105], -v[108:109], v[156:157], v[104:105]
	;; [unrolled: 5-line block ×4, first 2 shown]
	s_waitcnt vmcnt(25) lgkmcnt(1)
	v_fma_f64 v[134:135], -v[108:109], v[154:155], v[134:135]
	ds_read2_b64 v[150:153], v217 offset0:14 offset1:15
	s_waitcnt vmcnt(24)
	v_fma_f64 v[98:99], -v[108:109], v[156:157], v[98:99]
	ds_read2_b64 v[154:157], v217 offset0:16 offset1:17
	s_waitcnt vmcnt(23) lgkmcnt(2)
	v_fma_f64 v[132:133], -v[108:109], v[158:159], v[132:133]
	s_waitcnt vmcnt(22)
	v_fma_f64 v[96:97], -v[108:109], v[160:161], v[96:97]
	s_waitcnt vmcnt(21) lgkmcnt(1)
	v_fma_f64 v[130:131], -v[108:109], v[150:151], v[130:131]
	ds_read2_b64 v[158:161], v217 offset0:18 offset1:19
	s_waitcnt vmcnt(20)
	v_fma_f64 v[94:95], -v[108:109], v[152:153], v[94:95]
	ds_read2_b64 v[150:153], v217 offset0:20 offset1:21
	s_waitcnt vmcnt(19) lgkmcnt(2)
	v_fma_f64 v[128:129], -v[108:109], v[154:155], v[128:129]
	s_waitcnt vmcnt(18)
	v_fma_f64 v[92:93], -v[108:109], v[156:157], v[92:93]
	ds_read2_b64 v[154:157], v217 offset0:22 offset1:23
	s_waitcnt vmcnt(17) lgkmcnt(2)
	v_fma_f64 v[126:127], -v[108:109], v[158:159], v[126:127]
	;; [unrolled: 5-line block ×3, first 2 shown]
	s_waitcnt vmcnt(14)
	v_fma_f64 v[88:89], -v[108:109], v[152:153], v[88:89]
	s_waitcnt vmcnt(13) lgkmcnt(1)
	v_fma_f64 v[122:123], -v[108:109], v[154:155], v[122:123]
	ds_read2_b64 v[150:153], v217 offset0:26 offset1:27
	s_waitcnt vmcnt(12)
	v_fma_f64 v[86:87], -v[108:109], v[156:157], v[86:87]
	ds_read2_b64 v[154:157], v217 offset0:28 offset1:29
	s_waitcnt vmcnt(11) lgkmcnt(2)
	v_fma_f64 v[120:121], -v[108:109], v[158:159], v[120:121]
	s_waitcnt vmcnt(10)
	v_fma_f64 v[84:85], -v[108:109], v[160:161], v[84:85]
	s_waitcnt vmcnt(9) lgkmcnt(1)
	v_fma_f64 v[118:119], -v[108:109], v[150:151], v[118:119]
	s_waitcnt vmcnt(8)
	v_fma_f64 v[82:83], -v[108:109], v[152:153], v[82:83]
	ds_read2_b64 v[150:153], v217 offset0:30 offset1:31
	ds_read2_b64 v[158:161], v217 offset0:32 offset1:33
	s_waitcnt vmcnt(7) lgkmcnt(2)
	v_fma_f64 v[116:117], -v[108:109], v[154:155], v[116:117]
	s_waitcnt vmcnt(6)
	v_fma_f64 v[80:81], -v[108:109], v[156:157], v[80:81]
	ds_read2_b64 v[154:157], v217 offset0:34 offset1:35
	s_waitcnt vmcnt(5) lgkmcnt(2)
	v_fma_f64 v[114:115], -v[108:109], v[150:151], v[114:115]
	s_waitcnt vmcnt(4)
	v_fma_f64 v[78:79], -v[108:109], v[152:153], v[78:79]
	s_waitcnt vmcnt(3) lgkmcnt(1)
	v_fma_f64 v[112:113], -v[108:109], v[158:159], v[112:113]
	s_waitcnt vmcnt(2)
	v_fma_f64 v[76:77], -v[108:109], v[160:161], v[76:77]
	;; [unrolled: 4-line block ×3, first 2 shown]
.LBB71_11:
	s_or_b64 exec, exec, s[2:3]
	v_cmp_eq_u32_e32 vcc, 2, v218
	s_waitcnt lgkmcnt(0)
	s_barrier
	s_and_saveexec_b64 s[2:3], vcc
	s_cbranch_execz .LBB71_14
; %bb.12:
	s_waitcnt vmcnt(33)
	ds_write_b64 v216, v[142:143]
	s_waitcnt vmcnt(31)
	ds_write2_b64 v217, v[106:107], v[140:141] offset0:3 offset1:4
	s_waitcnt vmcnt(29)
	ds_write2_b64 v217, v[104:105], v[138:139] offset0:5 offset1:6
	;; [unrolled: 2-line block ×16, first 2 shown]
	s_waitcnt vmcnt(0)
	ds_write_b64 v217, v[144:145] offset:280
	ds_read_b64 v[150:151], v216
	s_waitcnt lgkmcnt(0)
	v_cmp_neq_f64_e32 vcc, 0, v[150:151]
	s_and_b64 exec, exec, vcc
	s_cbranch_execz .LBB71_14
; %bb.13:
	v_div_scale_f64 v[152:153], s[6:7], v[150:151], v[150:151], 1.0
	v_rcp_f64_e32 v[154:155], v[152:153]
	v_div_scale_f64 v[156:157], vcc, 1.0, v[150:151], 1.0
	v_fma_f64 v[158:159], -v[152:153], v[154:155], 1.0
	v_fmac_f64_e32 v[154:155], v[154:155], v[158:159]
	v_fma_f64 v[158:159], -v[152:153], v[154:155], 1.0
	v_fmac_f64_e32 v[154:155], v[154:155], v[158:159]
	v_mul_f64 v[158:159], v[156:157], v[154:155]
	v_fma_f64 v[152:153], -v[152:153], v[158:159], v[156:157]
	v_div_fmas_f64 v[152:153], v[152:153], v[154:155], v[158:159]
	v_div_fixup_f64 v[150:151], v[152:153], v[150:151], 1.0
	ds_write_b64 v216, v[150:151]
.LBB71_14:
	s_or_b64 exec, exec, s[2:3]
	s_waitcnt lgkmcnt(0)
	s_barrier
	ds_read_b64 v[150:151], v216
	v_cmp_lt_u32_e32 vcc, 2, v218
	s_and_saveexec_b64 s[2:3], vcc
	s_cbranch_execz .LBB71_16
; %bb.15:
	ds_read2_b64 v[152:155], v217 offset0:3 offset1:4
	ds_read2_b64 v[156:159], v217 offset0:5 offset1:6
	s_waitcnt vmcnt(33) lgkmcnt(2)
	v_mul_f64 v[142:143], v[150:151], v[142:143]
	ds_read2_b64 v[160:163], v217 offset0:7 offset1:8
	s_waitcnt vmcnt(32) lgkmcnt(2)
	v_fma_f64 v[106:107], -v[142:143], v[152:153], v[106:107]
	s_waitcnt vmcnt(31)
	v_fma_f64 v[140:141], -v[142:143], v[154:155], v[140:141]
	ds_read2_b64 v[152:155], v217 offset0:9 offset1:10
	s_waitcnt vmcnt(30) lgkmcnt(2)
	v_fma_f64 v[104:105], -v[142:143], v[156:157], v[104:105]
	s_waitcnt vmcnt(29)
	v_fma_f64 v[138:139], -v[142:143], v[158:159], v[138:139]
	ds_read2_b64 v[156:159], v217 offset0:11 offset1:12
	s_waitcnt vmcnt(28) lgkmcnt(2)
	v_fma_f64 v[102:103], -v[142:143], v[160:161], v[102:103]
	s_waitcnt vmcnt(27)
	v_fma_f64 v[136:137], -v[142:143], v[162:163], v[136:137]
	ds_read2_b64 v[160:163], v217 offset0:13 offset1:14
	s_waitcnt vmcnt(26) lgkmcnt(2)
	v_fma_f64 v[100:101], -v[142:143], v[152:153], v[100:101]
	s_waitcnt vmcnt(25)
	v_fma_f64 v[134:135], -v[142:143], v[154:155], v[134:135]
	s_waitcnt vmcnt(24) lgkmcnt(1)
	v_fma_f64 v[98:99], -v[142:143], v[156:157], v[98:99]
	ds_read2_b64 v[152:155], v217 offset0:15 offset1:16
	s_waitcnt vmcnt(23)
	v_fma_f64 v[132:133], -v[142:143], v[158:159], v[132:133]
	ds_read2_b64 v[156:159], v217 offset0:17 offset1:18
	s_waitcnt vmcnt(22) lgkmcnt(2)
	v_fma_f64 v[96:97], -v[142:143], v[160:161], v[96:97]
	s_waitcnt vmcnt(21)
	v_fma_f64 v[130:131], -v[142:143], v[162:163], v[130:131]
	s_waitcnt vmcnt(20) lgkmcnt(1)
	v_fma_f64 v[94:95], -v[142:143], v[152:153], v[94:95]
	ds_read2_b64 v[160:163], v217 offset0:19 offset1:20
	s_waitcnt vmcnt(19)
	v_fma_f64 v[128:129], -v[142:143], v[154:155], v[128:129]
	ds_read2_b64 v[152:155], v217 offset0:21 offset1:22
	s_waitcnt vmcnt(18) lgkmcnt(2)
	v_fma_f64 v[92:93], -v[142:143], v[156:157], v[92:93]
	s_waitcnt vmcnt(17)
	v_fma_f64 v[126:127], -v[142:143], v[158:159], v[126:127]
	ds_read2_b64 v[156:159], v217 offset0:23 offset1:24
	s_waitcnt vmcnt(16) lgkmcnt(2)
	v_fma_f64 v[90:91], -v[142:143], v[160:161], v[90:91]
	;; [unrolled: 5-line block ×3, first 2 shown]
	s_waitcnt vmcnt(13)
	v_fma_f64 v[122:123], -v[142:143], v[154:155], v[122:123]
	s_waitcnt vmcnt(12) lgkmcnt(1)
	v_fma_f64 v[86:87], -v[142:143], v[156:157], v[86:87]
	ds_read2_b64 v[152:155], v217 offset0:27 offset1:28
	s_waitcnt vmcnt(11)
	v_fma_f64 v[120:121], -v[142:143], v[158:159], v[120:121]
	ds_read2_b64 v[156:159], v217 offset0:29 offset1:30
	s_waitcnt vmcnt(10) lgkmcnt(2)
	v_fma_f64 v[84:85], -v[142:143], v[160:161], v[84:85]
	s_waitcnt vmcnt(9)
	v_fma_f64 v[118:119], -v[142:143], v[162:163], v[118:119]
	s_waitcnt vmcnt(8) lgkmcnt(1)
	v_fma_f64 v[82:83], -v[142:143], v[152:153], v[82:83]
	s_waitcnt vmcnt(7)
	v_fma_f64 v[116:117], -v[142:143], v[154:155], v[116:117]
	ds_read2_b64 v[152:155], v217 offset0:31 offset1:32
	ds_read2_b64 v[160:163], v217 offset0:33 offset1:34
	s_waitcnt vmcnt(6) lgkmcnt(2)
	v_fma_f64 v[80:81], -v[142:143], v[156:157], v[80:81]
	ds_read_b64 v[156:157], v217 offset:280
	s_waitcnt vmcnt(5)
	v_fma_f64 v[114:115], -v[142:143], v[158:159], v[114:115]
	s_waitcnt vmcnt(4) lgkmcnt(2)
	v_fma_f64 v[78:79], -v[142:143], v[152:153], v[78:79]
	s_waitcnt vmcnt(3)
	v_fma_f64 v[112:113], -v[142:143], v[154:155], v[112:113]
	s_waitcnt vmcnt(2) lgkmcnt(1)
	v_fma_f64 v[76:77], -v[142:143], v[160:161], v[76:77]
	;; [unrolled: 4-line block ×3, first 2 shown]
.LBB71_16:
	s_or_b64 exec, exec, s[2:3]
	v_cmp_eq_u32_e32 vcc, 3, v218
	s_waitcnt lgkmcnt(0)
	s_barrier
	s_and_saveexec_b64 s[2:3], vcc
	s_cbranch_execz .LBB71_19
; %bb.17:
	s_waitcnt vmcnt(31)
	v_mov_b32_e32 v152, v140
	v_mov_b32_e32 v153, v141
	s_waitcnt vmcnt(30)
	v_mov_b32_e32 v154, v104
	v_mov_b32_e32 v155, v105
	ds_write_b64 v216, v[106:107]
	ds_write2_b64 v217, v[152:153], v[154:155] offset0:4 offset1:5
	s_waitcnt vmcnt(29)
	v_mov_b32_e32 v152, v138
	v_mov_b32_e32 v153, v139
	s_waitcnt vmcnt(28)
	v_mov_b32_e32 v154, v102
	v_mov_b32_e32 v155, v103
	ds_write2_b64 v217, v[152:153], v[154:155] offset0:6 offset1:7
	s_waitcnt vmcnt(27)
	v_mov_b32_e32 v152, v136
	v_mov_b32_e32 v153, v137
	s_waitcnt vmcnt(26)
	v_mov_b32_e32 v154, v100
	v_mov_b32_e32 v155, v101
	;; [unrolled: 7-line block ×14, first 2 shown]
	ds_write2_b64 v217, v[152:153], v[154:155] offset0:32 offset1:33
	s_waitcnt vmcnt(1)
	v_mov_b32_e32 v152, v110
	v_mov_b32_e32 v153, v111
	s_waitcnt vmcnt(0)
	ds_write2_b64 v217, v[152:153], v[144:145] offset0:34 offset1:35
	ds_read_b64 v[152:153], v216
	s_waitcnt lgkmcnt(0)
	v_cmp_neq_f64_e32 vcc, 0, v[152:153]
	s_and_b64 exec, exec, vcc
	s_cbranch_execz .LBB71_19
; %bb.18:
	v_div_scale_f64 v[154:155], s[6:7], v[152:153], v[152:153], 1.0
	v_rcp_f64_e32 v[156:157], v[154:155]
	v_div_scale_f64 v[158:159], vcc, 1.0, v[152:153], 1.0
	v_fma_f64 v[160:161], -v[154:155], v[156:157], 1.0
	v_fmac_f64_e32 v[156:157], v[156:157], v[160:161]
	v_fma_f64 v[160:161], -v[154:155], v[156:157], 1.0
	v_fmac_f64_e32 v[156:157], v[156:157], v[160:161]
	v_mul_f64 v[160:161], v[158:159], v[156:157]
	v_fma_f64 v[154:155], -v[154:155], v[160:161], v[158:159]
	v_div_fmas_f64 v[154:155], v[154:155], v[156:157], v[160:161]
	v_div_fixup_f64 v[152:153], v[154:155], v[152:153], 1.0
	ds_write_b64 v216, v[152:153]
.LBB71_19:
	s_or_b64 exec, exec, s[2:3]
	s_waitcnt lgkmcnt(0)
	s_barrier
	ds_read_b64 v[152:153], v216
	v_cmp_lt_u32_e32 vcc, 3, v218
	s_and_saveexec_b64 s[2:3], vcc
	s_cbranch_execz .LBB71_21
; %bb.20:
	ds_read2_b64 v[154:157], v217 offset0:4 offset1:5
	s_waitcnt vmcnt(32) lgkmcnt(1)
	v_mul_f64 v[106:107], v[152:153], v[106:107]
	s_waitcnt vmcnt(31) lgkmcnt(0)
	v_fma_f64 v[140:141], -v[106:107], v[154:155], v[140:141]
	s_waitcnt vmcnt(30)
	v_fma_f64 v[104:105], -v[106:107], v[156:157], v[104:105]
	ds_read2_b64 v[154:157], v217 offset0:6 offset1:7
	s_waitcnt vmcnt(29) lgkmcnt(0)
	v_fma_f64 v[138:139], -v[106:107], v[154:155], v[138:139]
	s_waitcnt vmcnt(28)
	v_fma_f64 v[102:103], -v[106:107], v[156:157], v[102:103]
	ds_read2_b64 v[154:157], v217 offset0:8 offset1:9
	;; [unrolled: 5-line block ×15, first 2 shown]
	s_waitcnt vmcnt(1) lgkmcnt(0)
	v_fma_f64 v[110:111], -v[106:107], v[154:155], v[110:111]
	s_waitcnt vmcnt(0)
	v_fma_f64 v[144:145], -v[106:107], v[156:157], v[144:145]
.LBB71_21:
	s_or_b64 exec, exec, s[2:3]
	v_cmp_eq_u32_e32 vcc, 4, v218
	s_waitcnt lgkmcnt(0)
	s_barrier
	s_and_saveexec_b64 s[2:3], vcc
	s_cbranch_execz .LBB71_24
; %bb.22:
	s_waitcnt vmcnt(31)
	ds_write_b64 v216, v[140:141]
	s_waitcnt vmcnt(29)
	ds_write2_b64 v217, v[104:105], v[138:139] offset0:5 offset1:6
	s_waitcnt vmcnt(27)
	ds_write2_b64 v217, v[102:103], v[136:137] offset0:7 offset1:8
	s_waitcnt vmcnt(25)
	ds_write2_b64 v217, v[100:101], v[134:135] offset0:9 offset1:10
	s_waitcnt vmcnt(23)
	ds_write2_b64 v217, v[98:99], v[132:133] offset0:11 offset1:12
	s_waitcnt vmcnt(21)
	ds_write2_b64 v217, v[96:97], v[130:131] offset0:13 offset1:14
	s_waitcnt vmcnt(19)
	ds_write2_b64 v217, v[94:95], v[128:129] offset0:15 offset1:16
	s_waitcnt vmcnt(17)
	ds_write2_b64 v217, v[92:93], v[126:127] offset0:17 offset1:18
	s_waitcnt vmcnt(15)
	ds_write2_b64 v217, v[90:91], v[124:125] offset0:19 offset1:20
	s_waitcnt vmcnt(13)
	ds_write2_b64 v217, v[88:89], v[122:123] offset0:21 offset1:22
	s_waitcnt vmcnt(11)
	ds_write2_b64 v217, v[86:87], v[120:121] offset0:23 offset1:24
	s_waitcnt vmcnt(9)
	ds_write2_b64 v217, v[84:85], v[118:119] offset0:25 offset1:26
	s_waitcnt vmcnt(7)
	ds_write2_b64 v217, v[82:83], v[116:117] offset0:27 offset1:28
	s_waitcnt vmcnt(5)
	ds_write2_b64 v217, v[80:81], v[114:115] offset0:29 offset1:30
	s_waitcnt vmcnt(3)
	ds_write2_b64 v217, v[78:79], v[112:113] offset0:31 offset1:32
	s_waitcnt vmcnt(1)
	ds_write2_b64 v217, v[76:77], v[110:111] offset0:33 offset1:34
	s_waitcnt vmcnt(0)
	ds_write_b64 v217, v[144:145] offset:280
	ds_read_b64 v[154:155], v216
	s_waitcnt lgkmcnt(0)
	v_cmp_neq_f64_e32 vcc, 0, v[154:155]
	s_and_b64 exec, exec, vcc
	s_cbranch_execz .LBB71_24
; %bb.23:
	v_div_scale_f64 v[156:157], s[6:7], v[154:155], v[154:155], 1.0
	v_rcp_f64_e32 v[158:159], v[156:157]
	v_div_scale_f64 v[160:161], vcc, 1.0, v[154:155], 1.0
	v_fma_f64 v[162:163], -v[156:157], v[158:159], 1.0
	v_fmac_f64_e32 v[158:159], v[158:159], v[162:163]
	v_fma_f64 v[162:163], -v[156:157], v[158:159], 1.0
	v_fmac_f64_e32 v[158:159], v[158:159], v[162:163]
	v_mul_f64 v[162:163], v[160:161], v[158:159]
	v_fma_f64 v[156:157], -v[156:157], v[162:163], v[160:161]
	v_div_fmas_f64 v[156:157], v[156:157], v[158:159], v[162:163]
	v_div_fixup_f64 v[154:155], v[156:157], v[154:155], 1.0
	ds_write_b64 v216, v[154:155]
.LBB71_24:
	s_or_b64 exec, exec, s[2:3]
	s_waitcnt lgkmcnt(0)
	s_barrier
	ds_read_b64 v[154:155], v216
	v_cmp_lt_u32_e32 vcc, 4, v218
	s_and_saveexec_b64 s[2:3], vcc
	s_cbranch_execz .LBB71_26
; %bb.25:
	ds_read2_b64 v[156:159], v217 offset0:5 offset1:6
	ds_read2_b64 v[160:163], v217 offset0:7 offset1:8
	s_waitcnt vmcnt(31) lgkmcnt(2)
	v_mul_f64 v[140:141], v[154:155], v[140:141]
	ds_read2_b64 v[164:167], v217 offset0:9 offset1:10
	s_waitcnt vmcnt(30) lgkmcnt(2)
	v_fma_f64 v[104:105], -v[140:141], v[156:157], v[104:105]
	s_waitcnt vmcnt(29)
	v_fma_f64 v[138:139], -v[140:141], v[158:159], v[138:139]
	ds_read2_b64 v[156:159], v217 offset0:11 offset1:12
	s_waitcnt vmcnt(28) lgkmcnt(2)
	v_fma_f64 v[102:103], -v[140:141], v[160:161], v[102:103]
	s_waitcnt vmcnt(27)
	v_fma_f64 v[136:137], -v[140:141], v[162:163], v[136:137]
	s_waitcnt vmcnt(26) lgkmcnt(1)
	v_fma_f64 v[100:101], -v[140:141], v[164:165], v[100:101]
	ds_read2_b64 v[160:163], v217 offset0:13 offset1:14
	s_waitcnt vmcnt(25)
	v_fma_f64 v[134:135], -v[140:141], v[166:167], v[134:135]
	ds_read2_b64 v[164:167], v217 offset0:15 offset1:16
	s_waitcnt vmcnt(24) lgkmcnt(2)
	v_fma_f64 v[98:99], -v[140:141], v[156:157], v[98:99]
	s_waitcnt vmcnt(23)
	v_fma_f64 v[132:133], -v[140:141], v[158:159], v[132:133]
	ds_read2_b64 v[156:159], v217 offset0:17 offset1:18
	s_waitcnt vmcnt(22) lgkmcnt(2)
	v_fma_f64 v[96:97], -v[140:141], v[160:161], v[96:97]
	;; [unrolled: 5-line block ×3, first 2 shown]
	s_waitcnt vmcnt(19)
	v_fma_f64 v[128:129], -v[140:141], v[166:167], v[128:129]
	s_waitcnt vmcnt(18) lgkmcnt(1)
	v_fma_f64 v[92:93], -v[140:141], v[156:157], v[92:93]
	ds_read2_b64 v[164:167], v217 offset0:21 offset1:22
	s_waitcnt vmcnt(17)
	v_fma_f64 v[126:127], -v[140:141], v[158:159], v[126:127]
	ds_read2_b64 v[156:159], v217 offset0:23 offset1:24
	s_waitcnt vmcnt(16) lgkmcnt(2)
	v_fma_f64 v[90:91], -v[140:141], v[160:161], v[90:91]
	s_waitcnt vmcnt(15)
	v_fma_f64 v[124:125], -v[140:141], v[162:163], v[124:125]
	s_waitcnt vmcnt(14) lgkmcnt(1)
	v_fma_f64 v[88:89], -v[140:141], v[164:165], v[88:89]
	ds_read2_b64 v[160:163], v217 offset0:25 offset1:26
	s_waitcnt vmcnt(13)
	v_fma_f64 v[122:123], -v[140:141], v[166:167], v[122:123]
	ds_read2_b64 v[164:167], v217 offset0:27 offset1:28
	s_waitcnt vmcnt(12) lgkmcnt(2)
	v_fma_f64 v[86:87], -v[140:141], v[156:157], v[86:87]
	s_waitcnt vmcnt(11)
	v_fma_f64 v[120:121], -v[140:141], v[158:159], v[120:121]
	ds_read2_b64 v[156:159], v217 offset0:29 offset1:30
	s_waitcnt vmcnt(10) lgkmcnt(2)
	v_fma_f64 v[84:85], -v[140:141], v[160:161], v[84:85]
	s_waitcnt vmcnt(9)
	v_fma_f64 v[118:119], -v[140:141], v[162:163], v[118:119]
	ds_read2_b64 v[160:163], v217 offset0:31 offset1:32
	s_waitcnt vmcnt(8) lgkmcnt(2)
	v_fma_f64 v[82:83], -v[140:141], v[164:165], v[82:83]
	s_waitcnt vmcnt(7)
	v_fma_f64 v[116:117], -v[140:141], v[166:167], v[116:117]
	s_waitcnt vmcnt(6) lgkmcnt(1)
	v_fma_f64 v[80:81], -v[140:141], v[156:157], v[80:81]
	ds_read2_b64 v[164:167], v217 offset0:33 offset1:34
	ds_read_b64 v[156:157], v217 offset:280
	s_waitcnt vmcnt(5)
	v_fma_f64 v[114:115], -v[140:141], v[158:159], v[114:115]
	s_waitcnt vmcnt(4) lgkmcnt(2)
	v_fma_f64 v[78:79], -v[140:141], v[160:161], v[78:79]
	s_waitcnt vmcnt(3)
	v_fma_f64 v[112:113], -v[140:141], v[162:163], v[112:113]
	s_waitcnt vmcnt(2) lgkmcnt(1)
	v_fma_f64 v[76:77], -v[140:141], v[164:165], v[76:77]
	;; [unrolled: 4-line block ×3, first 2 shown]
.LBB71_26:
	s_or_b64 exec, exec, s[2:3]
	v_cmp_eq_u32_e32 vcc, 5, v218
	s_waitcnt lgkmcnt(0)
	s_barrier
	s_and_saveexec_b64 s[2:3], vcc
	s_cbranch_execz .LBB71_29
; %bb.27:
	s_waitcnt vmcnt(29)
	v_mov_b32_e32 v156, v138
	v_mov_b32_e32 v157, v139
	s_waitcnt vmcnt(28)
	v_mov_b32_e32 v158, v102
	v_mov_b32_e32 v159, v103
	ds_write_b64 v216, v[104:105]
	ds_write2_b64 v217, v[156:157], v[158:159] offset0:6 offset1:7
	s_waitcnt vmcnt(27)
	v_mov_b32_e32 v156, v136
	v_mov_b32_e32 v157, v137
	s_waitcnt vmcnt(26)
	v_mov_b32_e32 v158, v100
	v_mov_b32_e32 v159, v101
	ds_write2_b64 v217, v[156:157], v[158:159] offset0:8 offset1:9
	s_waitcnt vmcnt(25)
	v_mov_b32_e32 v156, v134
	v_mov_b32_e32 v157, v135
	s_waitcnt vmcnt(24)
	v_mov_b32_e32 v158, v98
	v_mov_b32_e32 v159, v99
	;; [unrolled: 7-line block ×13, first 2 shown]
	ds_write2_b64 v217, v[156:157], v[158:159] offset0:32 offset1:33
	s_waitcnt vmcnt(1)
	v_mov_b32_e32 v156, v110
	v_mov_b32_e32 v157, v111
	s_waitcnt vmcnt(0)
	ds_write2_b64 v217, v[156:157], v[144:145] offset0:34 offset1:35
	ds_read_b64 v[156:157], v216
	s_waitcnt lgkmcnt(0)
	v_cmp_neq_f64_e32 vcc, 0, v[156:157]
	s_and_b64 exec, exec, vcc
	s_cbranch_execz .LBB71_29
; %bb.28:
	v_div_scale_f64 v[158:159], s[6:7], v[156:157], v[156:157], 1.0
	v_rcp_f64_e32 v[160:161], v[158:159]
	v_div_scale_f64 v[162:163], vcc, 1.0, v[156:157], 1.0
	v_fma_f64 v[164:165], -v[158:159], v[160:161], 1.0
	v_fmac_f64_e32 v[160:161], v[160:161], v[164:165]
	v_fma_f64 v[164:165], -v[158:159], v[160:161], 1.0
	v_fmac_f64_e32 v[160:161], v[160:161], v[164:165]
	v_mul_f64 v[164:165], v[162:163], v[160:161]
	v_fma_f64 v[158:159], -v[158:159], v[164:165], v[162:163]
	v_div_fmas_f64 v[158:159], v[158:159], v[160:161], v[164:165]
	v_div_fixup_f64 v[156:157], v[158:159], v[156:157], 1.0
	ds_write_b64 v216, v[156:157]
.LBB71_29:
	s_or_b64 exec, exec, s[2:3]
	s_waitcnt lgkmcnt(0)
	s_barrier
	ds_read_b64 v[156:157], v216
	v_cmp_lt_u32_e32 vcc, 5, v218
	s_and_saveexec_b64 s[2:3], vcc
	s_cbranch_execz .LBB71_31
; %bb.30:
	ds_read2_b64 v[158:161], v217 offset0:6 offset1:7
	ds_read2_b64 v[162:165], v217 offset0:8 offset1:9
	;; [unrolled: 1-line block ×3, first 2 shown]
	s_waitcnt vmcnt(30) lgkmcnt(3)
	v_mul_f64 v[104:105], v[156:157], v[104:105]
	s_waitcnt vmcnt(29) lgkmcnt(2)
	v_fma_f64 v[138:139], -v[104:105], v[158:159], v[138:139]
	s_waitcnt vmcnt(28)
	v_fma_f64 v[102:103], -v[104:105], v[160:161], v[102:103]
	ds_read2_b64 v[158:161], v217 offset0:12 offset1:13
	s_waitcnt vmcnt(27) lgkmcnt(2)
	v_fma_f64 v[136:137], -v[104:105], v[162:163], v[136:137]
	s_waitcnt vmcnt(26)
	v_fma_f64 v[100:101], -v[104:105], v[164:165], v[100:101]
	s_waitcnt vmcnt(25) lgkmcnt(1)
	v_fma_f64 v[134:135], -v[104:105], v[166:167], v[134:135]
	ds_read2_b64 v[162:165], v217 offset0:14 offset1:15
	s_waitcnt vmcnt(24)
	v_fma_f64 v[98:99], -v[104:105], v[168:169], v[98:99]
	ds_read2_b64 v[166:169], v217 offset0:16 offset1:17
	s_waitcnt vmcnt(23) lgkmcnt(2)
	v_fma_f64 v[132:133], -v[104:105], v[158:159], v[132:133]
	s_waitcnt vmcnt(22)
	v_fma_f64 v[96:97], -v[104:105], v[160:161], v[96:97]
	s_waitcnt vmcnt(21) lgkmcnt(1)
	v_fma_f64 v[130:131], -v[104:105], v[162:163], v[130:131]
	ds_read2_b64 v[158:161], v217 offset0:18 offset1:19
	s_waitcnt vmcnt(20)
	v_fma_f64 v[94:95], -v[104:105], v[164:165], v[94:95]
	ds_read2_b64 v[162:165], v217 offset0:20 offset1:21
	s_waitcnt vmcnt(19) lgkmcnt(2)
	v_fma_f64 v[128:129], -v[104:105], v[166:167], v[128:129]
	s_waitcnt vmcnt(18)
	v_fma_f64 v[92:93], -v[104:105], v[168:169], v[92:93]
	ds_read2_b64 v[166:169], v217 offset0:22 offset1:23
	s_waitcnt vmcnt(17) lgkmcnt(2)
	v_fma_f64 v[126:127], -v[104:105], v[158:159], v[126:127]
	;; [unrolled: 5-line block ×3, first 2 shown]
	s_waitcnt vmcnt(14)
	v_fma_f64 v[88:89], -v[104:105], v[164:165], v[88:89]
	s_waitcnt vmcnt(13) lgkmcnt(1)
	v_fma_f64 v[122:123], -v[104:105], v[166:167], v[122:123]
	ds_read2_b64 v[162:165], v217 offset0:26 offset1:27
	s_waitcnt vmcnt(12)
	v_fma_f64 v[86:87], -v[104:105], v[168:169], v[86:87]
	ds_read2_b64 v[166:169], v217 offset0:28 offset1:29
	s_waitcnt vmcnt(11) lgkmcnt(2)
	v_fma_f64 v[120:121], -v[104:105], v[158:159], v[120:121]
	s_waitcnt vmcnt(10)
	v_fma_f64 v[84:85], -v[104:105], v[160:161], v[84:85]
	s_waitcnt vmcnt(9) lgkmcnt(1)
	v_fma_f64 v[118:119], -v[104:105], v[162:163], v[118:119]
	s_waitcnt vmcnt(8)
	v_fma_f64 v[82:83], -v[104:105], v[164:165], v[82:83]
	ds_read2_b64 v[158:161], v217 offset0:30 offset1:31
	ds_read2_b64 v[162:165], v217 offset0:32 offset1:33
	s_waitcnt vmcnt(7) lgkmcnt(2)
	v_fma_f64 v[116:117], -v[104:105], v[166:167], v[116:117]
	s_waitcnt vmcnt(6)
	v_fma_f64 v[80:81], -v[104:105], v[168:169], v[80:81]
	ds_read2_b64 v[166:169], v217 offset0:34 offset1:35
	s_waitcnt vmcnt(5) lgkmcnt(2)
	v_fma_f64 v[114:115], -v[104:105], v[158:159], v[114:115]
	s_waitcnt vmcnt(4)
	v_fma_f64 v[78:79], -v[104:105], v[160:161], v[78:79]
	s_waitcnt vmcnt(3) lgkmcnt(1)
	v_fma_f64 v[112:113], -v[104:105], v[162:163], v[112:113]
	s_waitcnt vmcnt(2)
	v_fma_f64 v[76:77], -v[104:105], v[164:165], v[76:77]
	;; [unrolled: 4-line block ×3, first 2 shown]
.LBB71_31:
	s_or_b64 exec, exec, s[2:3]
	v_cmp_eq_u32_e32 vcc, 6, v218
	s_waitcnt lgkmcnt(0)
	s_barrier
	s_and_saveexec_b64 s[2:3], vcc
	s_cbranch_execz .LBB71_34
; %bb.32:
	s_waitcnt vmcnt(29)
	ds_write_b64 v216, v[138:139]
	s_waitcnt vmcnt(27)
	ds_write2_b64 v217, v[102:103], v[136:137] offset0:7 offset1:8
	s_waitcnt vmcnt(25)
	ds_write2_b64 v217, v[100:101], v[134:135] offset0:9 offset1:10
	;; [unrolled: 2-line block ×14, first 2 shown]
	s_waitcnt vmcnt(0)
	ds_write_b64 v217, v[144:145] offset:280
	ds_read_b64 v[158:159], v216
	s_waitcnt lgkmcnt(0)
	v_cmp_neq_f64_e32 vcc, 0, v[158:159]
	s_and_b64 exec, exec, vcc
	s_cbranch_execz .LBB71_34
; %bb.33:
	v_div_scale_f64 v[160:161], s[6:7], v[158:159], v[158:159], 1.0
	v_rcp_f64_e32 v[162:163], v[160:161]
	v_div_scale_f64 v[164:165], vcc, 1.0, v[158:159], 1.0
	v_fma_f64 v[166:167], -v[160:161], v[162:163], 1.0
	v_fmac_f64_e32 v[162:163], v[162:163], v[166:167]
	v_fma_f64 v[166:167], -v[160:161], v[162:163], 1.0
	v_fmac_f64_e32 v[162:163], v[162:163], v[166:167]
	v_mul_f64 v[166:167], v[164:165], v[162:163]
	v_fma_f64 v[160:161], -v[160:161], v[166:167], v[164:165]
	v_div_fmas_f64 v[160:161], v[160:161], v[162:163], v[166:167]
	v_div_fixup_f64 v[158:159], v[160:161], v[158:159], 1.0
	ds_write_b64 v216, v[158:159]
.LBB71_34:
	s_or_b64 exec, exec, s[2:3]
	s_waitcnt lgkmcnt(0)
	s_barrier
	ds_read_b64 v[158:159], v216
	v_cmp_lt_u32_e32 vcc, 6, v218
	s_and_saveexec_b64 s[2:3], vcc
	s_cbranch_execz .LBB71_36
; %bb.35:
	ds_read2_b64 v[160:163], v217 offset0:7 offset1:8
	ds_read2_b64 v[164:167], v217 offset0:9 offset1:10
	;; [unrolled: 1-line block ×3, first 2 shown]
	s_waitcnt vmcnt(29) lgkmcnt(3)
	v_mul_f64 v[138:139], v[158:159], v[138:139]
	s_waitcnt vmcnt(28) lgkmcnt(2)
	v_fma_f64 v[102:103], -v[138:139], v[160:161], v[102:103]
	s_waitcnt vmcnt(27)
	v_fma_f64 v[136:137], -v[138:139], v[162:163], v[136:137]
	ds_read2_b64 v[160:163], v217 offset0:13 offset1:14
	s_waitcnt vmcnt(26) lgkmcnt(2)
	v_fma_f64 v[100:101], -v[138:139], v[164:165], v[100:101]
	s_waitcnt vmcnt(25)
	v_fma_f64 v[134:135], -v[138:139], v[166:167], v[134:135]
	s_waitcnt vmcnt(24) lgkmcnt(1)
	v_fma_f64 v[98:99], -v[138:139], v[168:169], v[98:99]
	ds_read2_b64 v[164:167], v217 offset0:15 offset1:16
	s_waitcnt vmcnt(23)
	v_fma_f64 v[132:133], -v[138:139], v[170:171], v[132:133]
	ds_read2_b64 v[168:171], v217 offset0:17 offset1:18
	s_waitcnt vmcnt(22) lgkmcnt(2)
	v_fma_f64 v[96:97], -v[138:139], v[160:161], v[96:97]
	s_waitcnt vmcnt(21)
	v_fma_f64 v[130:131], -v[138:139], v[162:163], v[130:131]
	s_waitcnt vmcnt(20) lgkmcnt(1)
	v_fma_f64 v[94:95], -v[138:139], v[164:165], v[94:95]
	ds_read2_b64 v[160:163], v217 offset0:19 offset1:20
	s_waitcnt vmcnt(19)
	v_fma_f64 v[128:129], -v[138:139], v[166:167], v[128:129]
	ds_read2_b64 v[164:167], v217 offset0:21 offset1:22
	s_waitcnt vmcnt(18) lgkmcnt(2)
	v_fma_f64 v[92:93], -v[138:139], v[168:169], v[92:93]
	s_waitcnt vmcnt(17)
	v_fma_f64 v[126:127], -v[138:139], v[170:171], v[126:127]
	ds_read2_b64 v[168:171], v217 offset0:23 offset1:24
	s_waitcnt vmcnt(16) lgkmcnt(2)
	v_fma_f64 v[90:91], -v[138:139], v[160:161], v[90:91]
	;; [unrolled: 5-line block ×3, first 2 shown]
	s_waitcnt vmcnt(13)
	v_fma_f64 v[122:123], -v[138:139], v[166:167], v[122:123]
	s_waitcnt vmcnt(12) lgkmcnt(1)
	v_fma_f64 v[86:87], -v[138:139], v[168:169], v[86:87]
	ds_read2_b64 v[164:167], v217 offset0:27 offset1:28
	s_waitcnt vmcnt(11)
	v_fma_f64 v[120:121], -v[138:139], v[170:171], v[120:121]
	ds_read2_b64 v[168:171], v217 offset0:29 offset1:30
	s_waitcnt vmcnt(10) lgkmcnt(2)
	v_fma_f64 v[84:85], -v[138:139], v[160:161], v[84:85]
	s_waitcnt vmcnt(9)
	v_fma_f64 v[118:119], -v[138:139], v[162:163], v[118:119]
	s_waitcnt vmcnt(8) lgkmcnt(1)
	v_fma_f64 v[82:83], -v[138:139], v[164:165], v[82:83]
	s_waitcnt vmcnt(7)
	v_fma_f64 v[116:117], -v[138:139], v[166:167], v[116:117]
	ds_read2_b64 v[160:163], v217 offset0:31 offset1:32
	ds_read2_b64 v[164:167], v217 offset0:33 offset1:34
	s_waitcnt vmcnt(6) lgkmcnt(2)
	v_fma_f64 v[80:81], -v[138:139], v[168:169], v[80:81]
	ds_read_b64 v[168:169], v217 offset:280
	s_waitcnt vmcnt(5)
	v_fma_f64 v[114:115], -v[138:139], v[170:171], v[114:115]
	s_waitcnt vmcnt(4) lgkmcnt(2)
	v_fma_f64 v[78:79], -v[138:139], v[160:161], v[78:79]
	s_waitcnt vmcnt(3)
	v_fma_f64 v[112:113], -v[138:139], v[162:163], v[112:113]
	s_waitcnt vmcnt(2) lgkmcnt(1)
	v_fma_f64 v[76:77], -v[138:139], v[164:165], v[76:77]
	;; [unrolled: 4-line block ×3, first 2 shown]
.LBB71_36:
	s_or_b64 exec, exec, s[2:3]
	v_cmp_eq_u32_e32 vcc, 7, v218
	s_waitcnt lgkmcnt(0)
	s_barrier
	s_and_saveexec_b64 s[2:3], vcc
	s_cbranch_execz .LBB71_39
; %bb.37:
	s_waitcnt vmcnt(27)
	v_mov_b32_e32 v160, v136
	v_mov_b32_e32 v161, v137
	s_waitcnt vmcnt(26)
	v_mov_b32_e32 v162, v100
	v_mov_b32_e32 v163, v101
	ds_write_b64 v216, v[102:103]
	ds_write2_b64 v217, v[160:161], v[162:163] offset0:8 offset1:9
	s_waitcnt vmcnt(25)
	v_mov_b32_e32 v160, v134
	v_mov_b32_e32 v161, v135
	s_waitcnt vmcnt(24)
	v_mov_b32_e32 v162, v98
	v_mov_b32_e32 v163, v99
	ds_write2_b64 v217, v[160:161], v[162:163] offset0:10 offset1:11
	s_waitcnt vmcnt(23)
	v_mov_b32_e32 v160, v132
	v_mov_b32_e32 v161, v133
	s_waitcnt vmcnt(22)
	v_mov_b32_e32 v162, v96
	v_mov_b32_e32 v163, v97
	ds_write2_b64 v217, v[160:161], v[162:163] offset0:12 offset1:13
	s_waitcnt vmcnt(21)
	v_mov_b32_e32 v160, v130
	v_mov_b32_e32 v161, v131
	s_waitcnt vmcnt(20)
	v_mov_b32_e32 v162, v94
	v_mov_b32_e32 v163, v95
	ds_write2_b64 v217, v[160:161], v[162:163] offset0:14 offset1:15
	s_waitcnt vmcnt(19)
	v_mov_b32_e32 v160, v128
	v_mov_b32_e32 v161, v129
	s_waitcnt vmcnt(18)
	v_mov_b32_e32 v162, v92
	v_mov_b32_e32 v163, v93
	ds_write2_b64 v217, v[160:161], v[162:163] offset0:16 offset1:17
	s_waitcnt vmcnt(17)
	v_mov_b32_e32 v160, v126
	v_mov_b32_e32 v161, v127
	s_waitcnt vmcnt(16)
	v_mov_b32_e32 v162, v90
	v_mov_b32_e32 v163, v91
	ds_write2_b64 v217, v[160:161], v[162:163] offset0:18 offset1:19
	s_waitcnt vmcnt(15)
	v_mov_b32_e32 v160, v124
	v_mov_b32_e32 v161, v125
	s_waitcnt vmcnt(14)
	v_mov_b32_e32 v162, v88
	v_mov_b32_e32 v163, v89
	ds_write2_b64 v217, v[160:161], v[162:163] offset0:20 offset1:21
	s_waitcnt vmcnt(13)
	v_mov_b32_e32 v160, v122
	v_mov_b32_e32 v161, v123
	s_waitcnt vmcnt(12)
	v_mov_b32_e32 v162, v86
	v_mov_b32_e32 v163, v87
	ds_write2_b64 v217, v[160:161], v[162:163] offset0:22 offset1:23
	s_waitcnt vmcnt(11)
	v_mov_b32_e32 v160, v120
	v_mov_b32_e32 v161, v121
	s_waitcnt vmcnt(10)
	v_mov_b32_e32 v162, v84
	v_mov_b32_e32 v163, v85
	ds_write2_b64 v217, v[160:161], v[162:163] offset0:24 offset1:25
	s_waitcnt vmcnt(9)
	v_mov_b32_e32 v160, v118
	v_mov_b32_e32 v161, v119
	s_waitcnt vmcnt(8)
	v_mov_b32_e32 v162, v82
	v_mov_b32_e32 v163, v83
	ds_write2_b64 v217, v[160:161], v[162:163] offset0:26 offset1:27
	s_waitcnt vmcnt(7)
	v_mov_b32_e32 v160, v116
	v_mov_b32_e32 v161, v117
	s_waitcnt vmcnt(6)
	v_mov_b32_e32 v162, v80
	v_mov_b32_e32 v163, v81
	ds_write2_b64 v217, v[160:161], v[162:163] offset0:28 offset1:29
	s_waitcnt vmcnt(5)
	v_mov_b32_e32 v160, v114
	v_mov_b32_e32 v161, v115
	s_waitcnt vmcnt(4)
	v_mov_b32_e32 v162, v78
	v_mov_b32_e32 v163, v79
	ds_write2_b64 v217, v[160:161], v[162:163] offset0:30 offset1:31
	s_waitcnt vmcnt(3)
	v_mov_b32_e32 v160, v112
	v_mov_b32_e32 v161, v113
	s_waitcnt vmcnt(2)
	v_mov_b32_e32 v162, v76
	v_mov_b32_e32 v163, v77
	ds_write2_b64 v217, v[160:161], v[162:163] offset0:32 offset1:33
	s_waitcnt vmcnt(1)
	v_mov_b32_e32 v160, v110
	v_mov_b32_e32 v161, v111
	s_waitcnt vmcnt(0)
	ds_write2_b64 v217, v[160:161], v[144:145] offset0:34 offset1:35
	ds_read_b64 v[160:161], v216
	s_waitcnt lgkmcnt(0)
	v_cmp_neq_f64_e32 vcc, 0, v[160:161]
	s_and_b64 exec, exec, vcc
	s_cbranch_execz .LBB71_39
; %bb.38:
	v_div_scale_f64 v[162:163], s[6:7], v[160:161], v[160:161], 1.0
	v_rcp_f64_e32 v[164:165], v[162:163]
	v_div_scale_f64 v[166:167], vcc, 1.0, v[160:161], 1.0
	v_fma_f64 v[168:169], -v[162:163], v[164:165], 1.0
	v_fmac_f64_e32 v[164:165], v[164:165], v[168:169]
	v_fma_f64 v[168:169], -v[162:163], v[164:165], 1.0
	v_fmac_f64_e32 v[164:165], v[164:165], v[168:169]
	v_mul_f64 v[168:169], v[166:167], v[164:165]
	v_fma_f64 v[162:163], -v[162:163], v[168:169], v[166:167]
	v_div_fmas_f64 v[162:163], v[162:163], v[164:165], v[168:169]
	v_div_fixup_f64 v[160:161], v[162:163], v[160:161], 1.0
	ds_write_b64 v216, v[160:161]
.LBB71_39:
	s_or_b64 exec, exec, s[2:3]
	s_waitcnt lgkmcnt(0)
	s_barrier
	ds_read_b64 v[160:161], v216
	v_cmp_lt_u32_e32 vcc, 7, v218
	s_and_saveexec_b64 s[2:3], vcc
	s_cbranch_execz .LBB71_41
; %bb.40:
	ds_read2_b64 v[162:165], v217 offset0:8 offset1:9
	ds_read2_b64 v[166:169], v217 offset0:10 offset1:11
	s_waitcnt vmcnt(28) lgkmcnt(2)
	v_mul_f64 v[102:103], v[160:161], v[102:103]
	ds_read2_b64 v[170:173], v217 offset0:12 offset1:13
	s_waitcnt vmcnt(27) lgkmcnt(2)
	v_fma_f64 v[136:137], -v[102:103], v[162:163], v[136:137]
	s_waitcnt vmcnt(26)
	v_fma_f64 v[100:101], -v[102:103], v[164:165], v[100:101]
	ds_read2_b64 v[162:165], v217 offset0:14 offset1:15
	s_waitcnt vmcnt(25) lgkmcnt(2)
	v_fma_f64 v[134:135], -v[102:103], v[166:167], v[134:135]
	s_waitcnt vmcnt(24)
	v_fma_f64 v[98:99], -v[102:103], v[168:169], v[98:99]
	;; [unrolled: 5-line block ×4, first 2 shown]
	s_waitcnt vmcnt(19) lgkmcnt(1)
	v_fma_f64 v[128:129], -v[102:103], v[166:167], v[128:129]
	ds_read2_b64 v[162:165], v217 offset0:20 offset1:21
	s_waitcnt vmcnt(18)
	v_fma_f64 v[92:93], -v[102:103], v[168:169], v[92:93]
	ds_read2_b64 v[166:169], v217 offset0:22 offset1:23
	s_waitcnt vmcnt(17) lgkmcnt(2)
	v_fma_f64 v[126:127], -v[102:103], v[170:171], v[126:127]
	s_waitcnt vmcnt(16)
	v_fma_f64 v[90:91], -v[102:103], v[172:173], v[90:91]
	s_waitcnt vmcnt(15) lgkmcnt(1)
	v_fma_f64 v[124:125], -v[102:103], v[162:163], v[124:125]
	ds_read2_b64 v[170:173], v217 offset0:24 offset1:25
	s_waitcnt vmcnt(14)
	v_fma_f64 v[88:89], -v[102:103], v[164:165], v[88:89]
	ds_read2_b64 v[162:165], v217 offset0:26 offset1:27
	s_waitcnt vmcnt(13) lgkmcnt(2)
	v_fma_f64 v[122:123], -v[102:103], v[166:167], v[122:123]
	s_waitcnt vmcnt(12)
	v_fma_f64 v[86:87], -v[102:103], v[168:169], v[86:87]
	ds_read2_b64 v[166:169], v217 offset0:28 offset1:29
	s_waitcnt vmcnt(11) lgkmcnt(2)
	v_fma_f64 v[120:121], -v[102:103], v[170:171], v[120:121]
	s_waitcnt vmcnt(10)
	v_fma_f64 v[84:85], -v[102:103], v[172:173], v[84:85]
	s_waitcnt vmcnt(9) lgkmcnt(1)
	v_fma_f64 v[118:119], -v[102:103], v[162:163], v[118:119]
	s_waitcnt vmcnt(8)
	v_fma_f64 v[82:83], -v[102:103], v[164:165], v[82:83]
	ds_read2_b64 v[162:165], v217 offset0:30 offset1:31
	s_waitcnt vmcnt(7) lgkmcnt(1)
	v_fma_f64 v[116:117], -v[102:103], v[166:167], v[116:117]
	ds_read2_b64 v[170:173], v217 offset0:32 offset1:33
	s_waitcnt vmcnt(6)
	v_fma_f64 v[80:81], -v[102:103], v[168:169], v[80:81]
	ds_read2_b64 v[166:169], v217 offset0:34 offset1:35
	s_waitcnt vmcnt(5) lgkmcnt(2)
	v_fma_f64 v[114:115], -v[102:103], v[162:163], v[114:115]
	s_waitcnt vmcnt(4)
	v_fma_f64 v[78:79], -v[102:103], v[164:165], v[78:79]
	s_waitcnt vmcnt(3) lgkmcnt(1)
	v_fma_f64 v[112:113], -v[102:103], v[170:171], v[112:113]
	s_waitcnt vmcnt(2)
	v_fma_f64 v[76:77], -v[102:103], v[172:173], v[76:77]
	;; [unrolled: 4-line block ×3, first 2 shown]
.LBB71_41:
	s_or_b64 exec, exec, s[2:3]
	v_cmp_eq_u32_e32 vcc, 8, v218
	s_waitcnt lgkmcnt(0)
	s_barrier
	s_and_saveexec_b64 s[2:3], vcc
	s_cbranch_execz .LBB71_44
; %bb.42:
	s_waitcnt vmcnt(27)
	ds_write_b64 v216, v[136:137]
	s_waitcnt vmcnt(25)
	ds_write2_b64 v217, v[100:101], v[134:135] offset0:9 offset1:10
	s_waitcnt vmcnt(23)
	ds_write2_b64 v217, v[98:99], v[132:133] offset0:11 offset1:12
	;; [unrolled: 2-line block ×13, first 2 shown]
	s_waitcnt vmcnt(0)
	ds_write_b64 v217, v[144:145] offset:280
	ds_read_b64 v[162:163], v216
	s_waitcnt lgkmcnt(0)
	v_cmp_neq_f64_e32 vcc, 0, v[162:163]
	s_and_b64 exec, exec, vcc
	s_cbranch_execz .LBB71_44
; %bb.43:
	v_div_scale_f64 v[164:165], s[6:7], v[162:163], v[162:163], 1.0
	v_rcp_f64_e32 v[166:167], v[164:165]
	v_div_scale_f64 v[168:169], vcc, 1.0, v[162:163], 1.0
	v_fma_f64 v[170:171], -v[164:165], v[166:167], 1.0
	v_fmac_f64_e32 v[166:167], v[166:167], v[170:171]
	v_fma_f64 v[170:171], -v[164:165], v[166:167], 1.0
	v_fmac_f64_e32 v[166:167], v[166:167], v[170:171]
	v_mul_f64 v[170:171], v[168:169], v[166:167]
	v_fma_f64 v[164:165], -v[164:165], v[170:171], v[168:169]
	v_div_fmas_f64 v[164:165], v[164:165], v[166:167], v[170:171]
	v_div_fixup_f64 v[162:163], v[164:165], v[162:163], 1.0
	ds_write_b64 v216, v[162:163]
.LBB71_44:
	s_or_b64 exec, exec, s[2:3]
	s_waitcnt lgkmcnt(0)
	s_barrier
	ds_read_b64 v[162:163], v216
	v_cmp_lt_u32_e32 vcc, 8, v218
	s_and_saveexec_b64 s[2:3], vcc
	s_cbranch_execz .LBB71_46
; %bb.45:
	ds_read2_b64 v[164:167], v217 offset0:9 offset1:10
	ds_read2_b64 v[168:171], v217 offset0:11 offset1:12
	s_waitcnt vmcnt(27) lgkmcnt(2)
	v_mul_f64 v[136:137], v[162:163], v[136:137]
	ds_read2_b64 v[172:175], v217 offset0:13 offset1:14
	s_waitcnt vmcnt(26) lgkmcnt(2)
	v_fma_f64 v[100:101], -v[136:137], v[164:165], v[100:101]
	s_waitcnt vmcnt(25)
	v_fma_f64 v[134:135], -v[136:137], v[166:167], v[134:135]
	ds_read2_b64 v[164:167], v217 offset0:15 offset1:16
	s_waitcnt vmcnt(24) lgkmcnt(2)
	v_fma_f64 v[98:99], -v[136:137], v[168:169], v[98:99]
	s_waitcnt vmcnt(23)
	v_fma_f64 v[132:133], -v[136:137], v[170:171], v[132:133]
	ds_read2_b64 v[168:171], v217 offset0:17 offset1:18
	s_waitcnt vmcnt(22) lgkmcnt(2)
	v_fma_f64 v[96:97], -v[136:137], v[172:173], v[96:97]
	s_waitcnt vmcnt(21)
	v_fma_f64 v[130:131], -v[136:137], v[174:175], v[130:131]
	ds_read2_b64 v[172:175], v217 offset0:19 offset1:20
	s_waitcnt vmcnt(20) lgkmcnt(2)
	v_fma_f64 v[94:95], -v[136:137], v[164:165], v[94:95]
	s_waitcnt vmcnt(19)
	v_fma_f64 v[128:129], -v[136:137], v[166:167], v[128:129]
	s_waitcnt vmcnt(18) lgkmcnt(1)
	v_fma_f64 v[92:93], -v[136:137], v[168:169], v[92:93]
	ds_read2_b64 v[164:167], v217 offset0:21 offset1:22
	s_waitcnt vmcnt(17)
	v_fma_f64 v[126:127], -v[136:137], v[170:171], v[126:127]
	ds_read2_b64 v[168:171], v217 offset0:23 offset1:24
	s_waitcnt vmcnt(16) lgkmcnt(2)
	v_fma_f64 v[90:91], -v[136:137], v[172:173], v[90:91]
	s_waitcnt vmcnt(15)
	v_fma_f64 v[124:125], -v[136:137], v[174:175], v[124:125]
	s_waitcnt vmcnt(14) lgkmcnt(1)
	v_fma_f64 v[88:89], -v[136:137], v[164:165], v[88:89]
	ds_read2_b64 v[172:175], v217 offset0:25 offset1:26
	s_waitcnt vmcnt(13)
	v_fma_f64 v[122:123], -v[136:137], v[166:167], v[122:123]
	ds_read2_b64 v[164:167], v217 offset0:27 offset1:28
	s_waitcnt vmcnt(12) lgkmcnt(2)
	v_fma_f64 v[86:87], -v[136:137], v[168:169], v[86:87]
	s_waitcnt vmcnt(11)
	v_fma_f64 v[120:121], -v[136:137], v[170:171], v[120:121]
	ds_read2_b64 v[168:171], v217 offset0:29 offset1:30
	s_waitcnt vmcnt(10) lgkmcnt(2)
	v_fma_f64 v[84:85], -v[136:137], v[172:173], v[84:85]
	s_waitcnt vmcnt(9)
	v_fma_f64 v[118:119], -v[136:137], v[174:175], v[118:119]
	s_waitcnt vmcnt(8) lgkmcnt(1)
	v_fma_f64 v[82:83], -v[136:137], v[164:165], v[82:83]
	s_waitcnt vmcnt(7)
	v_fma_f64 v[116:117], -v[136:137], v[166:167], v[116:117]
	ds_read2_b64 v[164:167], v217 offset0:31 offset1:32
	s_waitcnt vmcnt(6) lgkmcnt(1)
	v_fma_f64 v[80:81], -v[136:137], v[168:169], v[80:81]
	ds_read2_b64 v[172:175], v217 offset0:33 offset1:34
	ds_read_b64 v[168:169], v217 offset:280
	s_waitcnt vmcnt(5)
	v_fma_f64 v[114:115], -v[136:137], v[170:171], v[114:115]
	s_waitcnt vmcnt(4) lgkmcnt(2)
	v_fma_f64 v[78:79], -v[136:137], v[164:165], v[78:79]
	s_waitcnt vmcnt(3)
	v_fma_f64 v[112:113], -v[136:137], v[166:167], v[112:113]
	s_waitcnt vmcnt(2) lgkmcnt(1)
	v_fma_f64 v[76:77], -v[136:137], v[172:173], v[76:77]
	;; [unrolled: 4-line block ×3, first 2 shown]
.LBB71_46:
	s_or_b64 exec, exec, s[2:3]
	v_cmp_eq_u32_e32 vcc, 9, v218
	s_waitcnt lgkmcnt(0)
	s_barrier
	s_and_saveexec_b64 s[2:3], vcc
	s_cbranch_execz .LBB71_49
; %bb.47:
	s_waitcnt vmcnt(25)
	v_mov_b32_e32 v164, v134
	v_mov_b32_e32 v165, v135
	s_waitcnt vmcnt(24)
	v_mov_b32_e32 v166, v98
	v_mov_b32_e32 v167, v99
	ds_write_b64 v216, v[100:101]
	ds_write2_b64 v217, v[164:165], v[166:167] offset0:10 offset1:11
	s_waitcnt vmcnt(23)
	v_mov_b32_e32 v164, v132
	v_mov_b32_e32 v165, v133
	s_waitcnt vmcnt(22)
	v_mov_b32_e32 v166, v96
	v_mov_b32_e32 v167, v97
	ds_write2_b64 v217, v[164:165], v[166:167] offset0:12 offset1:13
	s_waitcnt vmcnt(21)
	v_mov_b32_e32 v164, v130
	v_mov_b32_e32 v165, v131
	s_waitcnt vmcnt(20)
	v_mov_b32_e32 v166, v94
	v_mov_b32_e32 v167, v95
	;; [unrolled: 7-line block ×11, first 2 shown]
	ds_write2_b64 v217, v[164:165], v[166:167] offset0:32 offset1:33
	s_waitcnt vmcnt(1)
	v_mov_b32_e32 v164, v110
	v_mov_b32_e32 v165, v111
	s_waitcnt vmcnt(0)
	ds_write2_b64 v217, v[164:165], v[144:145] offset0:34 offset1:35
	ds_read_b64 v[164:165], v216
	s_waitcnt lgkmcnt(0)
	v_cmp_neq_f64_e32 vcc, 0, v[164:165]
	s_and_b64 exec, exec, vcc
	s_cbranch_execz .LBB71_49
; %bb.48:
	v_div_scale_f64 v[166:167], s[6:7], v[164:165], v[164:165], 1.0
	v_rcp_f64_e32 v[168:169], v[166:167]
	v_div_scale_f64 v[170:171], vcc, 1.0, v[164:165], 1.0
	v_fma_f64 v[172:173], -v[166:167], v[168:169], 1.0
	v_fmac_f64_e32 v[168:169], v[168:169], v[172:173]
	v_fma_f64 v[172:173], -v[166:167], v[168:169], 1.0
	v_fmac_f64_e32 v[168:169], v[168:169], v[172:173]
	v_mul_f64 v[172:173], v[170:171], v[168:169]
	v_fma_f64 v[166:167], -v[166:167], v[172:173], v[170:171]
	v_div_fmas_f64 v[166:167], v[166:167], v[168:169], v[172:173]
	v_div_fixup_f64 v[164:165], v[166:167], v[164:165], 1.0
	ds_write_b64 v216, v[164:165]
.LBB71_49:
	s_or_b64 exec, exec, s[2:3]
	s_waitcnt lgkmcnt(0)
	s_barrier
	ds_read_b64 v[164:165], v216
	v_cmp_lt_u32_e32 vcc, 9, v218
	s_and_saveexec_b64 s[2:3], vcc
	s_cbranch_execz .LBB71_51
; %bb.50:
	ds_read2_b64 v[166:169], v217 offset0:10 offset1:11
	ds_read2_b64 v[170:173], v217 offset0:12 offset1:13
	s_waitcnt vmcnt(26) lgkmcnt(2)
	v_mul_f64 v[100:101], v[164:165], v[100:101]
	ds_read2_b64 v[174:177], v217 offset0:14 offset1:15
	s_waitcnt vmcnt(25) lgkmcnt(2)
	v_fma_f64 v[134:135], -v[100:101], v[166:167], v[134:135]
	s_waitcnt vmcnt(24)
	v_fma_f64 v[98:99], -v[100:101], v[168:169], v[98:99]
	ds_read2_b64 v[166:169], v217 offset0:16 offset1:17
	s_waitcnt vmcnt(23) lgkmcnt(2)
	v_fma_f64 v[132:133], -v[100:101], v[170:171], v[132:133]
	s_waitcnt vmcnt(22)
	v_fma_f64 v[96:97], -v[100:101], v[172:173], v[96:97]
	s_waitcnt vmcnt(21) lgkmcnt(1)
	v_fma_f64 v[130:131], -v[100:101], v[174:175], v[130:131]
	ds_read2_b64 v[170:173], v217 offset0:18 offset1:19
	s_waitcnt vmcnt(20)
	v_fma_f64 v[94:95], -v[100:101], v[176:177], v[94:95]
	ds_read2_b64 v[174:177], v217 offset0:20 offset1:21
	s_waitcnt vmcnt(19) lgkmcnt(2)
	v_fma_f64 v[128:129], -v[100:101], v[166:167], v[128:129]
	s_waitcnt vmcnt(18)
	v_fma_f64 v[92:93], -v[100:101], v[168:169], v[92:93]
	ds_read2_b64 v[166:169], v217 offset0:22 offset1:23
	s_waitcnt vmcnt(17) lgkmcnt(2)
	v_fma_f64 v[126:127], -v[100:101], v[170:171], v[126:127]
	;; [unrolled: 5-line block ×3, first 2 shown]
	s_waitcnt vmcnt(14)
	v_fma_f64 v[88:89], -v[100:101], v[176:177], v[88:89]
	s_waitcnt vmcnt(13) lgkmcnt(1)
	v_fma_f64 v[122:123], -v[100:101], v[166:167], v[122:123]
	ds_read2_b64 v[174:177], v217 offset0:26 offset1:27
	s_waitcnt vmcnt(12)
	v_fma_f64 v[86:87], -v[100:101], v[168:169], v[86:87]
	ds_read2_b64 v[166:169], v217 offset0:28 offset1:29
	s_waitcnt vmcnt(11) lgkmcnt(2)
	v_fma_f64 v[120:121], -v[100:101], v[170:171], v[120:121]
	s_waitcnt vmcnt(10)
	v_fma_f64 v[84:85], -v[100:101], v[172:173], v[84:85]
	s_waitcnt vmcnt(9) lgkmcnt(1)
	v_fma_f64 v[118:119], -v[100:101], v[174:175], v[118:119]
	s_waitcnt vmcnt(8)
	v_fma_f64 v[82:83], -v[100:101], v[176:177], v[82:83]
	ds_read2_b64 v[170:173], v217 offset0:30 offset1:31
	ds_read2_b64 v[174:177], v217 offset0:32 offset1:33
	s_waitcnt vmcnt(7) lgkmcnt(2)
	v_fma_f64 v[116:117], -v[100:101], v[166:167], v[116:117]
	s_waitcnt vmcnt(6)
	v_fma_f64 v[80:81], -v[100:101], v[168:169], v[80:81]
	ds_read2_b64 v[166:169], v217 offset0:34 offset1:35
	s_waitcnt vmcnt(5) lgkmcnt(2)
	v_fma_f64 v[114:115], -v[100:101], v[170:171], v[114:115]
	s_waitcnt vmcnt(4)
	v_fma_f64 v[78:79], -v[100:101], v[172:173], v[78:79]
	s_waitcnt vmcnt(3) lgkmcnt(1)
	v_fma_f64 v[112:113], -v[100:101], v[174:175], v[112:113]
	s_waitcnt vmcnt(2)
	v_fma_f64 v[76:77], -v[100:101], v[176:177], v[76:77]
	;; [unrolled: 4-line block ×3, first 2 shown]
.LBB71_51:
	s_or_b64 exec, exec, s[2:3]
	v_cmp_eq_u32_e32 vcc, 10, v218
	s_waitcnt lgkmcnt(0)
	s_barrier
	s_and_saveexec_b64 s[2:3], vcc
	s_cbranch_execz .LBB71_54
; %bb.52:
	s_waitcnt vmcnt(25)
	ds_write_b64 v216, v[134:135]
	s_waitcnt vmcnt(23)
	ds_write2_b64 v217, v[98:99], v[132:133] offset0:11 offset1:12
	s_waitcnt vmcnt(21)
	ds_write2_b64 v217, v[96:97], v[130:131] offset0:13 offset1:14
	;; [unrolled: 2-line block ×12, first 2 shown]
	s_waitcnt vmcnt(0)
	ds_write_b64 v217, v[144:145] offset:280
	ds_read_b64 v[166:167], v216
	s_waitcnt lgkmcnt(0)
	v_cmp_neq_f64_e32 vcc, 0, v[166:167]
	s_and_b64 exec, exec, vcc
	s_cbranch_execz .LBB71_54
; %bb.53:
	v_div_scale_f64 v[168:169], s[6:7], v[166:167], v[166:167], 1.0
	v_rcp_f64_e32 v[170:171], v[168:169]
	v_div_scale_f64 v[172:173], vcc, 1.0, v[166:167], 1.0
	v_fma_f64 v[174:175], -v[168:169], v[170:171], 1.0
	v_fmac_f64_e32 v[170:171], v[170:171], v[174:175]
	v_fma_f64 v[174:175], -v[168:169], v[170:171], 1.0
	v_fmac_f64_e32 v[170:171], v[170:171], v[174:175]
	v_mul_f64 v[174:175], v[172:173], v[170:171]
	v_fma_f64 v[168:169], -v[168:169], v[174:175], v[172:173]
	v_div_fmas_f64 v[168:169], v[168:169], v[170:171], v[174:175]
	v_div_fixup_f64 v[166:167], v[168:169], v[166:167], 1.0
	ds_write_b64 v216, v[166:167]
.LBB71_54:
	s_or_b64 exec, exec, s[2:3]
	s_waitcnt lgkmcnt(0)
	s_barrier
	ds_read_b64 v[166:167], v216
	v_cmp_lt_u32_e32 vcc, 10, v218
	s_and_saveexec_b64 s[2:3], vcc
	s_cbranch_execz .LBB71_56
; %bb.55:
	ds_read2_b64 v[168:171], v217 offset0:11 offset1:12
	ds_read2_b64 v[172:175], v217 offset0:13 offset1:14
	s_waitcnt vmcnt(25) lgkmcnt(2)
	v_mul_f64 v[134:135], v[166:167], v[134:135]
	ds_read2_b64 v[176:179], v217 offset0:15 offset1:16
	s_waitcnt vmcnt(24) lgkmcnt(2)
	v_fma_f64 v[98:99], -v[134:135], v[168:169], v[98:99]
	s_waitcnt vmcnt(23)
	v_fma_f64 v[132:133], -v[134:135], v[170:171], v[132:133]
	ds_read2_b64 v[168:171], v217 offset0:17 offset1:18
	s_waitcnt vmcnt(22) lgkmcnt(2)
	v_fma_f64 v[96:97], -v[134:135], v[172:173], v[96:97]
	s_waitcnt vmcnt(21)
	v_fma_f64 v[130:131], -v[134:135], v[174:175], v[130:131]
	s_waitcnt vmcnt(20) lgkmcnt(1)
	v_fma_f64 v[94:95], -v[134:135], v[176:177], v[94:95]
	ds_read2_b64 v[172:175], v217 offset0:19 offset1:20
	s_waitcnt vmcnt(19)
	v_fma_f64 v[128:129], -v[134:135], v[178:179], v[128:129]
	ds_read2_b64 v[176:179], v217 offset0:21 offset1:22
	s_waitcnt vmcnt(18) lgkmcnt(2)
	v_fma_f64 v[92:93], -v[134:135], v[168:169], v[92:93]
	s_waitcnt vmcnt(17)
	v_fma_f64 v[126:127], -v[134:135], v[170:171], v[126:127]
	ds_read2_b64 v[168:171], v217 offset0:23 offset1:24
	s_waitcnt vmcnt(16) lgkmcnt(2)
	v_fma_f64 v[90:91], -v[134:135], v[172:173], v[90:91]
	;; [unrolled: 5-line block ×3, first 2 shown]
	s_waitcnt vmcnt(13)
	v_fma_f64 v[122:123], -v[134:135], v[178:179], v[122:123]
	s_waitcnt vmcnt(12) lgkmcnt(1)
	v_fma_f64 v[86:87], -v[134:135], v[168:169], v[86:87]
	ds_read2_b64 v[176:179], v217 offset0:27 offset1:28
	s_waitcnt vmcnt(11)
	v_fma_f64 v[120:121], -v[134:135], v[170:171], v[120:121]
	ds_read2_b64 v[168:171], v217 offset0:29 offset1:30
	s_waitcnt vmcnt(10) lgkmcnt(2)
	v_fma_f64 v[84:85], -v[134:135], v[172:173], v[84:85]
	s_waitcnt vmcnt(9)
	v_fma_f64 v[118:119], -v[134:135], v[174:175], v[118:119]
	s_waitcnt vmcnt(8) lgkmcnt(1)
	v_fma_f64 v[82:83], -v[134:135], v[176:177], v[82:83]
	s_waitcnt vmcnt(7)
	v_fma_f64 v[116:117], -v[134:135], v[178:179], v[116:117]
	ds_read2_b64 v[172:175], v217 offset0:31 offset1:32
	ds_read2_b64 v[176:179], v217 offset0:33 offset1:34
	s_waitcnt vmcnt(6) lgkmcnt(2)
	v_fma_f64 v[80:81], -v[134:135], v[168:169], v[80:81]
	ds_read_b64 v[168:169], v217 offset:280
	s_waitcnt vmcnt(5)
	v_fma_f64 v[114:115], -v[134:135], v[170:171], v[114:115]
	s_waitcnt vmcnt(4) lgkmcnt(2)
	v_fma_f64 v[78:79], -v[134:135], v[172:173], v[78:79]
	s_waitcnt vmcnt(3)
	v_fma_f64 v[112:113], -v[134:135], v[174:175], v[112:113]
	s_waitcnt vmcnt(2) lgkmcnt(1)
	v_fma_f64 v[76:77], -v[134:135], v[176:177], v[76:77]
	s_waitcnt vmcnt(1)
	v_fma_f64 v[110:111], -v[134:135], v[178:179], v[110:111]
	s_waitcnt vmcnt(0) lgkmcnt(0)
	v_fma_f64 v[144:145], -v[134:135], v[168:169], v[144:145]
.LBB71_56:
	s_or_b64 exec, exec, s[2:3]
	v_cmp_eq_u32_e32 vcc, 11, v218
	s_waitcnt lgkmcnt(0)
	s_barrier
	s_and_saveexec_b64 s[2:3], vcc
	s_cbranch_execz .LBB71_59
; %bb.57:
	s_waitcnt vmcnt(23)
	v_mov_b32_e32 v168, v132
	v_mov_b32_e32 v169, v133
	s_waitcnt vmcnt(22)
	v_mov_b32_e32 v170, v96
	v_mov_b32_e32 v171, v97
	ds_write_b64 v216, v[98:99]
	ds_write2_b64 v217, v[168:169], v[170:171] offset0:12 offset1:13
	s_waitcnt vmcnt(21)
	v_mov_b32_e32 v168, v130
	v_mov_b32_e32 v169, v131
	s_waitcnt vmcnt(20)
	v_mov_b32_e32 v170, v94
	v_mov_b32_e32 v171, v95
	ds_write2_b64 v217, v[168:169], v[170:171] offset0:14 offset1:15
	s_waitcnt vmcnt(19)
	v_mov_b32_e32 v168, v128
	v_mov_b32_e32 v169, v129
	s_waitcnt vmcnt(18)
	v_mov_b32_e32 v170, v92
	v_mov_b32_e32 v171, v93
	;; [unrolled: 7-line block ×10, first 2 shown]
	ds_write2_b64 v217, v[168:169], v[170:171] offset0:32 offset1:33
	s_waitcnt vmcnt(1)
	v_mov_b32_e32 v168, v110
	v_mov_b32_e32 v169, v111
	s_waitcnt vmcnt(0)
	ds_write2_b64 v217, v[168:169], v[144:145] offset0:34 offset1:35
	ds_read_b64 v[168:169], v216
	s_waitcnt lgkmcnt(0)
	v_cmp_neq_f64_e32 vcc, 0, v[168:169]
	s_and_b64 exec, exec, vcc
	s_cbranch_execz .LBB71_59
; %bb.58:
	v_div_scale_f64 v[170:171], s[6:7], v[168:169], v[168:169], 1.0
	v_rcp_f64_e32 v[172:173], v[170:171]
	v_div_scale_f64 v[174:175], vcc, 1.0, v[168:169], 1.0
	v_fma_f64 v[176:177], -v[170:171], v[172:173], 1.0
	v_fmac_f64_e32 v[172:173], v[172:173], v[176:177]
	v_fma_f64 v[176:177], -v[170:171], v[172:173], 1.0
	v_fmac_f64_e32 v[172:173], v[172:173], v[176:177]
	v_mul_f64 v[176:177], v[174:175], v[172:173]
	v_fma_f64 v[170:171], -v[170:171], v[176:177], v[174:175]
	v_div_fmas_f64 v[170:171], v[170:171], v[172:173], v[176:177]
	v_div_fixup_f64 v[168:169], v[170:171], v[168:169], 1.0
	ds_write_b64 v216, v[168:169]
.LBB71_59:
	s_or_b64 exec, exec, s[2:3]
	s_waitcnt lgkmcnt(0)
	s_barrier
	ds_read_b64 v[168:169], v216
	v_cmp_lt_u32_e32 vcc, 11, v218
	s_and_saveexec_b64 s[2:3], vcc
	s_cbranch_execz .LBB71_61
; %bb.60:
	ds_read2_b64 v[170:173], v217 offset0:12 offset1:13
	ds_read2_b64 v[174:177], v217 offset0:14 offset1:15
	;; [unrolled: 1-line block ×3, first 2 shown]
	s_waitcnt vmcnt(24) lgkmcnt(3)
	v_mul_f64 v[98:99], v[168:169], v[98:99]
	s_waitcnt vmcnt(23) lgkmcnt(2)
	v_fma_f64 v[132:133], -v[98:99], v[170:171], v[132:133]
	s_waitcnt vmcnt(22)
	v_fma_f64 v[96:97], -v[98:99], v[172:173], v[96:97]
	ds_read2_b64 v[170:173], v217 offset0:18 offset1:19
	s_waitcnt vmcnt(21) lgkmcnt(2)
	v_fma_f64 v[130:131], -v[98:99], v[174:175], v[130:131]
	s_waitcnt vmcnt(20)
	v_fma_f64 v[94:95], -v[98:99], v[176:177], v[94:95]
	s_waitcnt vmcnt(19) lgkmcnt(1)
	v_fma_f64 v[128:129], -v[98:99], v[178:179], v[128:129]
	ds_read2_b64 v[174:177], v217 offset0:20 offset1:21
	s_waitcnt vmcnt(18)
	v_fma_f64 v[92:93], -v[98:99], v[180:181], v[92:93]
	ds_read2_b64 v[178:181], v217 offset0:22 offset1:23
	s_waitcnt vmcnt(17) lgkmcnt(2)
	v_fma_f64 v[126:127], -v[98:99], v[170:171], v[126:127]
	s_waitcnt vmcnt(16)
	v_fma_f64 v[90:91], -v[98:99], v[172:173], v[90:91]
	s_waitcnt vmcnt(15) lgkmcnt(1)
	v_fma_f64 v[124:125], -v[98:99], v[174:175], v[124:125]
	ds_read2_b64 v[170:173], v217 offset0:24 offset1:25
	s_waitcnt vmcnt(14)
	v_fma_f64 v[88:89], -v[98:99], v[176:177], v[88:89]
	ds_read2_b64 v[174:177], v217 offset0:26 offset1:27
	s_waitcnt vmcnt(13) lgkmcnt(2)
	v_fma_f64 v[122:123], -v[98:99], v[178:179], v[122:123]
	s_waitcnt vmcnt(12)
	v_fma_f64 v[86:87], -v[98:99], v[180:181], v[86:87]
	ds_read2_b64 v[178:181], v217 offset0:28 offset1:29
	s_waitcnt vmcnt(11) lgkmcnt(2)
	v_fma_f64 v[120:121], -v[98:99], v[170:171], v[120:121]
	;; [unrolled: 5-line block ×3, first 2 shown]
	s_waitcnt vmcnt(8)
	v_fma_f64 v[82:83], -v[98:99], v[176:177], v[82:83]
	s_waitcnt vmcnt(7) lgkmcnt(1)
	v_fma_f64 v[116:117], -v[98:99], v[178:179], v[116:117]
	ds_read2_b64 v[174:177], v217 offset0:32 offset1:33
	s_waitcnt vmcnt(6)
	v_fma_f64 v[80:81], -v[98:99], v[180:181], v[80:81]
	ds_read2_b64 v[178:181], v217 offset0:34 offset1:35
	s_waitcnt vmcnt(5) lgkmcnt(2)
	v_fma_f64 v[114:115], -v[98:99], v[170:171], v[114:115]
	s_waitcnt vmcnt(4)
	v_fma_f64 v[78:79], -v[98:99], v[172:173], v[78:79]
	s_waitcnt vmcnt(3) lgkmcnt(1)
	v_fma_f64 v[112:113], -v[98:99], v[174:175], v[112:113]
	s_waitcnt vmcnt(2)
	v_fma_f64 v[76:77], -v[98:99], v[176:177], v[76:77]
	;; [unrolled: 4-line block ×3, first 2 shown]
.LBB71_61:
	s_or_b64 exec, exec, s[2:3]
	v_cmp_eq_u32_e32 vcc, 12, v218
	s_waitcnt lgkmcnt(0)
	s_barrier
	s_and_saveexec_b64 s[2:3], vcc
	s_cbranch_execz .LBB71_64
; %bb.62:
	s_waitcnt vmcnt(23)
	ds_write_b64 v216, v[132:133]
	s_waitcnt vmcnt(21)
	ds_write2_b64 v217, v[96:97], v[130:131] offset0:13 offset1:14
	s_waitcnt vmcnt(19)
	ds_write2_b64 v217, v[94:95], v[128:129] offset0:15 offset1:16
	;; [unrolled: 2-line block ×11, first 2 shown]
	s_waitcnt vmcnt(0)
	ds_write_b64 v217, v[144:145] offset:280
	ds_read_b64 v[170:171], v216
	s_waitcnt lgkmcnt(0)
	v_cmp_neq_f64_e32 vcc, 0, v[170:171]
	s_and_b64 exec, exec, vcc
	s_cbranch_execz .LBB71_64
; %bb.63:
	v_div_scale_f64 v[172:173], s[6:7], v[170:171], v[170:171], 1.0
	v_rcp_f64_e32 v[174:175], v[172:173]
	v_div_scale_f64 v[176:177], vcc, 1.0, v[170:171], 1.0
	v_fma_f64 v[178:179], -v[172:173], v[174:175], 1.0
	v_fmac_f64_e32 v[174:175], v[174:175], v[178:179]
	v_fma_f64 v[178:179], -v[172:173], v[174:175], 1.0
	v_fmac_f64_e32 v[174:175], v[174:175], v[178:179]
	v_mul_f64 v[178:179], v[176:177], v[174:175]
	v_fma_f64 v[172:173], -v[172:173], v[178:179], v[176:177]
	v_div_fmas_f64 v[172:173], v[172:173], v[174:175], v[178:179]
	v_div_fixup_f64 v[170:171], v[172:173], v[170:171], 1.0
	ds_write_b64 v216, v[170:171]
.LBB71_64:
	s_or_b64 exec, exec, s[2:3]
	s_waitcnt lgkmcnt(0)
	s_barrier
	ds_read_b64 v[170:171], v216
	v_cmp_lt_u32_e32 vcc, 12, v218
	s_and_saveexec_b64 s[2:3], vcc
	s_cbranch_execz .LBB71_66
; %bb.65:
	ds_read2_b64 v[172:175], v217 offset0:13 offset1:14
	ds_read2_b64 v[176:179], v217 offset0:15 offset1:16
	;; [unrolled: 1-line block ×3, first 2 shown]
	s_waitcnt vmcnt(23) lgkmcnt(3)
	v_mul_f64 v[132:133], v[170:171], v[132:133]
	s_waitcnt vmcnt(22) lgkmcnt(2)
	v_fma_f64 v[96:97], -v[132:133], v[172:173], v[96:97]
	s_waitcnt vmcnt(21)
	v_fma_f64 v[130:131], -v[132:133], v[174:175], v[130:131]
	ds_read2_b64 v[172:175], v217 offset0:19 offset1:20
	s_waitcnt vmcnt(20) lgkmcnt(2)
	v_fma_f64 v[94:95], -v[132:133], v[176:177], v[94:95]
	s_waitcnt vmcnt(19)
	v_fma_f64 v[128:129], -v[132:133], v[178:179], v[128:129]
	s_waitcnt vmcnt(18) lgkmcnt(1)
	v_fma_f64 v[92:93], -v[132:133], v[180:181], v[92:93]
	ds_read2_b64 v[176:179], v217 offset0:21 offset1:22
	s_waitcnt vmcnt(17)
	v_fma_f64 v[126:127], -v[132:133], v[182:183], v[126:127]
	ds_read2_b64 v[180:183], v217 offset0:23 offset1:24
	s_waitcnt vmcnt(16) lgkmcnt(2)
	v_fma_f64 v[90:91], -v[132:133], v[172:173], v[90:91]
	s_waitcnt vmcnt(15)
	v_fma_f64 v[124:125], -v[132:133], v[174:175], v[124:125]
	s_waitcnt vmcnt(14) lgkmcnt(1)
	v_fma_f64 v[88:89], -v[132:133], v[176:177], v[88:89]
	ds_read2_b64 v[172:175], v217 offset0:25 offset1:26
	s_waitcnt vmcnt(13)
	v_fma_f64 v[122:123], -v[132:133], v[178:179], v[122:123]
	ds_read2_b64 v[176:179], v217 offset0:27 offset1:28
	s_waitcnt vmcnt(12) lgkmcnt(2)
	v_fma_f64 v[86:87], -v[132:133], v[180:181], v[86:87]
	s_waitcnt vmcnt(11)
	v_fma_f64 v[120:121], -v[132:133], v[182:183], v[120:121]
	ds_read2_b64 v[180:183], v217 offset0:29 offset1:30
	s_waitcnt vmcnt(10) lgkmcnt(2)
	v_fma_f64 v[84:85], -v[132:133], v[172:173], v[84:85]
	;; [unrolled: 5-line block ×3, first 2 shown]
	s_waitcnt vmcnt(7)
	v_fma_f64 v[116:117], -v[132:133], v[178:179], v[116:117]
	s_waitcnt vmcnt(6) lgkmcnt(1)
	v_fma_f64 v[80:81], -v[132:133], v[180:181], v[80:81]
	ds_read2_b64 v[176:179], v217 offset0:33 offset1:34
	ds_read_b64 v[180:181], v217 offset:280
	s_waitcnt vmcnt(5)
	v_fma_f64 v[114:115], -v[132:133], v[182:183], v[114:115]
	s_waitcnt vmcnt(4) lgkmcnt(2)
	v_fma_f64 v[78:79], -v[132:133], v[172:173], v[78:79]
	s_waitcnt vmcnt(3)
	v_fma_f64 v[112:113], -v[132:133], v[174:175], v[112:113]
	s_waitcnt vmcnt(2) lgkmcnt(1)
	v_fma_f64 v[76:77], -v[132:133], v[176:177], v[76:77]
	;; [unrolled: 4-line block ×3, first 2 shown]
.LBB71_66:
	s_or_b64 exec, exec, s[2:3]
	v_cmp_eq_u32_e32 vcc, 13, v218
	s_waitcnt lgkmcnt(0)
	s_barrier
	s_and_saveexec_b64 s[2:3], vcc
	s_cbranch_execz .LBB71_69
; %bb.67:
	s_waitcnt vmcnt(21)
	v_mov_b32_e32 v172, v130
	v_mov_b32_e32 v173, v131
	s_waitcnt vmcnt(20)
	v_mov_b32_e32 v174, v94
	v_mov_b32_e32 v175, v95
	ds_write_b64 v216, v[96:97]
	ds_write2_b64 v217, v[172:173], v[174:175] offset0:14 offset1:15
	s_waitcnt vmcnt(19)
	v_mov_b32_e32 v172, v128
	v_mov_b32_e32 v173, v129
	s_waitcnt vmcnt(18)
	v_mov_b32_e32 v174, v92
	v_mov_b32_e32 v175, v93
	ds_write2_b64 v217, v[172:173], v[174:175] offset0:16 offset1:17
	s_waitcnt vmcnt(17)
	v_mov_b32_e32 v172, v126
	v_mov_b32_e32 v173, v127
	s_waitcnt vmcnt(16)
	v_mov_b32_e32 v174, v90
	v_mov_b32_e32 v175, v91
	;; [unrolled: 7-line block ×9, first 2 shown]
	ds_write2_b64 v217, v[172:173], v[174:175] offset0:32 offset1:33
	s_waitcnt vmcnt(1)
	v_mov_b32_e32 v172, v110
	v_mov_b32_e32 v173, v111
	s_waitcnt vmcnt(0)
	ds_write2_b64 v217, v[172:173], v[144:145] offset0:34 offset1:35
	ds_read_b64 v[172:173], v216
	s_waitcnt lgkmcnt(0)
	v_cmp_neq_f64_e32 vcc, 0, v[172:173]
	s_and_b64 exec, exec, vcc
	s_cbranch_execz .LBB71_69
; %bb.68:
	v_div_scale_f64 v[174:175], s[6:7], v[172:173], v[172:173], 1.0
	v_rcp_f64_e32 v[176:177], v[174:175]
	v_div_scale_f64 v[178:179], vcc, 1.0, v[172:173], 1.0
	v_fma_f64 v[180:181], -v[174:175], v[176:177], 1.0
	v_fmac_f64_e32 v[176:177], v[176:177], v[180:181]
	v_fma_f64 v[180:181], -v[174:175], v[176:177], 1.0
	v_fmac_f64_e32 v[176:177], v[176:177], v[180:181]
	v_mul_f64 v[180:181], v[178:179], v[176:177]
	v_fma_f64 v[174:175], -v[174:175], v[180:181], v[178:179]
	v_div_fmas_f64 v[174:175], v[174:175], v[176:177], v[180:181]
	v_div_fixup_f64 v[172:173], v[174:175], v[172:173], 1.0
	ds_write_b64 v216, v[172:173]
.LBB71_69:
	s_or_b64 exec, exec, s[2:3]
	s_waitcnt lgkmcnt(0)
	s_barrier
	ds_read_b64 v[172:173], v216
	v_cmp_lt_u32_e32 vcc, 13, v218
	s_and_saveexec_b64 s[2:3], vcc
	s_cbranch_execz .LBB71_71
; %bb.70:
	ds_read2_b64 v[174:177], v217 offset0:14 offset1:15
	ds_read2_b64 v[178:181], v217 offset0:16 offset1:17
	s_waitcnt vmcnt(22) lgkmcnt(2)
	v_mul_f64 v[96:97], v[172:173], v[96:97]
	ds_read2_b64 v[182:185], v217 offset0:18 offset1:19
	s_waitcnt vmcnt(21) lgkmcnt(2)
	v_fma_f64 v[130:131], -v[96:97], v[174:175], v[130:131]
	s_waitcnt vmcnt(20)
	v_fma_f64 v[94:95], -v[96:97], v[176:177], v[94:95]
	ds_read2_b64 v[174:177], v217 offset0:20 offset1:21
	s_waitcnt vmcnt(19) lgkmcnt(2)
	v_fma_f64 v[128:129], -v[96:97], v[178:179], v[128:129]
	s_waitcnt vmcnt(18)
	v_fma_f64 v[92:93], -v[96:97], v[180:181], v[92:93]
	;; [unrolled: 5-line block ×4, first 2 shown]
	s_waitcnt vmcnt(13) lgkmcnt(1)
	v_fma_f64 v[122:123], -v[96:97], v[178:179], v[122:123]
	ds_read2_b64 v[174:177], v217 offset0:26 offset1:27
	s_waitcnt vmcnt(12)
	v_fma_f64 v[86:87], -v[96:97], v[180:181], v[86:87]
	ds_read2_b64 v[178:181], v217 offset0:28 offset1:29
	s_waitcnt vmcnt(11) lgkmcnt(2)
	v_fma_f64 v[120:121], -v[96:97], v[182:183], v[120:121]
	s_waitcnt vmcnt(10)
	v_fma_f64 v[84:85], -v[96:97], v[184:185], v[84:85]
	s_waitcnt vmcnt(9) lgkmcnt(1)
	v_fma_f64 v[118:119], -v[96:97], v[174:175], v[118:119]
	s_waitcnt vmcnt(8)
	v_fma_f64 v[82:83], -v[96:97], v[176:177], v[82:83]
	ds_read2_b64 v[174:177], v217 offset0:30 offset1:31
	ds_read2_b64 v[182:185], v217 offset0:32 offset1:33
	s_waitcnt vmcnt(7) lgkmcnt(2)
	v_fma_f64 v[116:117], -v[96:97], v[178:179], v[116:117]
	s_waitcnt vmcnt(6)
	v_fma_f64 v[80:81], -v[96:97], v[180:181], v[80:81]
	ds_read2_b64 v[178:181], v217 offset0:34 offset1:35
	s_waitcnt vmcnt(5) lgkmcnt(2)
	v_fma_f64 v[114:115], -v[96:97], v[174:175], v[114:115]
	s_waitcnt vmcnt(4)
	v_fma_f64 v[78:79], -v[96:97], v[176:177], v[78:79]
	s_waitcnt vmcnt(3) lgkmcnt(1)
	v_fma_f64 v[112:113], -v[96:97], v[182:183], v[112:113]
	s_waitcnt vmcnt(2)
	v_fma_f64 v[76:77], -v[96:97], v[184:185], v[76:77]
	;; [unrolled: 4-line block ×3, first 2 shown]
.LBB71_71:
	s_or_b64 exec, exec, s[2:3]
	v_cmp_eq_u32_e32 vcc, 14, v218
	s_waitcnt lgkmcnt(0)
	s_barrier
	s_and_saveexec_b64 s[2:3], vcc
	s_cbranch_execz .LBB71_74
; %bb.72:
	s_waitcnt vmcnt(21)
	ds_write_b64 v216, v[130:131]
	s_waitcnt vmcnt(19)
	ds_write2_b64 v217, v[94:95], v[128:129] offset0:15 offset1:16
	s_waitcnt vmcnt(17)
	ds_write2_b64 v217, v[92:93], v[126:127] offset0:17 offset1:18
	;; [unrolled: 2-line block ×10, first 2 shown]
	s_waitcnt vmcnt(0)
	ds_write_b64 v217, v[144:145] offset:280
	ds_read_b64 v[174:175], v216
	s_waitcnt lgkmcnt(0)
	v_cmp_neq_f64_e32 vcc, 0, v[174:175]
	s_and_b64 exec, exec, vcc
	s_cbranch_execz .LBB71_74
; %bb.73:
	v_div_scale_f64 v[176:177], s[6:7], v[174:175], v[174:175], 1.0
	v_rcp_f64_e32 v[178:179], v[176:177]
	v_div_scale_f64 v[180:181], vcc, 1.0, v[174:175], 1.0
	v_fma_f64 v[182:183], -v[176:177], v[178:179], 1.0
	v_fmac_f64_e32 v[178:179], v[178:179], v[182:183]
	v_fma_f64 v[182:183], -v[176:177], v[178:179], 1.0
	v_fmac_f64_e32 v[178:179], v[178:179], v[182:183]
	v_mul_f64 v[182:183], v[180:181], v[178:179]
	v_fma_f64 v[176:177], -v[176:177], v[182:183], v[180:181]
	v_div_fmas_f64 v[176:177], v[176:177], v[178:179], v[182:183]
	v_div_fixup_f64 v[174:175], v[176:177], v[174:175], 1.0
	ds_write_b64 v216, v[174:175]
.LBB71_74:
	s_or_b64 exec, exec, s[2:3]
	s_waitcnt lgkmcnt(0)
	s_barrier
	ds_read_b64 v[174:175], v216
	v_cmp_lt_u32_e32 vcc, 14, v218
	s_and_saveexec_b64 s[2:3], vcc
	s_cbranch_execz .LBB71_76
; %bb.75:
	ds_read2_b64 v[176:179], v217 offset0:15 offset1:16
	ds_read2_b64 v[180:183], v217 offset0:17 offset1:18
	s_waitcnt vmcnt(21) lgkmcnt(2)
	v_mul_f64 v[130:131], v[174:175], v[130:131]
	ds_read2_b64 v[184:187], v217 offset0:19 offset1:20
	s_waitcnt vmcnt(20) lgkmcnt(2)
	v_fma_f64 v[94:95], -v[130:131], v[176:177], v[94:95]
	s_waitcnt vmcnt(19)
	v_fma_f64 v[128:129], -v[130:131], v[178:179], v[128:129]
	ds_read2_b64 v[176:179], v217 offset0:21 offset1:22
	s_waitcnt vmcnt(18) lgkmcnt(2)
	v_fma_f64 v[92:93], -v[130:131], v[180:181], v[92:93]
	s_waitcnt vmcnt(17)
	v_fma_f64 v[126:127], -v[130:131], v[182:183], v[126:127]
	;; [unrolled: 5-line block ×4, first 2 shown]
	s_waitcnt vmcnt(12) lgkmcnt(1)
	v_fma_f64 v[86:87], -v[130:131], v[180:181], v[86:87]
	ds_read2_b64 v[176:179], v217 offset0:27 offset1:28
	s_waitcnt vmcnt(11)
	v_fma_f64 v[120:121], -v[130:131], v[182:183], v[120:121]
	ds_read2_b64 v[180:183], v217 offset0:29 offset1:30
	s_waitcnt vmcnt(10) lgkmcnt(2)
	v_fma_f64 v[84:85], -v[130:131], v[184:185], v[84:85]
	s_waitcnt vmcnt(9)
	v_fma_f64 v[118:119], -v[130:131], v[186:187], v[118:119]
	s_waitcnt vmcnt(8) lgkmcnt(1)
	v_fma_f64 v[82:83], -v[130:131], v[176:177], v[82:83]
	s_waitcnt vmcnt(7)
	v_fma_f64 v[116:117], -v[130:131], v[178:179], v[116:117]
	ds_read2_b64 v[176:179], v217 offset0:31 offset1:32
	ds_read2_b64 v[184:187], v217 offset0:33 offset1:34
	s_waitcnt vmcnt(6) lgkmcnt(2)
	v_fma_f64 v[80:81], -v[130:131], v[180:181], v[80:81]
	ds_read_b64 v[180:181], v217 offset:280
	s_waitcnt vmcnt(5)
	v_fma_f64 v[114:115], -v[130:131], v[182:183], v[114:115]
	s_waitcnt vmcnt(4) lgkmcnt(2)
	v_fma_f64 v[78:79], -v[130:131], v[176:177], v[78:79]
	s_waitcnt vmcnt(3)
	v_fma_f64 v[112:113], -v[130:131], v[178:179], v[112:113]
	s_waitcnt vmcnt(2) lgkmcnt(1)
	v_fma_f64 v[76:77], -v[130:131], v[184:185], v[76:77]
	;; [unrolled: 4-line block ×3, first 2 shown]
.LBB71_76:
	s_or_b64 exec, exec, s[2:3]
	v_cmp_eq_u32_e32 vcc, 15, v218
	s_waitcnt lgkmcnt(0)
	s_barrier
	s_and_saveexec_b64 s[2:3], vcc
	s_cbranch_execz .LBB71_79
; %bb.77:
	s_waitcnt vmcnt(19)
	v_mov_b32_e32 v176, v128
	v_mov_b32_e32 v177, v129
	s_waitcnt vmcnt(18)
	v_mov_b32_e32 v178, v92
	v_mov_b32_e32 v179, v93
	ds_write_b64 v216, v[94:95]
	ds_write2_b64 v217, v[176:177], v[178:179] offset0:16 offset1:17
	s_waitcnt vmcnt(17)
	v_mov_b32_e32 v176, v126
	v_mov_b32_e32 v177, v127
	s_waitcnt vmcnt(16)
	v_mov_b32_e32 v178, v90
	v_mov_b32_e32 v179, v91
	ds_write2_b64 v217, v[176:177], v[178:179] offset0:18 offset1:19
	s_waitcnt vmcnt(15)
	v_mov_b32_e32 v176, v124
	v_mov_b32_e32 v177, v125
	s_waitcnt vmcnt(14)
	v_mov_b32_e32 v178, v88
	v_mov_b32_e32 v179, v89
	;; [unrolled: 7-line block ×8, first 2 shown]
	ds_write2_b64 v217, v[176:177], v[178:179] offset0:32 offset1:33
	s_waitcnt vmcnt(1)
	v_mov_b32_e32 v176, v110
	v_mov_b32_e32 v177, v111
	s_waitcnt vmcnt(0)
	ds_write2_b64 v217, v[176:177], v[144:145] offset0:34 offset1:35
	ds_read_b64 v[176:177], v216
	s_waitcnt lgkmcnt(0)
	v_cmp_neq_f64_e32 vcc, 0, v[176:177]
	s_and_b64 exec, exec, vcc
	s_cbranch_execz .LBB71_79
; %bb.78:
	v_div_scale_f64 v[178:179], s[6:7], v[176:177], v[176:177], 1.0
	v_rcp_f64_e32 v[180:181], v[178:179]
	v_div_scale_f64 v[182:183], vcc, 1.0, v[176:177], 1.0
	v_fma_f64 v[184:185], -v[178:179], v[180:181], 1.0
	v_fmac_f64_e32 v[180:181], v[180:181], v[184:185]
	v_fma_f64 v[184:185], -v[178:179], v[180:181], 1.0
	v_fmac_f64_e32 v[180:181], v[180:181], v[184:185]
	v_mul_f64 v[184:185], v[182:183], v[180:181]
	v_fma_f64 v[178:179], -v[178:179], v[184:185], v[182:183]
	v_div_fmas_f64 v[178:179], v[178:179], v[180:181], v[184:185]
	v_div_fixup_f64 v[176:177], v[178:179], v[176:177], 1.0
	ds_write_b64 v216, v[176:177]
.LBB71_79:
	s_or_b64 exec, exec, s[2:3]
	s_waitcnt lgkmcnt(0)
	s_barrier
	ds_read_b64 v[176:177], v216
	v_cmp_lt_u32_e32 vcc, 15, v218
	s_and_saveexec_b64 s[2:3], vcc
	s_cbranch_execz .LBB71_81
; %bb.80:
	ds_read2_b64 v[178:181], v217 offset0:16 offset1:17
	ds_read2_b64 v[182:185], v217 offset0:18 offset1:19
	s_waitcnt vmcnt(20) lgkmcnt(2)
	v_mul_f64 v[94:95], v[176:177], v[94:95]
	ds_read2_b64 v[186:189], v217 offset0:20 offset1:21
	s_waitcnt vmcnt(19) lgkmcnt(2)
	v_fma_f64 v[128:129], -v[94:95], v[178:179], v[128:129]
	s_waitcnt vmcnt(18)
	v_fma_f64 v[92:93], -v[94:95], v[180:181], v[92:93]
	ds_read2_b64 v[178:181], v217 offset0:22 offset1:23
	s_waitcnt vmcnt(17) lgkmcnt(2)
	v_fma_f64 v[126:127], -v[94:95], v[182:183], v[126:127]
	s_waitcnt vmcnt(16)
	v_fma_f64 v[90:91], -v[94:95], v[184:185], v[90:91]
	s_waitcnt vmcnt(15) lgkmcnt(1)
	v_fma_f64 v[124:125], -v[94:95], v[186:187], v[124:125]
	ds_read2_b64 v[182:185], v217 offset0:24 offset1:25
	s_waitcnt vmcnt(14)
	v_fma_f64 v[88:89], -v[94:95], v[188:189], v[88:89]
	ds_read2_b64 v[186:189], v217 offset0:26 offset1:27
	s_waitcnt vmcnt(13) lgkmcnt(2)
	v_fma_f64 v[122:123], -v[94:95], v[178:179], v[122:123]
	s_waitcnt vmcnt(12)
	v_fma_f64 v[86:87], -v[94:95], v[180:181], v[86:87]
	ds_read2_b64 v[178:181], v217 offset0:28 offset1:29
	s_waitcnt vmcnt(11) lgkmcnt(2)
	v_fma_f64 v[120:121], -v[94:95], v[182:183], v[120:121]
	s_waitcnt vmcnt(10)
	v_fma_f64 v[84:85], -v[94:95], v[184:185], v[84:85]
	ds_read2_b64 v[182:185], v217 offset0:30 offset1:31
	s_waitcnt vmcnt(9) lgkmcnt(2)
	v_fma_f64 v[118:119], -v[94:95], v[186:187], v[118:119]
	s_waitcnt vmcnt(8)
	v_fma_f64 v[82:83], -v[94:95], v[188:189], v[82:83]
	s_waitcnt vmcnt(7) lgkmcnt(1)
	v_fma_f64 v[116:117], -v[94:95], v[178:179], v[116:117]
	ds_read2_b64 v[186:189], v217 offset0:32 offset1:33
	s_waitcnt vmcnt(6)
	v_fma_f64 v[80:81], -v[94:95], v[180:181], v[80:81]
	ds_read2_b64 v[178:181], v217 offset0:34 offset1:35
	s_waitcnt vmcnt(5) lgkmcnt(2)
	v_fma_f64 v[114:115], -v[94:95], v[182:183], v[114:115]
	s_waitcnt vmcnt(4)
	v_fma_f64 v[78:79], -v[94:95], v[184:185], v[78:79]
	s_waitcnt vmcnt(3) lgkmcnt(1)
	v_fma_f64 v[112:113], -v[94:95], v[186:187], v[112:113]
	s_waitcnt vmcnt(2)
	v_fma_f64 v[76:77], -v[94:95], v[188:189], v[76:77]
	;; [unrolled: 4-line block ×3, first 2 shown]
.LBB71_81:
	s_or_b64 exec, exec, s[2:3]
	v_cmp_eq_u32_e32 vcc, 16, v218
	s_waitcnt lgkmcnt(0)
	s_barrier
	s_and_saveexec_b64 s[2:3], vcc
	s_cbranch_execz .LBB71_84
; %bb.82:
	s_waitcnt vmcnt(19)
	ds_write_b64 v216, v[128:129]
	s_waitcnt vmcnt(17)
	ds_write2_b64 v217, v[92:93], v[126:127] offset0:17 offset1:18
	s_waitcnt vmcnt(15)
	ds_write2_b64 v217, v[90:91], v[124:125] offset0:19 offset1:20
	;; [unrolled: 2-line block ×9, first 2 shown]
	s_waitcnt vmcnt(0)
	ds_write_b64 v217, v[144:145] offset:280
	ds_read_b64 v[178:179], v216
	s_waitcnt lgkmcnt(0)
	v_cmp_neq_f64_e32 vcc, 0, v[178:179]
	s_and_b64 exec, exec, vcc
	s_cbranch_execz .LBB71_84
; %bb.83:
	v_div_scale_f64 v[180:181], s[6:7], v[178:179], v[178:179], 1.0
	v_rcp_f64_e32 v[182:183], v[180:181]
	v_div_scale_f64 v[184:185], vcc, 1.0, v[178:179], 1.0
	v_fma_f64 v[186:187], -v[180:181], v[182:183], 1.0
	v_fmac_f64_e32 v[182:183], v[182:183], v[186:187]
	v_fma_f64 v[186:187], -v[180:181], v[182:183], 1.0
	v_fmac_f64_e32 v[182:183], v[182:183], v[186:187]
	v_mul_f64 v[186:187], v[184:185], v[182:183]
	v_fma_f64 v[180:181], -v[180:181], v[186:187], v[184:185]
	v_div_fmas_f64 v[180:181], v[180:181], v[182:183], v[186:187]
	v_div_fixup_f64 v[178:179], v[180:181], v[178:179], 1.0
	ds_write_b64 v216, v[178:179]
.LBB71_84:
	s_or_b64 exec, exec, s[2:3]
	s_waitcnt lgkmcnt(0)
	s_barrier
	ds_read_b64 v[178:179], v216
	v_cmp_lt_u32_e32 vcc, 16, v218
	s_and_saveexec_b64 s[2:3], vcc
	s_cbranch_execz .LBB71_86
; %bb.85:
	ds_read2_b64 v[180:183], v217 offset0:17 offset1:18
	ds_read2_b64 v[184:187], v217 offset0:19 offset1:20
	s_waitcnt vmcnt(19) lgkmcnt(2)
	v_mul_f64 v[128:129], v[178:179], v[128:129]
	ds_read2_b64 v[188:191], v217 offset0:21 offset1:22
	s_waitcnt vmcnt(18) lgkmcnt(2)
	v_fma_f64 v[92:93], -v[128:129], v[180:181], v[92:93]
	s_waitcnt vmcnt(17)
	v_fma_f64 v[126:127], -v[128:129], v[182:183], v[126:127]
	ds_read2_b64 v[180:183], v217 offset0:23 offset1:24
	s_waitcnt vmcnt(16) lgkmcnt(2)
	v_fma_f64 v[90:91], -v[128:129], v[184:185], v[90:91]
	s_waitcnt vmcnt(15)
	v_fma_f64 v[124:125], -v[128:129], v[186:187], v[124:125]
	s_waitcnt vmcnt(14) lgkmcnt(1)
	v_fma_f64 v[88:89], -v[128:129], v[188:189], v[88:89]
	ds_read2_b64 v[184:187], v217 offset0:25 offset1:26
	s_waitcnt vmcnt(13)
	v_fma_f64 v[122:123], -v[128:129], v[190:191], v[122:123]
	ds_read2_b64 v[188:191], v217 offset0:27 offset1:28
	s_waitcnt vmcnt(12) lgkmcnt(2)
	v_fma_f64 v[86:87], -v[128:129], v[180:181], v[86:87]
	s_waitcnt vmcnt(11)
	v_fma_f64 v[120:121], -v[128:129], v[182:183], v[120:121]
	ds_read2_b64 v[180:183], v217 offset0:29 offset1:30
	s_waitcnt vmcnt(10) lgkmcnt(2)
	v_fma_f64 v[84:85], -v[128:129], v[184:185], v[84:85]
	s_waitcnt vmcnt(9)
	v_fma_f64 v[118:119], -v[128:129], v[186:187], v[118:119]
	ds_read2_b64 v[184:187], v217 offset0:31 offset1:32
	s_waitcnt vmcnt(8) lgkmcnt(2)
	v_fma_f64 v[82:83], -v[128:129], v[188:189], v[82:83]
	s_waitcnt vmcnt(7)
	v_fma_f64 v[116:117], -v[128:129], v[190:191], v[116:117]
	s_waitcnt vmcnt(6) lgkmcnt(1)
	v_fma_f64 v[80:81], -v[128:129], v[180:181], v[80:81]
	ds_read2_b64 v[188:191], v217 offset0:33 offset1:34
	ds_read_b64 v[180:181], v217 offset:280
	s_waitcnt vmcnt(5)
	v_fma_f64 v[114:115], -v[128:129], v[182:183], v[114:115]
	s_waitcnt vmcnt(4) lgkmcnt(2)
	v_fma_f64 v[78:79], -v[128:129], v[184:185], v[78:79]
	s_waitcnt vmcnt(3)
	v_fma_f64 v[112:113], -v[128:129], v[186:187], v[112:113]
	s_waitcnt vmcnt(2) lgkmcnt(1)
	v_fma_f64 v[76:77], -v[128:129], v[188:189], v[76:77]
	;; [unrolled: 4-line block ×3, first 2 shown]
.LBB71_86:
	s_or_b64 exec, exec, s[2:3]
	v_cmp_eq_u32_e32 vcc, 17, v218
	s_waitcnt lgkmcnt(0)
	s_barrier
	s_and_saveexec_b64 s[2:3], vcc
	s_cbranch_execz .LBB71_89
; %bb.87:
	s_waitcnt vmcnt(17)
	v_mov_b32_e32 v180, v126
	v_mov_b32_e32 v181, v127
	s_waitcnt vmcnt(16)
	v_mov_b32_e32 v182, v90
	v_mov_b32_e32 v183, v91
	ds_write_b64 v216, v[92:93]
	ds_write2_b64 v217, v[180:181], v[182:183] offset0:18 offset1:19
	s_waitcnt vmcnt(15)
	v_mov_b32_e32 v180, v124
	v_mov_b32_e32 v181, v125
	s_waitcnt vmcnt(14)
	v_mov_b32_e32 v182, v88
	v_mov_b32_e32 v183, v89
	ds_write2_b64 v217, v[180:181], v[182:183] offset0:20 offset1:21
	s_waitcnt vmcnt(13)
	v_mov_b32_e32 v180, v122
	v_mov_b32_e32 v181, v123
	s_waitcnt vmcnt(12)
	v_mov_b32_e32 v182, v86
	v_mov_b32_e32 v183, v87
	;; [unrolled: 7-line block ×7, first 2 shown]
	ds_write2_b64 v217, v[180:181], v[182:183] offset0:32 offset1:33
	s_waitcnt vmcnt(1)
	v_mov_b32_e32 v180, v110
	v_mov_b32_e32 v181, v111
	s_waitcnt vmcnt(0)
	ds_write2_b64 v217, v[180:181], v[144:145] offset0:34 offset1:35
	ds_read_b64 v[180:181], v216
	s_waitcnt lgkmcnt(0)
	v_cmp_neq_f64_e32 vcc, 0, v[180:181]
	s_and_b64 exec, exec, vcc
	s_cbranch_execz .LBB71_89
; %bb.88:
	v_div_scale_f64 v[182:183], s[6:7], v[180:181], v[180:181], 1.0
	v_rcp_f64_e32 v[184:185], v[182:183]
	v_div_scale_f64 v[186:187], vcc, 1.0, v[180:181], 1.0
	v_fma_f64 v[188:189], -v[182:183], v[184:185], 1.0
	v_fmac_f64_e32 v[184:185], v[184:185], v[188:189]
	v_fma_f64 v[188:189], -v[182:183], v[184:185], 1.0
	v_fmac_f64_e32 v[184:185], v[184:185], v[188:189]
	v_mul_f64 v[188:189], v[186:187], v[184:185]
	v_fma_f64 v[182:183], -v[182:183], v[188:189], v[186:187]
	v_div_fmas_f64 v[182:183], v[182:183], v[184:185], v[188:189]
	v_div_fixup_f64 v[180:181], v[182:183], v[180:181], 1.0
	ds_write_b64 v216, v[180:181]
.LBB71_89:
	s_or_b64 exec, exec, s[2:3]
	s_waitcnt lgkmcnt(0)
	s_barrier
	ds_read_b64 v[180:181], v216
	v_cmp_lt_u32_e32 vcc, 17, v218
	s_and_saveexec_b64 s[2:3], vcc
	s_cbranch_execz .LBB71_91
; %bb.90:
	ds_read2_b64 v[182:185], v217 offset0:18 offset1:19
	ds_read2_b64 v[186:189], v217 offset0:20 offset1:21
	;; [unrolled: 1-line block ×3, first 2 shown]
	s_waitcnt vmcnt(18) lgkmcnt(3)
	v_mul_f64 v[92:93], v[180:181], v[92:93]
	s_waitcnt vmcnt(17) lgkmcnt(2)
	v_fma_f64 v[126:127], -v[92:93], v[182:183], v[126:127]
	s_waitcnt vmcnt(16)
	v_fma_f64 v[90:91], -v[92:93], v[184:185], v[90:91]
	ds_read2_b64 v[182:185], v217 offset0:24 offset1:25
	s_waitcnt vmcnt(15) lgkmcnt(2)
	v_fma_f64 v[124:125], -v[92:93], v[186:187], v[124:125]
	s_waitcnt vmcnt(14)
	v_fma_f64 v[88:89], -v[92:93], v[188:189], v[88:89]
	s_waitcnt vmcnt(13) lgkmcnt(1)
	v_fma_f64 v[122:123], -v[92:93], v[190:191], v[122:123]
	ds_read2_b64 v[186:189], v217 offset0:26 offset1:27
	s_waitcnt vmcnt(12)
	v_fma_f64 v[86:87], -v[92:93], v[192:193], v[86:87]
	ds_read2_b64 v[190:193], v217 offset0:28 offset1:29
	s_waitcnt vmcnt(11) lgkmcnt(2)
	v_fma_f64 v[120:121], -v[92:93], v[182:183], v[120:121]
	s_waitcnt vmcnt(10)
	v_fma_f64 v[84:85], -v[92:93], v[184:185], v[84:85]
	s_waitcnt vmcnt(9) lgkmcnt(1)
	v_fma_f64 v[118:119], -v[92:93], v[186:187], v[118:119]
	s_waitcnt vmcnt(8)
	v_fma_f64 v[82:83], -v[92:93], v[188:189], v[82:83]
	ds_read2_b64 v[182:185], v217 offset0:30 offset1:31
	ds_read2_b64 v[186:189], v217 offset0:32 offset1:33
	s_waitcnt vmcnt(7) lgkmcnt(2)
	v_fma_f64 v[116:117], -v[92:93], v[190:191], v[116:117]
	s_waitcnt vmcnt(6)
	v_fma_f64 v[80:81], -v[92:93], v[192:193], v[80:81]
	ds_read2_b64 v[190:193], v217 offset0:34 offset1:35
	s_waitcnt vmcnt(5) lgkmcnt(2)
	v_fma_f64 v[114:115], -v[92:93], v[182:183], v[114:115]
	s_waitcnt vmcnt(4)
	v_fma_f64 v[78:79], -v[92:93], v[184:185], v[78:79]
	s_waitcnt vmcnt(3) lgkmcnt(1)
	v_fma_f64 v[112:113], -v[92:93], v[186:187], v[112:113]
	s_waitcnt vmcnt(2)
	v_fma_f64 v[76:77], -v[92:93], v[188:189], v[76:77]
	;; [unrolled: 4-line block ×3, first 2 shown]
.LBB71_91:
	s_or_b64 exec, exec, s[2:3]
	v_cmp_eq_u32_e32 vcc, 18, v218
	s_waitcnt lgkmcnt(0)
	s_barrier
	s_and_saveexec_b64 s[2:3], vcc
	s_cbranch_execz .LBB71_94
; %bb.92:
	s_waitcnt vmcnt(17)
	ds_write_b64 v216, v[126:127]
	s_waitcnt vmcnt(15)
	ds_write2_b64 v217, v[90:91], v[124:125] offset0:19 offset1:20
	s_waitcnt vmcnt(13)
	ds_write2_b64 v217, v[88:89], v[122:123] offset0:21 offset1:22
	;; [unrolled: 2-line block ×8, first 2 shown]
	s_waitcnt vmcnt(0)
	ds_write_b64 v217, v[144:145] offset:280
	ds_read_b64 v[182:183], v216
	s_waitcnt lgkmcnt(0)
	v_cmp_neq_f64_e32 vcc, 0, v[182:183]
	s_and_b64 exec, exec, vcc
	s_cbranch_execz .LBB71_94
; %bb.93:
	v_div_scale_f64 v[184:185], s[6:7], v[182:183], v[182:183], 1.0
	v_rcp_f64_e32 v[186:187], v[184:185]
	v_div_scale_f64 v[188:189], vcc, 1.0, v[182:183], 1.0
	v_fma_f64 v[190:191], -v[184:185], v[186:187], 1.0
	v_fmac_f64_e32 v[186:187], v[186:187], v[190:191]
	v_fma_f64 v[190:191], -v[184:185], v[186:187], 1.0
	v_fmac_f64_e32 v[186:187], v[186:187], v[190:191]
	v_mul_f64 v[190:191], v[188:189], v[186:187]
	v_fma_f64 v[184:185], -v[184:185], v[190:191], v[188:189]
	v_div_fmas_f64 v[184:185], v[184:185], v[186:187], v[190:191]
	v_div_fixup_f64 v[182:183], v[184:185], v[182:183], 1.0
	ds_write_b64 v216, v[182:183]
.LBB71_94:
	s_or_b64 exec, exec, s[2:3]
	s_waitcnt lgkmcnt(0)
	s_barrier
	ds_read_b64 v[182:183], v216
	v_cmp_lt_u32_e32 vcc, 18, v218
	s_and_saveexec_b64 s[2:3], vcc
	s_cbranch_execz .LBB71_96
; %bb.95:
	ds_read2_b64 v[184:187], v217 offset0:19 offset1:20
	ds_read2_b64 v[188:191], v217 offset0:21 offset1:22
	;; [unrolled: 1-line block ×3, first 2 shown]
	s_waitcnt vmcnt(17) lgkmcnt(3)
	v_mul_f64 v[126:127], v[182:183], v[126:127]
	s_waitcnt vmcnt(16) lgkmcnt(2)
	v_fma_f64 v[90:91], -v[126:127], v[184:185], v[90:91]
	s_waitcnt vmcnt(15)
	v_fma_f64 v[124:125], -v[126:127], v[186:187], v[124:125]
	ds_read2_b64 v[184:187], v217 offset0:25 offset1:26
	s_waitcnt vmcnt(14) lgkmcnt(2)
	v_fma_f64 v[88:89], -v[126:127], v[188:189], v[88:89]
	s_waitcnt vmcnt(13)
	v_fma_f64 v[122:123], -v[126:127], v[190:191], v[122:123]
	s_waitcnt vmcnt(12) lgkmcnt(1)
	v_fma_f64 v[86:87], -v[126:127], v[192:193], v[86:87]
	ds_read2_b64 v[188:191], v217 offset0:27 offset1:28
	s_waitcnt vmcnt(11)
	v_fma_f64 v[120:121], -v[126:127], v[194:195], v[120:121]
	ds_read2_b64 v[192:195], v217 offset0:29 offset1:30
	s_waitcnt vmcnt(10) lgkmcnt(2)
	v_fma_f64 v[84:85], -v[126:127], v[184:185], v[84:85]
	s_waitcnt vmcnt(9)
	v_fma_f64 v[118:119], -v[126:127], v[186:187], v[118:119]
	s_waitcnt vmcnt(8) lgkmcnt(1)
	v_fma_f64 v[82:83], -v[126:127], v[188:189], v[82:83]
	s_waitcnt vmcnt(7)
	v_fma_f64 v[116:117], -v[126:127], v[190:191], v[116:117]
	ds_read2_b64 v[184:187], v217 offset0:31 offset1:32
	ds_read2_b64 v[188:191], v217 offset0:33 offset1:34
	s_waitcnt vmcnt(6) lgkmcnt(2)
	v_fma_f64 v[80:81], -v[126:127], v[192:193], v[80:81]
	ds_read_b64 v[192:193], v217 offset:280
	s_waitcnt vmcnt(5)
	v_fma_f64 v[114:115], -v[126:127], v[194:195], v[114:115]
	s_waitcnt vmcnt(4) lgkmcnt(2)
	v_fma_f64 v[78:79], -v[126:127], v[184:185], v[78:79]
	s_waitcnt vmcnt(3)
	v_fma_f64 v[112:113], -v[126:127], v[186:187], v[112:113]
	s_waitcnt vmcnt(2) lgkmcnt(1)
	v_fma_f64 v[76:77], -v[126:127], v[188:189], v[76:77]
	;; [unrolled: 4-line block ×3, first 2 shown]
.LBB71_96:
	s_or_b64 exec, exec, s[2:3]
	v_cmp_eq_u32_e32 vcc, 19, v218
	s_waitcnt lgkmcnt(0)
	s_barrier
	s_and_saveexec_b64 s[2:3], vcc
	s_cbranch_execz .LBB71_99
; %bb.97:
	s_waitcnt vmcnt(15)
	v_mov_b32_e32 v184, v124
	v_mov_b32_e32 v185, v125
	s_waitcnt vmcnt(14)
	v_mov_b32_e32 v186, v88
	v_mov_b32_e32 v187, v89
	ds_write_b64 v216, v[90:91]
	ds_write2_b64 v217, v[184:185], v[186:187] offset0:20 offset1:21
	s_waitcnt vmcnt(13)
	v_mov_b32_e32 v184, v122
	v_mov_b32_e32 v185, v123
	s_waitcnt vmcnt(12)
	v_mov_b32_e32 v186, v86
	v_mov_b32_e32 v187, v87
	ds_write2_b64 v217, v[184:185], v[186:187] offset0:22 offset1:23
	s_waitcnt vmcnt(11)
	v_mov_b32_e32 v184, v120
	v_mov_b32_e32 v185, v121
	s_waitcnt vmcnt(10)
	v_mov_b32_e32 v186, v84
	v_mov_b32_e32 v187, v85
	;; [unrolled: 7-line block ×6, first 2 shown]
	ds_write2_b64 v217, v[184:185], v[186:187] offset0:32 offset1:33
	s_waitcnt vmcnt(1)
	v_mov_b32_e32 v184, v110
	v_mov_b32_e32 v185, v111
	s_waitcnt vmcnt(0)
	ds_write2_b64 v217, v[184:185], v[144:145] offset0:34 offset1:35
	ds_read_b64 v[184:185], v216
	s_waitcnt lgkmcnt(0)
	v_cmp_neq_f64_e32 vcc, 0, v[184:185]
	s_and_b64 exec, exec, vcc
	s_cbranch_execz .LBB71_99
; %bb.98:
	v_div_scale_f64 v[186:187], s[6:7], v[184:185], v[184:185], 1.0
	v_rcp_f64_e32 v[188:189], v[186:187]
	v_div_scale_f64 v[190:191], vcc, 1.0, v[184:185], 1.0
	v_fma_f64 v[192:193], -v[186:187], v[188:189], 1.0
	v_fmac_f64_e32 v[188:189], v[188:189], v[192:193]
	v_fma_f64 v[192:193], -v[186:187], v[188:189], 1.0
	v_fmac_f64_e32 v[188:189], v[188:189], v[192:193]
	v_mul_f64 v[192:193], v[190:191], v[188:189]
	v_fma_f64 v[186:187], -v[186:187], v[192:193], v[190:191]
	v_div_fmas_f64 v[186:187], v[186:187], v[188:189], v[192:193]
	v_div_fixup_f64 v[184:185], v[186:187], v[184:185], 1.0
	ds_write_b64 v216, v[184:185]
.LBB71_99:
	s_or_b64 exec, exec, s[2:3]
	s_waitcnt lgkmcnt(0)
	s_barrier
	ds_read_b64 v[184:185], v216
	v_cmp_lt_u32_e32 vcc, 19, v218
	s_and_saveexec_b64 s[2:3], vcc
	s_cbranch_execz .LBB71_101
; %bb.100:
	ds_read2_b64 v[186:189], v217 offset0:20 offset1:21
	ds_read2_b64 v[190:193], v217 offset0:22 offset1:23
	s_waitcnt vmcnt(16) lgkmcnt(2)
	v_mul_f64 v[90:91], v[184:185], v[90:91]
	ds_read2_b64 v[194:197], v217 offset0:24 offset1:25
	s_waitcnt vmcnt(15) lgkmcnt(2)
	v_fma_f64 v[124:125], -v[90:91], v[186:187], v[124:125]
	s_waitcnt vmcnt(14)
	v_fma_f64 v[88:89], -v[90:91], v[188:189], v[88:89]
	ds_read2_b64 v[186:189], v217 offset0:26 offset1:27
	s_waitcnt vmcnt(13) lgkmcnt(2)
	v_fma_f64 v[122:123], -v[90:91], v[190:191], v[122:123]
	s_waitcnt vmcnt(12)
	v_fma_f64 v[86:87], -v[90:91], v[192:193], v[86:87]
	;; [unrolled: 5-line block ×3, first 2 shown]
	s_waitcnt vmcnt(9) lgkmcnt(1)
	v_fma_f64 v[118:119], -v[90:91], v[186:187], v[118:119]
	s_waitcnt vmcnt(8)
	v_fma_f64 v[82:83], -v[90:91], v[188:189], v[82:83]
	ds_read2_b64 v[186:189], v217 offset0:30 offset1:31
	s_waitcnt vmcnt(7) lgkmcnt(1)
	v_fma_f64 v[116:117], -v[90:91], v[190:191], v[116:117]
	ds_read2_b64 v[194:197], v217 offset0:32 offset1:33
	s_waitcnt vmcnt(6)
	v_fma_f64 v[80:81], -v[90:91], v[192:193], v[80:81]
	ds_read2_b64 v[190:193], v217 offset0:34 offset1:35
	s_waitcnt vmcnt(5) lgkmcnt(2)
	v_fma_f64 v[114:115], -v[90:91], v[186:187], v[114:115]
	s_waitcnt vmcnt(4)
	v_fma_f64 v[78:79], -v[90:91], v[188:189], v[78:79]
	s_waitcnt vmcnt(3) lgkmcnt(1)
	v_fma_f64 v[112:113], -v[90:91], v[194:195], v[112:113]
	s_waitcnt vmcnt(2)
	v_fma_f64 v[76:77], -v[90:91], v[196:197], v[76:77]
	;; [unrolled: 4-line block ×3, first 2 shown]
.LBB71_101:
	s_or_b64 exec, exec, s[2:3]
	v_cmp_eq_u32_e32 vcc, 20, v218
	s_waitcnt lgkmcnt(0)
	s_barrier
	s_and_saveexec_b64 s[2:3], vcc
	s_cbranch_execz .LBB71_104
; %bb.102:
	s_waitcnt vmcnt(15)
	ds_write_b64 v216, v[124:125]
	s_waitcnt vmcnt(13)
	ds_write2_b64 v217, v[88:89], v[122:123] offset0:21 offset1:22
	s_waitcnt vmcnt(11)
	ds_write2_b64 v217, v[86:87], v[120:121] offset0:23 offset1:24
	;; [unrolled: 2-line block ×7, first 2 shown]
	s_waitcnt vmcnt(0)
	ds_write_b64 v217, v[144:145] offset:280
	ds_read_b64 v[186:187], v216
	s_waitcnt lgkmcnt(0)
	v_cmp_neq_f64_e32 vcc, 0, v[186:187]
	s_and_b64 exec, exec, vcc
	s_cbranch_execz .LBB71_104
; %bb.103:
	v_div_scale_f64 v[188:189], s[6:7], v[186:187], v[186:187], 1.0
	v_rcp_f64_e32 v[190:191], v[188:189]
	v_div_scale_f64 v[192:193], vcc, 1.0, v[186:187], 1.0
	v_fma_f64 v[194:195], -v[188:189], v[190:191], 1.0
	v_fmac_f64_e32 v[190:191], v[190:191], v[194:195]
	v_fma_f64 v[194:195], -v[188:189], v[190:191], 1.0
	v_fmac_f64_e32 v[190:191], v[190:191], v[194:195]
	v_mul_f64 v[194:195], v[192:193], v[190:191]
	v_fma_f64 v[188:189], -v[188:189], v[194:195], v[192:193]
	v_div_fmas_f64 v[188:189], v[188:189], v[190:191], v[194:195]
	v_div_fixup_f64 v[186:187], v[188:189], v[186:187], 1.0
	ds_write_b64 v216, v[186:187]
.LBB71_104:
	s_or_b64 exec, exec, s[2:3]
	s_waitcnt lgkmcnt(0)
	s_barrier
	ds_read_b64 v[186:187], v216
	v_cmp_lt_u32_e32 vcc, 20, v218
	s_and_saveexec_b64 s[2:3], vcc
	s_cbranch_execz .LBB71_106
; %bb.105:
	ds_read2_b64 v[188:191], v217 offset0:21 offset1:22
	ds_read2_b64 v[192:195], v217 offset0:23 offset1:24
	s_waitcnt vmcnt(15) lgkmcnt(2)
	v_mul_f64 v[124:125], v[186:187], v[124:125]
	ds_read2_b64 v[196:199], v217 offset0:25 offset1:26
	s_waitcnt vmcnt(14) lgkmcnt(2)
	v_fma_f64 v[88:89], -v[124:125], v[188:189], v[88:89]
	s_waitcnt vmcnt(13)
	v_fma_f64 v[122:123], -v[124:125], v[190:191], v[122:123]
	ds_read2_b64 v[188:191], v217 offset0:27 offset1:28
	s_waitcnt vmcnt(12) lgkmcnt(2)
	v_fma_f64 v[86:87], -v[124:125], v[192:193], v[86:87]
	s_waitcnt vmcnt(11)
	v_fma_f64 v[120:121], -v[124:125], v[194:195], v[120:121]
	;; [unrolled: 5-line block ×3, first 2 shown]
	s_waitcnt vmcnt(8) lgkmcnt(1)
	v_fma_f64 v[82:83], -v[124:125], v[188:189], v[82:83]
	s_waitcnt vmcnt(7)
	v_fma_f64 v[116:117], -v[124:125], v[190:191], v[116:117]
	ds_read2_b64 v[188:191], v217 offset0:31 offset1:32
	s_waitcnt vmcnt(6) lgkmcnt(1)
	v_fma_f64 v[80:81], -v[124:125], v[192:193], v[80:81]
	ds_read2_b64 v[196:199], v217 offset0:33 offset1:34
	ds_read_b64 v[192:193], v217 offset:280
	s_waitcnt vmcnt(5)
	v_fma_f64 v[114:115], -v[124:125], v[194:195], v[114:115]
	s_waitcnt vmcnt(4) lgkmcnt(2)
	v_fma_f64 v[78:79], -v[124:125], v[188:189], v[78:79]
	s_waitcnt vmcnt(3)
	v_fma_f64 v[112:113], -v[124:125], v[190:191], v[112:113]
	s_waitcnt vmcnt(2) lgkmcnt(1)
	v_fma_f64 v[76:77], -v[124:125], v[196:197], v[76:77]
	;; [unrolled: 4-line block ×3, first 2 shown]
.LBB71_106:
	s_or_b64 exec, exec, s[2:3]
	v_cmp_eq_u32_e32 vcc, 21, v218
	s_waitcnt lgkmcnt(0)
	s_barrier
	s_and_saveexec_b64 s[2:3], vcc
	s_cbranch_execz .LBB71_109
; %bb.107:
	s_waitcnt vmcnt(13)
	v_mov_b32_e32 v188, v122
	v_mov_b32_e32 v189, v123
	s_waitcnt vmcnt(12)
	v_mov_b32_e32 v190, v86
	v_mov_b32_e32 v191, v87
	ds_write_b64 v216, v[88:89]
	ds_write2_b64 v217, v[188:189], v[190:191] offset0:22 offset1:23
	s_waitcnt vmcnt(11)
	v_mov_b32_e32 v188, v120
	v_mov_b32_e32 v189, v121
	s_waitcnt vmcnt(10)
	v_mov_b32_e32 v190, v84
	v_mov_b32_e32 v191, v85
	ds_write2_b64 v217, v[188:189], v[190:191] offset0:24 offset1:25
	s_waitcnt vmcnt(9)
	v_mov_b32_e32 v188, v118
	v_mov_b32_e32 v189, v119
	s_waitcnt vmcnt(8)
	v_mov_b32_e32 v190, v82
	v_mov_b32_e32 v191, v83
	;; [unrolled: 7-line block ×5, first 2 shown]
	ds_write2_b64 v217, v[188:189], v[190:191] offset0:32 offset1:33
	s_waitcnt vmcnt(1)
	v_mov_b32_e32 v188, v110
	v_mov_b32_e32 v189, v111
	s_waitcnt vmcnt(0)
	ds_write2_b64 v217, v[188:189], v[144:145] offset0:34 offset1:35
	ds_read_b64 v[188:189], v216
	s_waitcnt lgkmcnt(0)
	v_cmp_neq_f64_e32 vcc, 0, v[188:189]
	s_and_b64 exec, exec, vcc
	s_cbranch_execz .LBB71_109
; %bb.108:
	v_div_scale_f64 v[190:191], s[6:7], v[188:189], v[188:189], 1.0
	v_rcp_f64_e32 v[192:193], v[190:191]
	v_div_scale_f64 v[194:195], vcc, 1.0, v[188:189], 1.0
	v_fma_f64 v[196:197], -v[190:191], v[192:193], 1.0
	v_fmac_f64_e32 v[192:193], v[192:193], v[196:197]
	v_fma_f64 v[196:197], -v[190:191], v[192:193], 1.0
	v_fmac_f64_e32 v[192:193], v[192:193], v[196:197]
	v_mul_f64 v[196:197], v[194:195], v[192:193]
	v_fma_f64 v[190:191], -v[190:191], v[196:197], v[194:195]
	v_div_fmas_f64 v[190:191], v[190:191], v[192:193], v[196:197]
	v_div_fixup_f64 v[188:189], v[190:191], v[188:189], 1.0
	ds_write_b64 v216, v[188:189]
.LBB71_109:
	s_or_b64 exec, exec, s[2:3]
	s_waitcnt lgkmcnt(0)
	s_barrier
	ds_read_b64 v[188:189], v216
	v_cmp_lt_u32_e32 vcc, 21, v218
	s_and_saveexec_b64 s[2:3], vcc
	s_cbranch_execz .LBB71_111
; %bb.110:
	ds_read2_b64 v[190:193], v217 offset0:22 offset1:23
	ds_read2_b64 v[194:197], v217 offset0:24 offset1:25
	s_waitcnt vmcnt(14) lgkmcnt(2)
	v_mul_f64 v[88:89], v[188:189], v[88:89]
	ds_read2_b64 v[198:201], v217 offset0:26 offset1:27
	s_waitcnt vmcnt(13) lgkmcnt(2)
	v_fma_f64 v[122:123], -v[88:89], v[190:191], v[122:123]
	s_waitcnt vmcnt(12)
	v_fma_f64 v[86:87], -v[88:89], v[192:193], v[86:87]
	ds_read2_b64 v[190:193], v217 offset0:28 offset1:29
	s_waitcnt vmcnt(11) lgkmcnt(2)
	v_fma_f64 v[120:121], -v[88:89], v[194:195], v[120:121]
	s_waitcnt vmcnt(10)
	v_fma_f64 v[84:85], -v[88:89], v[196:197], v[84:85]
	s_waitcnt vmcnt(9) lgkmcnt(1)
	v_fma_f64 v[118:119], -v[88:89], v[198:199], v[118:119]
	s_waitcnt vmcnt(8)
	v_fma_f64 v[82:83], -v[88:89], v[200:201], v[82:83]
	ds_read2_b64 v[194:197], v217 offset0:30 offset1:31
	ds_read2_b64 v[198:201], v217 offset0:32 offset1:33
	s_waitcnt vmcnt(7) lgkmcnt(2)
	v_fma_f64 v[116:117], -v[88:89], v[190:191], v[116:117]
	s_waitcnt vmcnt(6)
	v_fma_f64 v[80:81], -v[88:89], v[192:193], v[80:81]
	ds_read2_b64 v[190:193], v217 offset0:34 offset1:35
	s_waitcnt vmcnt(5) lgkmcnt(2)
	v_fma_f64 v[114:115], -v[88:89], v[194:195], v[114:115]
	s_waitcnt vmcnt(4)
	v_fma_f64 v[78:79], -v[88:89], v[196:197], v[78:79]
	s_waitcnt vmcnt(3) lgkmcnt(1)
	v_fma_f64 v[112:113], -v[88:89], v[198:199], v[112:113]
	s_waitcnt vmcnt(2)
	v_fma_f64 v[76:77], -v[88:89], v[200:201], v[76:77]
	;; [unrolled: 4-line block ×3, first 2 shown]
.LBB71_111:
	s_or_b64 exec, exec, s[2:3]
	v_cmp_eq_u32_e32 vcc, 22, v218
	s_waitcnt lgkmcnt(0)
	s_barrier
	s_and_saveexec_b64 s[2:3], vcc
	s_cbranch_execz .LBB71_114
; %bb.112:
	s_waitcnt vmcnt(13)
	ds_write_b64 v216, v[122:123]
	s_waitcnt vmcnt(11)
	ds_write2_b64 v217, v[86:87], v[120:121] offset0:23 offset1:24
	s_waitcnt vmcnt(9)
	ds_write2_b64 v217, v[84:85], v[118:119] offset0:25 offset1:26
	;; [unrolled: 2-line block ×6, first 2 shown]
	s_waitcnt vmcnt(0)
	ds_write_b64 v217, v[144:145] offset:280
	ds_read_b64 v[190:191], v216
	s_waitcnt lgkmcnt(0)
	v_cmp_neq_f64_e32 vcc, 0, v[190:191]
	s_and_b64 exec, exec, vcc
	s_cbranch_execz .LBB71_114
; %bb.113:
	v_div_scale_f64 v[192:193], s[6:7], v[190:191], v[190:191], 1.0
	v_rcp_f64_e32 v[194:195], v[192:193]
	v_div_scale_f64 v[196:197], vcc, 1.0, v[190:191], 1.0
	v_fma_f64 v[198:199], -v[192:193], v[194:195], 1.0
	v_fmac_f64_e32 v[194:195], v[194:195], v[198:199]
	v_fma_f64 v[198:199], -v[192:193], v[194:195], 1.0
	v_fmac_f64_e32 v[194:195], v[194:195], v[198:199]
	v_mul_f64 v[198:199], v[196:197], v[194:195]
	v_fma_f64 v[192:193], -v[192:193], v[198:199], v[196:197]
	v_div_fmas_f64 v[192:193], v[192:193], v[194:195], v[198:199]
	v_div_fixup_f64 v[190:191], v[192:193], v[190:191], 1.0
	ds_write_b64 v216, v[190:191]
.LBB71_114:
	s_or_b64 exec, exec, s[2:3]
	s_waitcnt lgkmcnt(0)
	s_barrier
	ds_read_b64 v[190:191], v216
	v_cmp_lt_u32_e32 vcc, 22, v218
	s_and_saveexec_b64 s[2:3], vcc
	s_cbranch_execz .LBB71_116
; %bb.115:
	ds_read2_b64 v[192:195], v217 offset0:23 offset1:24
	ds_read2_b64 v[196:199], v217 offset0:25 offset1:26
	s_waitcnt vmcnt(13) lgkmcnt(2)
	v_mul_f64 v[122:123], v[190:191], v[122:123]
	ds_read2_b64 v[200:203], v217 offset0:27 offset1:28
	s_waitcnt vmcnt(12) lgkmcnt(2)
	v_fma_f64 v[86:87], -v[122:123], v[192:193], v[86:87]
	s_waitcnt vmcnt(11)
	v_fma_f64 v[120:121], -v[122:123], v[194:195], v[120:121]
	ds_read2_b64 v[192:195], v217 offset0:29 offset1:30
	s_waitcnt vmcnt(10) lgkmcnt(2)
	v_fma_f64 v[84:85], -v[122:123], v[196:197], v[84:85]
	s_waitcnt vmcnt(9)
	v_fma_f64 v[118:119], -v[122:123], v[198:199], v[118:119]
	s_waitcnt vmcnt(8) lgkmcnt(1)
	v_fma_f64 v[82:83], -v[122:123], v[200:201], v[82:83]
	s_waitcnt vmcnt(7)
	v_fma_f64 v[116:117], -v[122:123], v[202:203], v[116:117]
	ds_read2_b64 v[196:199], v217 offset0:31 offset1:32
	ds_read2_b64 v[200:203], v217 offset0:33 offset1:34
	s_waitcnt vmcnt(6) lgkmcnt(2)
	v_fma_f64 v[80:81], -v[122:123], v[192:193], v[80:81]
	ds_read_b64 v[192:193], v217 offset:280
	s_waitcnt vmcnt(5)
	v_fma_f64 v[114:115], -v[122:123], v[194:195], v[114:115]
	s_waitcnt vmcnt(4) lgkmcnt(2)
	v_fma_f64 v[78:79], -v[122:123], v[196:197], v[78:79]
	s_waitcnt vmcnt(3)
	v_fma_f64 v[112:113], -v[122:123], v[198:199], v[112:113]
	s_waitcnt vmcnt(2) lgkmcnt(1)
	v_fma_f64 v[76:77], -v[122:123], v[200:201], v[76:77]
	;; [unrolled: 4-line block ×3, first 2 shown]
.LBB71_116:
	s_or_b64 exec, exec, s[2:3]
	v_cmp_eq_u32_e32 vcc, 23, v218
	s_waitcnt lgkmcnt(0)
	s_barrier
	s_and_saveexec_b64 s[2:3], vcc
	s_cbranch_execz .LBB71_119
; %bb.117:
	s_waitcnt vmcnt(11)
	v_mov_b32_e32 v192, v120
	v_mov_b32_e32 v193, v121
	s_waitcnt vmcnt(10)
	v_mov_b32_e32 v194, v84
	v_mov_b32_e32 v195, v85
	ds_write_b64 v216, v[86:87]
	ds_write2_b64 v217, v[192:193], v[194:195] offset0:24 offset1:25
	s_waitcnt vmcnt(9)
	v_mov_b32_e32 v192, v118
	v_mov_b32_e32 v193, v119
	s_waitcnt vmcnt(8)
	v_mov_b32_e32 v194, v82
	v_mov_b32_e32 v195, v83
	ds_write2_b64 v217, v[192:193], v[194:195] offset0:26 offset1:27
	s_waitcnt vmcnt(7)
	v_mov_b32_e32 v192, v116
	v_mov_b32_e32 v193, v117
	s_waitcnt vmcnt(6)
	v_mov_b32_e32 v194, v80
	v_mov_b32_e32 v195, v81
	;; [unrolled: 7-line block ×4, first 2 shown]
	ds_write2_b64 v217, v[192:193], v[194:195] offset0:32 offset1:33
	s_waitcnt vmcnt(1)
	v_mov_b32_e32 v192, v110
	v_mov_b32_e32 v193, v111
	s_waitcnt vmcnt(0)
	ds_write2_b64 v217, v[192:193], v[144:145] offset0:34 offset1:35
	ds_read_b64 v[192:193], v216
	s_waitcnt lgkmcnt(0)
	v_cmp_neq_f64_e32 vcc, 0, v[192:193]
	s_and_b64 exec, exec, vcc
	s_cbranch_execz .LBB71_119
; %bb.118:
	v_div_scale_f64 v[194:195], s[6:7], v[192:193], v[192:193], 1.0
	v_rcp_f64_e32 v[196:197], v[194:195]
	v_div_scale_f64 v[198:199], vcc, 1.0, v[192:193], 1.0
	v_fma_f64 v[200:201], -v[194:195], v[196:197], 1.0
	v_fmac_f64_e32 v[196:197], v[196:197], v[200:201]
	v_fma_f64 v[200:201], -v[194:195], v[196:197], 1.0
	v_fmac_f64_e32 v[196:197], v[196:197], v[200:201]
	v_mul_f64 v[200:201], v[198:199], v[196:197]
	v_fma_f64 v[194:195], -v[194:195], v[200:201], v[198:199]
	v_div_fmas_f64 v[194:195], v[194:195], v[196:197], v[200:201]
	v_div_fixup_f64 v[192:193], v[194:195], v[192:193], 1.0
	ds_write_b64 v216, v[192:193]
.LBB71_119:
	s_or_b64 exec, exec, s[2:3]
	s_waitcnt lgkmcnt(0)
	s_barrier
	ds_read_b64 v[192:193], v216
	v_cmp_lt_u32_e32 vcc, 23, v218
	s_and_saveexec_b64 s[2:3], vcc
	s_cbranch_execz .LBB71_121
; %bb.120:
	ds_read2_b64 v[194:197], v217 offset0:24 offset1:25
	ds_read2_b64 v[198:201], v217 offset0:26 offset1:27
	;; [unrolled: 1-line block ×3, first 2 shown]
	s_waitcnt vmcnt(12) lgkmcnt(3)
	v_mul_f64 v[86:87], v[192:193], v[86:87]
	s_waitcnt vmcnt(11) lgkmcnt(2)
	v_fma_f64 v[120:121], -v[86:87], v[194:195], v[120:121]
	s_waitcnt vmcnt(10)
	v_fma_f64 v[84:85], -v[86:87], v[196:197], v[84:85]
	ds_read2_b64 v[194:197], v217 offset0:30 offset1:31
	s_waitcnt vmcnt(9) lgkmcnt(2)
	v_fma_f64 v[118:119], -v[86:87], v[198:199], v[118:119]
	s_waitcnt vmcnt(8)
	v_fma_f64 v[82:83], -v[86:87], v[200:201], v[82:83]
	s_waitcnt vmcnt(7) lgkmcnt(1)
	v_fma_f64 v[116:117], -v[86:87], v[202:203], v[116:117]
	ds_read2_b64 v[198:201], v217 offset0:32 offset1:33
	s_waitcnt vmcnt(6)
	v_fma_f64 v[80:81], -v[86:87], v[204:205], v[80:81]
	ds_read2_b64 v[202:205], v217 offset0:34 offset1:35
	s_waitcnt vmcnt(5) lgkmcnt(2)
	v_fma_f64 v[114:115], -v[86:87], v[194:195], v[114:115]
	s_waitcnt vmcnt(4)
	v_fma_f64 v[78:79], -v[86:87], v[196:197], v[78:79]
	s_waitcnt vmcnt(3) lgkmcnt(1)
	v_fma_f64 v[112:113], -v[86:87], v[198:199], v[112:113]
	s_waitcnt vmcnt(2)
	v_fma_f64 v[76:77], -v[86:87], v[200:201], v[76:77]
	;; [unrolled: 4-line block ×3, first 2 shown]
.LBB71_121:
	s_or_b64 exec, exec, s[2:3]
	v_cmp_eq_u32_e32 vcc, 24, v218
	s_waitcnt lgkmcnt(0)
	s_barrier
	s_and_saveexec_b64 s[2:3], vcc
	s_cbranch_execz .LBB71_124
; %bb.122:
	s_waitcnt vmcnt(11)
	ds_write_b64 v216, v[120:121]
	s_waitcnt vmcnt(9)
	ds_write2_b64 v217, v[84:85], v[118:119] offset0:25 offset1:26
	s_waitcnt vmcnt(7)
	ds_write2_b64 v217, v[82:83], v[116:117] offset0:27 offset1:28
	s_waitcnt vmcnt(5)
	ds_write2_b64 v217, v[80:81], v[114:115] offset0:29 offset1:30
	s_waitcnt vmcnt(3)
	ds_write2_b64 v217, v[78:79], v[112:113] offset0:31 offset1:32
	s_waitcnt vmcnt(1)
	ds_write2_b64 v217, v[76:77], v[110:111] offset0:33 offset1:34
	s_waitcnt vmcnt(0)
	ds_write_b64 v217, v[144:145] offset:280
	ds_read_b64 v[194:195], v216
	s_waitcnt lgkmcnt(0)
	v_cmp_neq_f64_e32 vcc, 0, v[194:195]
	s_and_b64 exec, exec, vcc
	s_cbranch_execz .LBB71_124
; %bb.123:
	v_div_scale_f64 v[196:197], s[6:7], v[194:195], v[194:195], 1.0
	v_rcp_f64_e32 v[198:199], v[196:197]
	v_div_scale_f64 v[200:201], vcc, 1.0, v[194:195], 1.0
	v_fma_f64 v[202:203], -v[196:197], v[198:199], 1.0
	v_fmac_f64_e32 v[198:199], v[198:199], v[202:203]
	v_fma_f64 v[202:203], -v[196:197], v[198:199], 1.0
	v_fmac_f64_e32 v[198:199], v[198:199], v[202:203]
	v_mul_f64 v[202:203], v[200:201], v[198:199]
	v_fma_f64 v[196:197], -v[196:197], v[202:203], v[200:201]
	v_div_fmas_f64 v[196:197], v[196:197], v[198:199], v[202:203]
	v_div_fixup_f64 v[194:195], v[196:197], v[194:195], 1.0
	ds_write_b64 v216, v[194:195]
.LBB71_124:
	s_or_b64 exec, exec, s[2:3]
	s_waitcnt lgkmcnt(0)
	s_barrier
	ds_read_b64 v[194:195], v216
	v_cmp_lt_u32_e32 vcc, 24, v218
	s_and_saveexec_b64 s[2:3], vcc
	s_cbranch_execz .LBB71_126
; %bb.125:
	ds_read2_b64 v[196:199], v217 offset0:25 offset1:26
	ds_read2_b64 v[200:203], v217 offset0:27 offset1:28
	;; [unrolled: 1-line block ×3, first 2 shown]
	s_waitcnt vmcnt(11) lgkmcnt(3)
	v_mul_f64 v[120:121], v[194:195], v[120:121]
	s_waitcnt vmcnt(10) lgkmcnt(2)
	v_fma_f64 v[84:85], -v[120:121], v[196:197], v[84:85]
	s_waitcnt vmcnt(9)
	v_fma_f64 v[118:119], -v[120:121], v[198:199], v[118:119]
	ds_read2_b64 v[196:199], v217 offset0:31 offset1:32
	s_waitcnt vmcnt(8) lgkmcnt(2)
	v_fma_f64 v[82:83], -v[120:121], v[200:201], v[82:83]
	s_waitcnt vmcnt(7)
	v_fma_f64 v[116:117], -v[120:121], v[202:203], v[116:117]
	s_waitcnt vmcnt(6) lgkmcnt(1)
	v_fma_f64 v[80:81], -v[120:121], v[204:205], v[80:81]
	ds_read2_b64 v[200:203], v217 offset0:33 offset1:34
	ds_read_b64 v[204:205], v217 offset:280
	s_waitcnt vmcnt(5)
	v_fma_f64 v[114:115], -v[120:121], v[206:207], v[114:115]
	s_waitcnt vmcnt(4) lgkmcnt(2)
	v_fma_f64 v[78:79], -v[120:121], v[196:197], v[78:79]
	s_waitcnt vmcnt(3)
	v_fma_f64 v[112:113], -v[120:121], v[198:199], v[112:113]
	s_waitcnt vmcnt(2) lgkmcnt(1)
	v_fma_f64 v[76:77], -v[120:121], v[200:201], v[76:77]
	;; [unrolled: 4-line block ×3, first 2 shown]
.LBB71_126:
	s_or_b64 exec, exec, s[2:3]
	v_cmp_eq_u32_e32 vcc, 25, v218
	s_waitcnt lgkmcnt(0)
	s_barrier
	s_and_saveexec_b64 s[2:3], vcc
	s_cbranch_execz .LBB71_129
; %bb.127:
	s_waitcnt vmcnt(9)
	v_mov_b32_e32 v196, v118
	v_mov_b32_e32 v197, v119
	s_waitcnt vmcnt(8)
	v_mov_b32_e32 v198, v82
	v_mov_b32_e32 v199, v83
	ds_write_b64 v216, v[84:85]
	ds_write2_b64 v217, v[196:197], v[198:199] offset0:26 offset1:27
	s_waitcnt vmcnt(7)
	v_mov_b32_e32 v196, v116
	v_mov_b32_e32 v197, v117
	s_waitcnt vmcnt(6)
	v_mov_b32_e32 v198, v80
	v_mov_b32_e32 v199, v81
	ds_write2_b64 v217, v[196:197], v[198:199] offset0:28 offset1:29
	s_waitcnt vmcnt(5)
	v_mov_b32_e32 v196, v114
	v_mov_b32_e32 v197, v115
	s_waitcnt vmcnt(4)
	v_mov_b32_e32 v198, v78
	v_mov_b32_e32 v199, v79
	;; [unrolled: 7-line block ×3, first 2 shown]
	ds_write2_b64 v217, v[196:197], v[198:199] offset0:32 offset1:33
	s_waitcnt vmcnt(1)
	v_mov_b32_e32 v196, v110
	v_mov_b32_e32 v197, v111
	s_waitcnt vmcnt(0)
	ds_write2_b64 v217, v[196:197], v[144:145] offset0:34 offset1:35
	ds_read_b64 v[196:197], v216
	s_waitcnt lgkmcnt(0)
	v_cmp_neq_f64_e32 vcc, 0, v[196:197]
	s_and_b64 exec, exec, vcc
	s_cbranch_execz .LBB71_129
; %bb.128:
	v_div_scale_f64 v[198:199], s[6:7], v[196:197], v[196:197], 1.0
	v_rcp_f64_e32 v[200:201], v[198:199]
	v_div_scale_f64 v[202:203], vcc, 1.0, v[196:197], 1.0
	v_fma_f64 v[204:205], -v[198:199], v[200:201], 1.0
	v_fmac_f64_e32 v[200:201], v[200:201], v[204:205]
	v_fma_f64 v[204:205], -v[198:199], v[200:201], 1.0
	v_fmac_f64_e32 v[200:201], v[200:201], v[204:205]
	v_mul_f64 v[204:205], v[202:203], v[200:201]
	v_fma_f64 v[198:199], -v[198:199], v[204:205], v[202:203]
	v_div_fmas_f64 v[198:199], v[198:199], v[200:201], v[204:205]
	v_div_fixup_f64 v[196:197], v[198:199], v[196:197], 1.0
	ds_write_b64 v216, v[196:197]
.LBB71_129:
	s_or_b64 exec, exec, s[2:3]
	s_waitcnt lgkmcnt(0)
	s_barrier
	ds_read_b64 v[196:197], v216
	v_cmp_lt_u32_e32 vcc, 25, v218
	s_and_saveexec_b64 s[2:3], vcc
	s_cbranch_execz .LBB71_131
; %bb.130:
	ds_read2_b64 v[198:201], v217 offset0:26 offset1:27
	ds_read2_b64 v[202:205], v217 offset0:28 offset1:29
	s_waitcnt vmcnt(10) lgkmcnt(2)
	v_mul_f64 v[84:85], v[196:197], v[84:85]
	ds_read2_b64 v[206:209], v217 offset0:32 offset1:33
	s_waitcnt vmcnt(9) lgkmcnt(2)
	v_fma_f64 v[118:119], -v[84:85], v[198:199], v[118:119]
	s_waitcnt vmcnt(8)
	v_fma_f64 v[82:83], -v[84:85], v[200:201], v[82:83]
	ds_read2_b64 v[198:201], v217 offset0:30 offset1:31
	s_waitcnt vmcnt(7) lgkmcnt(2)
	v_fma_f64 v[116:117], -v[84:85], v[202:203], v[116:117]
	s_waitcnt vmcnt(6)
	v_fma_f64 v[80:81], -v[84:85], v[204:205], v[80:81]
	ds_read2_b64 v[202:205], v217 offset0:34 offset1:35
	s_waitcnt vmcnt(3) lgkmcnt(2)
	v_fma_f64 v[112:113], -v[84:85], v[206:207], v[112:113]
	s_waitcnt lgkmcnt(1)
	v_fma_f64 v[114:115], -v[84:85], v[198:199], v[114:115]
	v_fma_f64 v[78:79], -v[84:85], v[200:201], v[78:79]
	s_waitcnt vmcnt(2)
	v_fma_f64 v[76:77], -v[84:85], v[208:209], v[76:77]
	s_waitcnt vmcnt(1) lgkmcnt(0)
	v_fma_f64 v[110:111], -v[84:85], v[202:203], v[110:111]
	s_waitcnt vmcnt(0)
	v_fma_f64 v[144:145], -v[84:85], v[204:205], v[144:145]
.LBB71_131:
	s_or_b64 exec, exec, s[2:3]
	v_cmp_eq_u32_e32 vcc, 26, v218
	s_waitcnt lgkmcnt(0)
	s_barrier
	s_and_saveexec_b64 s[2:3], vcc
	s_cbranch_execz .LBB71_134
; %bb.132:
	s_waitcnt vmcnt(9)
	ds_write_b64 v216, v[118:119]
	s_waitcnt vmcnt(7)
	ds_write2_b64 v217, v[82:83], v[116:117] offset0:27 offset1:28
	s_waitcnt vmcnt(5)
	ds_write2_b64 v217, v[80:81], v[114:115] offset0:29 offset1:30
	;; [unrolled: 2-line block ×4, first 2 shown]
	s_waitcnt vmcnt(0)
	ds_write_b64 v217, v[144:145] offset:280
	ds_read_b64 v[198:199], v216
	s_waitcnt lgkmcnt(0)
	v_cmp_neq_f64_e32 vcc, 0, v[198:199]
	s_and_b64 exec, exec, vcc
	s_cbranch_execz .LBB71_134
; %bb.133:
	v_div_scale_f64 v[200:201], s[6:7], v[198:199], v[198:199], 1.0
	v_rcp_f64_e32 v[202:203], v[200:201]
	v_div_scale_f64 v[204:205], vcc, 1.0, v[198:199], 1.0
	v_fma_f64 v[206:207], -v[200:201], v[202:203], 1.0
	v_fmac_f64_e32 v[202:203], v[202:203], v[206:207]
	v_fma_f64 v[206:207], -v[200:201], v[202:203], 1.0
	v_fmac_f64_e32 v[202:203], v[202:203], v[206:207]
	v_mul_f64 v[206:207], v[204:205], v[202:203]
	v_fma_f64 v[200:201], -v[200:201], v[206:207], v[204:205]
	v_div_fmas_f64 v[200:201], v[200:201], v[202:203], v[206:207]
	v_div_fixup_f64 v[198:199], v[200:201], v[198:199], 1.0
	ds_write_b64 v216, v[198:199]
.LBB71_134:
	s_or_b64 exec, exec, s[2:3]
	s_waitcnt lgkmcnt(0)
	s_barrier
	ds_read_b64 v[198:199], v216
	v_cmp_lt_u32_e32 vcc, 26, v218
	s_and_saveexec_b64 s[2:3], vcc
	s_cbranch_execz .LBB71_136
; %bb.135:
	ds_read2_b64 v[200:203], v217 offset0:27 offset1:28
	ds_read2_b64 v[204:207], v217 offset0:29 offset1:30
	s_waitcnt vmcnt(9) lgkmcnt(2)
	v_mul_f64 v[118:119], v[198:199], v[118:119]
	ds_read2_b64 v[208:211], v217 offset0:33 offset1:34
	s_waitcnt vmcnt(8) lgkmcnt(2)
	v_fma_f64 v[82:83], -v[118:119], v[200:201], v[82:83]
	s_waitcnt vmcnt(7)
	v_fma_f64 v[116:117], -v[118:119], v[202:203], v[116:117]
	ds_read2_b64 v[200:203], v217 offset0:31 offset1:32
	s_waitcnt vmcnt(6) lgkmcnt(2)
	v_fma_f64 v[80:81], -v[118:119], v[204:205], v[80:81]
	ds_read_b64 v[204:205], v217 offset:280
	s_waitcnt vmcnt(5)
	v_fma_f64 v[114:115], -v[118:119], v[206:207], v[114:115]
	s_waitcnt vmcnt(2) lgkmcnt(2)
	v_fma_f64 v[76:77], -v[118:119], v[208:209], v[76:77]
	s_waitcnt lgkmcnt(1)
	v_fma_f64 v[78:79], -v[118:119], v[200:201], v[78:79]
	v_fma_f64 v[112:113], -v[118:119], v[202:203], v[112:113]
	s_waitcnt vmcnt(1)
	v_fma_f64 v[110:111], -v[118:119], v[210:211], v[110:111]
	s_waitcnt vmcnt(0) lgkmcnt(0)
	v_fma_f64 v[144:145], -v[118:119], v[204:205], v[144:145]
.LBB71_136:
	s_or_b64 exec, exec, s[2:3]
	v_cmp_eq_u32_e32 vcc, 27, v218
	s_waitcnt lgkmcnt(0)
	s_barrier
	s_and_saveexec_b64 s[2:3], vcc
	s_cbranch_execz .LBB71_139
; %bb.137:
	s_waitcnt vmcnt(7)
	v_mov_b32_e32 v200, v116
	v_mov_b32_e32 v201, v117
	s_waitcnt vmcnt(6)
	v_mov_b32_e32 v202, v80
	v_mov_b32_e32 v203, v81
	ds_write_b64 v216, v[82:83]
	ds_write2_b64 v217, v[200:201], v[202:203] offset0:28 offset1:29
	s_waitcnt vmcnt(5)
	v_mov_b32_e32 v200, v114
	v_mov_b32_e32 v201, v115
	s_waitcnt vmcnt(4)
	v_mov_b32_e32 v202, v78
	v_mov_b32_e32 v203, v79
	ds_write2_b64 v217, v[200:201], v[202:203] offset0:30 offset1:31
	s_waitcnt vmcnt(3)
	v_mov_b32_e32 v200, v112
	v_mov_b32_e32 v201, v113
	s_waitcnt vmcnt(2)
	v_mov_b32_e32 v202, v76
	v_mov_b32_e32 v203, v77
	ds_write2_b64 v217, v[200:201], v[202:203] offset0:32 offset1:33
	s_waitcnt vmcnt(1)
	v_mov_b32_e32 v200, v110
	v_mov_b32_e32 v201, v111
	s_waitcnt vmcnt(0)
	ds_write2_b64 v217, v[200:201], v[144:145] offset0:34 offset1:35
	ds_read_b64 v[200:201], v216
	s_waitcnt lgkmcnt(0)
	v_cmp_neq_f64_e32 vcc, 0, v[200:201]
	s_and_b64 exec, exec, vcc
	s_cbranch_execz .LBB71_139
; %bb.138:
	v_div_scale_f64 v[202:203], s[6:7], v[200:201], v[200:201], 1.0
	v_rcp_f64_e32 v[204:205], v[202:203]
	v_div_scale_f64 v[206:207], vcc, 1.0, v[200:201], 1.0
	v_fma_f64 v[208:209], -v[202:203], v[204:205], 1.0
	v_fmac_f64_e32 v[204:205], v[204:205], v[208:209]
	v_fma_f64 v[208:209], -v[202:203], v[204:205], 1.0
	v_fmac_f64_e32 v[204:205], v[204:205], v[208:209]
	v_mul_f64 v[208:209], v[206:207], v[204:205]
	v_fma_f64 v[202:203], -v[202:203], v[208:209], v[206:207]
	v_div_fmas_f64 v[202:203], v[202:203], v[204:205], v[208:209]
	v_div_fixup_f64 v[200:201], v[202:203], v[200:201], 1.0
	ds_write_b64 v216, v[200:201]
.LBB71_139:
	s_or_b64 exec, exec, s[2:3]
	s_waitcnt lgkmcnt(0)
	s_barrier
	ds_read_b64 v[200:201], v216
	v_cmp_lt_u32_e32 vcc, 27, v218
	s_and_saveexec_b64 s[2:3], vcc
	s_cbranch_execz .LBB71_141
; %bb.140:
	ds_read2_b64 v[202:205], v217 offset0:28 offset1:29
	ds_read2_b64 v[206:209], v217 offset0:30 offset1:31
	s_waitcnt vmcnt(8) lgkmcnt(2)
	v_mul_f64 v[82:83], v[200:201], v[82:83]
	ds_read2_b64 v[210:213], v217 offset0:32 offset1:33
	s_waitcnt vmcnt(7) lgkmcnt(2)
	v_fma_f64 v[116:117], -v[82:83], v[202:203], v[116:117]
	s_waitcnt vmcnt(6)
	v_fma_f64 v[80:81], -v[82:83], v[204:205], v[80:81]
	ds_read2_b64 v[202:205], v217 offset0:34 offset1:35
	s_waitcnt vmcnt(5) lgkmcnt(2)
	v_fma_f64 v[114:115], -v[82:83], v[206:207], v[114:115]
	s_waitcnt vmcnt(4)
	v_fma_f64 v[78:79], -v[82:83], v[208:209], v[78:79]
	s_waitcnt vmcnt(3) lgkmcnt(1)
	v_fma_f64 v[112:113], -v[82:83], v[210:211], v[112:113]
	s_waitcnt vmcnt(2)
	v_fma_f64 v[76:77], -v[82:83], v[212:213], v[76:77]
	;; [unrolled: 4-line block ×3, first 2 shown]
.LBB71_141:
	s_or_b64 exec, exec, s[2:3]
	v_cmp_eq_u32_e32 vcc, 28, v218
	s_waitcnt lgkmcnt(0)
	s_barrier
	s_and_saveexec_b64 s[2:3], vcc
	s_cbranch_execz .LBB71_144
; %bb.142:
	s_waitcnt vmcnt(7)
	ds_write_b64 v216, v[116:117]
	s_waitcnt vmcnt(5)
	ds_write2_b64 v217, v[80:81], v[114:115] offset0:29 offset1:30
	s_waitcnt vmcnt(3)
	ds_write2_b64 v217, v[78:79], v[112:113] offset0:31 offset1:32
	;; [unrolled: 2-line block ×3, first 2 shown]
	s_waitcnt vmcnt(0)
	ds_write_b64 v217, v[144:145] offset:280
	ds_read_b64 v[202:203], v216
	s_waitcnt lgkmcnt(0)
	v_cmp_neq_f64_e32 vcc, 0, v[202:203]
	s_and_b64 exec, exec, vcc
	s_cbranch_execz .LBB71_144
; %bb.143:
	v_div_scale_f64 v[204:205], s[6:7], v[202:203], v[202:203], 1.0
	v_rcp_f64_e32 v[206:207], v[204:205]
	v_div_scale_f64 v[208:209], vcc, 1.0, v[202:203], 1.0
	v_fma_f64 v[210:211], -v[204:205], v[206:207], 1.0
	v_fmac_f64_e32 v[206:207], v[206:207], v[210:211]
	v_fma_f64 v[210:211], -v[204:205], v[206:207], 1.0
	v_fmac_f64_e32 v[206:207], v[206:207], v[210:211]
	v_mul_f64 v[210:211], v[208:209], v[206:207]
	v_fma_f64 v[204:205], -v[204:205], v[210:211], v[208:209]
	v_div_fmas_f64 v[204:205], v[204:205], v[206:207], v[210:211]
	v_div_fixup_f64 v[202:203], v[204:205], v[202:203], 1.0
	ds_write_b64 v216, v[202:203]
.LBB71_144:
	s_or_b64 exec, exec, s[2:3]
	s_waitcnt lgkmcnt(0)
	s_barrier
	ds_read_b64 v[202:203], v216
	v_cmp_lt_u32_e32 vcc, 28, v218
	s_and_saveexec_b64 s[2:3], vcc
	s_cbranch_execz .LBB71_146
; %bb.145:
	ds_read2_b64 v[204:207], v217 offset0:29 offset1:30
	ds_read2_b64 v[208:211], v217 offset0:31 offset1:32
	s_waitcnt vmcnt(7) lgkmcnt(2)
	v_mul_f64 v[116:117], v[202:203], v[116:117]
	ds_read2_b64 v[212:215], v217 offset0:33 offset1:34
	s_waitcnt vmcnt(6) lgkmcnt(2)
	v_fma_f64 v[80:81], -v[116:117], v[204:205], v[80:81]
	ds_read_b64 v[204:205], v217 offset:280
	s_waitcnt vmcnt(5)
	v_fma_f64 v[114:115], -v[116:117], v[206:207], v[114:115]
	s_waitcnt vmcnt(4) lgkmcnt(2)
	v_fma_f64 v[78:79], -v[116:117], v[208:209], v[78:79]
	s_waitcnt vmcnt(3)
	v_fma_f64 v[112:113], -v[116:117], v[210:211], v[112:113]
	s_waitcnt vmcnt(2) lgkmcnt(1)
	v_fma_f64 v[76:77], -v[116:117], v[212:213], v[76:77]
	;; [unrolled: 4-line block ×3, first 2 shown]
.LBB71_146:
	s_or_b64 exec, exec, s[2:3]
	v_cmp_eq_u32_e32 vcc, 29, v218
	s_waitcnt lgkmcnt(0)
	s_barrier
	s_and_saveexec_b64 s[2:3], vcc
	s_cbranch_execz .LBB71_149
; %bb.147:
	s_waitcnt vmcnt(5)
	v_mov_b32_e32 v204, v114
	v_mov_b32_e32 v205, v115
	s_waitcnt vmcnt(4)
	v_mov_b32_e32 v206, v78
	v_mov_b32_e32 v207, v79
	ds_write_b64 v216, v[80:81]
	ds_write2_b64 v217, v[204:205], v[206:207] offset0:30 offset1:31
	s_waitcnt vmcnt(3)
	v_mov_b32_e32 v204, v112
	v_mov_b32_e32 v205, v113
	s_waitcnt vmcnt(2)
	v_mov_b32_e32 v206, v76
	v_mov_b32_e32 v207, v77
	ds_write2_b64 v217, v[204:205], v[206:207] offset0:32 offset1:33
	s_waitcnt vmcnt(1)
	v_mov_b32_e32 v204, v110
	v_mov_b32_e32 v205, v111
	s_waitcnt vmcnt(0)
	ds_write2_b64 v217, v[204:205], v[144:145] offset0:34 offset1:35
	ds_read_b64 v[204:205], v216
	s_waitcnt lgkmcnt(0)
	v_cmp_neq_f64_e32 vcc, 0, v[204:205]
	s_and_b64 exec, exec, vcc
	s_cbranch_execz .LBB71_149
; %bb.148:
	v_div_scale_f64 v[206:207], s[6:7], v[204:205], v[204:205], 1.0
	v_rcp_f64_e32 v[208:209], v[206:207]
	v_div_scale_f64 v[210:211], vcc, 1.0, v[204:205], 1.0
	v_fma_f64 v[212:213], -v[206:207], v[208:209], 1.0
	v_fmac_f64_e32 v[208:209], v[208:209], v[212:213]
	v_fma_f64 v[212:213], -v[206:207], v[208:209], 1.0
	v_fmac_f64_e32 v[208:209], v[208:209], v[212:213]
	v_mul_f64 v[212:213], v[210:211], v[208:209]
	v_fma_f64 v[206:207], -v[206:207], v[212:213], v[210:211]
	v_div_fmas_f64 v[206:207], v[206:207], v[208:209], v[212:213]
	v_div_fixup_f64 v[204:205], v[206:207], v[204:205], 1.0
	ds_write_b64 v216, v[204:205]
.LBB71_149:
	s_or_b64 exec, exec, s[2:3]
	s_waitcnt lgkmcnt(0)
	s_barrier
	ds_read_b64 v[204:205], v216
	v_cmp_lt_u32_e32 vcc, 29, v218
	s_and_saveexec_b64 s[2:3], vcc
	s_cbranch_execz .LBB71_151
; %bb.150:
	ds_read2_b64 v[206:209], v217 offset0:30 offset1:31
	ds_read2_b64 v[210:213], v217 offset0:32 offset1:33
	;; [unrolled: 1-line block ×3, first 2 shown]
	s_waitcnt vmcnt(6) lgkmcnt(3)
	v_mul_f64 v[80:81], v[204:205], v[80:81]
	s_waitcnt vmcnt(5) lgkmcnt(2)
	v_fma_f64 v[114:115], -v[80:81], v[206:207], v[114:115]
	s_waitcnt vmcnt(4)
	v_fma_f64 v[78:79], -v[80:81], v[208:209], v[78:79]
	s_waitcnt vmcnt(3) lgkmcnt(1)
	v_fma_f64 v[112:113], -v[80:81], v[210:211], v[112:113]
	s_waitcnt vmcnt(2)
	v_fma_f64 v[76:77], -v[80:81], v[212:213], v[76:77]
	;; [unrolled: 4-line block ×3, first 2 shown]
.LBB71_151:
	s_or_b64 exec, exec, s[2:3]
	v_cmp_eq_u32_e32 vcc, 30, v218
	s_waitcnt lgkmcnt(0)
	s_barrier
	s_and_saveexec_b64 s[2:3], vcc
	s_cbranch_execz .LBB71_154
; %bb.152:
	s_waitcnt vmcnt(5)
	ds_write_b64 v216, v[114:115]
	s_waitcnt vmcnt(3)
	ds_write2_b64 v217, v[78:79], v[112:113] offset0:31 offset1:32
	s_waitcnt vmcnt(1)
	ds_write2_b64 v217, v[76:77], v[110:111] offset0:33 offset1:34
	s_waitcnt vmcnt(0)
	ds_write_b64 v217, v[144:145] offset:280
	ds_read_b64 v[206:207], v216
	s_waitcnt lgkmcnt(0)
	v_cmp_neq_f64_e32 vcc, 0, v[206:207]
	s_and_b64 exec, exec, vcc
	s_cbranch_execz .LBB71_154
; %bb.153:
	v_div_scale_f64 v[208:209], s[6:7], v[206:207], v[206:207], 1.0
	v_rcp_f64_e32 v[210:211], v[208:209]
	v_div_scale_f64 v[212:213], vcc, 1.0, v[206:207], 1.0
	v_fma_f64 v[214:215], -v[208:209], v[210:211], 1.0
	v_fmac_f64_e32 v[210:211], v[210:211], v[214:215]
	v_fma_f64 v[214:215], -v[208:209], v[210:211], 1.0
	v_fmac_f64_e32 v[210:211], v[210:211], v[214:215]
	v_mul_f64 v[214:215], v[212:213], v[210:211]
	v_fma_f64 v[208:209], -v[208:209], v[214:215], v[212:213]
	v_div_fmas_f64 v[208:209], v[208:209], v[210:211], v[214:215]
	v_div_fixup_f64 v[206:207], v[208:209], v[206:207], 1.0
	ds_write_b64 v216, v[206:207]
.LBB71_154:
	s_or_b64 exec, exec, s[2:3]
	s_waitcnt lgkmcnt(0)
	s_barrier
	ds_read_b64 v[206:207], v216
	v_cmp_lt_u32_e32 vcc, 30, v218
	s_and_saveexec_b64 s[2:3], vcc
	s_cbranch_execz .LBB71_156
; %bb.155:
	ds_read2_b64 v[208:211], v217 offset0:31 offset1:32
	ds_read2_b64 v[212:215], v217 offset0:33 offset1:34
	ds_read_b64 v[220:221], v217 offset:280
	s_waitcnt vmcnt(5) lgkmcnt(3)
	v_mul_f64 v[114:115], v[206:207], v[114:115]
	s_waitcnt vmcnt(4) lgkmcnt(2)
	v_fma_f64 v[78:79], -v[114:115], v[208:209], v[78:79]
	s_waitcnt vmcnt(3)
	v_fma_f64 v[112:113], -v[114:115], v[210:211], v[112:113]
	s_waitcnt vmcnt(2) lgkmcnt(1)
	v_fma_f64 v[76:77], -v[114:115], v[212:213], v[76:77]
	s_waitcnt vmcnt(1)
	v_fma_f64 v[110:111], -v[114:115], v[214:215], v[110:111]
	s_waitcnt vmcnt(0) lgkmcnt(0)
	v_fma_f64 v[144:145], -v[114:115], v[220:221], v[144:145]
.LBB71_156:
	s_or_b64 exec, exec, s[2:3]
	v_cmp_eq_u32_e32 vcc, 31, v218
	s_waitcnt lgkmcnt(0)
	s_barrier
	s_and_saveexec_b64 s[2:3], vcc
	s_cbranch_execz .LBB71_159
; %bb.157:
	s_waitcnt vmcnt(3)
	v_mov_b32_e32 v208, v112
	v_mov_b32_e32 v209, v113
	s_waitcnt vmcnt(2)
	v_mov_b32_e32 v210, v76
	v_mov_b32_e32 v211, v77
	ds_write_b64 v216, v[78:79]
	ds_write2_b64 v217, v[208:209], v[210:211] offset0:32 offset1:33
	s_waitcnt vmcnt(1)
	v_mov_b32_e32 v208, v110
	v_mov_b32_e32 v209, v111
	s_waitcnt vmcnt(0)
	ds_write2_b64 v217, v[208:209], v[144:145] offset0:34 offset1:35
	ds_read_b64 v[208:209], v216
	s_waitcnt lgkmcnt(0)
	v_cmp_neq_f64_e32 vcc, 0, v[208:209]
	s_and_b64 exec, exec, vcc
	s_cbranch_execz .LBB71_159
; %bb.158:
	v_div_scale_f64 v[210:211], s[6:7], v[208:209], v[208:209], 1.0
	v_rcp_f64_e32 v[212:213], v[210:211]
	v_div_scale_f64 v[214:215], vcc, 1.0, v[208:209], 1.0
	v_fma_f64 v[220:221], -v[210:211], v[212:213], 1.0
	v_fmac_f64_e32 v[212:213], v[212:213], v[220:221]
	v_fma_f64 v[220:221], -v[210:211], v[212:213], 1.0
	v_fmac_f64_e32 v[212:213], v[212:213], v[220:221]
	v_mul_f64 v[220:221], v[214:215], v[212:213]
	v_fma_f64 v[210:211], -v[210:211], v[220:221], v[214:215]
	v_div_fmas_f64 v[210:211], v[210:211], v[212:213], v[220:221]
	v_div_fixup_f64 v[208:209], v[210:211], v[208:209], 1.0
	ds_write_b64 v216, v[208:209]
.LBB71_159:
	s_or_b64 exec, exec, s[2:3]
	s_waitcnt lgkmcnt(0)
	s_barrier
	ds_read_b64 v[208:209], v216
	v_cmp_lt_u32_e32 vcc, 31, v218
	s_and_saveexec_b64 s[2:3], vcc
	s_cbranch_execz .LBB71_161
; %bb.160:
	ds_read2_b64 v[210:213], v217 offset0:32 offset1:33
	ds_read2_b64 v[220:223], v217 offset0:34 offset1:35
	s_waitcnt vmcnt(4) lgkmcnt(2)
	v_mul_f64 v[78:79], v[208:209], v[78:79]
	s_waitcnt vmcnt(3) lgkmcnt(1)
	v_fma_f64 v[112:113], -v[78:79], v[210:211], v[112:113]
	s_waitcnt vmcnt(2)
	v_fma_f64 v[76:77], -v[78:79], v[212:213], v[76:77]
	s_waitcnt vmcnt(1) lgkmcnt(0)
	v_fma_f64 v[110:111], -v[78:79], v[220:221], v[110:111]
	s_waitcnt vmcnt(0)
	v_fma_f64 v[144:145], -v[78:79], v[222:223], v[144:145]
.LBB71_161:
	s_or_b64 exec, exec, s[2:3]
	v_cmp_eq_u32_e32 vcc, 32, v218
	s_waitcnt lgkmcnt(0)
	s_barrier
	s_and_saveexec_b64 s[2:3], vcc
	s_cbranch_execz .LBB71_164
; %bb.162:
	s_waitcnt vmcnt(3)
	ds_write_b64 v216, v[112:113]
	s_waitcnt vmcnt(1)
	ds_write2_b64 v217, v[76:77], v[110:111] offset0:33 offset1:34
	s_waitcnt vmcnt(0)
	ds_write_b64 v217, v[144:145] offset:280
	ds_read_b64 v[210:211], v216
	s_waitcnt lgkmcnt(0)
	v_cmp_neq_f64_e32 vcc, 0, v[210:211]
	s_and_b64 exec, exec, vcc
	s_cbranch_execz .LBB71_164
; %bb.163:
	v_div_scale_f64 v[212:213], s[6:7], v[210:211], v[210:211], 1.0
	v_rcp_f64_e32 v[214:215], v[212:213]
	v_div_scale_f64 v[220:221], vcc, 1.0, v[210:211], 1.0
	v_fma_f64 v[222:223], -v[212:213], v[214:215], 1.0
	v_fmac_f64_e32 v[214:215], v[214:215], v[222:223]
	v_fma_f64 v[222:223], -v[212:213], v[214:215], 1.0
	v_fmac_f64_e32 v[214:215], v[214:215], v[222:223]
	v_mul_f64 v[222:223], v[220:221], v[214:215]
	v_fma_f64 v[212:213], -v[212:213], v[222:223], v[220:221]
	v_div_fmas_f64 v[212:213], v[212:213], v[214:215], v[222:223]
	v_div_fixup_f64 v[210:211], v[212:213], v[210:211], 1.0
	ds_write_b64 v216, v[210:211]
.LBB71_164:
	s_or_b64 exec, exec, s[2:3]
	s_waitcnt lgkmcnt(0)
	s_barrier
	ds_read_b64 v[210:211], v216
	v_cmp_lt_u32_e32 vcc, 32, v218
	s_and_saveexec_b64 s[2:3], vcc
	s_cbranch_execz .LBB71_166
; %bb.165:
	ds_read2_b64 v[212:215], v217 offset0:33 offset1:34
	ds_read_b64 v[220:221], v217 offset:280
	s_waitcnt vmcnt(3) lgkmcnt(2)
	v_mul_f64 v[112:113], v[210:211], v[112:113]
	s_waitcnt vmcnt(2) lgkmcnt(1)
	v_fma_f64 v[76:77], -v[112:113], v[212:213], v[76:77]
	s_waitcnt vmcnt(1)
	v_fma_f64 v[110:111], -v[112:113], v[214:215], v[110:111]
	s_waitcnt vmcnt(0) lgkmcnt(0)
	v_fma_f64 v[144:145], -v[112:113], v[220:221], v[144:145]
.LBB71_166:
	s_or_b64 exec, exec, s[2:3]
	v_cmp_eq_u32_e32 vcc, 33, v218
	s_waitcnt lgkmcnt(0)
	s_barrier
	s_and_saveexec_b64 s[2:3], vcc
	s_cbranch_execz .LBB71_169
; %bb.167:
	s_waitcnt vmcnt(1)
	v_mov_b32_e32 v212, v110
	v_mov_b32_e32 v213, v111
	ds_write_b64 v216, v[76:77]
	s_waitcnt vmcnt(0)
	ds_write2_b64 v217, v[212:213], v[144:145] offset0:34 offset1:35
	ds_read_b64 v[212:213], v216
	s_waitcnt lgkmcnt(0)
	v_cmp_neq_f64_e32 vcc, 0, v[212:213]
	s_and_b64 exec, exec, vcc
	s_cbranch_execz .LBB71_169
; %bb.168:
	v_div_scale_f64 v[214:215], s[6:7], v[212:213], v[212:213], 1.0
	v_rcp_f64_e32 v[220:221], v[214:215]
	v_div_scale_f64 v[222:223], vcc, 1.0, v[212:213], 1.0
	v_fma_f64 v[224:225], -v[214:215], v[220:221], 1.0
	v_fmac_f64_e32 v[220:221], v[220:221], v[224:225]
	v_fma_f64 v[224:225], -v[214:215], v[220:221], 1.0
	v_fmac_f64_e32 v[220:221], v[220:221], v[224:225]
	v_mul_f64 v[224:225], v[222:223], v[220:221]
	v_fma_f64 v[214:215], -v[214:215], v[224:225], v[222:223]
	v_div_fmas_f64 v[214:215], v[214:215], v[220:221], v[224:225]
	v_div_fixup_f64 v[212:213], v[214:215], v[212:213], 1.0
	ds_write_b64 v216, v[212:213]
.LBB71_169:
	s_or_b64 exec, exec, s[2:3]
	s_waitcnt lgkmcnt(0)
	s_barrier
	ds_read_b64 v[212:213], v216
	v_cmp_lt_u32_e32 vcc, 33, v218
	s_and_saveexec_b64 s[2:3], vcc
	s_cbranch_execz .LBB71_171
; %bb.170:
	ds_read2_b64 v[220:223], v217 offset0:34 offset1:35
	s_waitcnt vmcnt(2) lgkmcnt(1)
	v_mul_f64 v[76:77], v[212:213], v[76:77]
	s_waitcnt vmcnt(1) lgkmcnt(0)
	v_fma_f64 v[110:111], -v[76:77], v[220:221], v[110:111]
	s_waitcnt vmcnt(0)
	v_fma_f64 v[144:145], -v[76:77], v[222:223], v[144:145]
.LBB71_171:
	s_or_b64 exec, exec, s[2:3]
	v_cmp_eq_u32_e32 vcc, 34, v218
	s_waitcnt lgkmcnt(0)
	s_barrier
	s_and_saveexec_b64 s[2:3], vcc
	s_cbranch_execz .LBB71_174
; %bb.172:
	s_waitcnt vmcnt(1)
	ds_write_b64 v216, v[110:111]
	s_waitcnt vmcnt(0)
	ds_write_b64 v217, v[144:145] offset:280
	ds_read_b64 v[214:215], v216
	s_waitcnt lgkmcnt(0)
	v_cmp_neq_f64_e32 vcc, 0, v[214:215]
	s_and_b64 exec, exec, vcc
	s_cbranch_execz .LBB71_174
; %bb.173:
	v_div_scale_f64 v[220:221], s[6:7], v[214:215], v[214:215], 1.0
	v_rcp_f64_e32 v[222:223], v[220:221]
	v_div_scale_f64 v[224:225], vcc, 1.0, v[214:215], 1.0
	v_fma_f64 v[226:227], -v[220:221], v[222:223], 1.0
	v_fmac_f64_e32 v[222:223], v[222:223], v[226:227]
	v_fma_f64 v[226:227], -v[220:221], v[222:223], 1.0
	v_fmac_f64_e32 v[222:223], v[222:223], v[226:227]
	v_mul_f64 v[226:227], v[224:225], v[222:223]
	v_fma_f64 v[220:221], -v[220:221], v[226:227], v[224:225]
	v_div_fmas_f64 v[220:221], v[220:221], v[222:223], v[226:227]
	v_div_fixup_f64 v[214:215], v[220:221], v[214:215], 1.0
	ds_write_b64 v216, v[214:215]
.LBB71_174:
	s_or_b64 exec, exec, s[2:3]
	s_waitcnt lgkmcnt(0)
	s_barrier
	ds_read_b64 v[214:215], v216
	v_cmp_lt_u32_e32 vcc, 34, v218
	s_and_saveexec_b64 s[2:3], vcc
	s_cbranch_execz .LBB71_176
; %bb.175:
	ds_read_b64 v[220:221], v217 offset:280
	s_waitcnt vmcnt(1) lgkmcnt(1)
	v_mul_f64 v[110:111], v[214:215], v[110:111]
	s_waitcnt vmcnt(0) lgkmcnt(0)
	v_fma_f64 v[144:145], -v[110:111], v[220:221], v[144:145]
.LBB71_176:
	s_or_b64 exec, exec, s[2:3]
	v_cmp_eq_u32_e32 vcc, 35, v218
	s_waitcnt lgkmcnt(0)
	s_barrier
	s_and_saveexec_b64 s[2:3], vcc
	s_cbranch_execz .LBB71_179
; %bb.177:
	s_waitcnt vmcnt(0)
	v_cmp_neq_f64_e32 vcc, 0, v[144:145]
	ds_write_b64 v216, v[144:145]
	s_and_b64 exec, exec, vcc
	s_cbranch_execz .LBB71_179
; %bb.178:
	v_div_scale_f64 v[220:221], s[6:7], v[144:145], v[144:145], 1.0
	v_rcp_f64_e32 v[222:223], v[220:221]
	v_div_scale_f64 v[224:225], vcc, 1.0, v[144:145], 1.0
	v_fma_f64 v[226:227], -v[220:221], v[222:223], 1.0
	v_fmac_f64_e32 v[222:223], v[222:223], v[226:227]
	v_fma_f64 v[226:227], -v[220:221], v[222:223], 1.0
	v_fmac_f64_e32 v[222:223], v[222:223], v[226:227]
	v_mul_f64 v[226:227], v[224:225], v[222:223]
	v_fma_f64 v[220:221], -v[220:221], v[226:227], v[224:225]
	v_div_fmas_f64 v[220:221], v[220:221], v[222:223], v[226:227]
	v_div_fixup_f64 v[220:221], v[220:221], v[144:145], 1.0
	ds_write_b64 v216, v[220:221]
.LBB71_179:
	s_or_b64 exec, exec, s[2:3]
	s_waitcnt lgkmcnt(0)
	s_barrier
	ds_read_b64 v[216:217], v216
	s_waitcnt lgkmcnt(0)
	s_barrier
	s_and_saveexec_b64 s[2:3], s[0:1]
	s_cbranch_execz .LBB71_182
; %bb.180:
	v_cmp_eq_f64_e32 vcc, 0, v[146:147]
	v_cmp_neq_f64_e64 s[0:1], 0, v[148:149]
	v_cndmask_b32_e64 v146, 0, 1, vcc
	s_or_b64 vcc, s[0:1], vcc
	v_cndmask_b32_e32 v146, 2, v146, vcc
	v_cmp_eq_f64_e32 vcc, 0, v[150:151]
	v_cmp_eq_u32_e64 s[0:1], 0, v146
	s_and_b64 s[0:1], vcc, s[0:1]
	v_cndmask_b32_e64 v146, v146, 3, s[0:1]
	v_cmp_eq_f64_e32 vcc, 0, v[152:153]
	v_cmp_eq_u32_e64 s[0:1], 0, v146
	s_and_b64 s[0:1], vcc, s[0:1]
	v_cndmask_b32_e64 v146, v146, 4, s[0:1]
	;; [unrolled: 4-line block ×12, first 2 shown]
	v_cmp_eq_f64_e32 vcc, 0, v[174:175]
	v_cmp_eq_u32_e64 s[0:1], 0, v146
	s_load_dwordx2 s[4:5], s[4:5], 0x28
	s_and_b64 s[0:1], vcc, s[0:1]
	v_cndmask_b32_e64 v146, v146, 15, s[0:1]
	v_cmp_eq_f64_e32 vcc, 0, v[176:177]
	v_cmp_eq_u32_e64 s[0:1], 0, v146
	s_and_b64 s[0:1], vcc, s[0:1]
	v_lshlrev_b64 v[2:3], 2, v[2:3]
	v_cndmask_b32_e64 v146, v146, 16, s[0:1]
	s_waitcnt lgkmcnt(0)
	v_mov_b32_e32 v147, s5
	v_add_co_u32_e64 v2, s[0:1], s4, v2
	v_addc_co_u32_e64 v3, s[0:1], v147, v3, s[0:1]
	global_load_dword v147, v[2:3], off
	v_cmp_eq_f64_e32 vcc, 0, v[178:179]
	v_cmp_eq_u32_e64 s[0:1], 0, v146
	s_and_b64 s[0:1], vcc, s[0:1]
	v_cndmask_b32_e64 v146, v146, 17, s[0:1]
	v_cmp_eq_f64_e32 vcc, 0, v[180:181]
	v_cmp_eq_u32_e64 s[0:1], 0, v146
	s_and_b64 s[0:1], vcc, s[0:1]
	v_cndmask_b32_e64 v146, v146, 18, s[0:1]
	;; [unrolled: 4-line block ×20, first 2 shown]
	s_waitcnt vmcnt(0)
	v_cmp_eq_u32_e32 vcc, 0, v147
	v_cmp_ne_u32_e64 s[0:1], 0, v146
	s_and_b64 s[0:1], vcc, s[0:1]
	s_and_b64 exec, exec, s[0:1]
	s_cbranch_execz .LBB71_182
; %bb.181:
	v_add_u32_e32 v146, s9, v146
	global_store_dword v[2:3], v146, off
.LBB71_182:
	s_or_b64 exec, exec, s[2:3]
	s_waitcnt vmcnt(0)
	v_mul_f64 v[2:3], v[216:217], v[144:145]
	v_cmp_lt_u32_e32 vcc, 35, v218
	v_cndmask_b32_e32 v3, v145, v3, vcc
	v_cndmask_b32_e32 v2, v144, v2, vcc
	global_store_dwordx2 v[70:71], v[74:75], off
	global_store_dwordx2 v[72:73], v[108:109], off
	;; [unrolled: 1-line block ×36, first 2 shown]
.LBB71_183:
	s_endpgm
	.section	.rodata,"a",@progbits
	.p2align	6, 0x0
	.amdhsa_kernel _ZN9rocsolver6v33100L23getf2_npvt_small_kernelILi36EdiiPKPdEEvT1_T3_lS5_lPT2_S5_S5_
		.amdhsa_group_segment_fixed_size 0
		.amdhsa_private_segment_fixed_size 0
		.amdhsa_kernarg_size 312
		.amdhsa_user_sgpr_count 6
		.amdhsa_user_sgpr_private_segment_buffer 1
		.amdhsa_user_sgpr_dispatch_ptr 0
		.amdhsa_user_sgpr_queue_ptr 0
		.amdhsa_user_sgpr_kernarg_segment_ptr 1
		.amdhsa_user_sgpr_dispatch_id 0
		.amdhsa_user_sgpr_flat_scratch_init 0
		.amdhsa_user_sgpr_kernarg_preload_length 0
		.amdhsa_user_sgpr_kernarg_preload_offset 0
		.amdhsa_user_sgpr_private_segment_size 0
		.amdhsa_uses_dynamic_stack 0
		.amdhsa_system_sgpr_private_segment_wavefront_offset 0
		.amdhsa_system_sgpr_workgroup_id_x 1
		.amdhsa_system_sgpr_workgroup_id_y 1
		.amdhsa_system_sgpr_workgroup_id_z 0
		.amdhsa_system_sgpr_workgroup_info 0
		.amdhsa_system_vgpr_workitem_id 1
		.amdhsa_next_free_vgpr 228
		.amdhsa_next_free_sgpr 16
		.amdhsa_accum_offset 228
		.amdhsa_reserve_vcc 1
		.amdhsa_reserve_flat_scratch 0
		.amdhsa_float_round_mode_32 0
		.amdhsa_float_round_mode_16_64 0
		.amdhsa_float_denorm_mode_32 3
		.amdhsa_float_denorm_mode_16_64 3
		.amdhsa_dx10_clamp 1
		.amdhsa_ieee_mode 1
		.amdhsa_fp16_overflow 0
		.amdhsa_tg_split 0
		.amdhsa_exception_fp_ieee_invalid_op 0
		.amdhsa_exception_fp_denorm_src 0
		.amdhsa_exception_fp_ieee_div_zero 0
		.amdhsa_exception_fp_ieee_overflow 0
		.amdhsa_exception_fp_ieee_underflow 0
		.amdhsa_exception_fp_ieee_inexact 0
		.amdhsa_exception_int_div_zero 0
	.end_amdhsa_kernel
	.section	.text._ZN9rocsolver6v33100L23getf2_npvt_small_kernelILi36EdiiPKPdEEvT1_T3_lS5_lPT2_S5_S5_,"axG",@progbits,_ZN9rocsolver6v33100L23getf2_npvt_small_kernelILi36EdiiPKPdEEvT1_T3_lS5_lPT2_S5_S5_,comdat
.Lfunc_end71:
	.size	_ZN9rocsolver6v33100L23getf2_npvt_small_kernelILi36EdiiPKPdEEvT1_T3_lS5_lPT2_S5_S5_, .Lfunc_end71-_ZN9rocsolver6v33100L23getf2_npvt_small_kernelILi36EdiiPKPdEEvT1_T3_lS5_lPT2_S5_S5_
                                        ; -- End function
	.section	.AMDGPU.csdata,"",@progbits
; Kernel info:
; codeLenInByte = 26184
; NumSgprs: 20
; NumVgprs: 228
; NumAgprs: 0
; TotalNumVgprs: 228
; ScratchSize: 0
; MemoryBound: 0
; FloatMode: 240
; IeeeMode: 1
; LDSByteSize: 0 bytes/workgroup (compile time only)
; SGPRBlocks: 2
; VGPRBlocks: 28
; NumSGPRsForWavesPerEU: 20
; NumVGPRsForWavesPerEU: 228
; AccumOffset: 228
; Occupancy: 2
; WaveLimiterHint : 1
; COMPUTE_PGM_RSRC2:SCRATCH_EN: 0
; COMPUTE_PGM_RSRC2:USER_SGPR: 6
; COMPUTE_PGM_RSRC2:TRAP_HANDLER: 0
; COMPUTE_PGM_RSRC2:TGID_X_EN: 1
; COMPUTE_PGM_RSRC2:TGID_Y_EN: 1
; COMPUTE_PGM_RSRC2:TGID_Z_EN: 0
; COMPUTE_PGM_RSRC2:TIDIG_COMP_CNT: 1
; COMPUTE_PGM_RSRC3_GFX90A:ACCUM_OFFSET: 56
; COMPUTE_PGM_RSRC3_GFX90A:TG_SPLIT: 0
	.section	.text._ZN9rocsolver6v33100L18getf2_small_kernelILi37EdiiPKPdEEvT1_T3_lS5_lPS5_llPT2_S5_S5_S7_l,"axG",@progbits,_ZN9rocsolver6v33100L18getf2_small_kernelILi37EdiiPKPdEEvT1_T3_lS5_lPS5_llPT2_S5_S5_S7_l,comdat
	.globl	_ZN9rocsolver6v33100L18getf2_small_kernelILi37EdiiPKPdEEvT1_T3_lS5_lPS5_llPT2_S5_S5_S7_l ; -- Begin function _ZN9rocsolver6v33100L18getf2_small_kernelILi37EdiiPKPdEEvT1_T3_lS5_lPS5_llPT2_S5_S5_S7_l
	.p2align	8
	.type	_ZN9rocsolver6v33100L18getf2_small_kernelILi37EdiiPKPdEEvT1_T3_lS5_lPS5_llPT2_S5_S5_S7_l,@function
_ZN9rocsolver6v33100L18getf2_small_kernelILi37EdiiPKPdEEvT1_T3_lS5_lPS5_llPT2_S5_S5_S7_l: ; @_ZN9rocsolver6v33100L18getf2_small_kernelILi37EdiiPKPdEEvT1_T3_lS5_lPS5_llPT2_S5_S5_S7_l
; %bb.0:
	s_load_dword s0, s[4:5], 0x6c
	s_load_dwordx2 s[12:13], s[4:5], 0x48
	v_bfe_u32 v78, v0, 10, 10
	s_waitcnt lgkmcnt(0)
	s_lshr_b32 s0, s0, 16
	s_mul_i32 s7, s7, s0
	v_add_u32_e32 v2, s7, v78
	v_cmp_gt_i32_e32 vcc, s12, v2
	s_and_saveexec_b64 s[0:1], vcc
	s_cbranch_execz .LBB72_626
; %bb.1:
	s_load_dwordx4 s[0:3], s[4:5], 0x8
	s_load_dwordx4 s[8:11], s[4:5], 0x50
	v_ashrrev_i32_e32 v3, 31, v2
	v_lshlrev_b64 v[4:5], 3, v[2:3]
	s_waitcnt lgkmcnt(0)
	v_mov_b32_e32 v1, s1
	v_add_co_u32_e32 v4, vcc, s0, v4
	v_addc_co_u32_e32 v5, vcc, v1, v5, vcc
	global_load_dwordx2 v[6:7], v[4:5], off
	s_cmp_eq_u64 s[8:9], 0
	s_cselect_b64 s[6:7], -1, 0
	s_and_b64 vcc, exec, s[6:7]
	v_pk_mov_b32 v[4:5], 0, 0
	s_cbranch_vccnz .LBB72_3
; %bb.2:
	v_mul_lo_u32 v1, v3, s10
	v_mul_lo_u32 v8, v2, s11
	v_mad_u64_u32 v[4:5], s[0:1], v2, s10, 0
	v_add3_u32 v5, v5, v8, v1
	v_lshlrev_b64 v[4:5], 2, v[4:5]
	v_mov_b32_e32 v1, s9
	v_add_co_u32_e32 v4, vcc, s8, v4
	v_addc_co_u32_e32 v5, vcc, v1, v5, vcc
.LBB72_3:
	s_load_dword s8, s[4:5], 0x18
	s_load_dword s18, s[4:5], 0x0
	s_lshl_b64 s[0:1], s[2:3], 3
	v_and_b32_e32 v86, 0x3ff, v0
	v_mov_b32_e32 v1, s1
	s_waitcnt lgkmcnt(0)
	s_add_i32 s12, s8, s8
	s_waitcnt vmcnt(0)
	v_add_co_u32_e32 v84, vcc, s0, v6
	v_add_u32_e32 v0, s12, v86
	v_addc_co_u32_e32 v85, vcc, v7, v1, vcc
	v_ashrrev_i32_e32 v1, 31, v0
	v_lshlrev_b64 v[6:7], 3, v[0:1]
	v_add_u32_e32 v0, s8, v0
	v_add_co_u32_e32 v6, vcc, v84, v6
	v_ashrrev_i32_e32 v1, 31, v0
	v_addc_co_u32_e32 v7, vcc, v85, v7, vcc
	v_lshlrev_b64 v[8:9], 3, v[0:1]
	v_add_u32_e32 v0, s8, v0
	v_add_co_u32_e32 v8, vcc, v84, v8
	v_ashrrev_i32_e32 v1, 31, v0
	v_addc_co_u32_e32 v9, vcc, v85, v9, vcc
	;; [unrolled: 5-line block ×34, first 2 shown]
	v_lshlrev_b64 v[0:1], 3, v[0:1]
	v_add_co_u32_e32 v124, vcc, v84, v0
	v_addc_co_u32_e32 v125, vcc, v85, v1, vcc
	v_lshlrev_b32_e32 v79, 3, v86
	v_add_co_u32_e32 v0, vcc, v84, v79
	s_ashr_i32 s9, s8, 31
	v_addc_co_u32_e32 v1, vcc, 0, v85, vcc
	s_lshl_b64 s[10:11], s[8:9], 3
	v_mov_b32_e32 v33, s11
	v_add_co_u32_e32 v32, vcc, s10, v0
	v_addc_co_u32_e32 v33, vcc, v1, v33, vcc
	global_load_dwordx2 v[74:75], v[0:1], off
	global_load_dwordx2 v[72:73], v[32:33], off
	;; [unrolled: 1-line block ×15, first 2 shown]
                                        ; kill: killed $vgpr14 killed $vgpr15
                                        ; kill: killed $vgpr18 killed $vgpr19
                                        ; kill: killed $vgpr22 killed $vgpr23
                                        ; kill: killed $vgpr26 killed $vgpr27
                                        ; kill: killed $vgpr30 killed $vgpr31
                                        ; kill: killed $vgpr8 killed $vgpr9
                                        ; kill: killed $vgpr12 killed $vgpr13
                                        ; kill: killed $vgpr16 killed $vgpr17
                                        ; kill: killed $vgpr20 killed $vgpr21
                                        ; kill: killed $vgpr24 killed $vgpr25
                                        ; kill: killed $vgpr28 killed $vgpr29
                                        ; kill: killed $vgpr0 killed $vgpr1
                                        ; kill: killed $vgpr6 killed $vgpr7
                                        ; kill: killed $vgpr32 killed $vgpr33
                                        ; kill: killed $vgpr10 killed $vgpr11
	global_load_dwordx2 v[46:47], v[76:77], off
	global_load_dwordx2 v[42:43], v[80:81], off
	;; [unrolled: 1-line block ×15, first 2 shown]
                                        ; kill: killed $vgpr94 killed $vgpr95
                                        ; kill: killed $vgpr98 killed $vgpr99
                                        ; kill: killed $vgpr102 killed $vgpr103
                                        ; kill: killed $vgpr106 killed $vgpr107
                                        ; kill: killed $vgpr110 killed $vgpr111
                                        ; kill: killed $vgpr80 killed $vgpr81
                                        ; kill: killed $vgpr88 killed $vgpr89
                                        ; kill: killed $vgpr92 killed $vgpr93
                                        ; kill: killed $vgpr96 killed $vgpr97
                                        ; kill: killed $vgpr100 killed $vgpr101
                                        ; kill: killed $vgpr104 killed $vgpr105
                                        ; kill: killed $vgpr108 killed $vgpr109
                                        ; kill: killed $vgpr76 killed $vgpr77
                                        ; kill: killed $vgpr82 killed $vgpr83
                                        ; kill: killed $vgpr90 killed $vgpr91
	global_load_dwordx2 v[16:17], v[112:113], off
	global_load_dwordx2 v[12:13], v[114:115], off
	;; [unrolled: 1-line block ×7, first 2 shown]
	s_max_i32 s0, s18, 37
	v_mul_lo_u32 v80, s0, v78
	v_lshl_add_u32 v82, v80, 3, 0
	v_add_u32_e32 v78, v82, v79
	s_cmp_lt_i32 s18, 2
	v_lshlrev_b32_e32 v87, 3, v80
	v_mov_b32_e32 v80, 0
	s_waitcnt vmcnt(36)
	ds_write_b64 v78, v[74:75]
	s_waitcnt lgkmcnt(0)
	s_barrier
	ds_read_b64 v[78:79], v82
	s_cbranch_scc1 .LBB72_6
; %bb.4:
	v_add3_u32 v81, v87, 0, 8
	s_mov_b32 s0, 1
	v_mov_b32_e32 v80, 0
.LBB72_5:                               ; =>This Inner Loop Header: Depth=1
	ds_read_b64 v[88:89], v81
	v_mov_b32_e32 v83, s0
	s_add_i32 s0, s0, 1
	v_add_u32_e32 v81, 8, v81
	s_cmp_eq_u32 s18, s0
	s_waitcnt lgkmcnt(0)
	v_cmp_lt_f64_e64 vcc, |v[78:79]|, |v[88:89]|
	v_cndmask_b32_e32 v79, v79, v89, vcc
	v_cndmask_b32_e32 v78, v78, v88, vcc
	;; [unrolled: 1-line block ×3, first 2 shown]
	s_cbranch_scc0 .LBB72_5
.LBB72_6:
	v_cmp_ne_u32_e32 vcc, v86, v80
                                        ; implicit-def: $vgpr83
	s_and_saveexec_b64 s[0:1], vcc
	s_xor_b64 s[0:1], exec, s[0:1]
	s_cbranch_execz .LBB72_12
; %bb.7:
	v_cmp_eq_u32_e32 vcc, 0, v86
	s_and_saveexec_b64 s[2:3], vcc
	s_cbranch_execz .LBB72_11
; %bb.8:
	v_cmp_ne_u32_e32 vcc, 0, v80
	s_xor_b64 s[14:15], s[6:7], -1
	s_and_b64 s[16:17], s[14:15], vcc
	s_and_saveexec_b64 s[14:15], s[16:17]
	s_cbranch_execz .LBB72_10
; %bb.9:
	v_ashrrev_i32_e32 v81, 31, v80
	v_lshlrev_b64 v[88:89], 2, v[80:81]
	v_add_co_u32_e32 v88, vcc, v4, v88
	v_addc_co_u32_e32 v89, vcc, v5, v89, vcc
	flat_load_dword v81, v[88:89]
	flat_load_dword v83, v[4:5]
	s_waitcnt vmcnt(0) lgkmcnt(0)
	flat_store_dword v[4:5], v81
	flat_store_dword v[88:89], v83
.LBB72_10:
	s_or_b64 exec, exec, s[14:15]
	v_mov_b32_e32 v86, v80
.LBB72_11:
	s_or_b64 exec, exec, s[2:3]
	v_mov_b32_e32 v83, v86
                                        ; implicit-def: $vgpr86
.LBB72_12:
	s_or_saveexec_b64 s[0:1], s[0:1]
	v_mov_b32_e32 v81, v83
	s_xor_b64 exec, exec, s[0:1]
	s_cbranch_execz .LBB72_14
; %bb.13:
	v_mov_b32_e32 v83, 0
	v_mov_b32_e32 v81, v86
	s_waitcnt vmcnt(0)
	ds_write2_b64 v82, v[72:73], v[70:71] offset0:1 offset1:2
	ds_write2_b64 v82, v[68:69], v[66:67] offset0:3 offset1:4
	ds_write2_b64 v82, v[64:65], v[62:63] offset0:5 offset1:6
	ds_write2_b64 v82, v[60:61], v[58:59] offset0:7 offset1:8
	ds_write2_b64 v82, v[56:57], v[54:55] offset0:9 offset1:10
	ds_write2_b64 v82, v[52:53], v[50:51] offset0:11 offset1:12
	ds_write2_b64 v82, v[48:49], v[44:45] offset0:13 offset1:14
	ds_write2_b64 v82, v[46:47], v[42:43] offset0:15 offset1:16
	ds_write2_b64 v82, v[40:41], v[38:39] offset0:17 offset1:18
	ds_write2_b64 v82, v[36:37], v[34:35] offset0:19 offset1:20
	ds_write2_b64 v82, v[32:33], v[30:31] offset0:21 offset1:22
	ds_write2_b64 v82, v[28:29], v[26:27] offset0:23 offset1:24
	ds_write2_b64 v82, v[24:25], v[22:23] offset0:25 offset1:26
	ds_write2_b64 v82, v[20:21], v[18:19] offset0:27 offset1:28
	ds_write2_b64 v82, v[14:15], v[16:17] offset0:29 offset1:30
	ds_write2_b64 v82, v[12:13], v[10:11] offset0:31 offset1:32
	ds_write2_b64 v82, v[8:9], v[6:7] offset0:33 offset1:34
	ds_write2_b64 v82, v[0:1], v[76:77] offset0:35 offset1:36
.LBB72_14:
	s_or_b64 exec, exec, s[0:1]
	s_waitcnt lgkmcnt(0)
	v_cmp_eq_f64_e64 s[0:1], 0, v[78:79]
	v_cmp_lt_i32_e32 vcc, 0, v83
	s_barrier
	s_and_saveexec_b64 s[2:3], vcc
	s_cbranch_execz .LBB72_16
; %bb.15:
	v_div_scale_f64 v[88:89], s[14:15], v[78:79], v[78:79], 1.0
	v_rcp_f64_e32 v[90:91], v[88:89]
	v_div_scale_f64 v[92:93], vcc, 1.0, v[78:79], 1.0
	ds_read2_b64 v[96:99], v82 offset0:5 offset1:6
	v_fma_f64 v[94:95], -v[88:89], v[90:91], 1.0
	v_fmac_f64_e32 v[90:91], v[90:91], v[94:95]
	v_fma_f64 v[94:95], -v[88:89], v[90:91], 1.0
	v_fmac_f64_e32 v[90:91], v[90:91], v[94:95]
	v_mul_f64 v[94:95], v[92:93], v[90:91]
	v_fma_f64 v[88:89], -v[88:89], v[94:95], v[92:93]
	v_div_fmas_f64 v[88:89], v[88:89], v[90:91], v[94:95]
	v_div_fixup_f64 v[92:93], v[88:89], v[78:79], 1.0
	ds_read2_b64 v[88:91], v82 offset0:1 offset1:2
	v_cndmask_b32_e64 v79, v93, v79, s[0:1]
	v_cndmask_b32_e64 v78, v92, v78, s[0:1]
	ds_read2_b64 v[92:95], v82 offset0:3 offset1:4
	v_mul_f64 v[74:75], v[78:79], v[74:75]
	s_waitcnt vmcnt(0) lgkmcnt(0)
	v_fma_f64 v[72:73], -v[74:75], v[88:89], v[72:73]
	v_fma_f64 v[70:71], -v[74:75], v[90:91], v[70:71]
	ds_read2_b64 v[88:91], v82 offset0:7 offset1:8
	v_fma_f64 v[68:69], -v[74:75], v[92:93], v[68:69]
	v_fma_f64 v[66:67], -v[74:75], v[94:95], v[66:67]
	;; [unrolled: 1-line block ×3, first 2 shown]
	ds_read2_b64 v[92:95], v82 offset0:9 offset1:10
	v_fma_f64 v[62:63], -v[74:75], v[98:99], v[62:63]
	ds_read2_b64 v[96:99], v82 offset0:11 offset1:12
	s_waitcnt lgkmcnt(2)
	v_fma_f64 v[60:61], -v[74:75], v[88:89], v[60:61]
	v_fma_f64 v[58:59], -v[74:75], v[90:91], v[58:59]
	s_waitcnt lgkmcnt(1)
	v_fma_f64 v[56:57], -v[74:75], v[92:93], v[56:57]
	ds_read2_b64 v[88:91], v82 offset0:13 offset1:14
	v_fma_f64 v[54:55], -v[74:75], v[94:95], v[54:55]
	ds_read2_b64 v[92:95], v82 offset0:15 offset1:16
	s_waitcnt lgkmcnt(2)
	v_fma_f64 v[52:53], -v[74:75], v[96:97], v[52:53]
	v_fma_f64 v[50:51], -v[74:75], v[98:99], v[50:51]
	ds_read2_b64 v[96:99], v82 offset0:17 offset1:18
	s_waitcnt lgkmcnt(2)
	v_fma_f64 v[48:49], -v[74:75], v[88:89], v[48:49]
	;; [unrolled: 4-line block ×3, first 2 shown]
	v_fma_f64 v[42:43], -v[74:75], v[94:95], v[42:43]
	s_waitcnt lgkmcnt(1)
	v_fma_f64 v[40:41], -v[74:75], v[96:97], v[40:41]
	ds_read2_b64 v[92:95], v82 offset0:21 offset1:22
	v_fma_f64 v[38:39], -v[74:75], v[98:99], v[38:39]
	ds_read2_b64 v[96:99], v82 offset0:23 offset1:24
	s_waitcnt lgkmcnt(2)
	v_fma_f64 v[36:37], -v[74:75], v[88:89], v[36:37]
	v_fma_f64 v[34:35], -v[74:75], v[90:91], v[34:35]
	s_waitcnt lgkmcnt(1)
	v_fma_f64 v[32:33], -v[74:75], v[92:93], v[32:33]
	ds_read2_b64 v[88:91], v82 offset0:25 offset1:26
	v_fma_f64 v[30:31], -v[74:75], v[94:95], v[30:31]
	ds_read2_b64 v[92:95], v82 offset0:27 offset1:28
	s_waitcnt lgkmcnt(2)
	v_fma_f64 v[28:29], -v[74:75], v[96:97], v[28:29]
	v_fma_f64 v[26:27], -v[74:75], v[98:99], v[26:27]
	ds_read2_b64 v[96:99], v82 offset0:29 offset1:30
	s_waitcnt lgkmcnt(2)
	v_fma_f64 v[24:25], -v[74:75], v[88:89], v[24:25]
	v_fma_f64 v[22:23], -v[74:75], v[90:91], v[22:23]
	ds_read2_b64 v[88:91], v82 offset0:31 offset1:32
	s_waitcnt lgkmcnt(2)
	v_fma_f64 v[20:21], -v[74:75], v[92:93], v[20:21]
	v_fma_f64 v[18:19], -v[74:75], v[94:95], v[18:19]
	s_waitcnt lgkmcnt(1)
	v_fma_f64 v[14:15], -v[74:75], v[96:97], v[14:15]
	ds_read2_b64 v[92:95], v82 offset0:33 offset1:34
	v_fma_f64 v[16:17], -v[74:75], v[98:99], v[16:17]
	ds_read2_b64 v[96:99], v82 offset0:35 offset1:36
	s_waitcnt lgkmcnt(2)
	v_fma_f64 v[12:13], -v[74:75], v[88:89], v[12:13]
	v_fma_f64 v[10:11], -v[74:75], v[90:91], v[10:11]
	s_waitcnt lgkmcnt(1)
	v_fma_f64 v[8:9], -v[74:75], v[92:93], v[8:9]
	v_fma_f64 v[6:7], -v[74:75], v[94:95], v[6:7]
	;; [unrolled: 3-line block ×3, first 2 shown]
.LBB72_16:
	s_or_b64 exec, exec, s[2:3]
	v_lshl_add_u32 v78, v83, 3, v82
	s_barrier
	s_waitcnt vmcnt(0)
	ds_write_b64 v78, v[72:73]
	s_waitcnt lgkmcnt(0)
	s_barrier
	ds_read_b64 v[78:79], v82 offset:8
	s_cmp_lt_i32 s18, 3
	v_mov_b32_e32 v80, 1
	s_cbranch_scc1 .LBB72_19
; %bb.17:
	v_add3_u32 v86, v87, 0, 16
	s_mov_b32 s2, 2
	v_mov_b32_e32 v80, 1
.LBB72_18:                              ; =>This Inner Loop Header: Depth=1
	ds_read_b64 v[88:89], v86
	v_mov_b32_e32 v90, s2
	s_add_i32 s2, s2, 1
	v_add_u32_e32 v86, 8, v86
	s_cmp_lg_u32 s18, s2
	s_waitcnt lgkmcnt(0)
	v_cmp_lt_f64_e64 vcc, |v[78:79]|, |v[88:89]|
	v_cndmask_b32_e32 v79, v79, v89, vcc
	v_cndmask_b32_e32 v78, v78, v88, vcc
	;; [unrolled: 1-line block ×3, first 2 shown]
	s_cbranch_scc1 .LBB72_18
.LBB72_19:
	v_cmp_ne_u32_e32 vcc, v83, v80
	s_and_saveexec_b64 s[2:3], vcc
	s_xor_b64 s[2:3], exec, s[2:3]
	s_cbranch_execz .LBB72_25
; %bb.20:
	v_cmp_eq_u32_e32 vcc, 1, v83
	s_and_saveexec_b64 s[14:15], vcc
	s_cbranch_execz .LBB72_24
; %bb.21:
	v_cmp_ne_u32_e32 vcc, 1, v80
	s_xor_b64 s[16:17], s[6:7], -1
	s_and_b64 s[20:21], s[16:17], vcc
	s_and_saveexec_b64 s[16:17], s[20:21]
	s_cbranch_execz .LBB72_23
; %bb.22:
	v_ashrrev_i32_e32 v81, 31, v80
	v_lshlrev_b64 v[88:89], 2, v[80:81]
	v_add_co_u32_e32 v88, vcc, v4, v88
	v_addc_co_u32_e32 v89, vcc, v5, v89, vcc
	flat_load_dword v81, v[88:89]
	flat_load_dword v83, v[4:5] offset:4
	s_waitcnt vmcnt(0) lgkmcnt(0)
	flat_store_dword v[4:5], v81 offset:4
	flat_store_dword v[88:89], v83
.LBB72_23:
	s_or_b64 exec, exec, s[16:17]
	v_mov_b32_e32 v81, v80
	v_mov_b32_e32 v83, v80
.LBB72_24:
	s_or_b64 exec, exec, s[14:15]
.LBB72_25:
	s_andn2_saveexec_b64 s[2:3], s[2:3]
	s_cbranch_execz .LBB72_27
; %bb.26:
	v_mov_b32_e32 v88, v70
	v_mov_b32_e32 v89, v71
	v_mov_b32_e32 v90, v68
	v_mov_b32_e32 v91, v69
	ds_write2_b64 v82, v[88:89], v[90:91] offset0:2 offset1:3
	v_mov_b32_e32 v88, v66
	v_mov_b32_e32 v89, v67
	v_mov_b32_e32 v90, v64
	v_mov_b32_e32 v91, v65
	ds_write2_b64 v82, v[88:89], v[90:91] offset0:4 offset1:5
	;; [unrolled: 5-line block ×16, first 2 shown]
	v_mov_b32_e32 v88, v6
	v_mov_b32_e32 v89, v7
	;; [unrolled: 1-line block ×5, first 2 shown]
	ds_write2_b64 v82, v[88:89], v[90:91] offset0:34 offset1:35
	ds_write_b64 v82, v[76:77] offset:288
.LBB72_27:
	s_or_b64 exec, exec, s[2:3]
	s_waitcnt lgkmcnt(0)
	v_cmp_neq_f64_e64 s[2:3], 0, v[78:79]
	v_cmp_lt_i32_e32 vcc, 1, v83
	s_barrier
	s_and_saveexec_b64 s[14:15], vcc
	s_cbranch_execz .LBB72_29
; %bb.28:
	v_div_scale_f64 v[88:89], s[16:17], v[78:79], v[78:79], 1.0
	v_rcp_f64_e32 v[90:91], v[88:89]
	v_div_scale_f64 v[92:93], vcc, 1.0, v[78:79], 1.0
	ds_read2_b64 v[96:99], v82 offset0:6 offset1:7
	v_fma_f64 v[94:95], -v[88:89], v[90:91], 1.0
	v_fmac_f64_e32 v[90:91], v[90:91], v[94:95]
	v_fma_f64 v[94:95], -v[88:89], v[90:91], 1.0
	v_fmac_f64_e32 v[90:91], v[90:91], v[94:95]
	v_mul_f64 v[94:95], v[92:93], v[90:91]
	v_fma_f64 v[88:89], -v[88:89], v[94:95], v[92:93]
	v_div_fmas_f64 v[88:89], v[88:89], v[90:91], v[94:95]
	v_div_fixup_f64 v[92:93], v[88:89], v[78:79], 1.0
	ds_read2_b64 v[88:91], v82 offset0:2 offset1:3
	v_cndmask_b32_e64 v79, v79, v93, s[2:3]
	v_cndmask_b32_e64 v78, v78, v92, s[2:3]
	ds_read2_b64 v[92:95], v82 offset0:4 offset1:5
	v_mul_f64 v[72:73], v[78:79], v[72:73]
	s_waitcnt lgkmcnt(0)
	v_fma_f64 v[70:71], -v[72:73], v[88:89], v[70:71]
	v_fma_f64 v[68:69], -v[72:73], v[90:91], v[68:69]
	ds_read2_b64 v[88:91], v82 offset0:8 offset1:9
	v_fma_f64 v[66:67], -v[72:73], v[92:93], v[66:67]
	v_fma_f64 v[64:65], -v[72:73], v[94:95], v[64:65]
	ds_read2_b64 v[92:95], v82 offset0:10 offset1:11
	;; [unrolled: 3-line block ×3, first 2 shown]
	s_waitcnt lgkmcnt(0)
	v_fma_f64 v[58:59], -v[72:73], v[88:89], v[58:59]
	v_fma_f64 v[56:57], -v[72:73], v[90:91], v[56:57]
	;; [unrolled: 1-line block ×3, first 2 shown]
	ds_read2_b64 v[88:91], v82 offset0:14 offset1:15
	v_fma_f64 v[52:53], -v[72:73], v[94:95], v[52:53]
	ds_read2_b64 v[92:95], v82 offset0:16 offset1:17
	v_fma_f64 v[50:51], -v[72:73], v[96:97], v[50:51]
	v_fma_f64 v[48:49], -v[72:73], v[98:99], v[48:49]
	s_waitcnt lgkmcnt(0)
	v_fma_f64 v[44:45], -v[72:73], v[88:89], v[44:45]
	ds_read2_b64 v[96:99], v82 offset0:18 offset1:19
	v_fma_f64 v[46:47], -v[72:73], v[90:91], v[46:47]
	ds_read2_b64 v[88:91], v82 offset0:20 offset1:21
	v_fma_f64 v[42:43], -v[72:73], v[92:93], v[42:43]
	v_fma_f64 v[40:41], -v[72:73], v[94:95], v[40:41]
	ds_read2_b64 v[92:95], v82 offset0:22 offset1:23
	s_waitcnt lgkmcnt(0)
	v_fma_f64 v[38:39], -v[72:73], v[96:97], v[38:39]
	v_fma_f64 v[36:37], -v[72:73], v[98:99], v[36:37]
	ds_read2_b64 v[96:99], v82 offset0:24 offset1:25
	v_fma_f64 v[34:35], -v[72:73], v[88:89], v[34:35]
	v_fma_f64 v[32:33], -v[72:73], v[90:91], v[32:33]
	;; [unrolled: 1-line block ×3, first 2 shown]
	ds_read2_b64 v[88:91], v82 offset0:26 offset1:27
	v_fma_f64 v[28:29], -v[72:73], v[94:95], v[28:29]
	ds_read2_b64 v[92:95], v82 offset0:28 offset1:29
	s_waitcnt lgkmcnt(0)
	v_fma_f64 v[26:27], -v[72:73], v[96:97], v[26:27]
	v_fma_f64 v[24:25], -v[72:73], v[98:99], v[24:25]
	;; [unrolled: 1-line block ×3, first 2 shown]
	ds_read2_b64 v[96:99], v82 offset0:30 offset1:31
	v_fma_f64 v[20:21], -v[72:73], v[90:91], v[20:21]
	ds_read2_b64 v[88:91], v82 offset0:32 offset1:33
	v_fma_f64 v[18:19], -v[72:73], v[92:93], v[18:19]
	v_fma_f64 v[14:15], -v[72:73], v[94:95], v[14:15]
	ds_read2_b64 v[92:95], v82 offset0:34 offset1:35
	ds_read_b64 v[78:79], v82 offset:288
	s_waitcnt lgkmcnt(0)
	v_fma_f64 v[16:17], -v[72:73], v[96:97], v[16:17]
	v_fma_f64 v[12:13], -v[72:73], v[98:99], v[12:13]
	;; [unrolled: 1-line block ×7, first 2 shown]
.LBB72_29:
	s_or_b64 exec, exec, s[14:15]
	v_lshl_add_u32 v78, v83, 3, v82
	s_barrier
	ds_write_b64 v78, v[70:71]
	s_waitcnt lgkmcnt(0)
	s_barrier
	ds_read_b64 v[78:79], v82 offset:16
	s_mov_b32 s9, 3
	s_cmp_lt_i32 s18, 4
	v_mov_b32_e32 v80, 2
	s_cbranch_scc1 .LBB72_32
; %bb.30:
	v_add3_u32 v86, v87, 0, 24
	v_mov_b32_e32 v80, 2
.LBB72_31:                              ; =>This Inner Loop Header: Depth=1
	ds_read_b64 v[88:89], v86
	v_mov_b32_e32 v90, s9
	s_add_i32 s9, s9, 1
	v_add_u32_e32 v86, 8, v86
	s_cmp_lg_u32 s18, s9
	s_waitcnt lgkmcnt(0)
	v_cmp_lt_f64_e64 vcc, |v[78:79]|, |v[88:89]|
	v_cndmask_b32_e32 v79, v79, v89, vcc
	v_cndmask_b32_e32 v78, v78, v88, vcc
	;; [unrolled: 1-line block ×3, first 2 shown]
	s_cbranch_scc1 .LBB72_31
.LBB72_32:
	v_cndmask_b32_e64 v86, 2, 1, s[0:1]
	v_cndmask_b32_e64 v88, 0, 1, s[0:1]
	;; [unrolled: 1-line block ×3, first 2 shown]
	s_waitcnt lgkmcnt(0)
	v_cmp_eq_f64_e32 vcc, 0, v[78:79]
	s_and_saveexec_b64 s[0:1], vcc
	s_xor_b64 s[0:1], exec, s[0:1]
; %bb.33:
	v_cmp_ne_u32_e32 vcc, 0, v86
	v_cndmask_b32_e32 v86, 3, v86, vcc
; %bb.34:
	s_andn2_saveexec_b64 s[0:1], s[0:1]
; %bb.35:
	v_div_scale_f64 v[88:89], s[2:3], v[78:79], v[78:79], 1.0
	v_rcp_f64_e32 v[90:91], v[88:89]
	v_div_scale_f64 v[92:93], vcc, 1.0, v[78:79], 1.0
	v_fma_f64 v[94:95], -v[88:89], v[90:91], 1.0
	v_fmac_f64_e32 v[90:91], v[90:91], v[94:95]
	v_fma_f64 v[94:95], -v[88:89], v[90:91], 1.0
	v_fmac_f64_e32 v[90:91], v[90:91], v[94:95]
	v_mul_f64 v[94:95], v[92:93], v[90:91]
	v_fma_f64 v[88:89], -v[88:89], v[94:95], v[92:93]
	v_div_fmas_f64 v[88:89], v[88:89], v[90:91], v[94:95]
	v_div_fixup_f64 v[78:79], v[88:89], v[78:79], 1.0
; %bb.36:
	s_or_b64 exec, exec, s[0:1]
	v_cmp_ne_u32_e32 vcc, v83, v80
	s_and_saveexec_b64 s[0:1], vcc
	s_xor_b64 s[0:1], exec, s[0:1]
	s_cbranch_execz .LBB72_42
; %bb.37:
	v_cmp_eq_u32_e32 vcc, 2, v83
	s_and_saveexec_b64 s[2:3], vcc
	s_cbranch_execz .LBB72_41
; %bb.38:
	v_cmp_ne_u32_e32 vcc, 2, v80
	s_xor_b64 s[14:15], s[6:7], -1
	s_and_b64 s[16:17], s[14:15], vcc
	s_and_saveexec_b64 s[14:15], s[16:17]
	s_cbranch_execz .LBB72_40
; %bb.39:
	v_ashrrev_i32_e32 v81, 31, v80
	v_lshlrev_b64 v[88:89], 2, v[80:81]
	v_add_co_u32_e32 v88, vcc, v4, v88
	v_addc_co_u32_e32 v89, vcc, v5, v89, vcc
	flat_load_dword v81, v[88:89]
	flat_load_dword v83, v[4:5] offset:8
	s_waitcnt vmcnt(0) lgkmcnt(0)
	flat_store_dword v[4:5], v81 offset:8
	flat_store_dword v[88:89], v83
.LBB72_40:
	s_or_b64 exec, exec, s[14:15]
	v_mov_b32_e32 v81, v80
	v_mov_b32_e32 v83, v80
.LBB72_41:
	s_or_b64 exec, exec, s[2:3]
.LBB72_42:
	s_andn2_saveexec_b64 s[0:1], s[0:1]
	s_cbranch_execz .LBB72_44
; %bb.43:
	v_mov_b32_e32 v83, 2
	ds_write2_b64 v82, v[68:69], v[66:67] offset0:3 offset1:4
	ds_write2_b64 v82, v[64:65], v[62:63] offset0:5 offset1:6
	;; [unrolled: 1-line block ×17, first 2 shown]
.LBB72_44:
	s_or_b64 exec, exec, s[0:1]
	v_cmp_lt_i32_e32 vcc, 2, v83
	s_waitcnt lgkmcnt(0)
	s_barrier
	s_and_saveexec_b64 s[0:1], vcc
	s_cbranch_execz .LBB72_46
; %bb.45:
	ds_read2_b64 v[88:91], v82 offset0:3 offset1:4
	ds_read2_b64 v[92:95], v82 offset0:5 offset1:6
	v_mul_f64 v[70:71], v[78:79], v[70:71]
	ds_read2_b64 v[96:99], v82 offset0:7 offset1:8
	s_waitcnt lgkmcnt(0)
	v_fma_f64 v[68:69], -v[70:71], v[88:89], v[68:69]
	v_fma_f64 v[66:67], -v[70:71], v[90:91], v[66:67]
	ds_read2_b64 v[88:91], v82 offset0:9 offset1:10
	v_fma_f64 v[64:65], -v[70:71], v[92:93], v[64:65]
	v_fma_f64 v[62:63], -v[70:71], v[94:95], v[62:63]
	ds_read2_b64 v[92:95], v82 offset0:11 offset1:12
	;; [unrolled: 3-line block ×3, first 2 shown]
	s_waitcnt lgkmcnt(0)
	v_fma_f64 v[56:57], -v[70:71], v[88:89], v[56:57]
	v_fma_f64 v[54:55], -v[70:71], v[90:91], v[54:55]
	;; [unrolled: 1-line block ×3, first 2 shown]
	ds_read2_b64 v[88:91], v82 offset0:15 offset1:16
	v_fma_f64 v[50:51], -v[70:71], v[94:95], v[50:51]
	ds_read2_b64 v[92:95], v82 offset0:17 offset1:18
	v_fma_f64 v[48:49], -v[70:71], v[96:97], v[48:49]
	v_fma_f64 v[44:45], -v[70:71], v[98:99], v[44:45]
	s_waitcnt lgkmcnt(0)
	v_fma_f64 v[46:47], -v[70:71], v[88:89], v[46:47]
	ds_read2_b64 v[96:99], v82 offset0:19 offset1:20
	v_fma_f64 v[42:43], -v[70:71], v[90:91], v[42:43]
	ds_read2_b64 v[88:91], v82 offset0:21 offset1:22
	v_fma_f64 v[40:41], -v[70:71], v[92:93], v[40:41]
	v_fma_f64 v[38:39], -v[70:71], v[94:95], v[38:39]
	ds_read2_b64 v[92:95], v82 offset0:23 offset1:24
	s_waitcnt lgkmcnt(0)
	v_fma_f64 v[36:37], -v[70:71], v[96:97], v[36:37]
	v_fma_f64 v[34:35], -v[70:71], v[98:99], v[34:35]
	ds_read2_b64 v[96:99], v82 offset0:25 offset1:26
	v_fma_f64 v[32:33], -v[70:71], v[88:89], v[32:33]
	v_fma_f64 v[30:31], -v[70:71], v[90:91], v[30:31]
	;; [unrolled: 1-line block ×3, first 2 shown]
	ds_read2_b64 v[88:91], v82 offset0:27 offset1:28
	v_fma_f64 v[26:27], -v[70:71], v[94:95], v[26:27]
	ds_read2_b64 v[92:95], v82 offset0:29 offset1:30
	s_waitcnt lgkmcnt(0)
	v_fma_f64 v[24:25], -v[70:71], v[96:97], v[24:25]
	v_fma_f64 v[22:23], -v[70:71], v[98:99], v[22:23]
	;; [unrolled: 1-line block ×4, first 2 shown]
	ds_read2_b64 v[88:91], v82 offset0:31 offset1:32
	ds_read2_b64 v[96:99], v82 offset0:33 offset1:34
	v_fma_f64 v[14:15], -v[70:71], v[92:93], v[14:15]
	v_fma_f64 v[16:17], -v[70:71], v[94:95], v[16:17]
	ds_read2_b64 v[92:95], v82 offset0:35 offset1:36
	s_waitcnt lgkmcnt(0)
	v_fma_f64 v[12:13], -v[70:71], v[88:89], v[12:13]
	v_fma_f64 v[10:11], -v[70:71], v[90:91], v[10:11]
	;; [unrolled: 1-line block ×6, first 2 shown]
.LBB72_46:
	s_or_b64 exec, exec, s[0:1]
	v_lshl_add_u32 v78, v83, 3, v82
	s_barrier
	ds_write_b64 v78, v[68:69]
	s_waitcnt lgkmcnt(0)
	s_barrier
	ds_read_b64 v[78:79], v82 offset:24
	s_cmp_lt_i32 s18, 5
	v_mov_b32_e32 v80, 3
	s_cbranch_scc1 .LBB72_49
; %bb.47:
	v_add3_u32 v88, v87, 0, 32
	s_mov_b32 s0, 4
	v_mov_b32_e32 v80, 3
.LBB72_48:                              ; =>This Inner Loop Header: Depth=1
	ds_read_b64 v[90:91], v88
	v_mov_b32_e32 v89, s0
	s_add_i32 s0, s0, 1
	v_add_u32_e32 v88, 8, v88
	s_cmp_lg_u32 s18, s0
	s_waitcnt lgkmcnt(0)
	v_cmp_lt_f64_e64 vcc, |v[78:79]|, |v[90:91]|
	v_cndmask_b32_e32 v79, v79, v91, vcc
	v_cndmask_b32_e32 v78, v78, v90, vcc
	;; [unrolled: 1-line block ×3, first 2 shown]
	s_cbranch_scc1 .LBB72_48
.LBB72_49:
	s_waitcnt lgkmcnt(0)
	v_cmp_eq_f64_e32 vcc, 0, v[78:79]
	s_and_saveexec_b64 s[0:1], vcc
	s_xor_b64 s[0:1], exec, s[0:1]
; %bb.50:
	v_cmp_ne_u32_e32 vcc, 0, v86
	v_cndmask_b32_e32 v86, 4, v86, vcc
; %bb.51:
	s_andn2_saveexec_b64 s[0:1], s[0:1]
; %bb.52:
	v_div_scale_f64 v[88:89], s[2:3], v[78:79], v[78:79], 1.0
	v_rcp_f64_e32 v[90:91], v[88:89]
	v_div_scale_f64 v[92:93], vcc, 1.0, v[78:79], 1.0
	v_fma_f64 v[94:95], -v[88:89], v[90:91], 1.0
	v_fmac_f64_e32 v[90:91], v[90:91], v[94:95]
	v_fma_f64 v[94:95], -v[88:89], v[90:91], 1.0
	v_fmac_f64_e32 v[90:91], v[90:91], v[94:95]
	v_mul_f64 v[94:95], v[92:93], v[90:91]
	v_fma_f64 v[88:89], -v[88:89], v[94:95], v[92:93]
	v_div_fmas_f64 v[88:89], v[88:89], v[90:91], v[94:95]
	v_div_fixup_f64 v[78:79], v[88:89], v[78:79], 1.0
; %bb.53:
	s_or_b64 exec, exec, s[0:1]
	v_cmp_ne_u32_e32 vcc, v83, v80
	s_and_saveexec_b64 s[0:1], vcc
	s_xor_b64 s[0:1], exec, s[0:1]
	s_cbranch_execz .LBB72_59
; %bb.54:
	v_cmp_eq_u32_e32 vcc, 3, v83
	s_and_saveexec_b64 s[2:3], vcc
	s_cbranch_execz .LBB72_58
; %bb.55:
	v_cmp_ne_u32_e32 vcc, 3, v80
	s_xor_b64 s[14:15], s[6:7], -1
	s_and_b64 s[16:17], s[14:15], vcc
	s_and_saveexec_b64 s[14:15], s[16:17]
	s_cbranch_execz .LBB72_57
; %bb.56:
	v_ashrrev_i32_e32 v81, 31, v80
	v_lshlrev_b64 v[88:89], 2, v[80:81]
	v_add_co_u32_e32 v88, vcc, v4, v88
	v_addc_co_u32_e32 v89, vcc, v5, v89, vcc
	flat_load_dword v81, v[88:89]
	flat_load_dword v83, v[4:5] offset:12
	s_waitcnt vmcnt(0) lgkmcnt(0)
	flat_store_dword v[4:5], v81 offset:12
	flat_store_dword v[88:89], v83
.LBB72_57:
	s_or_b64 exec, exec, s[14:15]
	v_mov_b32_e32 v81, v80
	v_mov_b32_e32 v83, v80
.LBB72_58:
	s_or_b64 exec, exec, s[2:3]
.LBB72_59:
	s_andn2_saveexec_b64 s[0:1], s[0:1]
	s_cbranch_execz .LBB72_61
; %bb.60:
	v_mov_b32_e32 v88, v66
	v_mov_b32_e32 v89, v67
	v_mov_b32_e32 v90, v64
	v_mov_b32_e32 v91, v65
	ds_write2_b64 v82, v[88:89], v[90:91] offset0:4 offset1:5
	v_mov_b32_e32 v88, v62
	v_mov_b32_e32 v89, v63
	v_mov_b32_e32 v90, v60
	v_mov_b32_e32 v91, v61
	ds_write2_b64 v82, v[88:89], v[90:91] offset0:6 offset1:7
	;; [unrolled: 5-line block ×15, first 2 shown]
	v_mov_b32_e32 v88, v6
	v_mov_b32_e32 v89, v7
	;; [unrolled: 1-line block ×5, first 2 shown]
	ds_write2_b64 v82, v[88:89], v[90:91] offset0:34 offset1:35
	ds_write_b64 v82, v[76:77] offset:288
.LBB72_61:
	s_or_b64 exec, exec, s[0:1]
	v_cmp_lt_i32_e32 vcc, 3, v83
	s_waitcnt lgkmcnt(0)
	s_barrier
	s_and_saveexec_b64 s[0:1], vcc
	s_cbranch_execz .LBB72_63
; %bb.62:
	ds_read2_b64 v[88:91], v82 offset0:4 offset1:5
	ds_read2_b64 v[92:95], v82 offset0:6 offset1:7
	v_mul_f64 v[68:69], v[78:79], v[68:69]
	ds_read2_b64 v[96:99], v82 offset0:8 offset1:9
	ds_read_b64 v[78:79], v82 offset:288
	s_waitcnt lgkmcnt(0)
	v_fma_f64 v[66:67], -v[68:69], v[88:89], v[66:67]
	v_fma_f64 v[64:65], -v[68:69], v[90:91], v[64:65]
	ds_read2_b64 v[88:91], v82 offset0:10 offset1:11
	v_fma_f64 v[62:63], -v[68:69], v[92:93], v[62:63]
	v_fma_f64 v[60:61], -v[68:69], v[94:95], v[60:61]
	;; [unrolled: 1-line block ×3, first 2 shown]
	ds_read2_b64 v[92:95], v82 offset0:12 offset1:13
	v_fma_f64 v[56:57], -v[68:69], v[98:99], v[56:57]
	ds_read2_b64 v[96:99], v82 offset0:14 offset1:15
	s_waitcnt lgkmcnt(0)
	v_fma_f64 v[54:55], -v[68:69], v[88:89], v[54:55]
	v_fma_f64 v[52:53], -v[68:69], v[90:91], v[52:53]
	ds_read2_b64 v[88:91], v82 offset0:16 offset1:17
	v_fma_f64 v[50:51], -v[68:69], v[92:93], v[50:51]
	v_fma_f64 v[48:49], -v[68:69], v[94:95], v[48:49]
	ds_read2_b64 v[92:95], v82 offset0:18 offset1:19
	v_fma_f64 v[44:45], -v[68:69], v[96:97], v[44:45]
	v_fma_f64 v[46:47], -v[68:69], v[98:99], v[46:47]
	s_waitcnt lgkmcnt(0)
	v_fma_f64 v[42:43], -v[68:69], v[88:89], v[42:43]
	ds_read2_b64 v[96:99], v82 offset0:20 offset1:21
	v_fma_f64 v[40:41], -v[68:69], v[90:91], v[40:41]
	ds_read2_b64 v[88:91], v82 offset0:22 offset1:23
	v_fma_f64 v[38:39], -v[68:69], v[92:93], v[38:39]
	v_fma_f64 v[36:37], -v[68:69], v[94:95], v[36:37]
	s_waitcnt lgkmcnt(0)
	v_fma_f64 v[34:35], -v[68:69], v[96:97], v[34:35]
	ds_read2_b64 v[92:95], v82 offset0:24 offset1:25
	v_fma_f64 v[32:33], -v[68:69], v[98:99], v[32:33]
	ds_read2_b64 v[96:99], v82 offset0:26 offset1:27
	v_fma_f64 v[30:31], -v[68:69], v[88:89], v[30:31]
	v_fma_f64 v[28:29], -v[68:69], v[90:91], v[28:29]
	ds_read2_b64 v[88:91], v82 offset0:28 offset1:29
	s_waitcnt lgkmcnt(0)
	v_fma_f64 v[26:27], -v[68:69], v[92:93], v[26:27]
	v_fma_f64 v[24:25], -v[68:69], v[94:95], v[24:25]
	ds_read2_b64 v[92:95], v82 offset0:30 offset1:31
	v_fma_f64 v[22:23], -v[68:69], v[96:97], v[22:23]
	v_fma_f64 v[20:21], -v[68:69], v[98:99], v[20:21]
	;; [unrolled: 1-line block ×4, first 2 shown]
	ds_read2_b64 v[88:91], v82 offset0:32 offset1:33
	ds_read2_b64 v[96:99], v82 offset0:34 offset1:35
	s_waitcnt lgkmcnt(0)
	v_fma_f64 v[16:17], -v[68:69], v[92:93], v[16:17]
	v_fma_f64 v[12:13], -v[68:69], v[94:95], v[12:13]
	;; [unrolled: 1-line block ×7, first 2 shown]
.LBB72_63:
	s_or_b64 exec, exec, s[0:1]
	v_lshl_add_u32 v78, v83, 3, v82
	s_barrier
	ds_write_b64 v78, v[66:67]
	s_waitcnt lgkmcnt(0)
	s_barrier
	ds_read_b64 v[78:79], v82 offset:32
	s_cmp_lt_i32 s18, 6
	v_mov_b32_e32 v80, 4
	s_cbranch_scc1 .LBB72_66
; %bb.64:
	v_add3_u32 v88, v87, 0, 40
	s_mov_b32 s0, 5
	v_mov_b32_e32 v80, 4
.LBB72_65:                              ; =>This Inner Loop Header: Depth=1
	ds_read_b64 v[90:91], v88
	v_mov_b32_e32 v89, s0
	s_add_i32 s0, s0, 1
	v_add_u32_e32 v88, 8, v88
	s_cmp_lg_u32 s18, s0
	s_waitcnt lgkmcnt(0)
	v_cmp_lt_f64_e64 vcc, |v[78:79]|, |v[90:91]|
	v_cndmask_b32_e32 v79, v79, v91, vcc
	v_cndmask_b32_e32 v78, v78, v90, vcc
	v_cndmask_b32_e32 v80, v80, v89, vcc
	s_cbranch_scc1 .LBB72_65
.LBB72_66:
	s_waitcnt lgkmcnt(0)
	v_cmp_eq_f64_e32 vcc, 0, v[78:79]
	s_and_saveexec_b64 s[0:1], vcc
	s_xor_b64 s[0:1], exec, s[0:1]
; %bb.67:
	v_cmp_ne_u32_e32 vcc, 0, v86
	v_cndmask_b32_e32 v86, 5, v86, vcc
; %bb.68:
	s_andn2_saveexec_b64 s[0:1], s[0:1]
; %bb.69:
	v_div_scale_f64 v[88:89], s[2:3], v[78:79], v[78:79], 1.0
	v_rcp_f64_e32 v[90:91], v[88:89]
	v_div_scale_f64 v[92:93], vcc, 1.0, v[78:79], 1.0
	v_fma_f64 v[94:95], -v[88:89], v[90:91], 1.0
	v_fmac_f64_e32 v[90:91], v[90:91], v[94:95]
	v_fma_f64 v[94:95], -v[88:89], v[90:91], 1.0
	v_fmac_f64_e32 v[90:91], v[90:91], v[94:95]
	v_mul_f64 v[94:95], v[92:93], v[90:91]
	v_fma_f64 v[88:89], -v[88:89], v[94:95], v[92:93]
	v_div_fmas_f64 v[88:89], v[88:89], v[90:91], v[94:95]
	v_div_fixup_f64 v[78:79], v[88:89], v[78:79], 1.0
; %bb.70:
	s_or_b64 exec, exec, s[0:1]
	v_cmp_ne_u32_e32 vcc, v83, v80
	s_and_saveexec_b64 s[0:1], vcc
	s_xor_b64 s[0:1], exec, s[0:1]
	s_cbranch_execz .LBB72_76
; %bb.71:
	v_cmp_eq_u32_e32 vcc, 4, v83
	s_and_saveexec_b64 s[2:3], vcc
	s_cbranch_execz .LBB72_75
; %bb.72:
	v_cmp_ne_u32_e32 vcc, 4, v80
	s_xor_b64 s[14:15], s[6:7], -1
	s_and_b64 s[16:17], s[14:15], vcc
	s_and_saveexec_b64 s[14:15], s[16:17]
	s_cbranch_execz .LBB72_74
; %bb.73:
	v_ashrrev_i32_e32 v81, 31, v80
	v_lshlrev_b64 v[88:89], 2, v[80:81]
	v_add_co_u32_e32 v88, vcc, v4, v88
	v_addc_co_u32_e32 v89, vcc, v5, v89, vcc
	flat_load_dword v81, v[88:89]
	flat_load_dword v83, v[4:5] offset:16
	s_waitcnt vmcnt(0) lgkmcnt(0)
	flat_store_dword v[4:5], v81 offset:16
	flat_store_dword v[88:89], v83
.LBB72_74:
	s_or_b64 exec, exec, s[14:15]
	v_mov_b32_e32 v81, v80
	v_mov_b32_e32 v83, v80
.LBB72_75:
	s_or_b64 exec, exec, s[2:3]
.LBB72_76:
	s_andn2_saveexec_b64 s[0:1], s[0:1]
	s_cbranch_execz .LBB72_78
; %bb.77:
	v_mov_b32_e32 v83, 4
	ds_write2_b64 v82, v[64:65], v[62:63] offset0:5 offset1:6
	ds_write2_b64 v82, v[60:61], v[58:59] offset0:7 offset1:8
	;; [unrolled: 1-line block ×16, first 2 shown]
.LBB72_78:
	s_or_b64 exec, exec, s[0:1]
	v_cmp_lt_i32_e32 vcc, 4, v83
	s_waitcnt lgkmcnt(0)
	s_barrier
	s_and_saveexec_b64 s[0:1], vcc
	s_cbranch_execz .LBB72_80
; %bb.79:
	ds_read2_b64 v[88:91], v82 offset0:5 offset1:6
	ds_read2_b64 v[92:95], v82 offset0:7 offset1:8
	v_mul_f64 v[66:67], v[78:79], v[66:67]
	ds_read2_b64 v[96:99], v82 offset0:9 offset1:10
	s_waitcnt lgkmcnt(0)
	v_fma_f64 v[64:65], -v[66:67], v[88:89], v[64:65]
	v_fma_f64 v[62:63], -v[66:67], v[90:91], v[62:63]
	ds_read2_b64 v[88:91], v82 offset0:11 offset1:12
	v_fma_f64 v[60:61], -v[66:67], v[92:93], v[60:61]
	v_fma_f64 v[58:59], -v[66:67], v[94:95], v[58:59]
	;; [unrolled: 1-line block ×3, first 2 shown]
	ds_read2_b64 v[92:95], v82 offset0:13 offset1:14
	v_fma_f64 v[54:55], -v[66:67], v[98:99], v[54:55]
	ds_read2_b64 v[96:99], v82 offset0:15 offset1:16
	s_waitcnt lgkmcnt(0)
	v_fma_f64 v[52:53], -v[66:67], v[88:89], v[52:53]
	v_fma_f64 v[50:51], -v[66:67], v[90:91], v[50:51]
	ds_read2_b64 v[88:91], v82 offset0:17 offset1:18
	v_fma_f64 v[48:49], -v[66:67], v[92:93], v[48:49]
	v_fma_f64 v[44:45], -v[66:67], v[94:95], v[44:45]
	ds_read2_b64 v[92:95], v82 offset0:19 offset1:20
	v_fma_f64 v[46:47], -v[66:67], v[96:97], v[46:47]
	v_fma_f64 v[42:43], -v[66:67], v[98:99], v[42:43]
	s_waitcnt lgkmcnt(0)
	v_fma_f64 v[40:41], -v[66:67], v[88:89], v[40:41]
	ds_read2_b64 v[96:99], v82 offset0:21 offset1:22
	v_fma_f64 v[38:39], -v[66:67], v[90:91], v[38:39]
	ds_read2_b64 v[88:91], v82 offset0:23 offset1:24
	v_fma_f64 v[36:37], -v[66:67], v[92:93], v[36:37]
	v_fma_f64 v[34:35], -v[66:67], v[94:95], v[34:35]
	s_waitcnt lgkmcnt(0)
	v_fma_f64 v[32:33], -v[66:67], v[96:97], v[32:33]
	ds_read2_b64 v[92:95], v82 offset0:25 offset1:26
	v_fma_f64 v[30:31], -v[66:67], v[98:99], v[30:31]
	ds_read2_b64 v[96:99], v82 offset0:27 offset1:28
	v_fma_f64 v[28:29], -v[66:67], v[88:89], v[28:29]
	v_fma_f64 v[26:27], -v[66:67], v[90:91], v[26:27]
	ds_read2_b64 v[88:91], v82 offset0:29 offset1:30
	s_waitcnt lgkmcnt(0)
	v_fma_f64 v[24:25], -v[66:67], v[92:93], v[24:25]
	v_fma_f64 v[22:23], -v[66:67], v[94:95], v[22:23]
	ds_read2_b64 v[92:95], v82 offset0:31 offset1:32
	v_fma_f64 v[20:21], -v[66:67], v[96:97], v[20:21]
	v_fma_f64 v[18:19], -v[66:67], v[98:99], v[18:19]
	;; [unrolled: 1-line block ×3, first 2 shown]
	ds_read2_b64 v[96:99], v82 offset0:33 offset1:34
	v_fma_f64 v[16:17], -v[66:67], v[90:91], v[16:17]
	ds_read2_b64 v[88:91], v82 offset0:35 offset1:36
	s_waitcnt lgkmcnt(0)
	v_fma_f64 v[12:13], -v[66:67], v[92:93], v[12:13]
	v_fma_f64 v[10:11], -v[66:67], v[94:95], v[10:11]
	;; [unrolled: 1-line block ×6, first 2 shown]
.LBB72_80:
	s_or_b64 exec, exec, s[0:1]
	v_lshl_add_u32 v78, v83, 3, v82
	s_barrier
	ds_write_b64 v78, v[64:65]
	s_waitcnt lgkmcnt(0)
	s_barrier
	ds_read_b64 v[78:79], v82 offset:40
	s_cmp_lt_i32 s18, 7
	v_mov_b32_e32 v80, 5
	s_cbranch_scc1 .LBB72_83
; %bb.81:
	v_add3_u32 v88, v87, 0, 48
	s_mov_b32 s0, 6
	v_mov_b32_e32 v80, 5
.LBB72_82:                              ; =>This Inner Loop Header: Depth=1
	ds_read_b64 v[90:91], v88
	v_mov_b32_e32 v89, s0
	s_add_i32 s0, s0, 1
	v_add_u32_e32 v88, 8, v88
	s_cmp_lg_u32 s18, s0
	s_waitcnt lgkmcnt(0)
	v_cmp_lt_f64_e64 vcc, |v[78:79]|, |v[90:91]|
	v_cndmask_b32_e32 v79, v79, v91, vcc
	v_cndmask_b32_e32 v78, v78, v90, vcc
	;; [unrolled: 1-line block ×3, first 2 shown]
	s_cbranch_scc1 .LBB72_82
.LBB72_83:
	s_waitcnt lgkmcnt(0)
	v_cmp_eq_f64_e32 vcc, 0, v[78:79]
	s_and_saveexec_b64 s[0:1], vcc
	s_xor_b64 s[0:1], exec, s[0:1]
; %bb.84:
	v_cmp_ne_u32_e32 vcc, 0, v86
	v_cndmask_b32_e32 v86, 6, v86, vcc
; %bb.85:
	s_andn2_saveexec_b64 s[0:1], s[0:1]
; %bb.86:
	v_div_scale_f64 v[88:89], s[2:3], v[78:79], v[78:79], 1.0
	v_rcp_f64_e32 v[90:91], v[88:89]
	v_div_scale_f64 v[92:93], vcc, 1.0, v[78:79], 1.0
	v_fma_f64 v[94:95], -v[88:89], v[90:91], 1.0
	v_fmac_f64_e32 v[90:91], v[90:91], v[94:95]
	v_fma_f64 v[94:95], -v[88:89], v[90:91], 1.0
	v_fmac_f64_e32 v[90:91], v[90:91], v[94:95]
	v_mul_f64 v[94:95], v[92:93], v[90:91]
	v_fma_f64 v[88:89], -v[88:89], v[94:95], v[92:93]
	v_div_fmas_f64 v[88:89], v[88:89], v[90:91], v[94:95]
	v_div_fixup_f64 v[78:79], v[88:89], v[78:79], 1.0
; %bb.87:
	s_or_b64 exec, exec, s[0:1]
	v_cmp_ne_u32_e32 vcc, v83, v80
	s_and_saveexec_b64 s[0:1], vcc
	s_xor_b64 s[0:1], exec, s[0:1]
	s_cbranch_execz .LBB72_93
; %bb.88:
	v_cmp_eq_u32_e32 vcc, 5, v83
	s_and_saveexec_b64 s[2:3], vcc
	s_cbranch_execz .LBB72_92
; %bb.89:
	v_cmp_ne_u32_e32 vcc, 5, v80
	s_xor_b64 s[14:15], s[6:7], -1
	s_and_b64 s[16:17], s[14:15], vcc
	s_and_saveexec_b64 s[14:15], s[16:17]
	s_cbranch_execz .LBB72_91
; %bb.90:
	v_ashrrev_i32_e32 v81, 31, v80
	v_lshlrev_b64 v[88:89], 2, v[80:81]
	v_add_co_u32_e32 v88, vcc, v4, v88
	v_addc_co_u32_e32 v89, vcc, v5, v89, vcc
	flat_load_dword v81, v[88:89]
	flat_load_dword v83, v[4:5] offset:20
	s_waitcnt vmcnt(0) lgkmcnt(0)
	flat_store_dword v[4:5], v81 offset:20
	flat_store_dword v[88:89], v83
.LBB72_91:
	s_or_b64 exec, exec, s[14:15]
	v_mov_b32_e32 v81, v80
	v_mov_b32_e32 v83, v80
.LBB72_92:
	s_or_b64 exec, exec, s[2:3]
.LBB72_93:
	s_andn2_saveexec_b64 s[0:1], s[0:1]
	s_cbranch_execz .LBB72_95
; %bb.94:
	v_mov_b32_e32 v88, v62
	v_mov_b32_e32 v89, v63
	v_mov_b32_e32 v90, v60
	v_mov_b32_e32 v91, v61
	ds_write2_b64 v82, v[88:89], v[90:91] offset0:6 offset1:7
	v_mov_b32_e32 v88, v58
	v_mov_b32_e32 v89, v59
	v_mov_b32_e32 v90, v56
	v_mov_b32_e32 v91, v57
	ds_write2_b64 v82, v[88:89], v[90:91] offset0:8 offset1:9
	;; [unrolled: 5-line block ×14, first 2 shown]
	v_mov_b32_e32 v88, v6
	v_mov_b32_e32 v89, v7
	;; [unrolled: 1-line block ×5, first 2 shown]
	ds_write2_b64 v82, v[88:89], v[90:91] offset0:34 offset1:35
	ds_write_b64 v82, v[76:77] offset:288
.LBB72_95:
	s_or_b64 exec, exec, s[0:1]
	v_cmp_lt_i32_e32 vcc, 5, v83
	s_waitcnt lgkmcnt(0)
	s_barrier
	s_and_saveexec_b64 s[0:1], vcc
	s_cbranch_execz .LBB72_97
; %bb.96:
	ds_read2_b64 v[88:91], v82 offset0:6 offset1:7
	ds_read2_b64 v[92:95], v82 offset0:8 offset1:9
	;; [unrolled: 1-line block ×3, first 2 shown]
	v_mul_f64 v[64:65], v[78:79], v[64:65]
	ds_read_b64 v[78:79], v82 offset:288
	s_waitcnt lgkmcnt(0)
	v_fma_f64 v[62:63], -v[64:65], v[88:89], v[62:63]
	v_fma_f64 v[60:61], -v[64:65], v[90:91], v[60:61]
	ds_read2_b64 v[88:91], v82 offset0:12 offset1:13
	v_fma_f64 v[58:59], -v[64:65], v[92:93], v[58:59]
	v_fma_f64 v[56:57], -v[64:65], v[94:95], v[56:57]
	;; [unrolled: 1-line block ×3, first 2 shown]
	ds_read2_b64 v[92:95], v82 offset0:14 offset1:15
	v_fma_f64 v[52:53], -v[64:65], v[98:99], v[52:53]
	ds_read2_b64 v[96:99], v82 offset0:16 offset1:17
	s_waitcnt lgkmcnt(0)
	v_fma_f64 v[50:51], -v[64:65], v[88:89], v[50:51]
	v_fma_f64 v[48:49], -v[64:65], v[90:91], v[48:49]
	;; [unrolled: 1-line block ×3, first 2 shown]
	ds_read2_b64 v[88:91], v82 offset0:18 offset1:19
	v_fma_f64 v[46:47], -v[64:65], v[94:95], v[46:47]
	ds_read2_b64 v[92:95], v82 offset0:20 offset1:21
	v_fma_f64 v[42:43], -v[64:65], v[96:97], v[42:43]
	v_fma_f64 v[40:41], -v[64:65], v[98:99], v[40:41]
	ds_read2_b64 v[96:99], v82 offset0:22 offset1:23
	s_waitcnt lgkmcnt(0)
	v_fma_f64 v[38:39], -v[64:65], v[88:89], v[38:39]
	v_fma_f64 v[36:37], -v[64:65], v[90:91], v[36:37]
	ds_read2_b64 v[88:91], v82 offset0:24 offset1:25
	v_fma_f64 v[34:35], -v[64:65], v[92:93], v[34:35]
	v_fma_f64 v[32:33], -v[64:65], v[94:95], v[32:33]
	;; [unrolled: 1-line block ×3, first 2 shown]
	ds_read2_b64 v[92:95], v82 offset0:26 offset1:27
	v_fma_f64 v[28:29], -v[64:65], v[98:99], v[28:29]
	ds_read2_b64 v[96:99], v82 offset0:28 offset1:29
	s_waitcnt lgkmcnt(0)
	v_fma_f64 v[26:27], -v[64:65], v[88:89], v[26:27]
	v_fma_f64 v[24:25], -v[64:65], v[90:91], v[24:25]
	v_fma_f64 v[22:23], -v[64:65], v[92:93], v[22:23]
	ds_read2_b64 v[88:91], v82 offset0:30 offset1:31
	v_fma_f64 v[20:21], -v[64:65], v[94:95], v[20:21]
	ds_read2_b64 v[92:95], v82 offset0:32 offset1:33
	v_fma_f64 v[18:19], -v[64:65], v[96:97], v[18:19]
	v_fma_f64 v[14:15], -v[64:65], v[98:99], v[14:15]
	ds_read2_b64 v[96:99], v82 offset0:34 offset1:35
	s_waitcnt lgkmcnt(0)
	v_fma_f64 v[16:17], -v[64:65], v[88:89], v[16:17]
	v_fma_f64 v[12:13], -v[64:65], v[90:91], v[12:13]
	;; [unrolled: 1-line block ×7, first 2 shown]
.LBB72_97:
	s_or_b64 exec, exec, s[0:1]
	v_lshl_add_u32 v78, v83, 3, v82
	s_barrier
	ds_write_b64 v78, v[62:63]
	s_waitcnt lgkmcnt(0)
	s_barrier
	ds_read_b64 v[78:79], v82 offset:48
	s_cmp_lt_i32 s18, 8
	v_mov_b32_e32 v80, 6
	s_cbranch_scc1 .LBB72_100
; %bb.98:
	v_add3_u32 v88, v87, 0, 56
	s_mov_b32 s0, 7
	v_mov_b32_e32 v80, 6
.LBB72_99:                              ; =>This Inner Loop Header: Depth=1
	ds_read_b64 v[90:91], v88
	v_mov_b32_e32 v89, s0
	s_add_i32 s0, s0, 1
	v_add_u32_e32 v88, 8, v88
	s_cmp_lg_u32 s18, s0
	s_waitcnt lgkmcnt(0)
	v_cmp_lt_f64_e64 vcc, |v[78:79]|, |v[90:91]|
	v_cndmask_b32_e32 v79, v79, v91, vcc
	v_cndmask_b32_e32 v78, v78, v90, vcc
	;; [unrolled: 1-line block ×3, first 2 shown]
	s_cbranch_scc1 .LBB72_99
.LBB72_100:
	s_waitcnt lgkmcnt(0)
	v_cmp_eq_f64_e32 vcc, 0, v[78:79]
	s_and_saveexec_b64 s[0:1], vcc
	s_xor_b64 s[0:1], exec, s[0:1]
; %bb.101:
	v_cmp_ne_u32_e32 vcc, 0, v86
	v_cndmask_b32_e32 v86, 7, v86, vcc
; %bb.102:
	s_andn2_saveexec_b64 s[0:1], s[0:1]
; %bb.103:
	v_div_scale_f64 v[88:89], s[2:3], v[78:79], v[78:79], 1.0
	v_rcp_f64_e32 v[90:91], v[88:89]
	v_div_scale_f64 v[92:93], vcc, 1.0, v[78:79], 1.0
	v_fma_f64 v[94:95], -v[88:89], v[90:91], 1.0
	v_fmac_f64_e32 v[90:91], v[90:91], v[94:95]
	v_fma_f64 v[94:95], -v[88:89], v[90:91], 1.0
	v_fmac_f64_e32 v[90:91], v[90:91], v[94:95]
	v_mul_f64 v[94:95], v[92:93], v[90:91]
	v_fma_f64 v[88:89], -v[88:89], v[94:95], v[92:93]
	v_div_fmas_f64 v[88:89], v[88:89], v[90:91], v[94:95]
	v_div_fixup_f64 v[78:79], v[88:89], v[78:79], 1.0
; %bb.104:
	s_or_b64 exec, exec, s[0:1]
	v_cmp_ne_u32_e32 vcc, v83, v80
	s_and_saveexec_b64 s[0:1], vcc
	s_xor_b64 s[0:1], exec, s[0:1]
	s_cbranch_execz .LBB72_110
; %bb.105:
	v_cmp_eq_u32_e32 vcc, 6, v83
	s_and_saveexec_b64 s[2:3], vcc
	s_cbranch_execz .LBB72_109
; %bb.106:
	v_cmp_ne_u32_e32 vcc, 6, v80
	s_xor_b64 s[14:15], s[6:7], -1
	s_and_b64 s[16:17], s[14:15], vcc
	s_and_saveexec_b64 s[14:15], s[16:17]
	s_cbranch_execz .LBB72_108
; %bb.107:
	v_ashrrev_i32_e32 v81, 31, v80
	v_lshlrev_b64 v[88:89], 2, v[80:81]
	v_add_co_u32_e32 v88, vcc, v4, v88
	v_addc_co_u32_e32 v89, vcc, v5, v89, vcc
	flat_load_dword v81, v[88:89]
	flat_load_dword v83, v[4:5] offset:24
	s_waitcnt vmcnt(0) lgkmcnt(0)
	flat_store_dword v[4:5], v81 offset:24
	flat_store_dword v[88:89], v83
.LBB72_108:
	s_or_b64 exec, exec, s[14:15]
	v_mov_b32_e32 v81, v80
	v_mov_b32_e32 v83, v80
.LBB72_109:
	s_or_b64 exec, exec, s[2:3]
.LBB72_110:
	s_andn2_saveexec_b64 s[0:1], s[0:1]
	s_cbranch_execz .LBB72_112
; %bb.111:
	v_mov_b32_e32 v83, 6
	ds_write2_b64 v82, v[60:61], v[58:59] offset0:7 offset1:8
	ds_write2_b64 v82, v[56:57], v[54:55] offset0:9 offset1:10
	;; [unrolled: 1-line block ×15, first 2 shown]
.LBB72_112:
	s_or_b64 exec, exec, s[0:1]
	v_cmp_lt_i32_e32 vcc, 6, v83
	s_waitcnt lgkmcnt(0)
	s_barrier
	s_and_saveexec_b64 s[0:1], vcc
	s_cbranch_execz .LBB72_114
; %bb.113:
	ds_read2_b64 v[88:91], v82 offset0:7 offset1:8
	ds_read2_b64 v[92:95], v82 offset0:9 offset1:10
	;; [unrolled: 1-line block ×3, first 2 shown]
	v_mul_f64 v[62:63], v[78:79], v[62:63]
	s_waitcnt lgkmcnt(0)
	v_fma_f64 v[60:61], -v[62:63], v[88:89], v[60:61]
	v_fma_f64 v[58:59], -v[62:63], v[90:91], v[58:59]
	ds_read2_b64 v[88:91], v82 offset0:13 offset1:14
	v_fma_f64 v[56:57], -v[62:63], v[92:93], v[56:57]
	v_fma_f64 v[54:55], -v[62:63], v[94:95], v[54:55]
	;; [unrolled: 1-line block ×3, first 2 shown]
	ds_read2_b64 v[92:95], v82 offset0:15 offset1:16
	v_fma_f64 v[50:51], -v[62:63], v[98:99], v[50:51]
	ds_read2_b64 v[96:99], v82 offset0:17 offset1:18
	s_waitcnt lgkmcnt(0)
	v_fma_f64 v[48:49], -v[62:63], v[88:89], v[48:49]
	v_fma_f64 v[44:45], -v[62:63], v[90:91], v[44:45]
	;; [unrolled: 1-line block ×3, first 2 shown]
	ds_read2_b64 v[88:91], v82 offset0:19 offset1:20
	v_fma_f64 v[42:43], -v[62:63], v[94:95], v[42:43]
	ds_read2_b64 v[92:95], v82 offset0:21 offset1:22
	v_fma_f64 v[40:41], -v[62:63], v[96:97], v[40:41]
	v_fma_f64 v[38:39], -v[62:63], v[98:99], v[38:39]
	ds_read2_b64 v[96:99], v82 offset0:23 offset1:24
	s_waitcnt lgkmcnt(0)
	v_fma_f64 v[36:37], -v[62:63], v[88:89], v[36:37]
	v_fma_f64 v[34:35], -v[62:63], v[90:91], v[34:35]
	ds_read2_b64 v[88:91], v82 offset0:25 offset1:26
	v_fma_f64 v[32:33], -v[62:63], v[92:93], v[32:33]
	v_fma_f64 v[30:31], -v[62:63], v[94:95], v[30:31]
	;; [unrolled: 1-line block ×3, first 2 shown]
	ds_read2_b64 v[92:95], v82 offset0:27 offset1:28
	v_fma_f64 v[26:27], -v[62:63], v[98:99], v[26:27]
	ds_read2_b64 v[96:99], v82 offset0:29 offset1:30
	s_waitcnt lgkmcnt(0)
	v_fma_f64 v[24:25], -v[62:63], v[88:89], v[24:25]
	v_fma_f64 v[22:23], -v[62:63], v[90:91], v[22:23]
	;; [unrolled: 1-line block ×4, first 2 shown]
	ds_read2_b64 v[88:91], v82 offset0:31 offset1:32
	ds_read2_b64 v[92:95], v82 offset0:33 offset1:34
	v_fma_f64 v[14:15], -v[62:63], v[96:97], v[14:15]
	v_fma_f64 v[16:17], -v[62:63], v[98:99], v[16:17]
	ds_read2_b64 v[96:99], v82 offset0:35 offset1:36
	s_waitcnt lgkmcnt(0)
	v_fma_f64 v[12:13], -v[62:63], v[88:89], v[12:13]
	v_fma_f64 v[10:11], -v[62:63], v[90:91], v[10:11]
	;; [unrolled: 1-line block ×6, first 2 shown]
.LBB72_114:
	s_or_b64 exec, exec, s[0:1]
	v_lshl_add_u32 v78, v83, 3, v82
	s_barrier
	ds_write_b64 v78, v[60:61]
	s_waitcnt lgkmcnt(0)
	s_barrier
	ds_read_b64 v[78:79], v82 offset:56
	s_cmp_lt_i32 s18, 9
	v_mov_b32_e32 v80, 7
	s_cbranch_scc1 .LBB72_117
; %bb.115:
	v_add3_u32 v87, v87, 0, 64
	s_mov_b32 s0, 8
	v_mov_b32_e32 v80, 7
.LBB72_116:                             ; =>This Inner Loop Header: Depth=1
	ds_read_b64 v[88:89], v87
	v_mov_b32_e32 v90, s0
	s_add_i32 s0, s0, 1
	v_add_u32_e32 v87, 8, v87
	s_cmp_lg_u32 s18, s0
	s_waitcnt lgkmcnt(0)
	v_cmp_lt_f64_e64 vcc, |v[78:79]|, |v[88:89]|
	v_cndmask_b32_e32 v79, v79, v89, vcc
	v_cndmask_b32_e32 v78, v78, v88, vcc
	;; [unrolled: 1-line block ×3, first 2 shown]
	s_cbranch_scc1 .LBB72_116
.LBB72_117:
	s_waitcnt lgkmcnt(0)
	v_cmp_eq_f64_e32 vcc, 0, v[78:79]
	s_and_saveexec_b64 s[0:1], vcc
	s_xor_b64 s[0:1], exec, s[0:1]
; %bb.118:
	v_cmp_ne_u32_e32 vcc, 0, v86
	v_cndmask_b32_e32 v86, 8, v86, vcc
; %bb.119:
	s_andn2_saveexec_b64 s[0:1], s[0:1]
; %bb.120:
	v_div_scale_f64 v[88:89], s[2:3], v[78:79], v[78:79], 1.0
	v_rcp_f64_e32 v[90:91], v[88:89]
	v_div_scale_f64 v[92:93], vcc, 1.0, v[78:79], 1.0
	v_fma_f64 v[94:95], -v[88:89], v[90:91], 1.0
	v_fmac_f64_e32 v[90:91], v[90:91], v[94:95]
	v_fma_f64 v[94:95], -v[88:89], v[90:91], 1.0
	v_fmac_f64_e32 v[90:91], v[90:91], v[94:95]
	v_mul_f64 v[94:95], v[92:93], v[90:91]
	v_fma_f64 v[88:89], -v[88:89], v[94:95], v[92:93]
	v_div_fmas_f64 v[88:89], v[88:89], v[90:91], v[94:95]
	v_div_fixup_f64 v[78:79], v[88:89], v[78:79], 1.0
; %bb.121:
	s_or_b64 exec, exec, s[0:1]
	v_cmp_ne_u32_e32 vcc, v83, v80
	s_and_saveexec_b64 s[0:1], vcc
	s_xor_b64 s[0:1], exec, s[0:1]
	s_cbranch_execz .LBB72_127
; %bb.122:
	v_cmp_eq_u32_e32 vcc, 7, v83
	s_and_saveexec_b64 s[2:3], vcc
	s_cbranch_execz .LBB72_126
; %bb.123:
	v_cmp_ne_u32_e32 vcc, 7, v80
	s_xor_b64 s[14:15], s[6:7], -1
	s_and_b64 s[16:17], s[14:15], vcc
	s_and_saveexec_b64 s[14:15], s[16:17]
	s_cbranch_execz .LBB72_125
; %bb.124:
	v_ashrrev_i32_e32 v81, 31, v80
	v_lshlrev_b64 v[88:89], 2, v[80:81]
	v_add_co_u32_e32 v88, vcc, v4, v88
	v_addc_co_u32_e32 v89, vcc, v5, v89, vcc
	flat_load_dword v81, v[88:89]
	flat_load_dword v83, v[4:5] offset:28
	s_waitcnt vmcnt(0) lgkmcnt(0)
	flat_store_dword v[4:5], v81 offset:28
	flat_store_dword v[88:89], v83
.LBB72_125:
	s_or_b64 exec, exec, s[14:15]
	v_mov_b32_e32 v81, v80
	v_mov_b32_e32 v83, v80
.LBB72_126:
	s_or_b64 exec, exec, s[2:3]
.LBB72_127:
	s_andn2_saveexec_b64 s[0:1], s[0:1]
	s_cbranch_execz .LBB72_129
; %bb.128:
	v_mov_b32_e32 v88, v58
	v_mov_b32_e32 v89, v59
	v_mov_b32_e32 v90, v56
	v_mov_b32_e32 v91, v57
	ds_write2_b64 v82, v[88:89], v[90:91] offset0:8 offset1:9
	v_mov_b32_e32 v88, v54
	v_mov_b32_e32 v89, v55
	v_mov_b32_e32 v90, v52
	v_mov_b32_e32 v91, v53
	ds_write2_b64 v82, v[88:89], v[90:91] offset0:10 offset1:11
	;; [unrolled: 5-line block ×13, first 2 shown]
	v_mov_b32_e32 v88, v6
	v_mov_b32_e32 v89, v7
	;; [unrolled: 1-line block ×5, first 2 shown]
	ds_write2_b64 v82, v[88:89], v[90:91] offset0:34 offset1:35
	ds_write_b64 v82, v[76:77] offset:288
.LBB72_129:
	s_or_b64 exec, exec, s[0:1]
	v_cmp_lt_i32_e32 vcc, 7, v83
	s_waitcnt lgkmcnt(0)
	s_barrier
	s_and_saveexec_b64 s[0:1], vcc
	s_cbranch_execz .LBB72_131
; %bb.130:
	ds_read2_b64 v[88:91], v82 offset0:8 offset1:9
	ds_read2_b64 v[92:95], v82 offset0:10 offset1:11
	v_mul_f64 v[60:61], v[78:79], v[60:61]
	ds_read2_b64 v[96:99], v82 offset0:12 offset1:13
	ds_read_b64 v[78:79], v82 offset:288
	s_waitcnt lgkmcnt(0)
	v_fma_f64 v[58:59], -v[60:61], v[88:89], v[58:59]
	v_fma_f64 v[56:57], -v[60:61], v[90:91], v[56:57]
	ds_read2_b64 v[88:91], v82 offset0:14 offset1:15
	v_fma_f64 v[54:55], -v[60:61], v[92:93], v[54:55]
	v_fma_f64 v[52:53], -v[60:61], v[94:95], v[52:53]
	ds_read2_b64 v[92:95], v82 offset0:16 offset1:17
	;; [unrolled: 3-line block ×3, first 2 shown]
	s_waitcnt lgkmcnt(0)
	v_fma_f64 v[44:45], -v[60:61], v[88:89], v[44:45]
	v_fma_f64 v[46:47], -v[60:61], v[90:91], v[46:47]
	;; [unrolled: 1-line block ×3, first 2 shown]
	ds_read2_b64 v[88:91], v82 offset0:20 offset1:21
	v_fma_f64 v[40:41], -v[60:61], v[94:95], v[40:41]
	ds_read2_b64 v[92:95], v82 offset0:22 offset1:23
	v_fma_f64 v[38:39], -v[60:61], v[96:97], v[38:39]
	v_fma_f64 v[36:37], -v[60:61], v[98:99], v[36:37]
	s_waitcnt lgkmcnt(0)
	v_fma_f64 v[34:35], -v[60:61], v[88:89], v[34:35]
	ds_read2_b64 v[96:99], v82 offset0:24 offset1:25
	v_fma_f64 v[32:33], -v[60:61], v[90:91], v[32:33]
	ds_read2_b64 v[88:91], v82 offset0:26 offset1:27
	v_fma_f64 v[30:31], -v[60:61], v[92:93], v[30:31]
	v_fma_f64 v[28:29], -v[60:61], v[94:95], v[28:29]
	ds_read2_b64 v[92:95], v82 offset0:28 offset1:29
	s_waitcnt lgkmcnt(0)
	v_fma_f64 v[26:27], -v[60:61], v[96:97], v[26:27]
	v_fma_f64 v[24:25], -v[60:61], v[98:99], v[24:25]
	ds_read2_b64 v[96:99], v82 offset0:30 offset1:31
	v_fma_f64 v[22:23], -v[60:61], v[88:89], v[22:23]
	v_fma_f64 v[20:21], -v[60:61], v[90:91], v[20:21]
	;; [unrolled: 1-line block ×4, first 2 shown]
	ds_read2_b64 v[88:91], v82 offset0:32 offset1:33
	ds_read2_b64 v[92:95], v82 offset0:34 offset1:35
	s_waitcnt lgkmcnt(0)
	v_fma_f64 v[16:17], -v[60:61], v[96:97], v[16:17]
	v_fma_f64 v[12:13], -v[60:61], v[98:99], v[12:13]
	;; [unrolled: 1-line block ×7, first 2 shown]
.LBB72_131:
	s_or_b64 exec, exec, s[0:1]
	v_lshl_add_u32 v78, v83, 3, v82
	s_barrier
	ds_write_b64 v78, v[58:59]
	s_waitcnt lgkmcnt(0)
	s_barrier
	ds_read_b64 v[78:79], v82 offset:64
	s_cmp_lt_i32 s18, 10
	v_mov_b32_e32 v80, 8
	s_cbranch_scc1 .LBB72_134
; %bb.132:
	v_add_u32_e32 v87, 0x48, v82
	s_mov_b32 s0, 9
	v_mov_b32_e32 v80, 8
.LBB72_133:                             ; =>This Inner Loop Header: Depth=1
	ds_read_b64 v[88:89], v87
	v_mov_b32_e32 v90, s0
	s_add_i32 s0, s0, 1
	v_add_u32_e32 v87, 8, v87
	s_cmp_lg_u32 s18, s0
	s_waitcnt lgkmcnt(0)
	v_cmp_lt_f64_e64 vcc, |v[78:79]|, |v[88:89]|
	v_cndmask_b32_e32 v79, v79, v89, vcc
	v_cndmask_b32_e32 v78, v78, v88, vcc
	;; [unrolled: 1-line block ×3, first 2 shown]
	s_cbranch_scc1 .LBB72_133
.LBB72_134:
	s_waitcnt lgkmcnt(0)
	v_cmp_eq_f64_e32 vcc, 0, v[78:79]
	s_and_saveexec_b64 s[0:1], vcc
	s_xor_b64 s[0:1], exec, s[0:1]
; %bb.135:
	v_cmp_ne_u32_e32 vcc, 0, v86
	v_cndmask_b32_e32 v86, 9, v86, vcc
; %bb.136:
	s_andn2_saveexec_b64 s[0:1], s[0:1]
; %bb.137:
	v_div_scale_f64 v[88:89], s[2:3], v[78:79], v[78:79], 1.0
	v_rcp_f64_e32 v[90:91], v[88:89]
	v_div_scale_f64 v[92:93], vcc, 1.0, v[78:79], 1.0
	v_fma_f64 v[94:95], -v[88:89], v[90:91], 1.0
	v_fmac_f64_e32 v[90:91], v[90:91], v[94:95]
	v_fma_f64 v[94:95], -v[88:89], v[90:91], 1.0
	v_fmac_f64_e32 v[90:91], v[90:91], v[94:95]
	v_mul_f64 v[94:95], v[92:93], v[90:91]
	v_fma_f64 v[88:89], -v[88:89], v[94:95], v[92:93]
	v_div_fmas_f64 v[88:89], v[88:89], v[90:91], v[94:95]
	v_div_fixup_f64 v[78:79], v[88:89], v[78:79], 1.0
; %bb.138:
	s_or_b64 exec, exec, s[0:1]
	v_cmp_ne_u32_e32 vcc, v83, v80
	s_and_saveexec_b64 s[0:1], vcc
	s_xor_b64 s[0:1], exec, s[0:1]
	s_cbranch_execz .LBB72_144
; %bb.139:
	v_cmp_eq_u32_e32 vcc, 8, v83
	s_and_saveexec_b64 s[2:3], vcc
	s_cbranch_execz .LBB72_143
; %bb.140:
	v_cmp_ne_u32_e32 vcc, 8, v80
	s_xor_b64 s[14:15], s[6:7], -1
	s_and_b64 s[16:17], s[14:15], vcc
	s_and_saveexec_b64 s[14:15], s[16:17]
	s_cbranch_execz .LBB72_142
; %bb.141:
	v_ashrrev_i32_e32 v81, 31, v80
	v_lshlrev_b64 v[88:89], 2, v[80:81]
	v_add_co_u32_e32 v88, vcc, v4, v88
	v_addc_co_u32_e32 v89, vcc, v5, v89, vcc
	flat_load_dword v81, v[88:89]
	flat_load_dword v83, v[4:5] offset:32
	s_waitcnt vmcnt(0) lgkmcnt(0)
	flat_store_dword v[4:5], v81 offset:32
	flat_store_dword v[88:89], v83
.LBB72_142:
	s_or_b64 exec, exec, s[14:15]
	v_mov_b32_e32 v81, v80
	v_mov_b32_e32 v83, v80
.LBB72_143:
	s_or_b64 exec, exec, s[2:3]
.LBB72_144:
	s_andn2_saveexec_b64 s[0:1], s[0:1]
	s_cbranch_execz .LBB72_146
; %bb.145:
	v_mov_b32_e32 v83, 8
	ds_write2_b64 v82, v[56:57], v[54:55] offset0:9 offset1:10
	ds_write2_b64 v82, v[52:53], v[50:51] offset0:11 offset1:12
	;; [unrolled: 1-line block ×14, first 2 shown]
.LBB72_146:
	s_or_b64 exec, exec, s[0:1]
	v_cmp_lt_i32_e32 vcc, 8, v83
	s_waitcnt lgkmcnt(0)
	s_barrier
	s_and_saveexec_b64 s[0:1], vcc
	s_cbranch_execz .LBB72_148
; %bb.147:
	ds_read2_b64 v[88:91], v82 offset0:9 offset1:10
	ds_read2_b64 v[92:95], v82 offset0:11 offset1:12
	v_mul_f64 v[58:59], v[78:79], v[58:59]
	ds_read2_b64 v[96:99], v82 offset0:13 offset1:14
	s_waitcnt lgkmcnt(0)
	v_fma_f64 v[56:57], -v[58:59], v[88:89], v[56:57]
	v_fma_f64 v[54:55], -v[58:59], v[90:91], v[54:55]
	ds_read2_b64 v[88:91], v82 offset0:15 offset1:16
	v_fma_f64 v[52:53], -v[58:59], v[92:93], v[52:53]
	v_fma_f64 v[50:51], -v[58:59], v[94:95], v[50:51]
	ds_read2_b64 v[92:95], v82 offset0:17 offset1:18
	;; [unrolled: 3-line block ×3, first 2 shown]
	s_waitcnt lgkmcnt(0)
	v_fma_f64 v[46:47], -v[58:59], v[88:89], v[46:47]
	v_fma_f64 v[42:43], -v[58:59], v[90:91], v[42:43]
	;; [unrolled: 1-line block ×3, first 2 shown]
	ds_read2_b64 v[88:91], v82 offset0:21 offset1:22
	v_fma_f64 v[38:39], -v[58:59], v[94:95], v[38:39]
	ds_read2_b64 v[92:95], v82 offset0:23 offset1:24
	v_fma_f64 v[36:37], -v[58:59], v[96:97], v[36:37]
	v_fma_f64 v[34:35], -v[58:59], v[98:99], v[34:35]
	s_waitcnt lgkmcnt(0)
	v_fma_f64 v[32:33], -v[58:59], v[88:89], v[32:33]
	ds_read2_b64 v[96:99], v82 offset0:25 offset1:26
	v_fma_f64 v[30:31], -v[58:59], v[90:91], v[30:31]
	ds_read2_b64 v[88:91], v82 offset0:27 offset1:28
	v_fma_f64 v[28:29], -v[58:59], v[92:93], v[28:29]
	v_fma_f64 v[26:27], -v[58:59], v[94:95], v[26:27]
	ds_read2_b64 v[92:95], v82 offset0:29 offset1:30
	s_waitcnt lgkmcnt(0)
	v_fma_f64 v[24:25], -v[58:59], v[96:97], v[24:25]
	v_fma_f64 v[22:23], -v[58:59], v[98:99], v[22:23]
	;; [unrolled: 1-line block ×4, first 2 shown]
	ds_read2_b64 v[88:91], v82 offset0:31 offset1:32
	v_fma_f64 v[14:15], -v[58:59], v[92:93], v[14:15]
	ds_read2_b64 v[96:99], v82 offset0:33 offset1:34
	v_fma_f64 v[16:17], -v[58:59], v[94:95], v[16:17]
	ds_read2_b64 v[92:95], v82 offset0:35 offset1:36
	s_waitcnt lgkmcnt(0)
	v_fma_f64 v[12:13], -v[58:59], v[88:89], v[12:13]
	v_fma_f64 v[10:11], -v[58:59], v[90:91], v[10:11]
	;; [unrolled: 1-line block ×6, first 2 shown]
.LBB72_148:
	s_or_b64 exec, exec, s[0:1]
	v_lshl_add_u32 v78, v83, 3, v82
	s_barrier
	ds_write_b64 v78, v[56:57]
	s_waitcnt lgkmcnt(0)
	s_barrier
	ds_read_b64 v[78:79], v82 offset:72
	s_cmp_lt_i32 s18, 11
	v_mov_b32_e32 v80, 9
	s_cbranch_scc1 .LBB72_151
; %bb.149:
	v_add_u32_e32 v87, 0x50, v82
	s_mov_b32 s0, 10
	v_mov_b32_e32 v80, 9
.LBB72_150:                             ; =>This Inner Loop Header: Depth=1
	ds_read_b64 v[88:89], v87
	v_mov_b32_e32 v90, s0
	s_add_i32 s0, s0, 1
	v_add_u32_e32 v87, 8, v87
	s_cmp_lg_u32 s18, s0
	s_waitcnt lgkmcnt(0)
	v_cmp_lt_f64_e64 vcc, |v[78:79]|, |v[88:89]|
	v_cndmask_b32_e32 v79, v79, v89, vcc
	v_cndmask_b32_e32 v78, v78, v88, vcc
	;; [unrolled: 1-line block ×3, first 2 shown]
	s_cbranch_scc1 .LBB72_150
.LBB72_151:
	s_waitcnt lgkmcnt(0)
	v_cmp_eq_f64_e32 vcc, 0, v[78:79]
	s_and_saveexec_b64 s[0:1], vcc
	s_xor_b64 s[0:1], exec, s[0:1]
; %bb.152:
	v_cmp_ne_u32_e32 vcc, 0, v86
	v_cndmask_b32_e32 v86, 10, v86, vcc
; %bb.153:
	s_andn2_saveexec_b64 s[0:1], s[0:1]
; %bb.154:
	v_div_scale_f64 v[88:89], s[2:3], v[78:79], v[78:79], 1.0
	v_rcp_f64_e32 v[90:91], v[88:89]
	v_div_scale_f64 v[92:93], vcc, 1.0, v[78:79], 1.0
	v_fma_f64 v[94:95], -v[88:89], v[90:91], 1.0
	v_fmac_f64_e32 v[90:91], v[90:91], v[94:95]
	v_fma_f64 v[94:95], -v[88:89], v[90:91], 1.0
	v_fmac_f64_e32 v[90:91], v[90:91], v[94:95]
	v_mul_f64 v[94:95], v[92:93], v[90:91]
	v_fma_f64 v[88:89], -v[88:89], v[94:95], v[92:93]
	v_div_fmas_f64 v[88:89], v[88:89], v[90:91], v[94:95]
	v_div_fixup_f64 v[78:79], v[88:89], v[78:79], 1.0
; %bb.155:
	s_or_b64 exec, exec, s[0:1]
	v_cmp_ne_u32_e32 vcc, v83, v80
	s_and_saveexec_b64 s[0:1], vcc
	s_xor_b64 s[0:1], exec, s[0:1]
	s_cbranch_execz .LBB72_161
; %bb.156:
	v_cmp_eq_u32_e32 vcc, 9, v83
	s_and_saveexec_b64 s[2:3], vcc
	s_cbranch_execz .LBB72_160
; %bb.157:
	v_cmp_ne_u32_e32 vcc, 9, v80
	s_xor_b64 s[14:15], s[6:7], -1
	s_and_b64 s[16:17], s[14:15], vcc
	s_and_saveexec_b64 s[14:15], s[16:17]
	s_cbranch_execz .LBB72_159
; %bb.158:
	v_ashrrev_i32_e32 v81, 31, v80
	v_lshlrev_b64 v[88:89], 2, v[80:81]
	v_add_co_u32_e32 v88, vcc, v4, v88
	v_addc_co_u32_e32 v89, vcc, v5, v89, vcc
	flat_load_dword v81, v[88:89]
	flat_load_dword v83, v[4:5] offset:36
	s_waitcnt vmcnt(0) lgkmcnt(0)
	flat_store_dword v[4:5], v81 offset:36
	flat_store_dword v[88:89], v83
.LBB72_159:
	s_or_b64 exec, exec, s[14:15]
	v_mov_b32_e32 v81, v80
	v_mov_b32_e32 v83, v80
.LBB72_160:
	s_or_b64 exec, exec, s[2:3]
.LBB72_161:
	s_andn2_saveexec_b64 s[0:1], s[0:1]
	s_cbranch_execz .LBB72_163
; %bb.162:
	v_mov_b32_e32 v88, v54
	v_mov_b32_e32 v89, v55
	v_mov_b32_e32 v90, v52
	v_mov_b32_e32 v91, v53
	ds_write2_b64 v82, v[88:89], v[90:91] offset0:10 offset1:11
	v_mov_b32_e32 v88, v50
	v_mov_b32_e32 v89, v51
	v_mov_b32_e32 v90, v48
	v_mov_b32_e32 v91, v49
	ds_write2_b64 v82, v[88:89], v[90:91] offset0:12 offset1:13
	;; [unrolled: 5-line block ×12, first 2 shown]
	v_mov_b32_e32 v88, v6
	v_mov_b32_e32 v89, v7
	;; [unrolled: 1-line block ×5, first 2 shown]
	ds_write2_b64 v82, v[88:89], v[90:91] offset0:34 offset1:35
	ds_write_b64 v82, v[76:77] offset:288
.LBB72_163:
	s_or_b64 exec, exec, s[0:1]
	v_cmp_lt_i32_e32 vcc, 9, v83
	s_waitcnt lgkmcnt(0)
	s_barrier
	s_and_saveexec_b64 s[0:1], vcc
	s_cbranch_execz .LBB72_165
; %bb.164:
	ds_read2_b64 v[88:91], v82 offset0:10 offset1:11
	ds_read2_b64 v[92:95], v82 offset0:12 offset1:13
	v_mul_f64 v[56:57], v[78:79], v[56:57]
	ds_read2_b64 v[96:99], v82 offset0:14 offset1:15
	ds_read_b64 v[78:79], v82 offset:288
	s_waitcnt lgkmcnt(0)
	v_fma_f64 v[54:55], -v[56:57], v[88:89], v[54:55]
	v_fma_f64 v[52:53], -v[56:57], v[90:91], v[52:53]
	ds_read2_b64 v[88:91], v82 offset0:16 offset1:17
	v_fma_f64 v[50:51], -v[56:57], v[92:93], v[50:51]
	v_fma_f64 v[48:49], -v[56:57], v[94:95], v[48:49]
	;; [unrolled: 1-line block ×3, first 2 shown]
	ds_read2_b64 v[92:95], v82 offset0:18 offset1:19
	v_fma_f64 v[46:47], -v[56:57], v[98:99], v[46:47]
	ds_read2_b64 v[96:99], v82 offset0:20 offset1:21
	s_waitcnt lgkmcnt(0)
	v_fma_f64 v[42:43], -v[56:57], v[88:89], v[42:43]
	v_fma_f64 v[40:41], -v[56:57], v[90:91], v[40:41]
	ds_read2_b64 v[88:91], v82 offset0:22 offset1:23
	v_fma_f64 v[38:39], -v[56:57], v[92:93], v[38:39]
	v_fma_f64 v[36:37], -v[56:57], v[94:95], v[36:37]
	ds_read2_b64 v[92:95], v82 offset0:24 offset1:25
	v_fma_f64 v[34:35], -v[56:57], v[96:97], v[34:35]
	v_fma_f64 v[32:33], -v[56:57], v[98:99], v[32:33]
	s_waitcnt lgkmcnt(0)
	v_fma_f64 v[30:31], -v[56:57], v[88:89], v[30:31]
	ds_read2_b64 v[96:99], v82 offset0:26 offset1:27
	v_fma_f64 v[28:29], -v[56:57], v[90:91], v[28:29]
	ds_read2_b64 v[88:91], v82 offset0:28 offset1:29
	v_fma_f64 v[26:27], -v[56:57], v[92:93], v[26:27]
	v_fma_f64 v[24:25], -v[56:57], v[94:95], v[24:25]
	s_waitcnt lgkmcnt(0)
	v_fma_f64 v[22:23], -v[56:57], v[96:97], v[22:23]
	ds_read2_b64 v[92:95], v82 offset0:30 offset1:31
	v_fma_f64 v[20:21], -v[56:57], v[98:99], v[20:21]
	v_fma_f64 v[18:19], -v[56:57], v[88:89], v[18:19]
	;; [unrolled: 1-line block ×3, first 2 shown]
	ds_read2_b64 v[88:91], v82 offset0:32 offset1:33
	ds_read2_b64 v[96:99], v82 offset0:34 offset1:35
	s_waitcnt lgkmcnt(0)
	v_fma_f64 v[16:17], -v[56:57], v[92:93], v[16:17]
	v_fma_f64 v[12:13], -v[56:57], v[94:95], v[12:13]
	;; [unrolled: 1-line block ×7, first 2 shown]
.LBB72_165:
	s_or_b64 exec, exec, s[0:1]
	v_lshl_add_u32 v78, v83, 3, v82
	s_barrier
	ds_write_b64 v78, v[54:55]
	s_waitcnt lgkmcnt(0)
	s_barrier
	ds_read_b64 v[78:79], v82 offset:80
	s_cmp_lt_i32 s18, 12
	v_mov_b32_e32 v80, 10
	s_cbranch_scc1 .LBB72_168
; %bb.166:
	v_add_u32_e32 v87, 0x58, v82
	s_mov_b32 s0, 11
	v_mov_b32_e32 v80, 10
.LBB72_167:                             ; =>This Inner Loop Header: Depth=1
	ds_read_b64 v[88:89], v87
	v_mov_b32_e32 v90, s0
	s_add_i32 s0, s0, 1
	v_add_u32_e32 v87, 8, v87
	s_cmp_lg_u32 s18, s0
	s_waitcnt lgkmcnt(0)
	v_cmp_lt_f64_e64 vcc, |v[78:79]|, |v[88:89]|
	v_cndmask_b32_e32 v79, v79, v89, vcc
	v_cndmask_b32_e32 v78, v78, v88, vcc
	;; [unrolled: 1-line block ×3, first 2 shown]
	s_cbranch_scc1 .LBB72_167
.LBB72_168:
	s_waitcnt lgkmcnt(0)
	v_cmp_eq_f64_e32 vcc, 0, v[78:79]
	s_and_saveexec_b64 s[0:1], vcc
	s_xor_b64 s[0:1], exec, s[0:1]
; %bb.169:
	v_cmp_ne_u32_e32 vcc, 0, v86
	v_cndmask_b32_e32 v86, 11, v86, vcc
; %bb.170:
	s_andn2_saveexec_b64 s[0:1], s[0:1]
; %bb.171:
	v_div_scale_f64 v[88:89], s[2:3], v[78:79], v[78:79], 1.0
	v_rcp_f64_e32 v[90:91], v[88:89]
	v_div_scale_f64 v[92:93], vcc, 1.0, v[78:79], 1.0
	v_fma_f64 v[94:95], -v[88:89], v[90:91], 1.0
	v_fmac_f64_e32 v[90:91], v[90:91], v[94:95]
	v_fma_f64 v[94:95], -v[88:89], v[90:91], 1.0
	v_fmac_f64_e32 v[90:91], v[90:91], v[94:95]
	v_mul_f64 v[94:95], v[92:93], v[90:91]
	v_fma_f64 v[88:89], -v[88:89], v[94:95], v[92:93]
	v_div_fmas_f64 v[88:89], v[88:89], v[90:91], v[94:95]
	v_div_fixup_f64 v[78:79], v[88:89], v[78:79], 1.0
; %bb.172:
	s_or_b64 exec, exec, s[0:1]
	v_cmp_ne_u32_e32 vcc, v83, v80
	s_and_saveexec_b64 s[0:1], vcc
	s_xor_b64 s[0:1], exec, s[0:1]
	s_cbranch_execz .LBB72_178
; %bb.173:
	v_cmp_eq_u32_e32 vcc, 10, v83
	s_and_saveexec_b64 s[2:3], vcc
	s_cbranch_execz .LBB72_177
; %bb.174:
	v_cmp_ne_u32_e32 vcc, 10, v80
	s_xor_b64 s[14:15], s[6:7], -1
	s_and_b64 s[16:17], s[14:15], vcc
	s_and_saveexec_b64 s[14:15], s[16:17]
	s_cbranch_execz .LBB72_176
; %bb.175:
	v_ashrrev_i32_e32 v81, 31, v80
	v_lshlrev_b64 v[88:89], 2, v[80:81]
	v_add_co_u32_e32 v88, vcc, v4, v88
	v_addc_co_u32_e32 v89, vcc, v5, v89, vcc
	flat_load_dword v81, v[88:89]
	flat_load_dword v83, v[4:5] offset:40
	s_waitcnt vmcnt(0) lgkmcnt(0)
	flat_store_dword v[4:5], v81 offset:40
	flat_store_dword v[88:89], v83
.LBB72_176:
	s_or_b64 exec, exec, s[14:15]
	v_mov_b32_e32 v81, v80
	v_mov_b32_e32 v83, v80
.LBB72_177:
	s_or_b64 exec, exec, s[2:3]
.LBB72_178:
	s_andn2_saveexec_b64 s[0:1], s[0:1]
	s_cbranch_execz .LBB72_180
; %bb.179:
	v_mov_b32_e32 v83, 10
	ds_write2_b64 v82, v[52:53], v[50:51] offset0:11 offset1:12
	ds_write2_b64 v82, v[48:49], v[44:45] offset0:13 offset1:14
	;; [unrolled: 1-line block ×13, first 2 shown]
.LBB72_180:
	s_or_b64 exec, exec, s[0:1]
	v_cmp_lt_i32_e32 vcc, 10, v83
	s_waitcnt lgkmcnt(0)
	s_barrier
	s_and_saveexec_b64 s[0:1], vcc
	s_cbranch_execz .LBB72_182
; %bb.181:
	ds_read2_b64 v[88:91], v82 offset0:11 offset1:12
	ds_read2_b64 v[92:95], v82 offset0:13 offset1:14
	v_mul_f64 v[54:55], v[78:79], v[54:55]
	ds_read2_b64 v[96:99], v82 offset0:15 offset1:16
	s_waitcnt lgkmcnt(0)
	v_fma_f64 v[52:53], -v[54:55], v[88:89], v[52:53]
	v_fma_f64 v[50:51], -v[54:55], v[90:91], v[50:51]
	ds_read2_b64 v[88:91], v82 offset0:17 offset1:18
	v_fma_f64 v[48:49], -v[54:55], v[92:93], v[48:49]
	v_fma_f64 v[44:45], -v[54:55], v[94:95], v[44:45]
	;; [unrolled: 1-line block ×3, first 2 shown]
	ds_read2_b64 v[92:95], v82 offset0:19 offset1:20
	v_fma_f64 v[42:43], -v[54:55], v[98:99], v[42:43]
	ds_read2_b64 v[96:99], v82 offset0:21 offset1:22
	s_waitcnt lgkmcnt(0)
	v_fma_f64 v[40:41], -v[54:55], v[88:89], v[40:41]
	v_fma_f64 v[38:39], -v[54:55], v[90:91], v[38:39]
	ds_read2_b64 v[88:91], v82 offset0:23 offset1:24
	v_fma_f64 v[36:37], -v[54:55], v[92:93], v[36:37]
	v_fma_f64 v[34:35], -v[54:55], v[94:95], v[34:35]
	ds_read2_b64 v[92:95], v82 offset0:25 offset1:26
	v_fma_f64 v[32:33], -v[54:55], v[96:97], v[32:33]
	v_fma_f64 v[30:31], -v[54:55], v[98:99], v[30:31]
	s_waitcnt lgkmcnt(0)
	v_fma_f64 v[28:29], -v[54:55], v[88:89], v[28:29]
	ds_read2_b64 v[96:99], v82 offset0:27 offset1:28
	v_fma_f64 v[26:27], -v[54:55], v[90:91], v[26:27]
	ds_read2_b64 v[88:91], v82 offset0:29 offset1:30
	v_fma_f64 v[24:25], -v[54:55], v[92:93], v[24:25]
	v_fma_f64 v[22:23], -v[54:55], v[94:95], v[22:23]
	s_waitcnt lgkmcnt(0)
	v_fma_f64 v[20:21], -v[54:55], v[96:97], v[20:21]
	v_fma_f64 v[18:19], -v[54:55], v[98:99], v[18:19]
	ds_read2_b64 v[92:95], v82 offset0:31 offset1:32
	ds_read2_b64 v[96:99], v82 offset0:33 offset1:34
	v_fma_f64 v[14:15], -v[54:55], v[88:89], v[14:15]
	v_fma_f64 v[16:17], -v[54:55], v[90:91], v[16:17]
	ds_read2_b64 v[88:91], v82 offset0:35 offset1:36
	s_waitcnt lgkmcnt(0)
	v_fma_f64 v[12:13], -v[54:55], v[92:93], v[12:13]
	v_fma_f64 v[10:11], -v[54:55], v[94:95], v[10:11]
	;; [unrolled: 1-line block ×6, first 2 shown]
.LBB72_182:
	s_or_b64 exec, exec, s[0:1]
	v_lshl_add_u32 v78, v83, 3, v82
	s_barrier
	ds_write_b64 v78, v[52:53]
	s_waitcnt lgkmcnt(0)
	s_barrier
	ds_read_b64 v[78:79], v82 offset:88
	s_cmp_lt_i32 s18, 13
	v_mov_b32_e32 v80, 11
	s_cbranch_scc1 .LBB72_185
; %bb.183:
	v_add_u32_e32 v87, 0x60, v82
	s_mov_b32 s0, 12
	v_mov_b32_e32 v80, 11
.LBB72_184:                             ; =>This Inner Loop Header: Depth=1
	ds_read_b64 v[88:89], v87
	v_mov_b32_e32 v90, s0
	s_add_i32 s0, s0, 1
	v_add_u32_e32 v87, 8, v87
	s_cmp_lg_u32 s18, s0
	s_waitcnt lgkmcnt(0)
	v_cmp_lt_f64_e64 vcc, |v[78:79]|, |v[88:89]|
	v_cndmask_b32_e32 v79, v79, v89, vcc
	v_cndmask_b32_e32 v78, v78, v88, vcc
	v_cndmask_b32_e32 v80, v80, v90, vcc
	s_cbranch_scc1 .LBB72_184
.LBB72_185:
	s_waitcnt lgkmcnt(0)
	v_cmp_eq_f64_e32 vcc, 0, v[78:79]
	s_and_saveexec_b64 s[0:1], vcc
	s_xor_b64 s[0:1], exec, s[0:1]
; %bb.186:
	v_cmp_ne_u32_e32 vcc, 0, v86
	v_cndmask_b32_e32 v86, 12, v86, vcc
; %bb.187:
	s_andn2_saveexec_b64 s[0:1], s[0:1]
; %bb.188:
	v_div_scale_f64 v[88:89], s[2:3], v[78:79], v[78:79], 1.0
	v_rcp_f64_e32 v[90:91], v[88:89]
	v_div_scale_f64 v[92:93], vcc, 1.0, v[78:79], 1.0
	v_fma_f64 v[94:95], -v[88:89], v[90:91], 1.0
	v_fmac_f64_e32 v[90:91], v[90:91], v[94:95]
	v_fma_f64 v[94:95], -v[88:89], v[90:91], 1.0
	v_fmac_f64_e32 v[90:91], v[90:91], v[94:95]
	v_mul_f64 v[94:95], v[92:93], v[90:91]
	v_fma_f64 v[88:89], -v[88:89], v[94:95], v[92:93]
	v_div_fmas_f64 v[88:89], v[88:89], v[90:91], v[94:95]
	v_div_fixup_f64 v[78:79], v[88:89], v[78:79], 1.0
; %bb.189:
	s_or_b64 exec, exec, s[0:1]
	v_cmp_ne_u32_e32 vcc, v83, v80
	s_and_saveexec_b64 s[0:1], vcc
	s_xor_b64 s[0:1], exec, s[0:1]
	s_cbranch_execz .LBB72_195
; %bb.190:
	v_cmp_eq_u32_e32 vcc, 11, v83
	s_and_saveexec_b64 s[2:3], vcc
	s_cbranch_execz .LBB72_194
; %bb.191:
	v_cmp_ne_u32_e32 vcc, 11, v80
	s_xor_b64 s[14:15], s[6:7], -1
	s_and_b64 s[16:17], s[14:15], vcc
	s_and_saveexec_b64 s[14:15], s[16:17]
	s_cbranch_execz .LBB72_193
; %bb.192:
	v_ashrrev_i32_e32 v81, 31, v80
	v_lshlrev_b64 v[88:89], 2, v[80:81]
	v_add_co_u32_e32 v88, vcc, v4, v88
	v_addc_co_u32_e32 v89, vcc, v5, v89, vcc
	flat_load_dword v81, v[88:89]
	flat_load_dword v83, v[4:5] offset:44
	s_waitcnt vmcnt(0) lgkmcnt(0)
	flat_store_dword v[4:5], v81 offset:44
	flat_store_dword v[88:89], v83
.LBB72_193:
	s_or_b64 exec, exec, s[14:15]
	v_mov_b32_e32 v81, v80
	v_mov_b32_e32 v83, v80
.LBB72_194:
	s_or_b64 exec, exec, s[2:3]
.LBB72_195:
	s_andn2_saveexec_b64 s[0:1], s[0:1]
	s_cbranch_execz .LBB72_197
; %bb.196:
	v_mov_b32_e32 v88, v50
	v_mov_b32_e32 v89, v51
	v_mov_b32_e32 v90, v48
	v_mov_b32_e32 v91, v49
	ds_write2_b64 v82, v[88:89], v[90:91] offset0:12 offset1:13
	v_mov_b32_e32 v88, v44
	v_mov_b32_e32 v89, v45
	v_mov_b32_e32 v90, v46
	v_mov_b32_e32 v91, v47
	ds_write2_b64 v82, v[88:89], v[90:91] offset0:14 offset1:15
	;; [unrolled: 5-line block ×11, first 2 shown]
	v_mov_b32_e32 v88, v6
	v_mov_b32_e32 v89, v7
	;; [unrolled: 1-line block ×5, first 2 shown]
	ds_write2_b64 v82, v[88:89], v[90:91] offset0:34 offset1:35
	ds_write_b64 v82, v[76:77] offset:288
.LBB72_197:
	s_or_b64 exec, exec, s[0:1]
	v_cmp_lt_i32_e32 vcc, 11, v83
	s_waitcnt lgkmcnt(0)
	s_barrier
	s_and_saveexec_b64 s[0:1], vcc
	s_cbranch_execz .LBB72_199
; %bb.198:
	ds_read2_b64 v[88:91], v82 offset0:12 offset1:13
	ds_read2_b64 v[92:95], v82 offset0:14 offset1:15
	ds_read2_b64 v[96:99], v82 offset0:16 offset1:17
	v_mul_f64 v[52:53], v[78:79], v[52:53]
	ds_read_b64 v[78:79], v82 offset:288
	s_waitcnt lgkmcnt(0)
	v_fma_f64 v[50:51], -v[52:53], v[88:89], v[50:51]
	v_fma_f64 v[48:49], -v[52:53], v[90:91], v[48:49]
	ds_read2_b64 v[88:91], v82 offset0:18 offset1:19
	v_fma_f64 v[44:45], -v[52:53], v[92:93], v[44:45]
	v_fma_f64 v[46:47], -v[52:53], v[94:95], v[46:47]
	;; [unrolled: 1-line block ×3, first 2 shown]
	ds_read2_b64 v[92:95], v82 offset0:20 offset1:21
	v_fma_f64 v[40:41], -v[52:53], v[98:99], v[40:41]
	ds_read2_b64 v[96:99], v82 offset0:22 offset1:23
	s_waitcnt lgkmcnt(0)
	v_fma_f64 v[38:39], -v[52:53], v[88:89], v[38:39]
	v_fma_f64 v[36:37], -v[52:53], v[90:91], v[36:37]
	;; [unrolled: 1-line block ×3, first 2 shown]
	ds_read2_b64 v[88:91], v82 offset0:24 offset1:25
	v_fma_f64 v[32:33], -v[52:53], v[94:95], v[32:33]
	ds_read2_b64 v[92:95], v82 offset0:26 offset1:27
	v_fma_f64 v[30:31], -v[52:53], v[96:97], v[30:31]
	v_fma_f64 v[28:29], -v[52:53], v[98:99], v[28:29]
	ds_read2_b64 v[96:99], v82 offset0:28 offset1:29
	s_waitcnt lgkmcnt(0)
	v_fma_f64 v[26:27], -v[52:53], v[88:89], v[26:27]
	v_fma_f64 v[24:25], -v[52:53], v[90:91], v[24:25]
	ds_read2_b64 v[88:91], v82 offset0:30 offset1:31
	v_fma_f64 v[22:23], -v[52:53], v[92:93], v[22:23]
	v_fma_f64 v[20:21], -v[52:53], v[94:95], v[20:21]
	;; [unrolled: 1-line block ×4, first 2 shown]
	ds_read2_b64 v[92:95], v82 offset0:32 offset1:33
	ds_read2_b64 v[96:99], v82 offset0:34 offset1:35
	s_waitcnt lgkmcnt(0)
	v_fma_f64 v[16:17], -v[52:53], v[88:89], v[16:17]
	v_fma_f64 v[12:13], -v[52:53], v[90:91], v[12:13]
	;; [unrolled: 1-line block ×7, first 2 shown]
.LBB72_199:
	s_or_b64 exec, exec, s[0:1]
	v_lshl_add_u32 v78, v83, 3, v82
	s_barrier
	ds_write_b64 v78, v[50:51]
	s_waitcnt lgkmcnt(0)
	s_barrier
	ds_read_b64 v[78:79], v82 offset:96
	s_cmp_lt_i32 s18, 14
	v_mov_b32_e32 v80, 12
	s_cbranch_scc1 .LBB72_202
; %bb.200:
	v_add_u32_e32 v87, 0x68, v82
	s_mov_b32 s0, 13
	v_mov_b32_e32 v80, 12
.LBB72_201:                             ; =>This Inner Loop Header: Depth=1
	ds_read_b64 v[88:89], v87
	v_mov_b32_e32 v90, s0
	s_add_i32 s0, s0, 1
	v_add_u32_e32 v87, 8, v87
	s_cmp_lg_u32 s18, s0
	s_waitcnt lgkmcnt(0)
	v_cmp_lt_f64_e64 vcc, |v[78:79]|, |v[88:89]|
	v_cndmask_b32_e32 v79, v79, v89, vcc
	v_cndmask_b32_e32 v78, v78, v88, vcc
	v_cndmask_b32_e32 v80, v80, v90, vcc
	s_cbranch_scc1 .LBB72_201
.LBB72_202:
	s_waitcnt lgkmcnt(0)
	v_cmp_eq_f64_e32 vcc, 0, v[78:79]
	s_and_saveexec_b64 s[0:1], vcc
	s_xor_b64 s[0:1], exec, s[0:1]
; %bb.203:
	v_cmp_ne_u32_e32 vcc, 0, v86
	v_cndmask_b32_e32 v86, 13, v86, vcc
; %bb.204:
	s_andn2_saveexec_b64 s[0:1], s[0:1]
; %bb.205:
	v_div_scale_f64 v[88:89], s[2:3], v[78:79], v[78:79], 1.0
	v_rcp_f64_e32 v[90:91], v[88:89]
	v_div_scale_f64 v[92:93], vcc, 1.0, v[78:79], 1.0
	v_fma_f64 v[94:95], -v[88:89], v[90:91], 1.0
	v_fmac_f64_e32 v[90:91], v[90:91], v[94:95]
	v_fma_f64 v[94:95], -v[88:89], v[90:91], 1.0
	v_fmac_f64_e32 v[90:91], v[90:91], v[94:95]
	v_mul_f64 v[94:95], v[92:93], v[90:91]
	v_fma_f64 v[88:89], -v[88:89], v[94:95], v[92:93]
	v_div_fmas_f64 v[88:89], v[88:89], v[90:91], v[94:95]
	v_div_fixup_f64 v[78:79], v[88:89], v[78:79], 1.0
; %bb.206:
	s_or_b64 exec, exec, s[0:1]
	v_cmp_ne_u32_e32 vcc, v83, v80
	s_and_saveexec_b64 s[0:1], vcc
	s_xor_b64 s[0:1], exec, s[0:1]
	s_cbranch_execz .LBB72_212
; %bb.207:
	v_cmp_eq_u32_e32 vcc, 12, v83
	s_and_saveexec_b64 s[2:3], vcc
	s_cbranch_execz .LBB72_211
; %bb.208:
	v_cmp_ne_u32_e32 vcc, 12, v80
	s_xor_b64 s[14:15], s[6:7], -1
	s_and_b64 s[16:17], s[14:15], vcc
	s_and_saveexec_b64 s[14:15], s[16:17]
	s_cbranch_execz .LBB72_210
; %bb.209:
	v_ashrrev_i32_e32 v81, 31, v80
	v_lshlrev_b64 v[88:89], 2, v[80:81]
	v_add_co_u32_e32 v88, vcc, v4, v88
	v_addc_co_u32_e32 v89, vcc, v5, v89, vcc
	flat_load_dword v81, v[88:89]
	flat_load_dword v83, v[4:5] offset:48
	s_waitcnt vmcnt(0) lgkmcnt(0)
	flat_store_dword v[4:5], v81 offset:48
	flat_store_dword v[88:89], v83
.LBB72_210:
	s_or_b64 exec, exec, s[14:15]
	v_mov_b32_e32 v81, v80
	v_mov_b32_e32 v83, v80
.LBB72_211:
	s_or_b64 exec, exec, s[2:3]
.LBB72_212:
	s_andn2_saveexec_b64 s[0:1], s[0:1]
	s_cbranch_execz .LBB72_214
; %bb.213:
	v_mov_b32_e32 v83, 12
	ds_write2_b64 v82, v[48:49], v[44:45] offset0:13 offset1:14
	ds_write2_b64 v82, v[46:47], v[42:43] offset0:15 offset1:16
	;; [unrolled: 1-line block ×12, first 2 shown]
.LBB72_214:
	s_or_b64 exec, exec, s[0:1]
	v_cmp_lt_i32_e32 vcc, 12, v83
	s_waitcnt lgkmcnt(0)
	s_barrier
	s_and_saveexec_b64 s[0:1], vcc
	s_cbranch_execz .LBB72_216
; %bb.215:
	ds_read2_b64 v[88:91], v82 offset0:13 offset1:14
	ds_read2_b64 v[92:95], v82 offset0:15 offset1:16
	ds_read2_b64 v[96:99], v82 offset0:17 offset1:18
	v_mul_f64 v[50:51], v[78:79], v[50:51]
	s_waitcnt lgkmcnt(0)
	v_fma_f64 v[48:49], -v[50:51], v[88:89], v[48:49]
	v_fma_f64 v[44:45], -v[50:51], v[90:91], v[44:45]
	ds_read2_b64 v[88:91], v82 offset0:19 offset1:20
	v_fma_f64 v[46:47], -v[50:51], v[92:93], v[46:47]
	v_fma_f64 v[42:43], -v[50:51], v[94:95], v[42:43]
	;; [unrolled: 1-line block ×3, first 2 shown]
	ds_read2_b64 v[92:95], v82 offset0:21 offset1:22
	v_fma_f64 v[38:39], -v[50:51], v[98:99], v[38:39]
	ds_read2_b64 v[96:99], v82 offset0:23 offset1:24
	s_waitcnt lgkmcnt(0)
	v_fma_f64 v[36:37], -v[50:51], v[88:89], v[36:37]
	v_fma_f64 v[34:35], -v[50:51], v[90:91], v[34:35]
	;; [unrolled: 1-line block ×3, first 2 shown]
	ds_read2_b64 v[88:91], v82 offset0:25 offset1:26
	v_fma_f64 v[30:31], -v[50:51], v[94:95], v[30:31]
	ds_read2_b64 v[92:95], v82 offset0:27 offset1:28
	v_fma_f64 v[28:29], -v[50:51], v[96:97], v[28:29]
	v_fma_f64 v[26:27], -v[50:51], v[98:99], v[26:27]
	ds_read2_b64 v[96:99], v82 offset0:29 offset1:30
	s_waitcnt lgkmcnt(0)
	v_fma_f64 v[24:25], -v[50:51], v[88:89], v[24:25]
	v_fma_f64 v[22:23], -v[50:51], v[90:91], v[22:23]
	ds_read2_b64 v[88:91], v82 offset0:31 offset1:32
	v_fma_f64 v[20:21], -v[50:51], v[92:93], v[20:21]
	v_fma_f64 v[18:19], -v[50:51], v[94:95], v[18:19]
	;; [unrolled: 1-line block ×3, first 2 shown]
	ds_read2_b64 v[92:95], v82 offset0:33 offset1:34
	v_fma_f64 v[16:17], -v[50:51], v[98:99], v[16:17]
	ds_read2_b64 v[96:99], v82 offset0:35 offset1:36
	s_waitcnt lgkmcnt(0)
	v_fma_f64 v[12:13], -v[50:51], v[88:89], v[12:13]
	v_fma_f64 v[10:11], -v[50:51], v[90:91], v[10:11]
	;; [unrolled: 1-line block ×6, first 2 shown]
.LBB72_216:
	s_or_b64 exec, exec, s[0:1]
	v_lshl_add_u32 v78, v83, 3, v82
	s_barrier
	ds_write_b64 v78, v[48:49]
	s_waitcnt lgkmcnt(0)
	s_barrier
	ds_read_b64 v[78:79], v82 offset:104
	s_cmp_lt_i32 s18, 15
	v_mov_b32_e32 v80, 13
	s_cbranch_scc1 .LBB72_219
; %bb.217:
	v_add_u32_e32 v87, 0x70, v82
	s_mov_b32 s0, 14
	v_mov_b32_e32 v80, 13
.LBB72_218:                             ; =>This Inner Loop Header: Depth=1
	ds_read_b64 v[88:89], v87
	v_mov_b32_e32 v90, s0
	s_add_i32 s0, s0, 1
	v_add_u32_e32 v87, 8, v87
	s_cmp_lg_u32 s18, s0
	s_waitcnt lgkmcnt(0)
	v_cmp_lt_f64_e64 vcc, |v[78:79]|, |v[88:89]|
	v_cndmask_b32_e32 v79, v79, v89, vcc
	v_cndmask_b32_e32 v78, v78, v88, vcc
	;; [unrolled: 1-line block ×3, first 2 shown]
	s_cbranch_scc1 .LBB72_218
.LBB72_219:
	s_waitcnt lgkmcnt(0)
	v_cmp_eq_f64_e32 vcc, 0, v[78:79]
	s_and_saveexec_b64 s[0:1], vcc
	s_xor_b64 s[0:1], exec, s[0:1]
; %bb.220:
	v_cmp_ne_u32_e32 vcc, 0, v86
	v_cndmask_b32_e32 v86, 14, v86, vcc
; %bb.221:
	s_andn2_saveexec_b64 s[0:1], s[0:1]
; %bb.222:
	v_div_scale_f64 v[88:89], s[2:3], v[78:79], v[78:79], 1.0
	v_rcp_f64_e32 v[90:91], v[88:89]
	v_div_scale_f64 v[92:93], vcc, 1.0, v[78:79], 1.0
	v_fma_f64 v[94:95], -v[88:89], v[90:91], 1.0
	v_fmac_f64_e32 v[90:91], v[90:91], v[94:95]
	v_fma_f64 v[94:95], -v[88:89], v[90:91], 1.0
	v_fmac_f64_e32 v[90:91], v[90:91], v[94:95]
	v_mul_f64 v[94:95], v[92:93], v[90:91]
	v_fma_f64 v[88:89], -v[88:89], v[94:95], v[92:93]
	v_div_fmas_f64 v[88:89], v[88:89], v[90:91], v[94:95]
	v_div_fixup_f64 v[78:79], v[88:89], v[78:79], 1.0
; %bb.223:
	s_or_b64 exec, exec, s[0:1]
	v_cmp_ne_u32_e32 vcc, v83, v80
	s_and_saveexec_b64 s[0:1], vcc
	s_xor_b64 s[0:1], exec, s[0:1]
	s_cbranch_execz .LBB72_229
; %bb.224:
	v_cmp_eq_u32_e32 vcc, 13, v83
	s_and_saveexec_b64 s[2:3], vcc
	s_cbranch_execz .LBB72_228
; %bb.225:
	v_cmp_ne_u32_e32 vcc, 13, v80
	s_xor_b64 s[14:15], s[6:7], -1
	s_and_b64 s[16:17], s[14:15], vcc
	s_and_saveexec_b64 s[14:15], s[16:17]
	s_cbranch_execz .LBB72_227
; %bb.226:
	v_ashrrev_i32_e32 v81, 31, v80
	v_lshlrev_b64 v[88:89], 2, v[80:81]
	v_add_co_u32_e32 v88, vcc, v4, v88
	v_addc_co_u32_e32 v89, vcc, v5, v89, vcc
	flat_load_dword v81, v[88:89]
	flat_load_dword v83, v[4:5] offset:52
	s_waitcnt vmcnt(0) lgkmcnt(0)
	flat_store_dword v[4:5], v81 offset:52
	flat_store_dword v[88:89], v83
.LBB72_227:
	s_or_b64 exec, exec, s[14:15]
	v_mov_b32_e32 v81, v80
	v_mov_b32_e32 v83, v80
.LBB72_228:
	s_or_b64 exec, exec, s[2:3]
.LBB72_229:
	s_andn2_saveexec_b64 s[0:1], s[0:1]
	s_cbranch_execz .LBB72_231
; %bb.230:
	v_mov_b32_e32 v88, v44
	v_mov_b32_e32 v89, v45
	v_mov_b32_e32 v90, v46
	v_mov_b32_e32 v91, v47
	ds_write2_b64 v82, v[88:89], v[90:91] offset0:14 offset1:15
	v_mov_b32_e32 v88, v42
	v_mov_b32_e32 v89, v43
	v_mov_b32_e32 v90, v40
	v_mov_b32_e32 v91, v41
	ds_write2_b64 v82, v[88:89], v[90:91] offset0:16 offset1:17
	;; [unrolled: 5-line block ×10, first 2 shown]
	v_mov_b32_e32 v88, v6
	v_mov_b32_e32 v89, v7
	;; [unrolled: 1-line block ×5, first 2 shown]
	ds_write2_b64 v82, v[88:89], v[90:91] offset0:34 offset1:35
	ds_write_b64 v82, v[76:77] offset:288
.LBB72_231:
	s_or_b64 exec, exec, s[0:1]
	v_cmp_lt_i32_e32 vcc, 13, v83
	s_waitcnt lgkmcnt(0)
	s_barrier
	s_and_saveexec_b64 s[0:1], vcc
	s_cbranch_execz .LBB72_233
; %bb.232:
	ds_read2_b64 v[88:91], v82 offset0:14 offset1:15
	ds_read2_b64 v[92:95], v82 offset0:16 offset1:17
	v_mul_f64 v[48:49], v[78:79], v[48:49]
	ds_read2_b64 v[96:99], v82 offset0:18 offset1:19
	ds_read_b64 v[78:79], v82 offset:288
	s_waitcnt lgkmcnt(0)
	v_fma_f64 v[44:45], -v[48:49], v[88:89], v[44:45]
	v_fma_f64 v[46:47], -v[48:49], v[90:91], v[46:47]
	ds_read2_b64 v[88:91], v82 offset0:20 offset1:21
	v_fma_f64 v[42:43], -v[48:49], v[92:93], v[42:43]
	v_fma_f64 v[40:41], -v[48:49], v[94:95], v[40:41]
	ds_read2_b64 v[92:95], v82 offset0:22 offset1:23
	;; [unrolled: 3-line block ×3, first 2 shown]
	s_waitcnt lgkmcnt(0)
	v_fma_f64 v[34:35], -v[48:49], v[88:89], v[34:35]
	v_fma_f64 v[32:33], -v[48:49], v[90:91], v[32:33]
	;; [unrolled: 1-line block ×3, first 2 shown]
	ds_read2_b64 v[88:91], v82 offset0:26 offset1:27
	v_fma_f64 v[28:29], -v[48:49], v[94:95], v[28:29]
	ds_read2_b64 v[92:95], v82 offset0:28 offset1:29
	v_fma_f64 v[26:27], -v[48:49], v[96:97], v[26:27]
	v_fma_f64 v[24:25], -v[48:49], v[98:99], v[24:25]
	s_waitcnt lgkmcnt(0)
	v_fma_f64 v[22:23], -v[48:49], v[88:89], v[22:23]
	ds_read2_b64 v[96:99], v82 offset0:30 offset1:31
	v_fma_f64 v[20:21], -v[48:49], v[90:91], v[20:21]
	ds_read2_b64 v[88:91], v82 offset0:32 offset1:33
	v_fma_f64 v[18:19], -v[48:49], v[92:93], v[18:19]
	v_fma_f64 v[14:15], -v[48:49], v[94:95], v[14:15]
	ds_read2_b64 v[92:95], v82 offset0:34 offset1:35
	s_waitcnt lgkmcnt(0)
	v_fma_f64 v[16:17], -v[48:49], v[96:97], v[16:17]
	v_fma_f64 v[12:13], -v[48:49], v[98:99], v[12:13]
	;; [unrolled: 1-line block ×7, first 2 shown]
.LBB72_233:
	s_or_b64 exec, exec, s[0:1]
	v_lshl_add_u32 v78, v83, 3, v82
	s_barrier
	ds_write_b64 v78, v[44:45]
	s_waitcnt lgkmcnt(0)
	s_barrier
	ds_read_b64 v[78:79], v82 offset:112
	s_cmp_lt_i32 s18, 16
	v_mov_b32_e32 v80, 14
	s_cbranch_scc1 .LBB72_236
; %bb.234:
	v_add_u32_e32 v87, 0x78, v82
	s_mov_b32 s0, 15
	v_mov_b32_e32 v80, 14
.LBB72_235:                             ; =>This Inner Loop Header: Depth=1
	ds_read_b64 v[88:89], v87
	v_mov_b32_e32 v90, s0
	s_add_i32 s0, s0, 1
	v_add_u32_e32 v87, 8, v87
	s_cmp_lg_u32 s18, s0
	s_waitcnt lgkmcnt(0)
	v_cmp_lt_f64_e64 vcc, |v[78:79]|, |v[88:89]|
	v_cndmask_b32_e32 v79, v79, v89, vcc
	v_cndmask_b32_e32 v78, v78, v88, vcc
	;; [unrolled: 1-line block ×3, first 2 shown]
	s_cbranch_scc1 .LBB72_235
.LBB72_236:
	s_waitcnt lgkmcnt(0)
	v_cmp_eq_f64_e32 vcc, 0, v[78:79]
	s_and_saveexec_b64 s[0:1], vcc
	s_xor_b64 s[0:1], exec, s[0:1]
; %bb.237:
	v_cmp_ne_u32_e32 vcc, 0, v86
	v_cndmask_b32_e32 v86, 15, v86, vcc
; %bb.238:
	s_andn2_saveexec_b64 s[0:1], s[0:1]
; %bb.239:
	v_div_scale_f64 v[88:89], s[2:3], v[78:79], v[78:79], 1.0
	v_rcp_f64_e32 v[90:91], v[88:89]
	v_div_scale_f64 v[92:93], vcc, 1.0, v[78:79], 1.0
	v_fma_f64 v[94:95], -v[88:89], v[90:91], 1.0
	v_fmac_f64_e32 v[90:91], v[90:91], v[94:95]
	v_fma_f64 v[94:95], -v[88:89], v[90:91], 1.0
	v_fmac_f64_e32 v[90:91], v[90:91], v[94:95]
	v_mul_f64 v[94:95], v[92:93], v[90:91]
	v_fma_f64 v[88:89], -v[88:89], v[94:95], v[92:93]
	v_div_fmas_f64 v[88:89], v[88:89], v[90:91], v[94:95]
	v_div_fixup_f64 v[78:79], v[88:89], v[78:79], 1.0
; %bb.240:
	s_or_b64 exec, exec, s[0:1]
	v_cmp_ne_u32_e32 vcc, v83, v80
	s_and_saveexec_b64 s[0:1], vcc
	s_xor_b64 s[0:1], exec, s[0:1]
	s_cbranch_execz .LBB72_246
; %bb.241:
	v_cmp_eq_u32_e32 vcc, 14, v83
	s_and_saveexec_b64 s[2:3], vcc
	s_cbranch_execz .LBB72_245
; %bb.242:
	v_cmp_ne_u32_e32 vcc, 14, v80
	s_xor_b64 s[14:15], s[6:7], -1
	s_and_b64 s[16:17], s[14:15], vcc
	s_and_saveexec_b64 s[14:15], s[16:17]
	s_cbranch_execz .LBB72_244
; %bb.243:
	v_ashrrev_i32_e32 v81, 31, v80
	v_lshlrev_b64 v[88:89], 2, v[80:81]
	v_add_co_u32_e32 v88, vcc, v4, v88
	v_addc_co_u32_e32 v89, vcc, v5, v89, vcc
	flat_load_dword v81, v[88:89]
	flat_load_dword v83, v[4:5] offset:56
	s_waitcnt vmcnt(0) lgkmcnt(0)
	flat_store_dword v[4:5], v81 offset:56
	flat_store_dword v[88:89], v83
.LBB72_244:
	s_or_b64 exec, exec, s[14:15]
	v_mov_b32_e32 v81, v80
	v_mov_b32_e32 v83, v80
.LBB72_245:
	s_or_b64 exec, exec, s[2:3]
.LBB72_246:
	s_andn2_saveexec_b64 s[0:1], s[0:1]
	s_cbranch_execz .LBB72_248
; %bb.247:
	v_mov_b32_e32 v83, 14
	ds_write2_b64 v82, v[46:47], v[42:43] offset0:15 offset1:16
	ds_write2_b64 v82, v[40:41], v[38:39] offset0:17 offset1:18
	;; [unrolled: 1-line block ×11, first 2 shown]
.LBB72_248:
	s_or_b64 exec, exec, s[0:1]
	v_cmp_lt_i32_e32 vcc, 14, v83
	s_waitcnt lgkmcnt(0)
	s_barrier
	s_and_saveexec_b64 s[0:1], vcc
	s_cbranch_execz .LBB72_250
; %bb.249:
	ds_read2_b64 v[88:91], v82 offset0:15 offset1:16
	ds_read2_b64 v[92:95], v82 offset0:17 offset1:18
	v_mul_f64 v[44:45], v[78:79], v[44:45]
	ds_read2_b64 v[96:99], v82 offset0:19 offset1:20
	s_waitcnt lgkmcnt(0)
	v_fma_f64 v[46:47], -v[44:45], v[88:89], v[46:47]
	v_fma_f64 v[42:43], -v[44:45], v[90:91], v[42:43]
	ds_read2_b64 v[88:91], v82 offset0:21 offset1:22
	v_fma_f64 v[40:41], -v[44:45], v[92:93], v[40:41]
	v_fma_f64 v[38:39], -v[44:45], v[94:95], v[38:39]
	ds_read2_b64 v[92:95], v82 offset0:23 offset1:24
	;; [unrolled: 3-line block ×3, first 2 shown]
	s_waitcnt lgkmcnt(0)
	v_fma_f64 v[32:33], -v[44:45], v[88:89], v[32:33]
	v_fma_f64 v[30:31], -v[44:45], v[90:91], v[30:31]
	;; [unrolled: 1-line block ×3, first 2 shown]
	ds_read2_b64 v[88:91], v82 offset0:27 offset1:28
	v_fma_f64 v[26:27], -v[44:45], v[94:95], v[26:27]
	ds_read2_b64 v[92:95], v82 offset0:29 offset1:30
	v_fma_f64 v[24:25], -v[44:45], v[96:97], v[24:25]
	v_fma_f64 v[22:23], -v[44:45], v[98:99], v[22:23]
	s_waitcnt lgkmcnt(0)
	v_fma_f64 v[20:21], -v[44:45], v[88:89], v[20:21]
	v_fma_f64 v[18:19], -v[44:45], v[90:91], v[18:19]
	ds_read2_b64 v[88:91], v82 offset0:31 offset1:32
	ds_read2_b64 v[96:99], v82 offset0:33 offset1:34
	v_fma_f64 v[14:15], -v[44:45], v[92:93], v[14:15]
	v_fma_f64 v[16:17], -v[44:45], v[94:95], v[16:17]
	ds_read2_b64 v[92:95], v82 offset0:35 offset1:36
	s_waitcnt lgkmcnt(0)
	v_fma_f64 v[12:13], -v[44:45], v[88:89], v[12:13]
	v_fma_f64 v[10:11], -v[44:45], v[90:91], v[10:11]
	;; [unrolled: 1-line block ×6, first 2 shown]
.LBB72_250:
	s_or_b64 exec, exec, s[0:1]
	v_lshl_add_u32 v78, v83, 3, v82
	s_barrier
	ds_write_b64 v78, v[46:47]
	s_waitcnt lgkmcnt(0)
	s_barrier
	ds_read_b64 v[78:79], v82 offset:120
	s_cmp_lt_i32 s18, 17
	v_mov_b32_e32 v80, 15
	s_cbranch_scc1 .LBB72_253
; %bb.251:
	v_add_u32_e32 v87, 0x80, v82
	s_mov_b32 s0, 16
	v_mov_b32_e32 v80, 15
.LBB72_252:                             ; =>This Inner Loop Header: Depth=1
	ds_read_b64 v[88:89], v87
	v_mov_b32_e32 v90, s0
	s_add_i32 s0, s0, 1
	v_add_u32_e32 v87, 8, v87
	s_cmp_lg_u32 s18, s0
	s_waitcnt lgkmcnt(0)
	v_cmp_lt_f64_e64 vcc, |v[78:79]|, |v[88:89]|
	v_cndmask_b32_e32 v79, v79, v89, vcc
	v_cndmask_b32_e32 v78, v78, v88, vcc
	v_cndmask_b32_e32 v80, v80, v90, vcc
	s_cbranch_scc1 .LBB72_252
.LBB72_253:
	s_waitcnt lgkmcnt(0)
	v_cmp_eq_f64_e32 vcc, 0, v[78:79]
	s_and_saveexec_b64 s[0:1], vcc
	s_xor_b64 s[0:1], exec, s[0:1]
; %bb.254:
	v_cmp_ne_u32_e32 vcc, 0, v86
	v_cndmask_b32_e32 v86, 16, v86, vcc
; %bb.255:
	s_andn2_saveexec_b64 s[0:1], s[0:1]
; %bb.256:
	v_div_scale_f64 v[88:89], s[2:3], v[78:79], v[78:79], 1.0
	v_rcp_f64_e32 v[90:91], v[88:89]
	v_div_scale_f64 v[92:93], vcc, 1.0, v[78:79], 1.0
	v_fma_f64 v[94:95], -v[88:89], v[90:91], 1.0
	v_fmac_f64_e32 v[90:91], v[90:91], v[94:95]
	v_fma_f64 v[94:95], -v[88:89], v[90:91], 1.0
	v_fmac_f64_e32 v[90:91], v[90:91], v[94:95]
	v_mul_f64 v[94:95], v[92:93], v[90:91]
	v_fma_f64 v[88:89], -v[88:89], v[94:95], v[92:93]
	v_div_fmas_f64 v[88:89], v[88:89], v[90:91], v[94:95]
	v_div_fixup_f64 v[78:79], v[88:89], v[78:79], 1.0
; %bb.257:
	s_or_b64 exec, exec, s[0:1]
	v_cmp_ne_u32_e32 vcc, v83, v80
	s_and_saveexec_b64 s[0:1], vcc
	s_xor_b64 s[0:1], exec, s[0:1]
	s_cbranch_execz .LBB72_263
; %bb.258:
	v_cmp_eq_u32_e32 vcc, 15, v83
	s_and_saveexec_b64 s[2:3], vcc
	s_cbranch_execz .LBB72_262
; %bb.259:
	v_cmp_ne_u32_e32 vcc, 15, v80
	s_xor_b64 s[14:15], s[6:7], -1
	s_and_b64 s[16:17], s[14:15], vcc
	s_and_saveexec_b64 s[14:15], s[16:17]
	s_cbranch_execz .LBB72_261
; %bb.260:
	v_ashrrev_i32_e32 v81, 31, v80
	v_lshlrev_b64 v[88:89], 2, v[80:81]
	v_add_co_u32_e32 v88, vcc, v4, v88
	v_addc_co_u32_e32 v89, vcc, v5, v89, vcc
	flat_load_dword v81, v[88:89]
	flat_load_dword v83, v[4:5] offset:60
	s_waitcnt vmcnt(0) lgkmcnt(0)
	flat_store_dword v[4:5], v81 offset:60
	flat_store_dword v[88:89], v83
.LBB72_261:
	s_or_b64 exec, exec, s[14:15]
	v_mov_b32_e32 v81, v80
	v_mov_b32_e32 v83, v80
.LBB72_262:
	s_or_b64 exec, exec, s[2:3]
.LBB72_263:
	s_andn2_saveexec_b64 s[0:1], s[0:1]
	s_cbranch_execz .LBB72_265
; %bb.264:
	v_mov_b32_e32 v88, v42
	v_mov_b32_e32 v89, v43
	v_mov_b32_e32 v90, v40
	v_mov_b32_e32 v91, v41
	ds_write2_b64 v82, v[88:89], v[90:91] offset0:16 offset1:17
	v_mov_b32_e32 v88, v38
	v_mov_b32_e32 v89, v39
	v_mov_b32_e32 v90, v36
	v_mov_b32_e32 v91, v37
	ds_write2_b64 v82, v[88:89], v[90:91] offset0:18 offset1:19
	;; [unrolled: 5-line block ×9, first 2 shown]
	v_mov_b32_e32 v88, v6
	v_mov_b32_e32 v89, v7
	;; [unrolled: 1-line block ×5, first 2 shown]
	ds_write2_b64 v82, v[88:89], v[90:91] offset0:34 offset1:35
	ds_write_b64 v82, v[76:77] offset:288
.LBB72_265:
	s_or_b64 exec, exec, s[0:1]
	v_cmp_lt_i32_e32 vcc, 15, v83
	s_waitcnt lgkmcnt(0)
	s_barrier
	s_and_saveexec_b64 s[0:1], vcc
	s_cbranch_execz .LBB72_267
; %bb.266:
	ds_read2_b64 v[88:91], v82 offset0:16 offset1:17
	ds_read2_b64 v[92:95], v82 offset0:18 offset1:19
	v_mul_f64 v[46:47], v[78:79], v[46:47]
	ds_read2_b64 v[96:99], v82 offset0:20 offset1:21
	ds_read_b64 v[78:79], v82 offset:288
	s_waitcnt lgkmcnt(0)
	v_fma_f64 v[42:43], -v[46:47], v[88:89], v[42:43]
	v_fma_f64 v[40:41], -v[46:47], v[90:91], v[40:41]
	ds_read2_b64 v[88:91], v82 offset0:22 offset1:23
	v_fma_f64 v[38:39], -v[46:47], v[92:93], v[38:39]
	v_fma_f64 v[36:37], -v[46:47], v[94:95], v[36:37]
	;; [unrolled: 1-line block ×3, first 2 shown]
	ds_read2_b64 v[92:95], v82 offset0:24 offset1:25
	v_fma_f64 v[32:33], -v[46:47], v[98:99], v[32:33]
	ds_read2_b64 v[96:99], v82 offset0:26 offset1:27
	s_waitcnt lgkmcnt(0)
	v_fma_f64 v[30:31], -v[46:47], v[88:89], v[30:31]
	v_fma_f64 v[28:29], -v[46:47], v[90:91], v[28:29]
	ds_read2_b64 v[88:91], v82 offset0:28 offset1:29
	v_fma_f64 v[26:27], -v[46:47], v[92:93], v[26:27]
	v_fma_f64 v[24:25], -v[46:47], v[94:95], v[24:25]
	ds_read2_b64 v[92:95], v82 offset0:30 offset1:31
	v_fma_f64 v[22:23], -v[46:47], v[96:97], v[22:23]
	v_fma_f64 v[20:21], -v[46:47], v[98:99], v[20:21]
	s_waitcnt lgkmcnt(0)
	v_fma_f64 v[18:19], -v[46:47], v[88:89], v[18:19]
	v_fma_f64 v[14:15], -v[46:47], v[90:91], v[14:15]
	ds_read2_b64 v[88:91], v82 offset0:32 offset1:33
	ds_read2_b64 v[96:99], v82 offset0:34 offset1:35
	v_fma_f64 v[16:17], -v[46:47], v[92:93], v[16:17]
	v_fma_f64 v[12:13], -v[46:47], v[94:95], v[12:13]
	;; [unrolled: 1-line block ×3, first 2 shown]
	s_waitcnt lgkmcnt(0)
	v_fma_f64 v[10:11], -v[46:47], v[88:89], v[10:11]
	v_fma_f64 v[8:9], -v[46:47], v[90:91], v[8:9]
	;; [unrolled: 1-line block ×4, first 2 shown]
.LBB72_267:
	s_or_b64 exec, exec, s[0:1]
	v_lshl_add_u32 v78, v83, 3, v82
	s_barrier
	ds_write_b64 v78, v[42:43]
	s_waitcnt lgkmcnt(0)
	s_barrier
	ds_read_b64 v[78:79], v82 offset:128
	s_cmp_lt_i32 s18, 18
	v_mov_b32_e32 v80, 16
	s_cbranch_scc1 .LBB72_270
; %bb.268:
	v_add_u32_e32 v87, 0x88, v82
	s_mov_b32 s0, 17
	v_mov_b32_e32 v80, 16
.LBB72_269:                             ; =>This Inner Loop Header: Depth=1
	ds_read_b64 v[88:89], v87
	v_mov_b32_e32 v90, s0
	s_add_i32 s0, s0, 1
	v_add_u32_e32 v87, 8, v87
	s_cmp_lg_u32 s18, s0
	s_waitcnt lgkmcnt(0)
	v_cmp_lt_f64_e64 vcc, |v[78:79]|, |v[88:89]|
	v_cndmask_b32_e32 v79, v79, v89, vcc
	v_cndmask_b32_e32 v78, v78, v88, vcc
	;; [unrolled: 1-line block ×3, first 2 shown]
	s_cbranch_scc1 .LBB72_269
.LBB72_270:
	s_waitcnt lgkmcnt(0)
	v_cmp_eq_f64_e32 vcc, 0, v[78:79]
	s_and_saveexec_b64 s[0:1], vcc
	s_xor_b64 s[0:1], exec, s[0:1]
; %bb.271:
	v_cmp_ne_u32_e32 vcc, 0, v86
	v_cndmask_b32_e32 v86, 17, v86, vcc
; %bb.272:
	s_andn2_saveexec_b64 s[0:1], s[0:1]
; %bb.273:
	v_div_scale_f64 v[88:89], s[2:3], v[78:79], v[78:79], 1.0
	v_rcp_f64_e32 v[90:91], v[88:89]
	v_div_scale_f64 v[92:93], vcc, 1.0, v[78:79], 1.0
	v_fma_f64 v[94:95], -v[88:89], v[90:91], 1.0
	v_fmac_f64_e32 v[90:91], v[90:91], v[94:95]
	v_fma_f64 v[94:95], -v[88:89], v[90:91], 1.0
	v_fmac_f64_e32 v[90:91], v[90:91], v[94:95]
	v_mul_f64 v[94:95], v[92:93], v[90:91]
	v_fma_f64 v[88:89], -v[88:89], v[94:95], v[92:93]
	v_div_fmas_f64 v[88:89], v[88:89], v[90:91], v[94:95]
	v_div_fixup_f64 v[78:79], v[88:89], v[78:79], 1.0
; %bb.274:
	s_or_b64 exec, exec, s[0:1]
	v_cmp_ne_u32_e32 vcc, v83, v80
	s_and_saveexec_b64 s[0:1], vcc
	s_xor_b64 s[0:1], exec, s[0:1]
	s_cbranch_execz .LBB72_280
; %bb.275:
	v_cmp_eq_u32_e32 vcc, 16, v83
	s_and_saveexec_b64 s[2:3], vcc
	s_cbranch_execz .LBB72_279
; %bb.276:
	v_cmp_ne_u32_e32 vcc, 16, v80
	s_xor_b64 s[14:15], s[6:7], -1
	s_and_b64 s[16:17], s[14:15], vcc
	s_and_saveexec_b64 s[14:15], s[16:17]
	s_cbranch_execz .LBB72_278
; %bb.277:
	v_ashrrev_i32_e32 v81, 31, v80
	v_lshlrev_b64 v[88:89], 2, v[80:81]
	v_add_co_u32_e32 v88, vcc, v4, v88
	v_addc_co_u32_e32 v89, vcc, v5, v89, vcc
	flat_load_dword v81, v[88:89]
	flat_load_dword v83, v[4:5] offset:64
	s_waitcnt vmcnt(0) lgkmcnt(0)
	flat_store_dword v[4:5], v81 offset:64
	flat_store_dword v[88:89], v83
.LBB72_278:
	s_or_b64 exec, exec, s[14:15]
	v_mov_b32_e32 v81, v80
	v_mov_b32_e32 v83, v80
.LBB72_279:
	s_or_b64 exec, exec, s[2:3]
.LBB72_280:
	s_andn2_saveexec_b64 s[0:1], s[0:1]
	s_cbranch_execz .LBB72_282
; %bb.281:
	v_mov_b32_e32 v83, 16
	ds_write2_b64 v82, v[40:41], v[38:39] offset0:17 offset1:18
	ds_write2_b64 v82, v[36:37], v[34:35] offset0:19 offset1:20
	;; [unrolled: 1-line block ×10, first 2 shown]
.LBB72_282:
	s_or_b64 exec, exec, s[0:1]
	v_cmp_lt_i32_e32 vcc, 16, v83
	s_waitcnt lgkmcnt(0)
	s_barrier
	s_and_saveexec_b64 s[0:1], vcc
	s_cbranch_execz .LBB72_284
; %bb.283:
	ds_read2_b64 v[88:91], v82 offset0:17 offset1:18
	ds_read2_b64 v[92:95], v82 offset0:19 offset1:20
	v_mul_f64 v[42:43], v[78:79], v[42:43]
	ds_read2_b64 v[96:99], v82 offset0:21 offset1:22
	s_waitcnt lgkmcnt(0)
	v_fma_f64 v[40:41], -v[42:43], v[88:89], v[40:41]
	v_fma_f64 v[38:39], -v[42:43], v[90:91], v[38:39]
	ds_read2_b64 v[88:91], v82 offset0:23 offset1:24
	v_fma_f64 v[36:37], -v[42:43], v[92:93], v[36:37]
	v_fma_f64 v[34:35], -v[42:43], v[94:95], v[34:35]
	;; [unrolled: 1-line block ×3, first 2 shown]
	ds_read2_b64 v[92:95], v82 offset0:25 offset1:26
	v_fma_f64 v[30:31], -v[42:43], v[98:99], v[30:31]
	ds_read2_b64 v[96:99], v82 offset0:27 offset1:28
	s_waitcnt lgkmcnt(0)
	v_fma_f64 v[28:29], -v[42:43], v[88:89], v[28:29]
	v_fma_f64 v[26:27], -v[42:43], v[90:91], v[26:27]
	ds_read2_b64 v[88:91], v82 offset0:29 offset1:30
	v_fma_f64 v[24:25], -v[42:43], v[92:93], v[24:25]
	v_fma_f64 v[22:23], -v[42:43], v[94:95], v[22:23]
	ds_read2_b64 v[92:95], v82 offset0:31 offset1:32
	v_fma_f64 v[20:21], -v[42:43], v[96:97], v[20:21]
	v_fma_f64 v[18:19], -v[42:43], v[98:99], v[18:19]
	s_waitcnt lgkmcnt(0)
	v_fma_f64 v[14:15], -v[42:43], v[88:89], v[14:15]
	ds_read2_b64 v[96:99], v82 offset0:33 offset1:34
	v_fma_f64 v[16:17], -v[42:43], v[90:91], v[16:17]
	ds_read2_b64 v[88:91], v82 offset0:35 offset1:36
	v_fma_f64 v[12:13], -v[42:43], v[92:93], v[12:13]
	v_fma_f64 v[10:11], -v[42:43], v[94:95], v[10:11]
	s_waitcnt lgkmcnt(0)
	v_fma_f64 v[8:9], -v[42:43], v[96:97], v[8:9]
	v_fma_f64 v[6:7], -v[42:43], v[98:99], v[6:7]
	;; [unrolled: 1-line block ×4, first 2 shown]
.LBB72_284:
	s_or_b64 exec, exec, s[0:1]
	v_lshl_add_u32 v78, v83, 3, v82
	s_barrier
	ds_write_b64 v78, v[40:41]
	s_waitcnt lgkmcnt(0)
	s_barrier
	ds_read_b64 v[78:79], v82 offset:136
	s_cmp_lt_i32 s18, 19
	v_mov_b32_e32 v80, 17
	s_cbranch_scc1 .LBB72_287
; %bb.285:
	v_add_u32_e32 v87, 0x90, v82
	s_mov_b32 s0, 18
	v_mov_b32_e32 v80, 17
.LBB72_286:                             ; =>This Inner Loop Header: Depth=1
	ds_read_b64 v[88:89], v87
	v_mov_b32_e32 v90, s0
	s_add_i32 s0, s0, 1
	v_add_u32_e32 v87, 8, v87
	s_cmp_lg_u32 s18, s0
	s_waitcnt lgkmcnt(0)
	v_cmp_lt_f64_e64 vcc, |v[78:79]|, |v[88:89]|
	v_cndmask_b32_e32 v79, v79, v89, vcc
	v_cndmask_b32_e32 v78, v78, v88, vcc
	;; [unrolled: 1-line block ×3, first 2 shown]
	s_cbranch_scc1 .LBB72_286
.LBB72_287:
	s_waitcnt lgkmcnt(0)
	v_cmp_eq_f64_e32 vcc, 0, v[78:79]
	s_and_saveexec_b64 s[0:1], vcc
	s_xor_b64 s[0:1], exec, s[0:1]
; %bb.288:
	v_cmp_ne_u32_e32 vcc, 0, v86
	v_cndmask_b32_e32 v86, 18, v86, vcc
; %bb.289:
	s_andn2_saveexec_b64 s[0:1], s[0:1]
; %bb.290:
	v_div_scale_f64 v[88:89], s[2:3], v[78:79], v[78:79], 1.0
	v_rcp_f64_e32 v[90:91], v[88:89]
	v_div_scale_f64 v[92:93], vcc, 1.0, v[78:79], 1.0
	v_fma_f64 v[94:95], -v[88:89], v[90:91], 1.0
	v_fmac_f64_e32 v[90:91], v[90:91], v[94:95]
	v_fma_f64 v[94:95], -v[88:89], v[90:91], 1.0
	v_fmac_f64_e32 v[90:91], v[90:91], v[94:95]
	v_mul_f64 v[94:95], v[92:93], v[90:91]
	v_fma_f64 v[88:89], -v[88:89], v[94:95], v[92:93]
	v_div_fmas_f64 v[88:89], v[88:89], v[90:91], v[94:95]
	v_div_fixup_f64 v[78:79], v[88:89], v[78:79], 1.0
; %bb.291:
	s_or_b64 exec, exec, s[0:1]
	v_cmp_ne_u32_e32 vcc, v83, v80
	s_and_saveexec_b64 s[0:1], vcc
	s_xor_b64 s[0:1], exec, s[0:1]
	s_cbranch_execz .LBB72_297
; %bb.292:
	v_cmp_eq_u32_e32 vcc, 17, v83
	s_and_saveexec_b64 s[2:3], vcc
	s_cbranch_execz .LBB72_296
; %bb.293:
	v_cmp_ne_u32_e32 vcc, 17, v80
	s_xor_b64 s[14:15], s[6:7], -1
	s_and_b64 s[16:17], s[14:15], vcc
	s_and_saveexec_b64 s[14:15], s[16:17]
	s_cbranch_execz .LBB72_295
; %bb.294:
	v_ashrrev_i32_e32 v81, 31, v80
	v_lshlrev_b64 v[88:89], 2, v[80:81]
	v_add_co_u32_e32 v88, vcc, v4, v88
	v_addc_co_u32_e32 v89, vcc, v5, v89, vcc
	flat_load_dword v81, v[88:89]
	flat_load_dword v83, v[4:5] offset:68
	s_waitcnt vmcnt(0) lgkmcnt(0)
	flat_store_dword v[4:5], v81 offset:68
	flat_store_dword v[88:89], v83
.LBB72_295:
	s_or_b64 exec, exec, s[14:15]
	v_mov_b32_e32 v81, v80
	v_mov_b32_e32 v83, v80
.LBB72_296:
	s_or_b64 exec, exec, s[2:3]
.LBB72_297:
	s_andn2_saveexec_b64 s[0:1], s[0:1]
	s_cbranch_execz .LBB72_299
; %bb.298:
	v_mov_b32_e32 v88, v38
	v_mov_b32_e32 v89, v39
	v_mov_b32_e32 v90, v36
	v_mov_b32_e32 v91, v37
	ds_write2_b64 v82, v[88:89], v[90:91] offset0:18 offset1:19
	v_mov_b32_e32 v88, v34
	v_mov_b32_e32 v89, v35
	v_mov_b32_e32 v90, v32
	v_mov_b32_e32 v91, v33
	ds_write2_b64 v82, v[88:89], v[90:91] offset0:20 offset1:21
	v_mov_b32_e32 v88, v30
	v_mov_b32_e32 v89, v31
	v_mov_b32_e32 v90, v28
	v_mov_b32_e32 v91, v29
	ds_write2_b64 v82, v[88:89], v[90:91] offset0:22 offset1:23
	v_mov_b32_e32 v88, v26
	v_mov_b32_e32 v89, v27
	v_mov_b32_e32 v90, v24
	v_mov_b32_e32 v91, v25
	ds_write2_b64 v82, v[88:89], v[90:91] offset0:24 offset1:25
	v_mov_b32_e32 v88, v22
	v_mov_b32_e32 v89, v23
	v_mov_b32_e32 v90, v20
	v_mov_b32_e32 v91, v21
	ds_write2_b64 v82, v[88:89], v[90:91] offset0:26 offset1:27
	v_mov_b32_e32 v88, v18
	v_mov_b32_e32 v89, v19
	v_mov_b32_e32 v90, v14
	v_mov_b32_e32 v91, v15
	ds_write2_b64 v82, v[88:89], v[90:91] offset0:28 offset1:29
	v_mov_b32_e32 v88, v16
	v_mov_b32_e32 v89, v17
	v_mov_b32_e32 v90, v12
	v_mov_b32_e32 v91, v13
	ds_write2_b64 v82, v[88:89], v[90:91] offset0:30 offset1:31
	v_mov_b32_e32 v88, v10
	v_mov_b32_e32 v89, v11
	v_mov_b32_e32 v90, v8
	v_mov_b32_e32 v91, v9
	ds_write2_b64 v82, v[88:89], v[90:91] offset0:32 offset1:33
	v_mov_b32_e32 v88, v6
	v_mov_b32_e32 v89, v7
	;; [unrolled: 1-line block ×5, first 2 shown]
	ds_write2_b64 v82, v[88:89], v[90:91] offset0:34 offset1:35
	ds_write_b64 v82, v[76:77] offset:288
.LBB72_299:
	s_or_b64 exec, exec, s[0:1]
	v_cmp_lt_i32_e32 vcc, 17, v83
	s_waitcnt lgkmcnt(0)
	s_barrier
	s_and_saveexec_b64 s[0:1], vcc
	s_cbranch_execz .LBB72_301
; %bb.300:
	ds_read2_b64 v[88:91], v82 offset0:18 offset1:19
	ds_read2_b64 v[92:95], v82 offset0:20 offset1:21
	;; [unrolled: 1-line block ×3, first 2 shown]
	v_mul_f64 v[40:41], v[78:79], v[40:41]
	ds_read_b64 v[78:79], v82 offset:288
	s_waitcnt lgkmcnt(0)
	v_fma_f64 v[38:39], -v[40:41], v[88:89], v[38:39]
	v_fma_f64 v[36:37], -v[40:41], v[90:91], v[36:37]
	ds_read2_b64 v[88:91], v82 offset0:24 offset1:25
	v_fma_f64 v[34:35], -v[40:41], v[92:93], v[34:35]
	v_fma_f64 v[32:33], -v[40:41], v[94:95], v[32:33]
	;; [unrolled: 1-line block ×3, first 2 shown]
	ds_read2_b64 v[92:95], v82 offset0:26 offset1:27
	v_fma_f64 v[28:29], -v[40:41], v[98:99], v[28:29]
	ds_read2_b64 v[96:99], v82 offset0:28 offset1:29
	s_waitcnt lgkmcnt(0)
	v_fma_f64 v[26:27], -v[40:41], v[88:89], v[26:27]
	v_fma_f64 v[24:25], -v[40:41], v[90:91], v[24:25]
	;; [unrolled: 1-line block ×3, first 2 shown]
	ds_read2_b64 v[88:91], v82 offset0:30 offset1:31
	v_fma_f64 v[20:21], -v[40:41], v[94:95], v[20:21]
	ds_read2_b64 v[92:95], v82 offset0:32 offset1:33
	v_fma_f64 v[18:19], -v[40:41], v[96:97], v[18:19]
	v_fma_f64 v[14:15], -v[40:41], v[98:99], v[14:15]
	ds_read2_b64 v[96:99], v82 offset0:34 offset1:35
	s_waitcnt lgkmcnt(0)
	v_fma_f64 v[16:17], -v[40:41], v[88:89], v[16:17]
	v_fma_f64 v[12:13], -v[40:41], v[90:91], v[12:13]
	;; [unrolled: 1-line block ×7, first 2 shown]
.LBB72_301:
	s_or_b64 exec, exec, s[0:1]
	v_lshl_add_u32 v78, v83, 3, v82
	s_barrier
	ds_write_b64 v78, v[38:39]
	s_waitcnt lgkmcnt(0)
	s_barrier
	ds_read_b64 v[78:79], v82 offset:144
	s_cmp_lt_i32 s18, 20
	v_mov_b32_e32 v80, 18
	s_cbranch_scc1 .LBB72_304
; %bb.302:
	v_add_u32_e32 v87, 0x98, v82
	s_mov_b32 s0, 19
	v_mov_b32_e32 v80, 18
.LBB72_303:                             ; =>This Inner Loop Header: Depth=1
	ds_read_b64 v[88:89], v87
	v_mov_b32_e32 v90, s0
	s_add_i32 s0, s0, 1
	v_add_u32_e32 v87, 8, v87
	s_cmp_lg_u32 s18, s0
	s_waitcnt lgkmcnt(0)
	v_cmp_lt_f64_e64 vcc, |v[78:79]|, |v[88:89]|
	v_cndmask_b32_e32 v79, v79, v89, vcc
	v_cndmask_b32_e32 v78, v78, v88, vcc
	;; [unrolled: 1-line block ×3, first 2 shown]
	s_cbranch_scc1 .LBB72_303
.LBB72_304:
	s_waitcnt lgkmcnt(0)
	v_cmp_eq_f64_e32 vcc, 0, v[78:79]
	s_and_saveexec_b64 s[0:1], vcc
	s_xor_b64 s[0:1], exec, s[0:1]
; %bb.305:
	v_cmp_ne_u32_e32 vcc, 0, v86
	v_cndmask_b32_e32 v86, 19, v86, vcc
; %bb.306:
	s_andn2_saveexec_b64 s[0:1], s[0:1]
; %bb.307:
	v_div_scale_f64 v[88:89], s[2:3], v[78:79], v[78:79], 1.0
	v_rcp_f64_e32 v[90:91], v[88:89]
	v_div_scale_f64 v[92:93], vcc, 1.0, v[78:79], 1.0
	v_fma_f64 v[94:95], -v[88:89], v[90:91], 1.0
	v_fmac_f64_e32 v[90:91], v[90:91], v[94:95]
	v_fma_f64 v[94:95], -v[88:89], v[90:91], 1.0
	v_fmac_f64_e32 v[90:91], v[90:91], v[94:95]
	v_mul_f64 v[94:95], v[92:93], v[90:91]
	v_fma_f64 v[88:89], -v[88:89], v[94:95], v[92:93]
	v_div_fmas_f64 v[88:89], v[88:89], v[90:91], v[94:95]
	v_div_fixup_f64 v[78:79], v[88:89], v[78:79], 1.0
; %bb.308:
	s_or_b64 exec, exec, s[0:1]
	v_cmp_ne_u32_e32 vcc, v83, v80
	s_and_saveexec_b64 s[0:1], vcc
	s_xor_b64 s[0:1], exec, s[0:1]
	s_cbranch_execz .LBB72_314
; %bb.309:
	v_cmp_eq_u32_e32 vcc, 18, v83
	s_and_saveexec_b64 s[2:3], vcc
	s_cbranch_execz .LBB72_313
; %bb.310:
	v_cmp_ne_u32_e32 vcc, 18, v80
	s_xor_b64 s[14:15], s[6:7], -1
	s_and_b64 s[16:17], s[14:15], vcc
	s_and_saveexec_b64 s[14:15], s[16:17]
	s_cbranch_execz .LBB72_312
; %bb.311:
	v_ashrrev_i32_e32 v81, 31, v80
	v_lshlrev_b64 v[88:89], 2, v[80:81]
	v_add_co_u32_e32 v88, vcc, v4, v88
	v_addc_co_u32_e32 v89, vcc, v5, v89, vcc
	flat_load_dword v81, v[88:89]
	flat_load_dword v83, v[4:5] offset:72
	s_waitcnt vmcnt(0) lgkmcnt(0)
	flat_store_dword v[4:5], v81 offset:72
	flat_store_dword v[88:89], v83
.LBB72_312:
	s_or_b64 exec, exec, s[14:15]
	v_mov_b32_e32 v81, v80
	v_mov_b32_e32 v83, v80
.LBB72_313:
	s_or_b64 exec, exec, s[2:3]
.LBB72_314:
	s_andn2_saveexec_b64 s[0:1], s[0:1]
	s_cbranch_execz .LBB72_316
; %bb.315:
	v_mov_b32_e32 v83, 18
	ds_write2_b64 v82, v[36:37], v[34:35] offset0:19 offset1:20
	ds_write2_b64 v82, v[32:33], v[30:31] offset0:21 offset1:22
	;; [unrolled: 1-line block ×9, first 2 shown]
.LBB72_316:
	s_or_b64 exec, exec, s[0:1]
	v_cmp_lt_i32_e32 vcc, 18, v83
	s_waitcnt lgkmcnt(0)
	s_barrier
	s_and_saveexec_b64 s[0:1], vcc
	s_cbranch_execz .LBB72_318
; %bb.317:
	ds_read2_b64 v[88:91], v82 offset0:19 offset1:20
	ds_read2_b64 v[92:95], v82 offset0:21 offset1:22
	;; [unrolled: 1-line block ×3, first 2 shown]
	v_mul_f64 v[38:39], v[78:79], v[38:39]
	s_waitcnt lgkmcnt(0)
	v_fma_f64 v[36:37], -v[38:39], v[88:89], v[36:37]
	v_fma_f64 v[34:35], -v[38:39], v[90:91], v[34:35]
	ds_read2_b64 v[88:91], v82 offset0:25 offset1:26
	v_fma_f64 v[32:33], -v[38:39], v[92:93], v[32:33]
	v_fma_f64 v[30:31], -v[38:39], v[94:95], v[30:31]
	;; [unrolled: 1-line block ×3, first 2 shown]
	ds_read2_b64 v[92:95], v82 offset0:27 offset1:28
	v_fma_f64 v[26:27], -v[38:39], v[98:99], v[26:27]
	ds_read2_b64 v[96:99], v82 offset0:29 offset1:30
	s_waitcnt lgkmcnt(0)
	v_fma_f64 v[24:25], -v[38:39], v[88:89], v[24:25]
	v_fma_f64 v[22:23], -v[38:39], v[90:91], v[22:23]
	;; [unrolled: 1-line block ×4, first 2 shown]
	ds_read2_b64 v[88:91], v82 offset0:31 offset1:32
	ds_read2_b64 v[92:95], v82 offset0:33 offset1:34
	v_fma_f64 v[14:15], -v[38:39], v[96:97], v[14:15]
	v_fma_f64 v[16:17], -v[38:39], v[98:99], v[16:17]
	ds_read2_b64 v[96:99], v82 offset0:35 offset1:36
	s_waitcnt lgkmcnt(0)
	v_fma_f64 v[12:13], -v[38:39], v[88:89], v[12:13]
	v_fma_f64 v[10:11], -v[38:39], v[90:91], v[10:11]
	;; [unrolled: 1-line block ×6, first 2 shown]
.LBB72_318:
	s_or_b64 exec, exec, s[0:1]
	v_lshl_add_u32 v78, v83, 3, v82
	s_barrier
	ds_write_b64 v78, v[36:37]
	s_waitcnt lgkmcnt(0)
	s_barrier
	ds_read_b64 v[78:79], v82 offset:152
	s_cmp_lt_i32 s18, 21
	v_mov_b32_e32 v80, 19
	s_cbranch_scc1 .LBB72_321
; %bb.319:
	v_add_u32_e32 v87, 0xa0, v82
	s_mov_b32 s0, 20
	v_mov_b32_e32 v80, 19
.LBB72_320:                             ; =>This Inner Loop Header: Depth=1
	ds_read_b64 v[88:89], v87
	v_mov_b32_e32 v90, s0
	s_add_i32 s0, s0, 1
	v_add_u32_e32 v87, 8, v87
	s_cmp_lg_u32 s18, s0
	s_waitcnt lgkmcnt(0)
	v_cmp_lt_f64_e64 vcc, |v[78:79]|, |v[88:89]|
	v_cndmask_b32_e32 v79, v79, v89, vcc
	v_cndmask_b32_e32 v78, v78, v88, vcc
	;; [unrolled: 1-line block ×3, first 2 shown]
	s_cbranch_scc1 .LBB72_320
.LBB72_321:
	s_waitcnt lgkmcnt(0)
	v_cmp_eq_f64_e32 vcc, 0, v[78:79]
	s_and_saveexec_b64 s[0:1], vcc
	s_xor_b64 s[0:1], exec, s[0:1]
; %bb.322:
	v_cmp_ne_u32_e32 vcc, 0, v86
	v_cndmask_b32_e32 v86, 20, v86, vcc
; %bb.323:
	s_andn2_saveexec_b64 s[0:1], s[0:1]
; %bb.324:
	v_div_scale_f64 v[88:89], s[2:3], v[78:79], v[78:79], 1.0
	v_rcp_f64_e32 v[90:91], v[88:89]
	v_div_scale_f64 v[92:93], vcc, 1.0, v[78:79], 1.0
	v_fma_f64 v[94:95], -v[88:89], v[90:91], 1.0
	v_fmac_f64_e32 v[90:91], v[90:91], v[94:95]
	v_fma_f64 v[94:95], -v[88:89], v[90:91], 1.0
	v_fmac_f64_e32 v[90:91], v[90:91], v[94:95]
	v_mul_f64 v[94:95], v[92:93], v[90:91]
	v_fma_f64 v[88:89], -v[88:89], v[94:95], v[92:93]
	v_div_fmas_f64 v[88:89], v[88:89], v[90:91], v[94:95]
	v_div_fixup_f64 v[78:79], v[88:89], v[78:79], 1.0
; %bb.325:
	s_or_b64 exec, exec, s[0:1]
	v_cmp_ne_u32_e32 vcc, v83, v80
	s_and_saveexec_b64 s[0:1], vcc
	s_xor_b64 s[0:1], exec, s[0:1]
	s_cbranch_execz .LBB72_331
; %bb.326:
	v_cmp_eq_u32_e32 vcc, 19, v83
	s_and_saveexec_b64 s[2:3], vcc
	s_cbranch_execz .LBB72_330
; %bb.327:
	v_cmp_ne_u32_e32 vcc, 19, v80
	s_xor_b64 s[14:15], s[6:7], -1
	s_and_b64 s[16:17], s[14:15], vcc
	s_and_saveexec_b64 s[14:15], s[16:17]
	s_cbranch_execz .LBB72_329
; %bb.328:
	v_ashrrev_i32_e32 v81, 31, v80
	v_lshlrev_b64 v[88:89], 2, v[80:81]
	v_add_co_u32_e32 v88, vcc, v4, v88
	v_addc_co_u32_e32 v89, vcc, v5, v89, vcc
	flat_load_dword v81, v[88:89]
	flat_load_dword v83, v[4:5] offset:76
	s_waitcnt vmcnt(0) lgkmcnt(0)
	flat_store_dword v[4:5], v81 offset:76
	flat_store_dword v[88:89], v83
.LBB72_329:
	s_or_b64 exec, exec, s[14:15]
	v_mov_b32_e32 v81, v80
	v_mov_b32_e32 v83, v80
.LBB72_330:
	s_or_b64 exec, exec, s[2:3]
.LBB72_331:
	s_andn2_saveexec_b64 s[0:1], s[0:1]
	s_cbranch_execz .LBB72_333
; %bb.332:
	v_mov_b32_e32 v88, v34
	v_mov_b32_e32 v89, v35
	v_mov_b32_e32 v90, v32
	v_mov_b32_e32 v91, v33
	ds_write2_b64 v82, v[88:89], v[90:91] offset0:20 offset1:21
	v_mov_b32_e32 v88, v30
	v_mov_b32_e32 v89, v31
	v_mov_b32_e32 v90, v28
	v_mov_b32_e32 v91, v29
	ds_write2_b64 v82, v[88:89], v[90:91] offset0:22 offset1:23
	;; [unrolled: 5-line block ×7, first 2 shown]
	v_mov_b32_e32 v88, v6
	v_mov_b32_e32 v89, v7
	;; [unrolled: 1-line block ×5, first 2 shown]
	ds_write2_b64 v82, v[88:89], v[90:91] offset0:34 offset1:35
	ds_write_b64 v82, v[76:77] offset:288
.LBB72_333:
	s_or_b64 exec, exec, s[0:1]
	v_cmp_lt_i32_e32 vcc, 19, v83
	s_waitcnt lgkmcnt(0)
	s_barrier
	s_and_saveexec_b64 s[0:1], vcc
	s_cbranch_execz .LBB72_335
; %bb.334:
	ds_read2_b64 v[88:91], v82 offset0:20 offset1:21
	ds_read2_b64 v[92:95], v82 offset0:22 offset1:23
	v_mul_f64 v[36:37], v[78:79], v[36:37]
	ds_read2_b64 v[96:99], v82 offset0:24 offset1:25
	ds_read_b64 v[78:79], v82 offset:288
	s_waitcnt lgkmcnt(0)
	v_fma_f64 v[34:35], -v[36:37], v[88:89], v[34:35]
	v_fma_f64 v[32:33], -v[36:37], v[90:91], v[32:33]
	ds_read2_b64 v[88:91], v82 offset0:26 offset1:27
	v_fma_f64 v[30:31], -v[36:37], v[92:93], v[30:31]
	v_fma_f64 v[28:29], -v[36:37], v[94:95], v[28:29]
	ds_read2_b64 v[92:95], v82 offset0:28 offset1:29
	;; [unrolled: 3-line block ×3, first 2 shown]
	s_waitcnt lgkmcnt(0)
	v_fma_f64 v[22:23], -v[36:37], v[88:89], v[22:23]
	v_fma_f64 v[20:21], -v[36:37], v[90:91], v[20:21]
	;; [unrolled: 1-line block ×4, first 2 shown]
	ds_read2_b64 v[88:91], v82 offset0:32 offset1:33
	ds_read2_b64 v[92:95], v82 offset0:34 offset1:35
	v_fma_f64 v[16:17], -v[36:37], v[96:97], v[16:17]
	v_fma_f64 v[12:13], -v[36:37], v[98:99], v[12:13]
	v_fma_f64 v[76:77], -v[36:37], v[78:79], v[76:77]
	s_waitcnt lgkmcnt(0)
	v_fma_f64 v[10:11], -v[36:37], v[88:89], v[10:11]
	v_fma_f64 v[8:9], -v[36:37], v[90:91], v[8:9]
	v_fma_f64 v[6:7], -v[36:37], v[92:93], v[6:7]
	v_fma_f64 v[0:1], -v[36:37], v[94:95], v[0:1]
.LBB72_335:
	s_or_b64 exec, exec, s[0:1]
	v_lshl_add_u32 v78, v83, 3, v82
	s_barrier
	ds_write_b64 v78, v[34:35]
	s_waitcnt lgkmcnt(0)
	s_barrier
	ds_read_b64 v[78:79], v82 offset:160
	s_cmp_lt_i32 s18, 22
	v_mov_b32_e32 v80, 20
	s_cbranch_scc1 .LBB72_338
; %bb.336:
	v_add_u32_e32 v87, 0xa8, v82
	s_mov_b32 s0, 21
	v_mov_b32_e32 v80, 20
.LBB72_337:                             ; =>This Inner Loop Header: Depth=1
	ds_read_b64 v[88:89], v87
	v_mov_b32_e32 v90, s0
	s_add_i32 s0, s0, 1
	v_add_u32_e32 v87, 8, v87
	s_cmp_lg_u32 s18, s0
	s_waitcnt lgkmcnt(0)
	v_cmp_lt_f64_e64 vcc, |v[78:79]|, |v[88:89]|
	v_cndmask_b32_e32 v79, v79, v89, vcc
	v_cndmask_b32_e32 v78, v78, v88, vcc
	;; [unrolled: 1-line block ×3, first 2 shown]
	s_cbranch_scc1 .LBB72_337
.LBB72_338:
	s_waitcnt lgkmcnt(0)
	v_cmp_eq_f64_e32 vcc, 0, v[78:79]
	s_and_saveexec_b64 s[0:1], vcc
	s_xor_b64 s[0:1], exec, s[0:1]
; %bb.339:
	v_cmp_ne_u32_e32 vcc, 0, v86
	v_cndmask_b32_e32 v86, 21, v86, vcc
; %bb.340:
	s_andn2_saveexec_b64 s[0:1], s[0:1]
; %bb.341:
	v_div_scale_f64 v[88:89], s[2:3], v[78:79], v[78:79], 1.0
	v_rcp_f64_e32 v[90:91], v[88:89]
	v_div_scale_f64 v[92:93], vcc, 1.0, v[78:79], 1.0
	v_fma_f64 v[94:95], -v[88:89], v[90:91], 1.0
	v_fmac_f64_e32 v[90:91], v[90:91], v[94:95]
	v_fma_f64 v[94:95], -v[88:89], v[90:91], 1.0
	v_fmac_f64_e32 v[90:91], v[90:91], v[94:95]
	v_mul_f64 v[94:95], v[92:93], v[90:91]
	v_fma_f64 v[88:89], -v[88:89], v[94:95], v[92:93]
	v_div_fmas_f64 v[88:89], v[88:89], v[90:91], v[94:95]
	v_div_fixup_f64 v[78:79], v[88:89], v[78:79], 1.0
; %bb.342:
	s_or_b64 exec, exec, s[0:1]
	v_cmp_ne_u32_e32 vcc, v83, v80
	s_and_saveexec_b64 s[0:1], vcc
	s_xor_b64 s[0:1], exec, s[0:1]
	s_cbranch_execz .LBB72_348
; %bb.343:
	v_cmp_eq_u32_e32 vcc, 20, v83
	s_and_saveexec_b64 s[2:3], vcc
	s_cbranch_execz .LBB72_347
; %bb.344:
	v_cmp_ne_u32_e32 vcc, 20, v80
	s_xor_b64 s[14:15], s[6:7], -1
	s_and_b64 s[16:17], s[14:15], vcc
	s_and_saveexec_b64 s[14:15], s[16:17]
	s_cbranch_execz .LBB72_346
; %bb.345:
	v_ashrrev_i32_e32 v81, 31, v80
	v_lshlrev_b64 v[88:89], 2, v[80:81]
	v_add_co_u32_e32 v88, vcc, v4, v88
	v_addc_co_u32_e32 v89, vcc, v5, v89, vcc
	flat_load_dword v81, v[88:89]
	flat_load_dword v83, v[4:5] offset:80
	s_waitcnt vmcnt(0) lgkmcnt(0)
	flat_store_dword v[4:5], v81 offset:80
	flat_store_dword v[88:89], v83
.LBB72_346:
	s_or_b64 exec, exec, s[14:15]
	v_mov_b32_e32 v81, v80
	v_mov_b32_e32 v83, v80
.LBB72_347:
	s_or_b64 exec, exec, s[2:3]
.LBB72_348:
	s_andn2_saveexec_b64 s[0:1], s[0:1]
	s_cbranch_execz .LBB72_350
; %bb.349:
	v_mov_b32_e32 v83, 20
	ds_write2_b64 v82, v[32:33], v[30:31] offset0:21 offset1:22
	ds_write2_b64 v82, v[28:29], v[26:27] offset0:23 offset1:24
	;; [unrolled: 1-line block ×8, first 2 shown]
.LBB72_350:
	s_or_b64 exec, exec, s[0:1]
	v_cmp_lt_i32_e32 vcc, 20, v83
	s_waitcnt lgkmcnt(0)
	s_barrier
	s_and_saveexec_b64 s[0:1], vcc
	s_cbranch_execz .LBB72_352
; %bb.351:
	ds_read2_b64 v[88:91], v82 offset0:21 offset1:22
	ds_read2_b64 v[92:95], v82 offset0:23 offset1:24
	v_mul_f64 v[34:35], v[78:79], v[34:35]
	ds_read2_b64 v[96:99], v82 offset0:25 offset1:26
	s_waitcnt lgkmcnt(0)
	v_fma_f64 v[32:33], -v[34:35], v[88:89], v[32:33]
	v_fma_f64 v[30:31], -v[34:35], v[90:91], v[30:31]
	ds_read2_b64 v[88:91], v82 offset0:27 offset1:28
	v_fma_f64 v[28:29], -v[34:35], v[92:93], v[28:29]
	v_fma_f64 v[26:27], -v[34:35], v[94:95], v[26:27]
	ds_read2_b64 v[92:95], v82 offset0:29 offset1:30
	v_fma_f64 v[24:25], -v[34:35], v[96:97], v[24:25]
	v_fma_f64 v[22:23], -v[34:35], v[98:99], v[22:23]
	s_waitcnt lgkmcnt(0)
	v_fma_f64 v[20:21], -v[34:35], v[88:89], v[20:21]
	v_fma_f64 v[18:19], -v[34:35], v[90:91], v[18:19]
	ds_read2_b64 v[88:91], v82 offset0:31 offset1:32
	v_fma_f64 v[14:15], -v[34:35], v[92:93], v[14:15]
	ds_read2_b64 v[96:99], v82 offset0:33 offset1:34
	;; [unrolled: 2-line block ×3, first 2 shown]
	s_waitcnt lgkmcnt(0)
	v_fma_f64 v[12:13], -v[34:35], v[88:89], v[12:13]
	v_fma_f64 v[10:11], -v[34:35], v[90:91], v[10:11]
	;; [unrolled: 1-line block ×6, first 2 shown]
.LBB72_352:
	s_or_b64 exec, exec, s[0:1]
	v_lshl_add_u32 v78, v83, 3, v82
	s_barrier
	ds_write_b64 v78, v[32:33]
	s_waitcnt lgkmcnt(0)
	s_barrier
	ds_read_b64 v[78:79], v82 offset:168
	s_cmp_lt_i32 s18, 23
	v_mov_b32_e32 v80, 21
	s_cbranch_scc1 .LBB72_355
; %bb.353:
	v_add_u32_e32 v87, 0xb0, v82
	s_mov_b32 s0, 22
	v_mov_b32_e32 v80, 21
.LBB72_354:                             ; =>This Inner Loop Header: Depth=1
	ds_read_b64 v[88:89], v87
	v_mov_b32_e32 v90, s0
	s_add_i32 s0, s0, 1
	v_add_u32_e32 v87, 8, v87
	s_cmp_lg_u32 s18, s0
	s_waitcnt lgkmcnt(0)
	v_cmp_lt_f64_e64 vcc, |v[78:79]|, |v[88:89]|
	v_cndmask_b32_e32 v79, v79, v89, vcc
	v_cndmask_b32_e32 v78, v78, v88, vcc
	v_cndmask_b32_e32 v80, v80, v90, vcc
	s_cbranch_scc1 .LBB72_354
.LBB72_355:
	s_waitcnt lgkmcnt(0)
	v_cmp_eq_f64_e32 vcc, 0, v[78:79]
	s_and_saveexec_b64 s[0:1], vcc
	s_xor_b64 s[0:1], exec, s[0:1]
; %bb.356:
	v_cmp_ne_u32_e32 vcc, 0, v86
	v_cndmask_b32_e32 v86, 22, v86, vcc
; %bb.357:
	s_andn2_saveexec_b64 s[0:1], s[0:1]
; %bb.358:
	v_div_scale_f64 v[88:89], s[2:3], v[78:79], v[78:79], 1.0
	v_rcp_f64_e32 v[90:91], v[88:89]
	v_div_scale_f64 v[92:93], vcc, 1.0, v[78:79], 1.0
	v_fma_f64 v[94:95], -v[88:89], v[90:91], 1.0
	v_fmac_f64_e32 v[90:91], v[90:91], v[94:95]
	v_fma_f64 v[94:95], -v[88:89], v[90:91], 1.0
	v_fmac_f64_e32 v[90:91], v[90:91], v[94:95]
	v_mul_f64 v[94:95], v[92:93], v[90:91]
	v_fma_f64 v[88:89], -v[88:89], v[94:95], v[92:93]
	v_div_fmas_f64 v[88:89], v[88:89], v[90:91], v[94:95]
	v_div_fixup_f64 v[78:79], v[88:89], v[78:79], 1.0
; %bb.359:
	s_or_b64 exec, exec, s[0:1]
	v_cmp_ne_u32_e32 vcc, v83, v80
	s_and_saveexec_b64 s[0:1], vcc
	s_xor_b64 s[0:1], exec, s[0:1]
	s_cbranch_execz .LBB72_365
; %bb.360:
	v_cmp_eq_u32_e32 vcc, 21, v83
	s_and_saveexec_b64 s[2:3], vcc
	s_cbranch_execz .LBB72_364
; %bb.361:
	v_cmp_ne_u32_e32 vcc, 21, v80
	s_xor_b64 s[14:15], s[6:7], -1
	s_and_b64 s[16:17], s[14:15], vcc
	s_and_saveexec_b64 s[14:15], s[16:17]
	s_cbranch_execz .LBB72_363
; %bb.362:
	v_ashrrev_i32_e32 v81, 31, v80
	v_lshlrev_b64 v[88:89], 2, v[80:81]
	v_add_co_u32_e32 v88, vcc, v4, v88
	v_addc_co_u32_e32 v89, vcc, v5, v89, vcc
	flat_load_dword v81, v[88:89]
	flat_load_dword v83, v[4:5] offset:84
	s_waitcnt vmcnt(0) lgkmcnt(0)
	flat_store_dword v[4:5], v81 offset:84
	flat_store_dword v[88:89], v83
.LBB72_363:
	s_or_b64 exec, exec, s[14:15]
	v_mov_b32_e32 v81, v80
	v_mov_b32_e32 v83, v80
.LBB72_364:
	s_or_b64 exec, exec, s[2:3]
.LBB72_365:
	s_andn2_saveexec_b64 s[0:1], s[0:1]
	s_cbranch_execz .LBB72_367
; %bb.366:
	v_mov_b32_e32 v88, v30
	v_mov_b32_e32 v89, v31
	v_mov_b32_e32 v90, v28
	v_mov_b32_e32 v91, v29
	ds_write2_b64 v82, v[88:89], v[90:91] offset0:22 offset1:23
	v_mov_b32_e32 v88, v26
	v_mov_b32_e32 v89, v27
	v_mov_b32_e32 v90, v24
	v_mov_b32_e32 v91, v25
	ds_write2_b64 v82, v[88:89], v[90:91] offset0:24 offset1:25
	;; [unrolled: 5-line block ×6, first 2 shown]
	v_mov_b32_e32 v88, v6
	v_mov_b32_e32 v89, v7
	v_mov_b32_e32 v90, v0
	v_mov_b32_e32 v91, v1
	v_mov_b32_e32 v83, 21
	ds_write2_b64 v82, v[88:89], v[90:91] offset0:34 offset1:35
	ds_write_b64 v82, v[76:77] offset:288
.LBB72_367:
	s_or_b64 exec, exec, s[0:1]
	v_cmp_lt_i32_e32 vcc, 21, v83
	s_waitcnt lgkmcnt(0)
	s_barrier
	s_and_saveexec_b64 s[0:1], vcc
	s_cbranch_execz .LBB72_369
; %bb.368:
	ds_read2_b64 v[88:91], v82 offset0:22 offset1:23
	ds_read2_b64 v[92:95], v82 offset0:24 offset1:25
	v_mul_f64 v[32:33], v[78:79], v[32:33]
	ds_read2_b64 v[96:99], v82 offset0:26 offset1:27
	ds_read_b64 v[78:79], v82 offset:288
	s_waitcnt lgkmcnt(0)
	v_fma_f64 v[30:31], -v[32:33], v[88:89], v[30:31]
	v_fma_f64 v[28:29], -v[32:33], v[90:91], v[28:29]
	ds_read2_b64 v[88:91], v82 offset0:28 offset1:29
	v_fma_f64 v[26:27], -v[32:33], v[92:93], v[26:27]
	v_fma_f64 v[24:25], -v[32:33], v[94:95], v[24:25]
	;; [unrolled: 1-line block ×3, first 2 shown]
	ds_read2_b64 v[92:95], v82 offset0:30 offset1:31
	v_fma_f64 v[20:21], -v[32:33], v[98:99], v[20:21]
	s_waitcnt lgkmcnt(0)
	v_fma_f64 v[18:19], -v[32:33], v[88:89], v[18:19]
	v_fma_f64 v[14:15], -v[32:33], v[90:91], v[14:15]
	ds_read2_b64 v[88:91], v82 offset0:32 offset1:33
	ds_read2_b64 v[96:99], v82 offset0:34 offset1:35
	v_fma_f64 v[16:17], -v[32:33], v[92:93], v[16:17]
	v_fma_f64 v[12:13], -v[32:33], v[94:95], v[12:13]
	;; [unrolled: 1-line block ×3, first 2 shown]
	s_waitcnt lgkmcnt(0)
	v_fma_f64 v[10:11], -v[32:33], v[88:89], v[10:11]
	v_fma_f64 v[8:9], -v[32:33], v[90:91], v[8:9]
	;; [unrolled: 1-line block ×4, first 2 shown]
.LBB72_369:
	s_or_b64 exec, exec, s[0:1]
	v_lshl_add_u32 v78, v83, 3, v82
	s_barrier
	ds_write_b64 v78, v[30:31]
	s_waitcnt lgkmcnt(0)
	s_barrier
	ds_read_b64 v[78:79], v82 offset:176
	s_cmp_lt_i32 s18, 24
	v_mov_b32_e32 v80, 22
	s_cbranch_scc1 .LBB72_372
; %bb.370:
	v_add_u32_e32 v87, 0xb8, v82
	s_mov_b32 s0, 23
	v_mov_b32_e32 v80, 22
.LBB72_371:                             ; =>This Inner Loop Header: Depth=1
	ds_read_b64 v[88:89], v87
	v_mov_b32_e32 v90, s0
	s_add_i32 s0, s0, 1
	v_add_u32_e32 v87, 8, v87
	s_cmp_lg_u32 s18, s0
	s_waitcnt lgkmcnt(0)
	v_cmp_lt_f64_e64 vcc, |v[78:79]|, |v[88:89]|
	v_cndmask_b32_e32 v79, v79, v89, vcc
	v_cndmask_b32_e32 v78, v78, v88, vcc
	;; [unrolled: 1-line block ×3, first 2 shown]
	s_cbranch_scc1 .LBB72_371
.LBB72_372:
	s_waitcnt lgkmcnt(0)
	v_cmp_eq_f64_e32 vcc, 0, v[78:79]
	s_and_saveexec_b64 s[0:1], vcc
	s_xor_b64 s[0:1], exec, s[0:1]
; %bb.373:
	v_cmp_ne_u32_e32 vcc, 0, v86
	v_cndmask_b32_e32 v86, 23, v86, vcc
; %bb.374:
	s_andn2_saveexec_b64 s[0:1], s[0:1]
; %bb.375:
	v_div_scale_f64 v[88:89], s[2:3], v[78:79], v[78:79], 1.0
	v_rcp_f64_e32 v[90:91], v[88:89]
	v_div_scale_f64 v[92:93], vcc, 1.0, v[78:79], 1.0
	v_fma_f64 v[94:95], -v[88:89], v[90:91], 1.0
	v_fmac_f64_e32 v[90:91], v[90:91], v[94:95]
	v_fma_f64 v[94:95], -v[88:89], v[90:91], 1.0
	v_fmac_f64_e32 v[90:91], v[90:91], v[94:95]
	v_mul_f64 v[94:95], v[92:93], v[90:91]
	v_fma_f64 v[88:89], -v[88:89], v[94:95], v[92:93]
	v_div_fmas_f64 v[88:89], v[88:89], v[90:91], v[94:95]
	v_div_fixup_f64 v[78:79], v[88:89], v[78:79], 1.0
; %bb.376:
	s_or_b64 exec, exec, s[0:1]
	v_cmp_ne_u32_e32 vcc, v83, v80
	s_and_saveexec_b64 s[0:1], vcc
	s_xor_b64 s[0:1], exec, s[0:1]
	s_cbranch_execz .LBB72_382
; %bb.377:
	v_cmp_eq_u32_e32 vcc, 22, v83
	s_and_saveexec_b64 s[2:3], vcc
	s_cbranch_execz .LBB72_381
; %bb.378:
	v_cmp_ne_u32_e32 vcc, 22, v80
	s_xor_b64 s[14:15], s[6:7], -1
	s_and_b64 s[16:17], s[14:15], vcc
	s_and_saveexec_b64 s[14:15], s[16:17]
	s_cbranch_execz .LBB72_380
; %bb.379:
	v_ashrrev_i32_e32 v81, 31, v80
	v_lshlrev_b64 v[88:89], 2, v[80:81]
	v_add_co_u32_e32 v88, vcc, v4, v88
	v_addc_co_u32_e32 v89, vcc, v5, v89, vcc
	flat_load_dword v81, v[88:89]
	flat_load_dword v83, v[4:5] offset:88
	s_waitcnt vmcnt(0) lgkmcnt(0)
	flat_store_dword v[4:5], v81 offset:88
	flat_store_dword v[88:89], v83
.LBB72_380:
	s_or_b64 exec, exec, s[14:15]
	v_mov_b32_e32 v81, v80
	v_mov_b32_e32 v83, v80
.LBB72_381:
	s_or_b64 exec, exec, s[2:3]
.LBB72_382:
	s_andn2_saveexec_b64 s[0:1], s[0:1]
	s_cbranch_execz .LBB72_384
; %bb.383:
	v_mov_b32_e32 v83, 22
	ds_write2_b64 v82, v[28:29], v[26:27] offset0:23 offset1:24
	ds_write2_b64 v82, v[24:25], v[22:23] offset0:25 offset1:26
	;; [unrolled: 1-line block ×7, first 2 shown]
.LBB72_384:
	s_or_b64 exec, exec, s[0:1]
	v_cmp_lt_i32_e32 vcc, 22, v83
	s_waitcnt lgkmcnt(0)
	s_barrier
	s_and_saveexec_b64 s[0:1], vcc
	s_cbranch_execz .LBB72_386
; %bb.385:
	ds_read2_b64 v[88:91], v82 offset0:23 offset1:24
	ds_read2_b64 v[92:95], v82 offset0:25 offset1:26
	v_mul_f64 v[30:31], v[78:79], v[30:31]
	ds_read2_b64 v[96:99], v82 offset0:27 offset1:28
	s_waitcnt lgkmcnt(0)
	v_fma_f64 v[28:29], -v[30:31], v[88:89], v[28:29]
	v_fma_f64 v[26:27], -v[30:31], v[90:91], v[26:27]
	ds_read2_b64 v[88:91], v82 offset0:29 offset1:30
	v_fma_f64 v[24:25], -v[30:31], v[92:93], v[24:25]
	v_fma_f64 v[22:23], -v[30:31], v[94:95], v[22:23]
	;; [unrolled: 1-line block ×4, first 2 shown]
	ds_read2_b64 v[92:95], v82 offset0:31 offset1:32
	ds_read2_b64 v[96:99], v82 offset0:33 offset1:34
	s_waitcnt lgkmcnt(0)
	v_fma_f64 v[14:15], -v[30:31], v[88:89], v[14:15]
	v_fma_f64 v[16:17], -v[30:31], v[90:91], v[16:17]
	ds_read2_b64 v[88:91], v82 offset0:35 offset1:36
	v_fma_f64 v[12:13], -v[30:31], v[92:93], v[12:13]
	v_fma_f64 v[10:11], -v[30:31], v[94:95], v[10:11]
	;; [unrolled: 1-line block ×4, first 2 shown]
	s_waitcnt lgkmcnt(0)
	v_fma_f64 v[0:1], -v[30:31], v[88:89], v[0:1]
	v_fma_f64 v[76:77], -v[30:31], v[90:91], v[76:77]
.LBB72_386:
	s_or_b64 exec, exec, s[0:1]
	v_lshl_add_u32 v78, v83, 3, v82
	s_barrier
	ds_write_b64 v78, v[28:29]
	s_waitcnt lgkmcnt(0)
	s_barrier
	ds_read_b64 v[78:79], v82 offset:184
	s_cmp_lt_i32 s18, 25
	v_mov_b32_e32 v80, 23
	s_cbranch_scc1 .LBB72_389
; %bb.387:
	v_add_u32_e32 v87, 0xc0, v82
	s_mov_b32 s0, 24
	v_mov_b32_e32 v80, 23
.LBB72_388:                             ; =>This Inner Loop Header: Depth=1
	ds_read_b64 v[88:89], v87
	v_mov_b32_e32 v90, s0
	s_add_i32 s0, s0, 1
	v_add_u32_e32 v87, 8, v87
	s_cmp_lg_u32 s18, s0
	s_waitcnt lgkmcnt(0)
	v_cmp_lt_f64_e64 vcc, |v[78:79]|, |v[88:89]|
	v_cndmask_b32_e32 v79, v79, v89, vcc
	v_cndmask_b32_e32 v78, v78, v88, vcc
	;; [unrolled: 1-line block ×3, first 2 shown]
	s_cbranch_scc1 .LBB72_388
.LBB72_389:
	s_waitcnt lgkmcnt(0)
	v_cmp_eq_f64_e32 vcc, 0, v[78:79]
	s_and_saveexec_b64 s[0:1], vcc
	s_xor_b64 s[0:1], exec, s[0:1]
; %bb.390:
	v_cmp_ne_u32_e32 vcc, 0, v86
	v_cndmask_b32_e32 v86, 24, v86, vcc
; %bb.391:
	s_andn2_saveexec_b64 s[0:1], s[0:1]
; %bb.392:
	v_div_scale_f64 v[88:89], s[2:3], v[78:79], v[78:79], 1.0
	v_rcp_f64_e32 v[90:91], v[88:89]
	v_div_scale_f64 v[92:93], vcc, 1.0, v[78:79], 1.0
	v_fma_f64 v[94:95], -v[88:89], v[90:91], 1.0
	v_fmac_f64_e32 v[90:91], v[90:91], v[94:95]
	v_fma_f64 v[94:95], -v[88:89], v[90:91], 1.0
	v_fmac_f64_e32 v[90:91], v[90:91], v[94:95]
	v_mul_f64 v[94:95], v[92:93], v[90:91]
	v_fma_f64 v[88:89], -v[88:89], v[94:95], v[92:93]
	v_div_fmas_f64 v[88:89], v[88:89], v[90:91], v[94:95]
	v_div_fixup_f64 v[78:79], v[88:89], v[78:79], 1.0
; %bb.393:
	s_or_b64 exec, exec, s[0:1]
	v_cmp_ne_u32_e32 vcc, v83, v80
	s_and_saveexec_b64 s[0:1], vcc
	s_xor_b64 s[0:1], exec, s[0:1]
	s_cbranch_execz .LBB72_399
; %bb.394:
	v_cmp_eq_u32_e32 vcc, 23, v83
	s_and_saveexec_b64 s[2:3], vcc
	s_cbranch_execz .LBB72_398
; %bb.395:
	v_cmp_ne_u32_e32 vcc, 23, v80
	s_xor_b64 s[14:15], s[6:7], -1
	s_and_b64 s[16:17], s[14:15], vcc
	s_and_saveexec_b64 s[14:15], s[16:17]
	s_cbranch_execz .LBB72_397
; %bb.396:
	v_ashrrev_i32_e32 v81, 31, v80
	v_lshlrev_b64 v[88:89], 2, v[80:81]
	v_add_co_u32_e32 v88, vcc, v4, v88
	v_addc_co_u32_e32 v89, vcc, v5, v89, vcc
	flat_load_dword v81, v[88:89]
	flat_load_dword v83, v[4:5] offset:92
	s_waitcnt vmcnt(0) lgkmcnt(0)
	flat_store_dword v[4:5], v81 offset:92
	flat_store_dword v[88:89], v83
.LBB72_397:
	s_or_b64 exec, exec, s[14:15]
	v_mov_b32_e32 v81, v80
	v_mov_b32_e32 v83, v80
.LBB72_398:
	s_or_b64 exec, exec, s[2:3]
.LBB72_399:
	s_andn2_saveexec_b64 s[0:1], s[0:1]
	s_cbranch_execz .LBB72_401
; %bb.400:
	v_mov_b32_e32 v88, v26
	v_mov_b32_e32 v89, v27
	v_mov_b32_e32 v90, v24
	v_mov_b32_e32 v91, v25
	ds_write2_b64 v82, v[88:89], v[90:91] offset0:24 offset1:25
	v_mov_b32_e32 v88, v22
	v_mov_b32_e32 v89, v23
	v_mov_b32_e32 v90, v20
	v_mov_b32_e32 v91, v21
	ds_write2_b64 v82, v[88:89], v[90:91] offset0:26 offset1:27
	;; [unrolled: 5-line block ×5, first 2 shown]
	v_mov_b32_e32 v88, v6
	v_mov_b32_e32 v89, v7
	;; [unrolled: 1-line block ×5, first 2 shown]
	ds_write2_b64 v82, v[88:89], v[90:91] offset0:34 offset1:35
	ds_write_b64 v82, v[76:77] offset:288
.LBB72_401:
	s_or_b64 exec, exec, s[0:1]
	v_cmp_lt_i32_e32 vcc, 23, v83
	s_waitcnt lgkmcnt(0)
	s_barrier
	s_and_saveexec_b64 s[0:1], vcc
	s_cbranch_execz .LBB72_403
; %bb.402:
	ds_read2_b64 v[88:91], v82 offset0:24 offset1:25
	ds_read2_b64 v[92:95], v82 offset0:26 offset1:27
	;; [unrolled: 1-line block ×3, first 2 shown]
	v_mul_f64 v[28:29], v[78:79], v[28:29]
	ds_read_b64 v[78:79], v82 offset:288
	s_waitcnt lgkmcnt(0)
	v_fma_f64 v[26:27], -v[28:29], v[88:89], v[26:27]
	v_fma_f64 v[24:25], -v[28:29], v[90:91], v[24:25]
	ds_read2_b64 v[88:91], v82 offset0:30 offset1:31
	v_fma_f64 v[22:23], -v[28:29], v[92:93], v[22:23]
	v_fma_f64 v[20:21], -v[28:29], v[94:95], v[20:21]
	;; [unrolled: 1-line block ×4, first 2 shown]
	ds_read2_b64 v[92:95], v82 offset0:32 offset1:33
	ds_read2_b64 v[96:99], v82 offset0:34 offset1:35
	s_waitcnt lgkmcnt(0)
	v_fma_f64 v[16:17], -v[28:29], v[88:89], v[16:17]
	v_fma_f64 v[12:13], -v[28:29], v[90:91], v[12:13]
	;; [unrolled: 1-line block ×7, first 2 shown]
.LBB72_403:
	s_or_b64 exec, exec, s[0:1]
	v_lshl_add_u32 v78, v83, 3, v82
	s_barrier
	ds_write_b64 v78, v[26:27]
	s_waitcnt lgkmcnt(0)
	s_barrier
	ds_read_b64 v[78:79], v82 offset:192
	s_cmp_lt_i32 s18, 26
	v_mov_b32_e32 v80, 24
	s_cbranch_scc1 .LBB72_406
; %bb.404:
	v_add_u32_e32 v87, 0xc8, v82
	s_mov_b32 s0, 25
	v_mov_b32_e32 v80, 24
.LBB72_405:                             ; =>This Inner Loop Header: Depth=1
	ds_read_b64 v[88:89], v87
	v_mov_b32_e32 v90, s0
	s_add_i32 s0, s0, 1
	v_add_u32_e32 v87, 8, v87
	s_cmp_lg_u32 s18, s0
	s_waitcnt lgkmcnt(0)
	v_cmp_lt_f64_e64 vcc, |v[78:79]|, |v[88:89]|
	v_cndmask_b32_e32 v79, v79, v89, vcc
	v_cndmask_b32_e32 v78, v78, v88, vcc
	;; [unrolled: 1-line block ×3, first 2 shown]
	s_cbranch_scc1 .LBB72_405
.LBB72_406:
	s_waitcnt lgkmcnt(0)
	v_cmp_eq_f64_e32 vcc, 0, v[78:79]
	s_and_saveexec_b64 s[0:1], vcc
	s_xor_b64 s[0:1], exec, s[0:1]
; %bb.407:
	v_cmp_ne_u32_e32 vcc, 0, v86
	v_cndmask_b32_e32 v86, 25, v86, vcc
; %bb.408:
	s_andn2_saveexec_b64 s[0:1], s[0:1]
; %bb.409:
	v_div_scale_f64 v[88:89], s[2:3], v[78:79], v[78:79], 1.0
	v_rcp_f64_e32 v[90:91], v[88:89]
	v_div_scale_f64 v[92:93], vcc, 1.0, v[78:79], 1.0
	v_fma_f64 v[94:95], -v[88:89], v[90:91], 1.0
	v_fmac_f64_e32 v[90:91], v[90:91], v[94:95]
	v_fma_f64 v[94:95], -v[88:89], v[90:91], 1.0
	v_fmac_f64_e32 v[90:91], v[90:91], v[94:95]
	v_mul_f64 v[94:95], v[92:93], v[90:91]
	v_fma_f64 v[88:89], -v[88:89], v[94:95], v[92:93]
	v_div_fmas_f64 v[88:89], v[88:89], v[90:91], v[94:95]
	v_div_fixup_f64 v[78:79], v[88:89], v[78:79], 1.0
; %bb.410:
	s_or_b64 exec, exec, s[0:1]
	v_cmp_ne_u32_e32 vcc, v83, v80
	s_and_saveexec_b64 s[0:1], vcc
	s_xor_b64 s[0:1], exec, s[0:1]
	s_cbranch_execz .LBB72_416
; %bb.411:
	v_cmp_eq_u32_e32 vcc, 24, v83
	s_and_saveexec_b64 s[2:3], vcc
	s_cbranch_execz .LBB72_415
; %bb.412:
	v_cmp_ne_u32_e32 vcc, 24, v80
	s_xor_b64 s[14:15], s[6:7], -1
	s_and_b64 s[16:17], s[14:15], vcc
	s_and_saveexec_b64 s[14:15], s[16:17]
	s_cbranch_execz .LBB72_414
; %bb.413:
	v_ashrrev_i32_e32 v81, 31, v80
	v_lshlrev_b64 v[88:89], 2, v[80:81]
	v_add_co_u32_e32 v88, vcc, v4, v88
	v_addc_co_u32_e32 v89, vcc, v5, v89, vcc
	flat_load_dword v81, v[88:89]
	flat_load_dword v83, v[4:5] offset:96
	s_waitcnt vmcnt(0) lgkmcnt(0)
	flat_store_dword v[4:5], v81 offset:96
	flat_store_dword v[88:89], v83
.LBB72_414:
	s_or_b64 exec, exec, s[14:15]
	v_mov_b32_e32 v81, v80
	v_mov_b32_e32 v83, v80
.LBB72_415:
	s_or_b64 exec, exec, s[2:3]
.LBB72_416:
	s_andn2_saveexec_b64 s[0:1], s[0:1]
	s_cbranch_execz .LBB72_418
; %bb.417:
	v_mov_b32_e32 v83, 24
	ds_write2_b64 v82, v[24:25], v[22:23] offset0:25 offset1:26
	ds_write2_b64 v82, v[20:21], v[18:19] offset0:27 offset1:28
	;; [unrolled: 1-line block ×6, first 2 shown]
.LBB72_418:
	s_or_b64 exec, exec, s[0:1]
	v_cmp_lt_i32_e32 vcc, 24, v83
	s_waitcnt lgkmcnt(0)
	s_barrier
	s_and_saveexec_b64 s[0:1], vcc
	s_cbranch_execz .LBB72_420
; %bb.419:
	ds_read2_b64 v[88:91], v82 offset0:25 offset1:26
	ds_read2_b64 v[92:95], v82 offset0:27 offset1:28
	;; [unrolled: 1-line block ×3, first 2 shown]
	v_mul_f64 v[26:27], v[78:79], v[26:27]
	s_waitcnt lgkmcnt(0)
	v_fma_f64 v[24:25], -v[26:27], v[88:89], v[24:25]
	v_fma_f64 v[22:23], -v[26:27], v[90:91], v[22:23]
	ds_read2_b64 v[88:91], v82 offset0:31 offset1:32
	v_fma_f64 v[20:21], -v[26:27], v[92:93], v[20:21]
	v_fma_f64 v[18:19], -v[26:27], v[94:95], v[18:19]
	;; [unrolled: 1-line block ×3, first 2 shown]
	ds_read2_b64 v[92:95], v82 offset0:33 offset1:34
	v_fma_f64 v[16:17], -v[26:27], v[98:99], v[16:17]
	ds_read2_b64 v[96:99], v82 offset0:35 offset1:36
	s_waitcnt lgkmcnt(0)
	v_fma_f64 v[12:13], -v[26:27], v[88:89], v[12:13]
	v_fma_f64 v[10:11], -v[26:27], v[90:91], v[10:11]
	;; [unrolled: 1-line block ×6, first 2 shown]
.LBB72_420:
	s_or_b64 exec, exec, s[0:1]
	v_lshl_add_u32 v78, v83, 3, v82
	s_barrier
	ds_write_b64 v78, v[24:25]
	s_waitcnt lgkmcnt(0)
	s_barrier
	ds_read_b64 v[78:79], v82 offset:200
	s_cmp_lt_i32 s18, 27
	v_mov_b32_e32 v80, 25
	s_cbranch_scc1 .LBB72_423
; %bb.421:
	v_add_u32_e32 v87, 0xd0, v82
	s_mov_b32 s0, 26
	v_mov_b32_e32 v80, 25
.LBB72_422:                             ; =>This Inner Loop Header: Depth=1
	ds_read_b64 v[88:89], v87
	v_mov_b32_e32 v90, s0
	s_add_i32 s0, s0, 1
	v_add_u32_e32 v87, 8, v87
	s_cmp_lg_u32 s18, s0
	s_waitcnt lgkmcnt(0)
	v_cmp_lt_f64_e64 vcc, |v[78:79]|, |v[88:89]|
	v_cndmask_b32_e32 v79, v79, v89, vcc
	v_cndmask_b32_e32 v78, v78, v88, vcc
	;; [unrolled: 1-line block ×3, first 2 shown]
	s_cbranch_scc1 .LBB72_422
.LBB72_423:
	s_waitcnt lgkmcnt(0)
	v_cmp_eq_f64_e32 vcc, 0, v[78:79]
	s_and_saveexec_b64 s[0:1], vcc
	s_xor_b64 s[0:1], exec, s[0:1]
; %bb.424:
	v_cmp_ne_u32_e32 vcc, 0, v86
	v_cndmask_b32_e32 v86, 26, v86, vcc
; %bb.425:
	s_andn2_saveexec_b64 s[0:1], s[0:1]
; %bb.426:
	v_div_scale_f64 v[88:89], s[2:3], v[78:79], v[78:79], 1.0
	v_rcp_f64_e32 v[90:91], v[88:89]
	v_div_scale_f64 v[92:93], vcc, 1.0, v[78:79], 1.0
	v_fma_f64 v[94:95], -v[88:89], v[90:91], 1.0
	v_fmac_f64_e32 v[90:91], v[90:91], v[94:95]
	v_fma_f64 v[94:95], -v[88:89], v[90:91], 1.0
	v_fmac_f64_e32 v[90:91], v[90:91], v[94:95]
	v_mul_f64 v[94:95], v[92:93], v[90:91]
	v_fma_f64 v[88:89], -v[88:89], v[94:95], v[92:93]
	v_div_fmas_f64 v[88:89], v[88:89], v[90:91], v[94:95]
	v_div_fixup_f64 v[78:79], v[88:89], v[78:79], 1.0
; %bb.427:
	s_or_b64 exec, exec, s[0:1]
	v_cmp_ne_u32_e32 vcc, v83, v80
	s_and_saveexec_b64 s[0:1], vcc
	s_xor_b64 s[0:1], exec, s[0:1]
	s_cbranch_execz .LBB72_433
; %bb.428:
	v_cmp_eq_u32_e32 vcc, 25, v83
	s_and_saveexec_b64 s[2:3], vcc
	s_cbranch_execz .LBB72_432
; %bb.429:
	v_cmp_ne_u32_e32 vcc, 25, v80
	s_xor_b64 s[14:15], s[6:7], -1
	s_and_b64 s[16:17], s[14:15], vcc
	s_and_saveexec_b64 s[14:15], s[16:17]
	s_cbranch_execz .LBB72_431
; %bb.430:
	v_ashrrev_i32_e32 v81, 31, v80
	v_lshlrev_b64 v[88:89], 2, v[80:81]
	v_add_co_u32_e32 v88, vcc, v4, v88
	v_addc_co_u32_e32 v89, vcc, v5, v89, vcc
	flat_load_dword v81, v[88:89]
	flat_load_dword v83, v[4:5] offset:100
	s_waitcnt vmcnt(0) lgkmcnt(0)
	flat_store_dword v[4:5], v81 offset:100
	flat_store_dword v[88:89], v83
.LBB72_431:
	s_or_b64 exec, exec, s[14:15]
	v_mov_b32_e32 v81, v80
	v_mov_b32_e32 v83, v80
.LBB72_432:
	s_or_b64 exec, exec, s[2:3]
.LBB72_433:
	s_andn2_saveexec_b64 s[0:1], s[0:1]
	s_cbranch_execz .LBB72_435
; %bb.434:
	v_mov_b32_e32 v88, v22
	v_mov_b32_e32 v89, v23
	v_mov_b32_e32 v90, v20
	v_mov_b32_e32 v91, v21
	ds_write2_b64 v82, v[88:89], v[90:91] offset0:26 offset1:27
	v_mov_b32_e32 v88, v18
	v_mov_b32_e32 v89, v19
	v_mov_b32_e32 v90, v14
	v_mov_b32_e32 v91, v15
	ds_write2_b64 v82, v[88:89], v[90:91] offset0:28 offset1:29
	v_mov_b32_e32 v88, v16
	v_mov_b32_e32 v89, v17
	v_mov_b32_e32 v90, v12
	v_mov_b32_e32 v91, v13
	ds_write2_b64 v82, v[88:89], v[90:91] offset0:30 offset1:31
	v_mov_b32_e32 v88, v10
	v_mov_b32_e32 v89, v11
	v_mov_b32_e32 v90, v8
	v_mov_b32_e32 v91, v9
	ds_write2_b64 v82, v[88:89], v[90:91] offset0:32 offset1:33
	v_mov_b32_e32 v88, v6
	v_mov_b32_e32 v89, v7
	v_mov_b32_e32 v90, v0
	v_mov_b32_e32 v91, v1
	v_mov_b32_e32 v83, 25
	ds_write2_b64 v82, v[88:89], v[90:91] offset0:34 offset1:35
	ds_write_b64 v82, v[76:77] offset:288
.LBB72_435:
	s_or_b64 exec, exec, s[0:1]
	v_cmp_lt_i32_e32 vcc, 25, v83
	s_waitcnt lgkmcnt(0)
	s_barrier
	s_and_saveexec_b64 s[0:1], vcc
	s_cbranch_execz .LBB72_437
; %bb.436:
	ds_read2_b64 v[88:91], v82 offset0:26 offset1:27
	ds_read2_b64 v[92:95], v82 offset0:28 offset1:29
	v_mul_f64 v[24:25], v[78:79], v[24:25]
	ds_read2_b64 v[96:99], v82 offset0:30 offset1:31
	ds_read_b64 v[78:79], v82 offset:288
	s_waitcnt lgkmcnt(0)
	v_fma_f64 v[22:23], -v[24:25], v[88:89], v[22:23]
	v_fma_f64 v[20:21], -v[24:25], v[90:91], v[20:21]
	ds_read2_b64 v[88:91], v82 offset0:32 offset1:33
	v_fma_f64 v[18:19], -v[24:25], v[92:93], v[18:19]
	v_fma_f64 v[14:15], -v[24:25], v[94:95], v[14:15]
	ds_read2_b64 v[92:95], v82 offset0:34 offset1:35
	v_fma_f64 v[16:17], -v[24:25], v[96:97], v[16:17]
	v_fma_f64 v[12:13], -v[24:25], v[98:99], v[12:13]
	s_waitcnt lgkmcnt(0)
	v_fma_f64 v[10:11], -v[24:25], v[88:89], v[10:11]
	v_fma_f64 v[8:9], -v[24:25], v[90:91], v[8:9]
	;; [unrolled: 1-line block ×5, first 2 shown]
.LBB72_437:
	s_or_b64 exec, exec, s[0:1]
	v_lshl_add_u32 v78, v83, 3, v82
	s_barrier
	ds_write_b64 v78, v[22:23]
	s_waitcnt lgkmcnt(0)
	s_barrier
	ds_read_b64 v[78:79], v82 offset:208
	s_cmp_lt_i32 s18, 28
	v_mov_b32_e32 v80, 26
	s_cbranch_scc1 .LBB72_440
; %bb.438:
	v_add_u32_e32 v87, 0xd8, v82
	s_mov_b32 s0, 27
	v_mov_b32_e32 v80, 26
.LBB72_439:                             ; =>This Inner Loop Header: Depth=1
	ds_read_b64 v[88:89], v87
	v_mov_b32_e32 v90, s0
	s_add_i32 s0, s0, 1
	v_add_u32_e32 v87, 8, v87
	s_cmp_lg_u32 s18, s0
	s_waitcnt lgkmcnt(0)
	v_cmp_lt_f64_e64 vcc, |v[78:79]|, |v[88:89]|
	v_cndmask_b32_e32 v79, v79, v89, vcc
	v_cndmask_b32_e32 v78, v78, v88, vcc
	;; [unrolled: 1-line block ×3, first 2 shown]
	s_cbranch_scc1 .LBB72_439
.LBB72_440:
	s_waitcnt lgkmcnt(0)
	v_cmp_eq_f64_e32 vcc, 0, v[78:79]
	s_and_saveexec_b64 s[0:1], vcc
	s_xor_b64 s[0:1], exec, s[0:1]
; %bb.441:
	v_cmp_ne_u32_e32 vcc, 0, v86
	v_cndmask_b32_e32 v86, 27, v86, vcc
; %bb.442:
	s_andn2_saveexec_b64 s[0:1], s[0:1]
; %bb.443:
	v_div_scale_f64 v[88:89], s[2:3], v[78:79], v[78:79], 1.0
	v_rcp_f64_e32 v[90:91], v[88:89]
	v_div_scale_f64 v[92:93], vcc, 1.0, v[78:79], 1.0
	v_fma_f64 v[94:95], -v[88:89], v[90:91], 1.0
	v_fmac_f64_e32 v[90:91], v[90:91], v[94:95]
	v_fma_f64 v[94:95], -v[88:89], v[90:91], 1.0
	v_fmac_f64_e32 v[90:91], v[90:91], v[94:95]
	v_mul_f64 v[94:95], v[92:93], v[90:91]
	v_fma_f64 v[88:89], -v[88:89], v[94:95], v[92:93]
	v_div_fmas_f64 v[88:89], v[88:89], v[90:91], v[94:95]
	v_div_fixup_f64 v[78:79], v[88:89], v[78:79], 1.0
; %bb.444:
	s_or_b64 exec, exec, s[0:1]
	v_cmp_ne_u32_e32 vcc, v83, v80
	s_and_saveexec_b64 s[0:1], vcc
	s_xor_b64 s[0:1], exec, s[0:1]
	s_cbranch_execz .LBB72_450
; %bb.445:
	v_cmp_eq_u32_e32 vcc, 26, v83
	s_and_saveexec_b64 s[2:3], vcc
	s_cbranch_execz .LBB72_449
; %bb.446:
	v_cmp_ne_u32_e32 vcc, 26, v80
	s_xor_b64 s[14:15], s[6:7], -1
	s_and_b64 s[16:17], s[14:15], vcc
	s_and_saveexec_b64 s[14:15], s[16:17]
	s_cbranch_execz .LBB72_448
; %bb.447:
	v_ashrrev_i32_e32 v81, 31, v80
	v_lshlrev_b64 v[88:89], 2, v[80:81]
	v_add_co_u32_e32 v88, vcc, v4, v88
	v_addc_co_u32_e32 v89, vcc, v5, v89, vcc
	flat_load_dword v81, v[88:89]
	flat_load_dword v83, v[4:5] offset:104
	s_waitcnt vmcnt(0) lgkmcnt(0)
	flat_store_dword v[4:5], v81 offset:104
	flat_store_dword v[88:89], v83
.LBB72_448:
	s_or_b64 exec, exec, s[14:15]
	v_mov_b32_e32 v81, v80
	v_mov_b32_e32 v83, v80
.LBB72_449:
	s_or_b64 exec, exec, s[2:3]
.LBB72_450:
	s_andn2_saveexec_b64 s[0:1], s[0:1]
	s_cbranch_execz .LBB72_452
; %bb.451:
	v_mov_b32_e32 v83, 26
	ds_write2_b64 v82, v[20:21], v[18:19] offset0:27 offset1:28
	ds_write2_b64 v82, v[14:15], v[16:17] offset0:29 offset1:30
	;; [unrolled: 1-line block ×5, first 2 shown]
.LBB72_452:
	s_or_b64 exec, exec, s[0:1]
	v_cmp_lt_i32_e32 vcc, 26, v83
	s_waitcnt lgkmcnt(0)
	s_barrier
	s_and_saveexec_b64 s[0:1], vcc
	s_cbranch_execz .LBB72_454
; %bb.453:
	ds_read2_b64 v[88:91], v82 offset0:27 offset1:28
	ds_read2_b64 v[92:95], v82 offset0:29 offset1:30
	v_mul_f64 v[22:23], v[78:79], v[22:23]
	ds_read2_b64 v[96:99], v82 offset0:33 offset1:34
	s_waitcnt lgkmcnt(0)
	v_fma_f64 v[20:21], -v[22:23], v[88:89], v[20:21]
	v_fma_f64 v[18:19], -v[22:23], v[90:91], v[18:19]
	ds_read2_b64 v[88:91], v82 offset0:31 offset1:32
	v_fma_f64 v[14:15], -v[22:23], v[92:93], v[14:15]
	v_fma_f64 v[16:17], -v[22:23], v[94:95], v[16:17]
	ds_read2_b64 v[92:95], v82 offset0:35 offset1:36
	v_fma_f64 v[8:9], -v[22:23], v[96:97], v[8:9]
	s_waitcnt lgkmcnt(0)
	v_fma_f64 v[12:13], -v[22:23], v[88:89], v[12:13]
	v_fma_f64 v[10:11], -v[22:23], v[90:91], v[10:11]
	;; [unrolled: 1-line block ×5, first 2 shown]
.LBB72_454:
	s_or_b64 exec, exec, s[0:1]
	v_lshl_add_u32 v78, v83, 3, v82
	s_barrier
	ds_write_b64 v78, v[20:21]
	s_waitcnt lgkmcnt(0)
	s_barrier
	ds_read_b64 v[78:79], v82 offset:216
	s_cmp_lt_i32 s18, 29
	v_mov_b32_e32 v80, 27
	s_cbranch_scc1 .LBB72_457
; %bb.455:
	v_add_u32_e32 v87, 0xe0, v82
	s_mov_b32 s0, 28
	v_mov_b32_e32 v80, 27
.LBB72_456:                             ; =>This Inner Loop Header: Depth=1
	ds_read_b64 v[88:89], v87
	v_mov_b32_e32 v90, s0
	s_add_i32 s0, s0, 1
	v_add_u32_e32 v87, 8, v87
	s_cmp_lg_u32 s18, s0
	s_waitcnt lgkmcnt(0)
	v_cmp_lt_f64_e64 vcc, |v[78:79]|, |v[88:89]|
	v_cndmask_b32_e32 v79, v79, v89, vcc
	v_cndmask_b32_e32 v78, v78, v88, vcc
	v_cndmask_b32_e32 v80, v80, v90, vcc
	s_cbranch_scc1 .LBB72_456
.LBB72_457:
	s_waitcnt lgkmcnt(0)
	v_cmp_eq_f64_e32 vcc, 0, v[78:79]
	s_and_saveexec_b64 s[0:1], vcc
	s_xor_b64 s[0:1], exec, s[0:1]
; %bb.458:
	v_cmp_ne_u32_e32 vcc, 0, v86
	v_cndmask_b32_e32 v86, 28, v86, vcc
; %bb.459:
	s_andn2_saveexec_b64 s[0:1], s[0:1]
; %bb.460:
	v_div_scale_f64 v[88:89], s[2:3], v[78:79], v[78:79], 1.0
	v_rcp_f64_e32 v[90:91], v[88:89]
	v_div_scale_f64 v[92:93], vcc, 1.0, v[78:79], 1.0
	v_fma_f64 v[94:95], -v[88:89], v[90:91], 1.0
	v_fmac_f64_e32 v[90:91], v[90:91], v[94:95]
	v_fma_f64 v[94:95], -v[88:89], v[90:91], 1.0
	v_fmac_f64_e32 v[90:91], v[90:91], v[94:95]
	v_mul_f64 v[94:95], v[92:93], v[90:91]
	v_fma_f64 v[88:89], -v[88:89], v[94:95], v[92:93]
	v_div_fmas_f64 v[88:89], v[88:89], v[90:91], v[94:95]
	v_div_fixup_f64 v[78:79], v[88:89], v[78:79], 1.0
; %bb.461:
	s_or_b64 exec, exec, s[0:1]
	v_cmp_ne_u32_e32 vcc, v83, v80
	s_and_saveexec_b64 s[0:1], vcc
	s_xor_b64 s[0:1], exec, s[0:1]
	s_cbranch_execz .LBB72_467
; %bb.462:
	v_cmp_eq_u32_e32 vcc, 27, v83
	s_and_saveexec_b64 s[2:3], vcc
	s_cbranch_execz .LBB72_466
; %bb.463:
	v_cmp_ne_u32_e32 vcc, 27, v80
	s_xor_b64 s[14:15], s[6:7], -1
	s_and_b64 s[16:17], s[14:15], vcc
	s_and_saveexec_b64 s[14:15], s[16:17]
	s_cbranch_execz .LBB72_465
; %bb.464:
	v_ashrrev_i32_e32 v81, 31, v80
	v_lshlrev_b64 v[88:89], 2, v[80:81]
	v_add_co_u32_e32 v88, vcc, v4, v88
	v_addc_co_u32_e32 v89, vcc, v5, v89, vcc
	flat_load_dword v81, v[88:89]
	flat_load_dword v83, v[4:5] offset:108
	s_waitcnt vmcnt(0) lgkmcnt(0)
	flat_store_dword v[4:5], v81 offset:108
	flat_store_dword v[88:89], v83
.LBB72_465:
	s_or_b64 exec, exec, s[14:15]
	v_mov_b32_e32 v81, v80
	v_mov_b32_e32 v83, v80
.LBB72_466:
	s_or_b64 exec, exec, s[2:3]
.LBB72_467:
	s_andn2_saveexec_b64 s[0:1], s[0:1]
	s_cbranch_execz .LBB72_469
; %bb.468:
	v_mov_b32_e32 v88, v18
	v_mov_b32_e32 v89, v19
	v_mov_b32_e32 v90, v14
	v_mov_b32_e32 v91, v15
	ds_write2_b64 v82, v[88:89], v[90:91] offset0:28 offset1:29
	v_mov_b32_e32 v88, v16
	v_mov_b32_e32 v89, v17
	v_mov_b32_e32 v90, v12
	v_mov_b32_e32 v91, v13
	ds_write2_b64 v82, v[88:89], v[90:91] offset0:30 offset1:31
	;; [unrolled: 5-line block ×3, first 2 shown]
	v_mov_b32_e32 v88, v6
	v_mov_b32_e32 v89, v7
	;; [unrolled: 1-line block ×5, first 2 shown]
	ds_write2_b64 v82, v[88:89], v[90:91] offset0:34 offset1:35
	ds_write_b64 v82, v[76:77] offset:288
.LBB72_469:
	s_or_b64 exec, exec, s[0:1]
	v_cmp_lt_i32_e32 vcc, 27, v83
	s_waitcnt lgkmcnt(0)
	s_barrier
	s_and_saveexec_b64 s[0:1], vcc
	s_cbranch_execz .LBB72_471
; %bb.470:
	ds_read2_b64 v[88:91], v82 offset0:28 offset1:29
	ds_read2_b64 v[92:95], v82 offset0:30 offset1:31
	v_mul_f64 v[20:21], v[78:79], v[20:21]
	ds_read_b64 v[78:79], v82 offset:288
	ds_read2_b64 v[96:99], v82 offset0:34 offset1:35
	s_waitcnt lgkmcnt(0)
	v_fma_f64 v[18:19], -v[20:21], v[88:89], v[18:19]
	v_fma_f64 v[14:15], -v[20:21], v[90:91], v[14:15]
	ds_read2_b64 v[88:91], v82 offset0:32 offset1:33
	v_fma_f64 v[16:17], -v[20:21], v[92:93], v[16:17]
	v_fma_f64 v[12:13], -v[20:21], v[94:95], v[12:13]
	;; [unrolled: 1-line block ×4, first 2 shown]
	s_waitcnt lgkmcnt(0)
	v_fma_f64 v[10:11], -v[20:21], v[88:89], v[10:11]
	v_fma_f64 v[8:9], -v[20:21], v[90:91], v[8:9]
	;; [unrolled: 1-line block ×3, first 2 shown]
.LBB72_471:
	s_or_b64 exec, exec, s[0:1]
	v_lshl_add_u32 v78, v83, 3, v82
	s_barrier
	ds_write_b64 v78, v[18:19]
	s_waitcnt lgkmcnt(0)
	s_barrier
	ds_read_b64 v[78:79], v82 offset:224
	s_cmp_lt_i32 s18, 30
	v_mov_b32_e32 v80, 28
	s_cbranch_scc1 .LBB72_474
; %bb.472:
	v_add_u32_e32 v87, 0xe8, v82
	s_mov_b32 s0, 29
	v_mov_b32_e32 v80, 28
.LBB72_473:                             ; =>This Inner Loop Header: Depth=1
	ds_read_b64 v[88:89], v87
	v_mov_b32_e32 v90, s0
	s_add_i32 s0, s0, 1
	v_add_u32_e32 v87, 8, v87
	s_cmp_lg_u32 s18, s0
	s_waitcnt lgkmcnt(0)
	v_cmp_lt_f64_e64 vcc, |v[78:79]|, |v[88:89]|
	v_cndmask_b32_e32 v79, v79, v89, vcc
	v_cndmask_b32_e32 v78, v78, v88, vcc
	;; [unrolled: 1-line block ×3, first 2 shown]
	s_cbranch_scc1 .LBB72_473
.LBB72_474:
	s_waitcnt lgkmcnt(0)
	v_cmp_eq_f64_e32 vcc, 0, v[78:79]
	s_and_saveexec_b64 s[0:1], vcc
	s_xor_b64 s[0:1], exec, s[0:1]
; %bb.475:
	v_cmp_ne_u32_e32 vcc, 0, v86
	v_cndmask_b32_e32 v86, 29, v86, vcc
; %bb.476:
	s_andn2_saveexec_b64 s[0:1], s[0:1]
; %bb.477:
	v_div_scale_f64 v[88:89], s[2:3], v[78:79], v[78:79], 1.0
	v_rcp_f64_e32 v[90:91], v[88:89]
	v_div_scale_f64 v[92:93], vcc, 1.0, v[78:79], 1.0
	v_fma_f64 v[94:95], -v[88:89], v[90:91], 1.0
	v_fmac_f64_e32 v[90:91], v[90:91], v[94:95]
	v_fma_f64 v[94:95], -v[88:89], v[90:91], 1.0
	v_fmac_f64_e32 v[90:91], v[90:91], v[94:95]
	v_mul_f64 v[94:95], v[92:93], v[90:91]
	v_fma_f64 v[88:89], -v[88:89], v[94:95], v[92:93]
	v_div_fmas_f64 v[88:89], v[88:89], v[90:91], v[94:95]
	v_div_fixup_f64 v[78:79], v[88:89], v[78:79], 1.0
; %bb.478:
	s_or_b64 exec, exec, s[0:1]
	v_cmp_ne_u32_e32 vcc, v83, v80
	s_and_saveexec_b64 s[0:1], vcc
	s_xor_b64 s[0:1], exec, s[0:1]
	s_cbranch_execz .LBB72_484
; %bb.479:
	v_cmp_eq_u32_e32 vcc, 28, v83
	s_and_saveexec_b64 s[2:3], vcc
	s_cbranch_execz .LBB72_483
; %bb.480:
	v_cmp_ne_u32_e32 vcc, 28, v80
	s_xor_b64 s[14:15], s[6:7], -1
	s_and_b64 s[16:17], s[14:15], vcc
	s_and_saveexec_b64 s[14:15], s[16:17]
	s_cbranch_execz .LBB72_482
; %bb.481:
	v_ashrrev_i32_e32 v81, 31, v80
	v_lshlrev_b64 v[88:89], 2, v[80:81]
	v_add_co_u32_e32 v88, vcc, v4, v88
	v_addc_co_u32_e32 v89, vcc, v5, v89, vcc
	flat_load_dword v81, v[88:89]
	flat_load_dword v83, v[4:5] offset:112
	s_waitcnt vmcnt(0) lgkmcnt(0)
	flat_store_dword v[4:5], v81 offset:112
	flat_store_dword v[88:89], v83
.LBB72_482:
	s_or_b64 exec, exec, s[14:15]
	v_mov_b32_e32 v81, v80
	v_mov_b32_e32 v83, v80
.LBB72_483:
	s_or_b64 exec, exec, s[2:3]
.LBB72_484:
	s_andn2_saveexec_b64 s[0:1], s[0:1]
	s_cbranch_execz .LBB72_486
; %bb.485:
	v_mov_b32_e32 v83, 28
	ds_write2_b64 v82, v[14:15], v[16:17] offset0:29 offset1:30
	ds_write2_b64 v82, v[12:13], v[10:11] offset0:31 offset1:32
	;; [unrolled: 1-line block ×4, first 2 shown]
.LBB72_486:
	s_or_b64 exec, exec, s[0:1]
	v_cmp_lt_i32_e32 vcc, 28, v83
	s_waitcnt lgkmcnt(0)
	s_barrier
	s_and_saveexec_b64 s[0:1], vcc
	s_cbranch_execz .LBB72_488
; %bb.487:
	ds_read2_b64 v[88:91], v82 offset0:29 offset1:30
	ds_read2_b64 v[92:95], v82 offset0:31 offset1:32
	v_mul_f64 v[18:19], v[78:79], v[18:19]
	ds_read2_b64 v[96:99], v82 offset0:33 offset1:34
	s_waitcnt lgkmcnt(0)
	v_fma_f64 v[14:15], -v[18:19], v[88:89], v[14:15]
	v_fma_f64 v[16:17], -v[18:19], v[90:91], v[16:17]
	ds_read2_b64 v[88:91], v82 offset0:35 offset1:36
	v_fma_f64 v[12:13], -v[18:19], v[92:93], v[12:13]
	v_fma_f64 v[10:11], -v[18:19], v[94:95], v[10:11]
	;; [unrolled: 1-line block ×4, first 2 shown]
	s_waitcnt lgkmcnt(0)
	v_fma_f64 v[0:1], -v[18:19], v[88:89], v[0:1]
	v_fma_f64 v[76:77], -v[18:19], v[90:91], v[76:77]
.LBB72_488:
	s_or_b64 exec, exec, s[0:1]
	v_lshl_add_u32 v78, v83, 3, v82
	s_barrier
	ds_write_b64 v78, v[14:15]
	s_waitcnt lgkmcnt(0)
	s_barrier
	ds_read_b64 v[78:79], v82 offset:232
	s_cmp_lt_i32 s18, 31
	v_mov_b32_e32 v80, 29
	s_cbranch_scc1 .LBB72_491
; %bb.489:
	v_add_u32_e32 v87, 0xf0, v82
	s_mov_b32 s0, 30
	v_mov_b32_e32 v80, 29
.LBB72_490:                             ; =>This Inner Loop Header: Depth=1
	ds_read_b64 v[88:89], v87
	v_mov_b32_e32 v90, s0
	s_add_i32 s0, s0, 1
	v_add_u32_e32 v87, 8, v87
	s_cmp_lg_u32 s18, s0
	s_waitcnt lgkmcnt(0)
	v_cmp_lt_f64_e64 vcc, |v[78:79]|, |v[88:89]|
	v_cndmask_b32_e32 v79, v79, v89, vcc
	v_cndmask_b32_e32 v78, v78, v88, vcc
	;; [unrolled: 1-line block ×3, first 2 shown]
	s_cbranch_scc1 .LBB72_490
.LBB72_491:
	s_waitcnt lgkmcnt(0)
	v_cmp_eq_f64_e32 vcc, 0, v[78:79]
	s_and_saveexec_b64 s[0:1], vcc
	s_xor_b64 s[0:1], exec, s[0:1]
; %bb.492:
	v_cmp_ne_u32_e32 vcc, 0, v86
	v_cndmask_b32_e32 v86, 30, v86, vcc
; %bb.493:
	s_andn2_saveexec_b64 s[0:1], s[0:1]
; %bb.494:
	v_div_scale_f64 v[88:89], s[2:3], v[78:79], v[78:79], 1.0
	v_rcp_f64_e32 v[90:91], v[88:89]
	v_div_scale_f64 v[92:93], vcc, 1.0, v[78:79], 1.0
	v_fma_f64 v[94:95], -v[88:89], v[90:91], 1.0
	v_fmac_f64_e32 v[90:91], v[90:91], v[94:95]
	v_fma_f64 v[94:95], -v[88:89], v[90:91], 1.0
	v_fmac_f64_e32 v[90:91], v[90:91], v[94:95]
	v_mul_f64 v[94:95], v[92:93], v[90:91]
	v_fma_f64 v[88:89], -v[88:89], v[94:95], v[92:93]
	v_div_fmas_f64 v[88:89], v[88:89], v[90:91], v[94:95]
	v_div_fixup_f64 v[78:79], v[88:89], v[78:79], 1.0
; %bb.495:
	s_or_b64 exec, exec, s[0:1]
	v_cmp_ne_u32_e32 vcc, v83, v80
	s_and_saveexec_b64 s[0:1], vcc
	s_xor_b64 s[0:1], exec, s[0:1]
	s_cbranch_execz .LBB72_501
; %bb.496:
	v_cmp_eq_u32_e32 vcc, 29, v83
	s_and_saveexec_b64 s[2:3], vcc
	s_cbranch_execz .LBB72_500
; %bb.497:
	v_cmp_ne_u32_e32 vcc, 29, v80
	s_xor_b64 s[14:15], s[6:7], -1
	s_and_b64 s[16:17], s[14:15], vcc
	s_and_saveexec_b64 s[14:15], s[16:17]
	s_cbranch_execz .LBB72_499
; %bb.498:
	v_ashrrev_i32_e32 v81, 31, v80
	v_lshlrev_b64 v[88:89], 2, v[80:81]
	v_add_co_u32_e32 v88, vcc, v4, v88
	v_addc_co_u32_e32 v89, vcc, v5, v89, vcc
	flat_load_dword v81, v[88:89]
	flat_load_dword v83, v[4:5] offset:116
	s_waitcnt vmcnt(0) lgkmcnt(0)
	flat_store_dword v[4:5], v81 offset:116
	flat_store_dword v[88:89], v83
.LBB72_499:
	s_or_b64 exec, exec, s[14:15]
	v_mov_b32_e32 v81, v80
	v_mov_b32_e32 v83, v80
.LBB72_500:
	s_or_b64 exec, exec, s[2:3]
.LBB72_501:
	s_andn2_saveexec_b64 s[0:1], s[0:1]
	s_cbranch_execz .LBB72_503
; %bb.502:
	v_mov_b32_e32 v88, v16
	v_mov_b32_e32 v89, v17
	v_mov_b32_e32 v90, v12
	v_mov_b32_e32 v91, v13
	ds_write2_b64 v82, v[88:89], v[90:91] offset0:30 offset1:31
	v_mov_b32_e32 v88, v10
	v_mov_b32_e32 v89, v11
	;; [unrolled: 1-line block ×4, first 2 shown]
	ds_write2_b64 v82, v[88:89], v[90:91] offset0:32 offset1:33
	v_mov_b32_e32 v88, v6
	v_mov_b32_e32 v89, v7
	;; [unrolled: 1-line block ×5, first 2 shown]
	ds_write2_b64 v82, v[88:89], v[90:91] offset0:34 offset1:35
	ds_write_b64 v82, v[76:77] offset:288
.LBB72_503:
	s_or_b64 exec, exec, s[0:1]
	v_cmp_lt_i32_e32 vcc, 29, v83
	s_waitcnt lgkmcnt(0)
	s_barrier
	s_and_saveexec_b64 s[0:1], vcc
	s_cbranch_execz .LBB72_505
; %bb.504:
	ds_read2_b64 v[88:91], v82 offset0:30 offset1:31
	ds_read2_b64 v[92:95], v82 offset0:32 offset1:33
	v_mul_f64 v[14:15], v[78:79], v[14:15]
	ds_read2_b64 v[96:99], v82 offset0:34 offset1:35
	ds_read_b64 v[78:79], v82 offset:288
	s_waitcnt lgkmcnt(0)
	v_fma_f64 v[16:17], -v[14:15], v[88:89], v[16:17]
	v_fma_f64 v[12:13], -v[14:15], v[90:91], v[12:13]
	;; [unrolled: 1-line block ×7, first 2 shown]
.LBB72_505:
	s_or_b64 exec, exec, s[0:1]
	v_lshl_add_u32 v78, v83, 3, v82
	s_barrier
	ds_write_b64 v78, v[16:17]
	s_waitcnt lgkmcnt(0)
	s_barrier
	ds_read_b64 v[78:79], v82 offset:240
	s_cmp_lt_i32 s18, 32
	v_mov_b32_e32 v80, 30
	s_cbranch_scc1 .LBB72_508
; %bb.506:
	v_add_u32_e32 v87, 0xf8, v82
	s_mov_b32 s0, 31
	v_mov_b32_e32 v80, 30
.LBB72_507:                             ; =>This Inner Loop Header: Depth=1
	ds_read_b64 v[88:89], v87
	v_mov_b32_e32 v90, s0
	s_add_i32 s0, s0, 1
	v_add_u32_e32 v87, 8, v87
	s_cmp_lg_u32 s18, s0
	s_waitcnt lgkmcnt(0)
	v_cmp_lt_f64_e64 vcc, |v[78:79]|, |v[88:89]|
	v_cndmask_b32_e32 v79, v79, v89, vcc
	v_cndmask_b32_e32 v78, v78, v88, vcc
	v_cndmask_b32_e32 v80, v80, v90, vcc
	s_cbranch_scc1 .LBB72_507
.LBB72_508:
	s_waitcnt lgkmcnt(0)
	v_cmp_eq_f64_e32 vcc, 0, v[78:79]
	s_and_saveexec_b64 s[0:1], vcc
	s_xor_b64 s[0:1], exec, s[0:1]
; %bb.509:
	v_cmp_ne_u32_e32 vcc, 0, v86
	v_cndmask_b32_e32 v86, 31, v86, vcc
; %bb.510:
	s_andn2_saveexec_b64 s[0:1], s[0:1]
; %bb.511:
	v_div_scale_f64 v[88:89], s[2:3], v[78:79], v[78:79], 1.0
	v_rcp_f64_e32 v[90:91], v[88:89]
	v_div_scale_f64 v[92:93], vcc, 1.0, v[78:79], 1.0
	v_fma_f64 v[94:95], -v[88:89], v[90:91], 1.0
	v_fmac_f64_e32 v[90:91], v[90:91], v[94:95]
	v_fma_f64 v[94:95], -v[88:89], v[90:91], 1.0
	v_fmac_f64_e32 v[90:91], v[90:91], v[94:95]
	v_mul_f64 v[94:95], v[92:93], v[90:91]
	v_fma_f64 v[88:89], -v[88:89], v[94:95], v[92:93]
	v_div_fmas_f64 v[88:89], v[88:89], v[90:91], v[94:95]
	v_div_fixup_f64 v[78:79], v[88:89], v[78:79], 1.0
; %bb.512:
	s_or_b64 exec, exec, s[0:1]
	v_cmp_ne_u32_e32 vcc, v83, v80
	s_and_saveexec_b64 s[0:1], vcc
	s_xor_b64 s[0:1], exec, s[0:1]
	s_cbranch_execz .LBB72_518
; %bb.513:
	v_cmp_eq_u32_e32 vcc, 30, v83
	s_and_saveexec_b64 s[2:3], vcc
	s_cbranch_execz .LBB72_517
; %bb.514:
	v_cmp_ne_u32_e32 vcc, 30, v80
	s_xor_b64 s[14:15], s[6:7], -1
	s_and_b64 s[16:17], s[14:15], vcc
	s_and_saveexec_b64 s[14:15], s[16:17]
	s_cbranch_execz .LBB72_516
; %bb.515:
	v_ashrrev_i32_e32 v81, 31, v80
	v_lshlrev_b64 v[88:89], 2, v[80:81]
	v_add_co_u32_e32 v88, vcc, v4, v88
	v_addc_co_u32_e32 v89, vcc, v5, v89, vcc
	flat_load_dword v81, v[88:89]
	flat_load_dword v83, v[4:5] offset:120
	s_waitcnt vmcnt(0) lgkmcnt(0)
	flat_store_dword v[4:5], v81 offset:120
	flat_store_dword v[88:89], v83
.LBB72_516:
	s_or_b64 exec, exec, s[14:15]
	v_mov_b32_e32 v81, v80
	v_mov_b32_e32 v83, v80
.LBB72_517:
	s_or_b64 exec, exec, s[2:3]
.LBB72_518:
	s_andn2_saveexec_b64 s[0:1], s[0:1]
	s_cbranch_execz .LBB72_520
; %bb.519:
	v_mov_b32_e32 v83, 30
	ds_write2_b64 v82, v[12:13], v[10:11] offset0:31 offset1:32
	ds_write2_b64 v82, v[8:9], v[6:7] offset0:33 offset1:34
	;; [unrolled: 1-line block ×3, first 2 shown]
.LBB72_520:
	s_or_b64 exec, exec, s[0:1]
	v_cmp_lt_i32_e32 vcc, 30, v83
	s_waitcnt lgkmcnt(0)
	s_barrier
	s_and_saveexec_b64 s[0:1], vcc
	s_cbranch_execz .LBB72_522
; %bb.521:
	ds_read2_b64 v[88:91], v82 offset0:31 offset1:32
	ds_read2_b64 v[92:95], v82 offset0:33 offset1:34
	ds_read2_b64 v[96:99], v82 offset0:35 offset1:36
	v_mul_f64 v[16:17], v[78:79], v[16:17]
	s_waitcnt lgkmcnt(0)
	v_fma_f64 v[12:13], -v[16:17], v[88:89], v[12:13]
	v_fma_f64 v[10:11], -v[16:17], v[90:91], v[10:11]
	v_fma_f64 v[8:9], -v[16:17], v[92:93], v[8:9]
	v_fma_f64 v[6:7], -v[16:17], v[94:95], v[6:7]
	v_fma_f64 v[0:1], -v[16:17], v[96:97], v[0:1]
	v_fma_f64 v[76:77], -v[16:17], v[98:99], v[76:77]
.LBB72_522:
	s_or_b64 exec, exec, s[0:1]
	v_lshl_add_u32 v78, v83, 3, v82
	s_barrier
	ds_write_b64 v78, v[12:13]
	s_waitcnt lgkmcnt(0)
	s_barrier
	ds_read_b64 v[78:79], v82 offset:248
	s_cmp_lt_i32 s18, 33
	v_mov_b32_e32 v80, 31
	s_cbranch_scc1 .LBB72_525
; %bb.523:
	v_add_u32_e32 v87, 0x100, v82
	s_mov_b32 s0, 32
	v_mov_b32_e32 v80, 31
.LBB72_524:                             ; =>This Inner Loop Header: Depth=1
	ds_read_b64 v[88:89], v87
	v_mov_b32_e32 v90, s0
	s_add_i32 s0, s0, 1
	v_add_u32_e32 v87, 8, v87
	s_cmp_lg_u32 s18, s0
	s_waitcnt lgkmcnt(0)
	v_cmp_lt_f64_e64 vcc, |v[78:79]|, |v[88:89]|
	v_cndmask_b32_e32 v79, v79, v89, vcc
	v_cndmask_b32_e32 v78, v78, v88, vcc
	;; [unrolled: 1-line block ×3, first 2 shown]
	s_cbranch_scc1 .LBB72_524
.LBB72_525:
	s_waitcnt lgkmcnt(0)
	v_cmp_eq_f64_e32 vcc, 0, v[78:79]
	s_and_saveexec_b64 s[0:1], vcc
	s_xor_b64 s[0:1], exec, s[0:1]
; %bb.526:
	v_cmp_ne_u32_e32 vcc, 0, v86
	v_cndmask_b32_e32 v86, 32, v86, vcc
; %bb.527:
	s_andn2_saveexec_b64 s[0:1], s[0:1]
; %bb.528:
	v_div_scale_f64 v[88:89], s[2:3], v[78:79], v[78:79], 1.0
	v_rcp_f64_e32 v[90:91], v[88:89]
	v_div_scale_f64 v[92:93], vcc, 1.0, v[78:79], 1.0
	v_fma_f64 v[94:95], -v[88:89], v[90:91], 1.0
	v_fmac_f64_e32 v[90:91], v[90:91], v[94:95]
	v_fma_f64 v[94:95], -v[88:89], v[90:91], 1.0
	v_fmac_f64_e32 v[90:91], v[90:91], v[94:95]
	v_mul_f64 v[94:95], v[92:93], v[90:91]
	v_fma_f64 v[88:89], -v[88:89], v[94:95], v[92:93]
	v_div_fmas_f64 v[88:89], v[88:89], v[90:91], v[94:95]
	v_div_fixup_f64 v[78:79], v[88:89], v[78:79], 1.0
; %bb.529:
	s_or_b64 exec, exec, s[0:1]
	v_cmp_ne_u32_e32 vcc, v83, v80
	s_and_saveexec_b64 s[0:1], vcc
	s_xor_b64 s[0:1], exec, s[0:1]
	s_cbranch_execz .LBB72_535
; %bb.530:
	v_cmp_eq_u32_e32 vcc, 31, v83
	s_and_saveexec_b64 s[2:3], vcc
	s_cbranch_execz .LBB72_534
; %bb.531:
	v_cmp_ne_u32_e32 vcc, 31, v80
	s_xor_b64 s[14:15], s[6:7], -1
	s_and_b64 s[16:17], s[14:15], vcc
	s_and_saveexec_b64 s[14:15], s[16:17]
	s_cbranch_execz .LBB72_533
; %bb.532:
	v_ashrrev_i32_e32 v81, 31, v80
	v_lshlrev_b64 v[88:89], 2, v[80:81]
	v_add_co_u32_e32 v88, vcc, v4, v88
	v_addc_co_u32_e32 v89, vcc, v5, v89, vcc
	flat_load_dword v81, v[88:89]
	flat_load_dword v83, v[4:5] offset:124
	s_waitcnt vmcnt(0) lgkmcnt(0)
	flat_store_dword v[4:5], v81 offset:124
	flat_store_dword v[88:89], v83
.LBB72_533:
	s_or_b64 exec, exec, s[14:15]
	v_mov_b32_e32 v81, v80
	v_mov_b32_e32 v83, v80
.LBB72_534:
	s_or_b64 exec, exec, s[2:3]
.LBB72_535:
	s_andn2_saveexec_b64 s[0:1], s[0:1]
	s_cbranch_execz .LBB72_537
; %bb.536:
	v_mov_b32_e32 v88, v10
	v_mov_b32_e32 v89, v11
	;; [unrolled: 1-line block ×4, first 2 shown]
	ds_write2_b64 v82, v[88:89], v[90:91] offset0:32 offset1:33
	v_mov_b32_e32 v88, v6
	v_mov_b32_e32 v89, v7
	;; [unrolled: 1-line block ×5, first 2 shown]
	ds_write2_b64 v82, v[88:89], v[90:91] offset0:34 offset1:35
	ds_write_b64 v82, v[76:77] offset:288
.LBB72_537:
	s_or_b64 exec, exec, s[0:1]
	v_cmp_lt_i32_e32 vcc, 31, v83
	s_waitcnt lgkmcnt(0)
	s_barrier
	s_and_saveexec_b64 s[0:1], vcc
	s_cbranch_execz .LBB72_539
; %bb.538:
	ds_read2_b64 v[88:91], v82 offset0:32 offset1:33
	ds_read2_b64 v[92:95], v82 offset0:34 offset1:35
	v_mul_f64 v[12:13], v[78:79], v[12:13]
	ds_read_b64 v[78:79], v82 offset:288
	s_waitcnt lgkmcnt(0)
	v_fma_f64 v[10:11], -v[12:13], v[88:89], v[10:11]
	v_fma_f64 v[8:9], -v[12:13], v[90:91], v[8:9]
	;; [unrolled: 1-line block ×5, first 2 shown]
.LBB72_539:
	s_or_b64 exec, exec, s[0:1]
	v_lshl_add_u32 v78, v83, 3, v82
	s_barrier
	ds_write_b64 v78, v[10:11]
	s_waitcnt lgkmcnt(0)
	s_barrier
	ds_read_b64 v[78:79], v82 offset:256
	s_cmp_lt_i32 s18, 34
	v_mov_b32_e32 v80, 32
	s_cbranch_scc1 .LBB72_542
; %bb.540:
	v_add_u32_e32 v87, 0x108, v82
	s_mov_b32 s0, 33
	v_mov_b32_e32 v80, 32
.LBB72_541:                             ; =>This Inner Loop Header: Depth=1
	ds_read_b64 v[88:89], v87
	v_mov_b32_e32 v90, s0
	s_add_i32 s0, s0, 1
	v_add_u32_e32 v87, 8, v87
	s_cmp_lg_u32 s18, s0
	s_waitcnt lgkmcnt(0)
	v_cmp_lt_f64_e64 vcc, |v[78:79]|, |v[88:89]|
	v_cndmask_b32_e32 v79, v79, v89, vcc
	v_cndmask_b32_e32 v78, v78, v88, vcc
	v_cndmask_b32_e32 v80, v80, v90, vcc
	s_cbranch_scc1 .LBB72_541
.LBB72_542:
	s_waitcnt lgkmcnt(0)
	v_cmp_eq_f64_e32 vcc, 0, v[78:79]
	s_and_saveexec_b64 s[0:1], vcc
	s_xor_b64 s[0:1], exec, s[0:1]
; %bb.543:
	v_cmp_ne_u32_e32 vcc, 0, v86
	v_cndmask_b32_e32 v86, 33, v86, vcc
; %bb.544:
	s_andn2_saveexec_b64 s[0:1], s[0:1]
; %bb.545:
	v_div_scale_f64 v[88:89], s[2:3], v[78:79], v[78:79], 1.0
	v_rcp_f64_e32 v[90:91], v[88:89]
	v_div_scale_f64 v[92:93], vcc, 1.0, v[78:79], 1.0
	v_fma_f64 v[94:95], -v[88:89], v[90:91], 1.0
	v_fmac_f64_e32 v[90:91], v[90:91], v[94:95]
	v_fma_f64 v[94:95], -v[88:89], v[90:91], 1.0
	v_fmac_f64_e32 v[90:91], v[90:91], v[94:95]
	v_mul_f64 v[94:95], v[92:93], v[90:91]
	v_fma_f64 v[88:89], -v[88:89], v[94:95], v[92:93]
	v_div_fmas_f64 v[88:89], v[88:89], v[90:91], v[94:95]
	v_div_fixup_f64 v[78:79], v[88:89], v[78:79], 1.0
; %bb.546:
	s_or_b64 exec, exec, s[0:1]
	v_cmp_ne_u32_e32 vcc, v83, v80
	s_and_saveexec_b64 s[0:1], vcc
	s_xor_b64 s[0:1], exec, s[0:1]
	s_cbranch_execz .LBB72_552
; %bb.547:
	v_cmp_eq_u32_e32 vcc, 32, v83
	s_and_saveexec_b64 s[2:3], vcc
	s_cbranch_execz .LBB72_551
; %bb.548:
	v_cmp_ne_u32_e32 vcc, 32, v80
	s_xor_b64 s[14:15], s[6:7], -1
	s_and_b64 s[16:17], s[14:15], vcc
	s_and_saveexec_b64 s[14:15], s[16:17]
	s_cbranch_execz .LBB72_550
; %bb.549:
	v_ashrrev_i32_e32 v81, 31, v80
	v_lshlrev_b64 v[88:89], 2, v[80:81]
	v_add_co_u32_e32 v88, vcc, v4, v88
	v_addc_co_u32_e32 v89, vcc, v5, v89, vcc
	flat_load_dword v81, v[88:89]
	flat_load_dword v83, v[4:5] offset:128
	s_waitcnt vmcnt(0) lgkmcnt(0)
	flat_store_dword v[4:5], v81 offset:128
	flat_store_dword v[88:89], v83
.LBB72_550:
	s_or_b64 exec, exec, s[14:15]
	v_mov_b32_e32 v81, v80
	v_mov_b32_e32 v83, v80
.LBB72_551:
	s_or_b64 exec, exec, s[2:3]
.LBB72_552:
	s_andn2_saveexec_b64 s[0:1], s[0:1]
	s_cbranch_execz .LBB72_554
; %bb.553:
	v_mov_b32_e32 v83, 32
	ds_write2_b64 v82, v[8:9], v[6:7] offset0:33 offset1:34
	ds_write2_b64 v82, v[0:1], v[76:77] offset0:35 offset1:36
.LBB72_554:
	s_or_b64 exec, exec, s[0:1]
	v_cmp_lt_i32_e32 vcc, 32, v83
	s_waitcnt lgkmcnt(0)
	s_barrier
	s_and_saveexec_b64 s[0:1], vcc
	s_cbranch_execz .LBB72_556
; %bb.555:
	ds_read2_b64 v[88:91], v82 offset0:33 offset1:34
	ds_read2_b64 v[92:95], v82 offset0:35 offset1:36
	v_mul_f64 v[10:11], v[78:79], v[10:11]
	s_waitcnt lgkmcnt(0)
	v_fma_f64 v[8:9], -v[10:11], v[88:89], v[8:9]
	v_fma_f64 v[6:7], -v[10:11], v[90:91], v[6:7]
	;; [unrolled: 1-line block ×4, first 2 shown]
.LBB72_556:
	s_or_b64 exec, exec, s[0:1]
	v_lshl_add_u32 v78, v83, 3, v82
	s_barrier
	ds_write_b64 v78, v[8:9]
	s_waitcnt lgkmcnt(0)
	s_barrier
	ds_read_b64 v[78:79], v82 offset:264
	s_cmp_lt_i32 s18, 35
	v_mov_b32_e32 v80, 33
	s_cbranch_scc1 .LBB72_559
; %bb.557:
	v_add_u32_e32 v87, 0x110, v82
	s_mov_b32 s0, 34
	v_mov_b32_e32 v80, 33
.LBB72_558:                             ; =>This Inner Loop Header: Depth=1
	ds_read_b64 v[88:89], v87
	v_mov_b32_e32 v90, s0
	s_add_i32 s0, s0, 1
	v_add_u32_e32 v87, 8, v87
	s_cmp_lg_u32 s18, s0
	s_waitcnt lgkmcnt(0)
	v_cmp_lt_f64_e64 vcc, |v[78:79]|, |v[88:89]|
	v_cndmask_b32_e32 v79, v79, v89, vcc
	v_cndmask_b32_e32 v78, v78, v88, vcc
	;; [unrolled: 1-line block ×3, first 2 shown]
	s_cbranch_scc1 .LBB72_558
.LBB72_559:
	s_waitcnt lgkmcnt(0)
	v_cmp_eq_f64_e32 vcc, 0, v[78:79]
	s_and_saveexec_b64 s[0:1], vcc
	s_xor_b64 s[0:1], exec, s[0:1]
; %bb.560:
	v_cmp_ne_u32_e32 vcc, 0, v86
	v_cndmask_b32_e32 v86, 34, v86, vcc
; %bb.561:
	s_andn2_saveexec_b64 s[0:1], s[0:1]
; %bb.562:
	v_div_scale_f64 v[88:89], s[2:3], v[78:79], v[78:79], 1.0
	v_rcp_f64_e32 v[90:91], v[88:89]
	v_div_scale_f64 v[92:93], vcc, 1.0, v[78:79], 1.0
	v_fma_f64 v[94:95], -v[88:89], v[90:91], 1.0
	v_fmac_f64_e32 v[90:91], v[90:91], v[94:95]
	v_fma_f64 v[94:95], -v[88:89], v[90:91], 1.0
	v_fmac_f64_e32 v[90:91], v[90:91], v[94:95]
	v_mul_f64 v[94:95], v[92:93], v[90:91]
	v_fma_f64 v[88:89], -v[88:89], v[94:95], v[92:93]
	v_div_fmas_f64 v[88:89], v[88:89], v[90:91], v[94:95]
	v_div_fixup_f64 v[78:79], v[88:89], v[78:79], 1.0
; %bb.563:
	s_or_b64 exec, exec, s[0:1]
	v_cmp_ne_u32_e32 vcc, v83, v80
	s_and_saveexec_b64 s[0:1], vcc
	s_xor_b64 s[0:1], exec, s[0:1]
	s_cbranch_execz .LBB72_569
; %bb.564:
	v_cmp_eq_u32_e32 vcc, 33, v83
	s_and_saveexec_b64 s[2:3], vcc
	s_cbranch_execz .LBB72_568
; %bb.565:
	v_cmp_ne_u32_e32 vcc, 33, v80
	s_xor_b64 s[14:15], s[6:7], -1
	s_and_b64 s[16:17], s[14:15], vcc
	s_and_saveexec_b64 s[14:15], s[16:17]
	s_cbranch_execz .LBB72_567
; %bb.566:
	v_ashrrev_i32_e32 v81, 31, v80
	v_lshlrev_b64 v[88:89], 2, v[80:81]
	v_add_co_u32_e32 v88, vcc, v4, v88
	v_addc_co_u32_e32 v89, vcc, v5, v89, vcc
	flat_load_dword v81, v[88:89]
	flat_load_dword v83, v[4:5] offset:132
	s_waitcnt vmcnt(0) lgkmcnt(0)
	flat_store_dword v[4:5], v81 offset:132
	flat_store_dword v[88:89], v83
.LBB72_567:
	s_or_b64 exec, exec, s[14:15]
	v_mov_b32_e32 v81, v80
	v_mov_b32_e32 v83, v80
.LBB72_568:
	s_or_b64 exec, exec, s[2:3]
.LBB72_569:
	s_andn2_saveexec_b64 s[0:1], s[0:1]
	s_cbranch_execz .LBB72_571
; %bb.570:
	v_mov_b32_e32 v88, v6
	v_mov_b32_e32 v89, v7
	;; [unrolled: 1-line block ×5, first 2 shown]
	ds_write2_b64 v82, v[88:89], v[90:91] offset0:34 offset1:35
	ds_write_b64 v82, v[76:77] offset:288
.LBB72_571:
	s_or_b64 exec, exec, s[0:1]
	v_cmp_lt_i32_e32 vcc, 33, v83
	s_waitcnt lgkmcnt(0)
	s_barrier
	s_and_saveexec_b64 s[0:1], vcc
	s_cbranch_execz .LBB72_573
; %bb.572:
	ds_read2_b64 v[88:91], v82 offset0:34 offset1:35
	ds_read_b64 v[92:93], v82 offset:288
	v_mul_f64 v[8:9], v[78:79], v[8:9]
	s_waitcnt lgkmcnt(0)
	v_fma_f64 v[6:7], -v[8:9], v[88:89], v[6:7]
	v_fma_f64 v[0:1], -v[8:9], v[90:91], v[0:1]
	;; [unrolled: 1-line block ×3, first 2 shown]
.LBB72_573:
	s_or_b64 exec, exec, s[0:1]
	v_lshl_add_u32 v78, v83, 3, v82
	s_barrier
	ds_write_b64 v78, v[6:7]
	s_waitcnt lgkmcnt(0)
	s_barrier
	ds_read_b64 v[78:79], v82 offset:272
	s_cmp_lt_i32 s18, 36
	v_mov_b32_e32 v80, 34
	s_cbranch_scc1 .LBB72_576
; %bb.574:
	v_add_u32_e32 v87, 0x118, v82
	s_mov_b32 s0, 35
	v_mov_b32_e32 v80, 34
.LBB72_575:                             ; =>This Inner Loop Header: Depth=1
	ds_read_b64 v[88:89], v87
	v_mov_b32_e32 v90, s0
	s_add_i32 s0, s0, 1
	v_add_u32_e32 v87, 8, v87
	s_cmp_lg_u32 s18, s0
	s_waitcnt lgkmcnt(0)
	v_cmp_lt_f64_e64 vcc, |v[78:79]|, |v[88:89]|
	v_cndmask_b32_e32 v79, v79, v89, vcc
	v_cndmask_b32_e32 v78, v78, v88, vcc
	;; [unrolled: 1-line block ×3, first 2 shown]
	s_cbranch_scc1 .LBB72_575
.LBB72_576:
	s_waitcnt lgkmcnt(0)
	v_cmp_eq_f64_e32 vcc, 0, v[78:79]
	s_and_saveexec_b64 s[0:1], vcc
	s_xor_b64 s[0:1], exec, s[0:1]
; %bb.577:
	v_cmp_ne_u32_e32 vcc, 0, v86
	v_cndmask_b32_e32 v86, 35, v86, vcc
; %bb.578:
	s_andn2_saveexec_b64 s[0:1], s[0:1]
; %bb.579:
	v_div_scale_f64 v[88:89], s[2:3], v[78:79], v[78:79], 1.0
	v_rcp_f64_e32 v[90:91], v[88:89]
	v_div_scale_f64 v[92:93], vcc, 1.0, v[78:79], 1.0
	v_fma_f64 v[94:95], -v[88:89], v[90:91], 1.0
	v_fmac_f64_e32 v[90:91], v[90:91], v[94:95]
	v_fma_f64 v[94:95], -v[88:89], v[90:91], 1.0
	v_fmac_f64_e32 v[90:91], v[90:91], v[94:95]
	v_mul_f64 v[94:95], v[92:93], v[90:91]
	v_fma_f64 v[88:89], -v[88:89], v[94:95], v[92:93]
	v_div_fmas_f64 v[88:89], v[88:89], v[90:91], v[94:95]
	v_div_fixup_f64 v[78:79], v[88:89], v[78:79], 1.0
; %bb.580:
	s_or_b64 exec, exec, s[0:1]
	v_cmp_ne_u32_e32 vcc, v83, v80
	s_and_saveexec_b64 s[0:1], vcc
	s_xor_b64 s[0:1], exec, s[0:1]
	s_cbranch_execz .LBB72_586
; %bb.581:
	v_cmp_eq_u32_e32 vcc, 34, v83
	s_and_saveexec_b64 s[2:3], vcc
	s_cbranch_execz .LBB72_585
; %bb.582:
	v_cmp_ne_u32_e32 vcc, 34, v80
	s_xor_b64 s[14:15], s[6:7], -1
	s_and_b64 s[16:17], s[14:15], vcc
	s_and_saveexec_b64 s[14:15], s[16:17]
	s_cbranch_execz .LBB72_584
; %bb.583:
	v_ashrrev_i32_e32 v81, 31, v80
	v_lshlrev_b64 v[88:89], 2, v[80:81]
	v_add_co_u32_e32 v88, vcc, v4, v88
	v_addc_co_u32_e32 v89, vcc, v5, v89, vcc
	flat_load_dword v81, v[88:89]
	flat_load_dword v83, v[4:5] offset:136
	s_waitcnt vmcnt(0) lgkmcnt(0)
	flat_store_dword v[4:5], v81 offset:136
	flat_store_dword v[88:89], v83
.LBB72_584:
	s_or_b64 exec, exec, s[14:15]
	v_mov_b32_e32 v81, v80
	v_mov_b32_e32 v83, v80
.LBB72_585:
	s_or_b64 exec, exec, s[2:3]
.LBB72_586:
	s_andn2_saveexec_b64 s[0:1], s[0:1]
	s_cbranch_execz .LBB72_588
; %bb.587:
	v_mov_b32_e32 v83, 34
	ds_write2_b64 v82, v[0:1], v[76:77] offset0:35 offset1:36
.LBB72_588:
	s_or_b64 exec, exec, s[0:1]
	v_cmp_lt_i32_e32 vcc, 34, v83
	s_waitcnt lgkmcnt(0)
	s_barrier
	s_and_saveexec_b64 s[0:1], vcc
	s_cbranch_execz .LBB72_590
; %bb.589:
	ds_read2_b64 v[88:91], v82 offset0:35 offset1:36
	v_mul_f64 v[6:7], v[78:79], v[6:7]
	s_waitcnt lgkmcnt(0)
	v_fma_f64 v[0:1], -v[6:7], v[88:89], v[0:1]
	v_fma_f64 v[76:77], -v[6:7], v[90:91], v[76:77]
.LBB72_590:
	s_or_b64 exec, exec, s[0:1]
	v_lshl_add_u32 v78, v83, 3, v82
	s_barrier
	ds_write_b64 v78, v[0:1]
	s_waitcnt lgkmcnt(0)
	s_barrier
	ds_read_b64 v[78:79], v82 offset:280
	s_cmp_lt_i32 s18, 37
	v_mov_b32_e32 v80, 35
	s_cbranch_scc1 .LBB72_593
; %bb.591:
	v_add_u32_e32 v87, 0x120, v82
	s_mov_b32 s0, 36
	v_mov_b32_e32 v80, 35
.LBB72_592:                             ; =>This Inner Loop Header: Depth=1
	ds_read_b64 v[88:89], v87
	v_mov_b32_e32 v90, s0
	s_add_i32 s0, s0, 1
	v_add_u32_e32 v87, 8, v87
	s_cmp_lg_u32 s18, s0
	s_waitcnt lgkmcnt(0)
	v_cmp_lt_f64_e64 vcc, |v[78:79]|, |v[88:89]|
	v_cndmask_b32_e32 v79, v79, v89, vcc
	v_cndmask_b32_e32 v78, v78, v88, vcc
	;; [unrolled: 1-line block ×3, first 2 shown]
	s_cbranch_scc1 .LBB72_592
.LBB72_593:
	s_waitcnt lgkmcnt(0)
	v_cmp_eq_f64_e32 vcc, 0, v[78:79]
	s_and_saveexec_b64 s[0:1], vcc
	s_xor_b64 s[0:1], exec, s[0:1]
; %bb.594:
	v_cmp_ne_u32_e32 vcc, 0, v86
	v_cndmask_b32_e32 v86, 36, v86, vcc
; %bb.595:
	s_andn2_saveexec_b64 s[0:1], s[0:1]
; %bb.596:
	v_div_scale_f64 v[88:89], s[2:3], v[78:79], v[78:79], 1.0
	v_rcp_f64_e32 v[90:91], v[88:89]
	v_div_scale_f64 v[92:93], vcc, 1.0, v[78:79], 1.0
	v_fma_f64 v[94:95], -v[88:89], v[90:91], 1.0
	v_fmac_f64_e32 v[90:91], v[90:91], v[94:95]
	v_fma_f64 v[94:95], -v[88:89], v[90:91], 1.0
	v_fmac_f64_e32 v[90:91], v[90:91], v[94:95]
	v_mul_f64 v[94:95], v[92:93], v[90:91]
	v_fma_f64 v[88:89], -v[88:89], v[94:95], v[92:93]
	v_div_fmas_f64 v[88:89], v[88:89], v[90:91], v[94:95]
	v_div_fixup_f64 v[78:79], v[88:89], v[78:79], 1.0
; %bb.597:
	s_or_b64 exec, exec, s[0:1]
	v_cmp_ne_u32_e32 vcc, v83, v80
	s_and_saveexec_b64 s[0:1], vcc
	s_xor_b64 s[0:1], exec, s[0:1]
	s_cbranch_execz .LBB72_603
; %bb.598:
	v_cmp_eq_u32_e32 vcc, 35, v83
	s_and_saveexec_b64 s[2:3], vcc
	s_cbranch_execz .LBB72_602
; %bb.599:
	v_cmp_ne_u32_e32 vcc, 35, v80
	s_xor_b64 s[14:15], s[6:7], -1
	s_and_b64 s[16:17], s[14:15], vcc
	s_and_saveexec_b64 s[14:15], s[16:17]
	s_cbranch_execz .LBB72_601
; %bb.600:
	v_ashrrev_i32_e32 v81, 31, v80
	v_lshlrev_b64 v[88:89], 2, v[80:81]
	v_add_co_u32_e32 v88, vcc, v4, v88
	v_addc_co_u32_e32 v89, vcc, v5, v89, vcc
	flat_load_dword v81, v[88:89]
	flat_load_dword v83, v[4:5] offset:140
	s_waitcnt vmcnt(0) lgkmcnt(0)
	flat_store_dword v[4:5], v81 offset:140
	flat_store_dword v[88:89], v83
.LBB72_601:
	s_or_b64 exec, exec, s[14:15]
	v_mov_b32_e32 v81, v80
	v_mov_b32_e32 v83, v80
.LBB72_602:
	s_or_b64 exec, exec, s[2:3]
.LBB72_603:
	s_andn2_saveexec_b64 s[0:1], s[0:1]
	s_cbranch_execz .LBB72_605
; %bb.604:
	v_mov_b32_e32 v83, 35
	ds_write_b64 v82, v[76:77] offset:288
.LBB72_605:
	s_or_b64 exec, exec, s[0:1]
	v_cmp_lt_i32_e32 vcc, 35, v83
	s_waitcnt lgkmcnt(0)
	s_barrier
	s_and_saveexec_b64 s[0:1], vcc
	s_cbranch_execz .LBB72_607
; %bb.606:
	ds_read_b64 v[88:89], v82 offset:288
	v_mul_f64 v[0:1], v[78:79], v[0:1]
	s_waitcnt lgkmcnt(0)
	v_fma_f64 v[76:77], -v[0:1], v[88:89], v[76:77]
.LBB72_607:
	s_or_b64 exec, exec, s[0:1]
	v_lshl_add_u32 v78, v83, 3, v82
	s_barrier
	ds_write_b64 v78, v[76:77]
	s_waitcnt lgkmcnt(0)
	s_barrier
	ds_read_b64 v[78:79], v82 offset:288
	s_cmp_lt_i32 s18, 38
	v_mov_b32_e32 v80, 36
	s_cbranch_scc1 .LBB72_610
; %bb.608:
	v_add_u32_e32 v82, 0x128, v82
	s_mov_b32 s0, 37
	v_mov_b32_e32 v80, 36
.LBB72_609:                             ; =>This Inner Loop Header: Depth=1
	ds_read_b64 v[88:89], v82
	v_mov_b32_e32 v87, s0
	s_add_i32 s0, s0, 1
	v_add_u32_e32 v82, 8, v82
	s_cmp_lg_u32 s18, s0
	s_waitcnt lgkmcnt(0)
	v_cmp_lt_f64_e64 vcc, |v[78:79]|, |v[88:89]|
	v_cndmask_b32_e32 v79, v79, v89, vcc
	v_cndmask_b32_e32 v78, v78, v88, vcc
	;; [unrolled: 1-line block ×3, first 2 shown]
	s_cbranch_scc1 .LBB72_609
.LBB72_610:
	s_waitcnt lgkmcnt(0)
	v_cmp_eq_f64_e32 vcc, 0, v[78:79]
	s_and_saveexec_b64 s[0:1], vcc
	s_xor_b64 s[0:1], exec, s[0:1]
; %bb.611:
	v_cmp_ne_u32_e32 vcc, 0, v86
	v_cndmask_b32_e32 v86, 37, v86, vcc
; %bb.612:
	s_andn2_saveexec_b64 s[0:1], s[0:1]
; %bb.613:
	v_div_scale_f64 v[88:89], s[2:3], v[78:79], v[78:79], 1.0
	v_rcp_f64_e32 v[90:91], v[88:89]
	v_div_scale_f64 v[92:93], vcc, 1.0, v[78:79], 1.0
	v_fma_f64 v[94:95], -v[88:89], v[90:91], 1.0
	v_fmac_f64_e32 v[90:91], v[90:91], v[94:95]
	v_fma_f64 v[94:95], -v[88:89], v[90:91], 1.0
	v_fmac_f64_e32 v[90:91], v[90:91], v[94:95]
	v_mul_f64 v[94:95], v[92:93], v[90:91]
	v_fma_f64 v[88:89], -v[88:89], v[94:95], v[92:93]
	v_div_fmas_f64 v[88:89], v[88:89], v[90:91], v[94:95]
	v_div_fixup_f64 v[78:79], v[88:89], v[78:79], 1.0
; %bb.614:
	s_or_b64 exec, exec, s[0:1]
	v_cmp_ne_u32_e32 vcc, v83, v80
	v_mov_b32_e32 v82, 36
	s_and_saveexec_b64 s[0:1], vcc
	s_cbranch_execz .LBB72_620
; %bb.615:
	v_cmp_eq_u32_e32 vcc, 36, v83
	s_and_saveexec_b64 s[2:3], vcc
	s_cbranch_execz .LBB72_619
; %bb.616:
	v_cmp_ne_u32_e32 vcc, 36, v80
	s_xor_b64 s[6:7], s[6:7], -1
	s_and_b64 s[14:15], s[6:7], vcc
	s_and_saveexec_b64 s[6:7], s[14:15]
	s_cbranch_execz .LBB72_618
; %bb.617:
	v_ashrrev_i32_e32 v81, 31, v80
	v_lshlrev_b64 v[82:83], 2, v[80:81]
	v_add_co_u32_e32 v82, vcc, v4, v82
	v_addc_co_u32_e32 v83, vcc, v5, v83, vcc
	flat_load_dword v81, v[82:83]
	flat_load_dword v87, v[4:5] offset:144
	s_waitcnt vmcnt(0) lgkmcnt(0)
	flat_store_dword v[4:5], v81 offset:144
	flat_store_dword v[82:83], v87
.LBB72_618:
	s_or_b64 exec, exec, s[6:7]
	v_mov_b32_e32 v81, v80
	v_mov_b32_e32 v83, v80
.LBB72_619:
	s_or_b64 exec, exec, s[2:3]
	v_mov_b32_e32 v82, v83
.LBB72_620:
	s_or_b64 exec, exec, s[0:1]
	s_load_dwordx8 s[0:7], s[4:5], 0x28
	v_cmp_gt_i32_e32 vcc, 37, v82
	v_ashrrev_i32_e32 v83, 31, v82
	s_waitcnt lgkmcnt(0)
	s_barrier
	s_barrier
	s_and_saveexec_b64 s[14:15], vcc
	s_cbranch_execz .LBB72_622
; %bb.621:
	v_mul_lo_u32 v80, v3, s4
	v_mul_lo_u32 v87, v2, s5
	v_mad_u64_u32 v[4:5], s[4:5], v2, s4, 0
	s_lshl_b64 s[2:3], s[2:3], 2
	v_add3_u32 v5, v5, v87, v80
	s_add_u32 s0, s2, s0
	v_lshlrev_b64 v[4:5], 2, v[4:5]
	s_addc_u32 s1, s3, s1
	v_mov_b32_e32 v80, s1
	v_add_co_u32_e32 v87, vcc, s0, v4
	v_addc_co_u32_e32 v80, vcc, v80, v5, vcc
	v_lshlrev_b64 v[4:5], 2, v[82:83]
	v_add_co_u32_e32 v4, vcc, v87, v4
	v_addc_co_u32_e32 v5, vcc, v80, v5, vcc
	v_add3_u32 v80, v81, s13, 1
	global_store_dword v[4:5], v80, off
.LBB72_622:
	s_or_b64 exec, exec, s[14:15]
	v_cmp_eq_u32_e32 vcc, 0, v82
	s_and_saveexec_b64 s[2:3], vcc
	s_cbranch_execz .LBB72_625
; %bb.623:
	v_lshlrev_b64 v[2:3], 2, v[2:3]
	v_mov_b32_e32 v4, s7
	v_add_co_u32_e32 v2, vcc, s6, v2
	v_addc_co_u32_e32 v3, vcc, v4, v3, vcc
	global_load_dword v4, v[2:3], off
	v_cmp_lt_i32_e64 s[0:1], 0, v86
	s_waitcnt vmcnt(0)
	v_cmp_eq_u32_e32 vcc, 0, v4
	s_and_b64 s[0:1], vcc, s[0:1]
	s_and_b64 exec, exec, s[0:1]
	s_cbranch_execz .LBB72_625
; %bb.624:
	v_add_u32_e32 v4, s13, v86
	global_store_dword v[2:3], v4, off
.LBB72_625:
	s_or_b64 exec, exec, s[2:3]
	v_mul_f64 v[2:3], v[78:79], v[76:77]
	v_cmp_lt_i32_e32 vcc, 36, v82
	v_lshlrev_b64 v[4:5], 3, v[82:83]
	v_cndmask_b32_e32 v3, v77, v3, vcc
	v_cndmask_b32_e32 v2, v76, v2, vcc
	v_add_co_u32_e32 v4, vcc, v84, v4
	v_addc_co_u32_e32 v5, vcc, v85, v5, vcc
	global_store_dwordx2 v[4:5], v[74:75], off
	v_mov_b32_e32 v74, s11
	v_add_co_u32_e32 v4, vcc, s10, v4
	v_addc_co_u32_e32 v5, vcc, v5, v74, vcc
	global_store_dwordx2 v[4:5], v[72:73], off
	v_add_u32_e32 v4, s12, v82
	v_ashrrev_i32_e32 v5, 31, v4
	v_lshlrev_b64 v[72:73], 3, v[4:5]
	v_add_co_u32_e32 v72, vcc, v84, v72
	v_add_u32_e32 v4, s8, v4
	v_addc_co_u32_e32 v73, vcc, v85, v73, vcc
	v_ashrrev_i32_e32 v5, 31, v4
	global_store_dwordx2 v[72:73], v[70:71], off
	v_lshlrev_b64 v[70:71], 3, v[4:5]
	v_add_co_u32_e32 v70, vcc, v84, v70
	v_add_u32_e32 v4, s8, v4
	v_addc_co_u32_e32 v71, vcc, v85, v71, vcc
	v_ashrrev_i32_e32 v5, 31, v4
	global_store_dwordx2 v[70:71], v[68:69], off
	;; [unrolled: 6-line block ×33, first 2 shown]
	v_lshlrev_b64 v[6:7], 3, v[4:5]
	v_add_co_u32_e32 v6, vcc, v84, v6
	v_addc_co_u32_e32 v7, vcc, v85, v7, vcc
	global_store_dwordx2 v[6:7], v[0:1], off
	v_add_u32_e32 v0, s8, v4
	v_ashrrev_i32_e32 v1, 31, v0
	v_lshlrev_b64 v[0:1], 3, v[0:1]
	v_add_co_u32_e32 v0, vcc, v84, v0
	v_addc_co_u32_e32 v1, vcc, v85, v1, vcc
	global_store_dwordx2 v[0:1], v[2:3], off
.LBB72_626:
	s_endpgm
	.section	.rodata,"a",@progbits
	.p2align	6, 0x0
	.amdhsa_kernel _ZN9rocsolver6v33100L18getf2_small_kernelILi37EdiiPKPdEEvT1_T3_lS5_lPS5_llPT2_S5_S5_S7_l
		.amdhsa_group_segment_fixed_size 0
		.amdhsa_private_segment_fixed_size 0
		.amdhsa_kernarg_size 352
		.amdhsa_user_sgpr_count 6
		.amdhsa_user_sgpr_private_segment_buffer 1
		.amdhsa_user_sgpr_dispatch_ptr 0
		.amdhsa_user_sgpr_queue_ptr 0
		.amdhsa_user_sgpr_kernarg_segment_ptr 1
		.amdhsa_user_sgpr_dispatch_id 0
		.amdhsa_user_sgpr_flat_scratch_init 0
		.amdhsa_user_sgpr_kernarg_preload_length 0
		.amdhsa_user_sgpr_kernarg_preload_offset 0
		.amdhsa_user_sgpr_private_segment_size 0
		.amdhsa_uses_dynamic_stack 0
		.amdhsa_system_sgpr_private_segment_wavefront_offset 0
		.amdhsa_system_sgpr_workgroup_id_x 1
		.amdhsa_system_sgpr_workgroup_id_y 1
		.amdhsa_system_sgpr_workgroup_id_z 0
		.amdhsa_system_sgpr_workgroup_info 0
		.amdhsa_system_vgpr_workitem_id 1
		.amdhsa_next_free_vgpr 126
		.amdhsa_next_free_sgpr 22
		.amdhsa_accum_offset 128
		.amdhsa_reserve_vcc 1
		.amdhsa_reserve_flat_scratch 0
		.amdhsa_float_round_mode_32 0
		.amdhsa_float_round_mode_16_64 0
		.amdhsa_float_denorm_mode_32 3
		.amdhsa_float_denorm_mode_16_64 3
		.amdhsa_dx10_clamp 1
		.amdhsa_ieee_mode 1
		.amdhsa_fp16_overflow 0
		.amdhsa_tg_split 0
		.amdhsa_exception_fp_ieee_invalid_op 0
		.amdhsa_exception_fp_denorm_src 0
		.amdhsa_exception_fp_ieee_div_zero 0
		.amdhsa_exception_fp_ieee_overflow 0
		.amdhsa_exception_fp_ieee_underflow 0
		.amdhsa_exception_fp_ieee_inexact 0
		.amdhsa_exception_int_div_zero 0
	.end_amdhsa_kernel
	.section	.text._ZN9rocsolver6v33100L18getf2_small_kernelILi37EdiiPKPdEEvT1_T3_lS5_lPS5_llPT2_S5_S5_S7_l,"axG",@progbits,_ZN9rocsolver6v33100L18getf2_small_kernelILi37EdiiPKPdEEvT1_T3_lS5_lPS5_llPT2_S5_S5_S7_l,comdat
.Lfunc_end72:
	.size	_ZN9rocsolver6v33100L18getf2_small_kernelILi37EdiiPKPdEEvT1_T3_lS5_lPS5_llPT2_S5_S5_S7_l, .Lfunc_end72-_ZN9rocsolver6v33100L18getf2_small_kernelILi37EdiiPKPdEEvT1_T3_lS5_lPS5_llPT2_S5_S5_S7_l
                                        ; -- End function
	.section	.AMDGPU.csdata,"",@progbits
; Kernel info:
; codeLenInByte = 31092
; NumSgprs: 26
; NumVgprs: 126
; NumAgprs: 0
; TotalNumVgprs: 126
; ScratchSize: 0
; MemoryBound: 0
; FloatMode: 240
; IeeeMode: 1
; LDSByteSize: 0 bytes/workgroup (compile time only)
; SGPRBlocks: 3
; VGPRBlocks: 15
; NumSGPRsForWavesPerEU: 26
; NumVGPRsForWavesPerEU: 126
; AccumOffset: 128
; Occupancy: 4
; WaveLimiterHint : 1
; COMPUTE_PGM_RSRC2:SCRATCH_EN: 0
; COMPUTE_PGM_RSRC2:USER_SGPR: 6
; COMPUTE_PGM_RSRC2:TRAP_HANDLER: 0
; COMPUTE_PGM_RSRC2:TGID_X_EN: 1
; COMPUTE_PGM_RSRC2:TGID_Y_EN: 1
; COMPUTE_PGM_RSRC2:TGID_Z_EN: 0
; COMPUTE_PGM_RSRC2:TIDIG_COMP_CNT: 1
; COMPUTE_PGM_RSRC3_GFX90A:ACCUM_OFFSET: 31
; COMPUTE_PGM_RSRC3_GFX90A:TG_SPLIT: 0
	.section	.text._ZN9rocsolver6v33100L23getf2_npvt_small_kernelILi37EdiiPKPdEEvT1_T3_lS5_lPT2_S5_S5_,"axG",@progbits,_ZN9rocsolver6v33100L23getf2_npvt_small_kernelILi37EdiiPKPdEEvT1_T3_lS5_lPT2_S5_S5_,comdat
	.globl	_ZN9rocsolver6v33100L23getf2_npvt_small_kernelILi37EdiiPKPdEEvT1_T3_lS5_lPT2_S5_S5_ ; -- Begin function _ZN9rocsolver6v33100L23getf2_npvt_small_kernelILi37EdiiPKPdEEvT1_T3_lS5_lPT2_S5_S5_
	.p2align	8
	.type	_ZN9rocsolver6v33100L23getf2_npvt_small_kernelILi37EdiiPKPdEEvT1_T3_lS5_lPT2_S5_S5_,@function
_ZN9rocsolver6v33100L23getf2_npvt_small_kernelILi37EdiiPKPdEEvT1_T3_lS5_lPT2_S5_S5_: ; @_ZN9rocsolver6v33100L23getf2_npvt_small_kernelILi37EdiiPKPdEEvT1_T3_lS5_lPT2_S5_S5_
; %bb.0:
	s_load_dword s0, s[4:5], 0x44
	s_load_dwordx2 s[8:9], s[4:5], 0x30
	v_bfe_u32 v150, v0, 10, 10
	s_waitcnt lgkmcnt(0)
	s_lshr_b32 s6, s0, 16
	s_mul_i32 s7, s7, s6
	v_add_u32_e32 v2, s7, v150
	v_cmp_gt_i32_e32 vcc, s8, v2
	s_and_saveexec_b64 s[0:1], vcc
	s_cbranch_execz .LBB73_188
; %bb.1:
	s_load_dwordx4 s[12:15], s[4:5], 0x8
	s_load_dword s0, s[4:5], 0x18
	v_ashrrev_i32_e32 v3, 31, v2
	v_lshlrev_b64 v[4:5], 3, v[2:3]
	v_and_b32_e32 v224, 0x3ff, v0
	s_waitcnt lgkmcnt(0)
	v_mov_b32_e32 v1, s13
	v_add_co_u32_e32 v4, vcc, s12, v4
	v_addc_co_u32_e32 v5, vcc, v1, v5, vcc
	global_load_dwordx2 v[4:5], v[4:5], off
	s_add_i32 s1, s0, s0
	s_lshl_b64 s[2:3], s[14:15], 3
	v_add_u32_e32 v0, s1, v224
	v_mov_b32_e32 v25, s3
	v_ashrrev_i32_e32 v1, 31, v0
	v_add_u32_e32 v6, s0, v0
	v_lshlrev_b64 v[0:1], 3, v[0:1]
	v_ashrrev_i32_e32 v7, 31, v6
	v_add_u32_e32 v8, s0, v6
	v_lshlrev_b64 v[6:7], 3, v[6:7]
	;; [unrolled: 3-line block ×10, first 2 shown]
	v_add_u32_e32 v26, s0, v24
	v_ashrrev_i32_e32 v27, 31, v26
	v_add_u32_e32 v28, s0, v26
	v_ashrrev_i32_e32 v29, 31, v28
	;; [unrolled: 2-line block ×22, first 2 shown]
	v_add_u32_e32 v70, s0, v68
	s_waitcnt vmcnt(0)
	v_add_co_u32_e32 v72, vcc, s2, v4
	v_addc_co_u32_e32 v73, vcc, v5, v25, vcc
	v_add_co_u32_e32 v0, vcc, v72, v0
	v_addc_co_u32_e32 v1, vcc, v73, v1, vcc
	;; [unrolled: 2-line block ×10, first 2 shown]
	v_add_co_u32_e32 v20, vcc, v72, v22
	v_ashrrev_i32_e32 v25, 31, v24
	v_addc_co_u32_e32 v21, vcc, v73, v23, vcc
	v_lshlrev_b64 v[22:23], 3, v[24:25]
	v_add_co_u32_e32 v22, vcc, v72, v22
	v_addc_co_u32_e32 v23, vcc, v73, v23, vcc
	v_lshlrev_b64 v[24:25], 3, v[26:27]
	v_add_co_u32_e32 v24, vcc, v72, v24
	;; [unrolled: 3-line block ×23, first 2 shown]
	v_ashrrev_i32_e32 v71, 31, v70
	v_addc_co_u32_e32 v67, vcc, v73, v67, vcc
	v_lshlrev_b64 v[68:69], 3, v[70:71]
	v_add_u32_e32 v70, s0, v70
	v_add_co_u32_e32 v68, vcc, v72, v68
	v_ashrrev_i32_e32 v71, 31, v70
	v_addc_co_u32_e32 v69, vcc, v73, v69, vcc
	v_lshlrev_b64 v[70:71], 3, v[70:71]
	v_add_co_u32_e32 v70, vcc, v72, v70
	v_addc_co_u32_e32 v71, vcc, v73, v71, vcc
	v_lshlrev_b32_e32 v74, 3, v224
	v_add_co_u32_e32 v72, vcc, v72, v74
	s_ashr_i32 s1, s0, 31
	v_addc_co_u32_e32 v73, vcc, 0, v73, vcc
	s_lshl_b64 s[0:1], s[0:1], 3
	v_mov_b32_e32 v75, s1
	v_add_co_u32_e32 v74, vcc, s0, v72
	v_addc_co_u32_e32 v75, vcc, v73, v75, vcc
	global_load_dwordx2 v[76:77], v[72:73], off
	global_load_dwordx2 v[112:113], v[74:75], off
	;; [unrolled: 1-line block ×37, first 2 shown]
	s_mulk_i32 s6, 0x128
	s_movk_i32 s0, 0x128
	s_add_i32 s1, s6, 0
	v_mad_u32_u24 v223, v150, s0, 0
	v_lshl_add_u32 v222, v150, 3, s1
	v_cmp_ne_u32_e64 s[2:3], 0, v224
	v_cmp_eq_u32_e64 s[0:1], 0, v224
	s_and_saveexec_b64 s[6:7], s[0:1]
	s_cbranch_execz .LBB73_4
; %bb.2:
	s_waitcnt vmcnt(36)
	ds_write_b64 v222, v[76:77]
	s_waitcnt vmcnt(34)
	ds_write2_b64 v223, v[112:113], v[146:147] offset0:1 offset1:2
	s_waitcnt vmcnt(32)
	ds_write2_b64 v223, v[110:111], v[144:145] offset0:3 offset1:4
	;; [unrolled: 2-line block ×18, first 2 shown]
	ds_read_b64 v[150:151], v222
	s_waitcnt lgkmcnt(0)
	v_cmp_neq_f64_e32 vcc, 0, v[150:151]
	s_and_b64 exec, exec, vcc
	s_cbranch_execz .LBB73_4
; %bb.3:
	v_div_scale_f64 v[152:153], s[10:11], v[150:151], v[150:151], 1.0
	v_rcp_f64_e32 v[154:155], v[152:153]
	v_div_scale_f64 v[156:157], vcc, 1.0, v[150:151], 1.0
	v_fma_f64 v[158:159], -v[152:153], v[154:155], 1.0
	v_fmac_f64_e32 v[154:155], v[154:155], v[158:159]
	v_fma_f64 v[158:159], -v[152:153], v[154:155], 1.0
	v_fmac_f64_e32 v[154:155], v[154:155], v[158:159]
	v_mul_f64 v[158:159], v[156:157], v[154:155]
	v_fma_f64 v[152:153], -v[152:153], v[158:159], v[156:157]
	v_div_fmas_f64 v[152:153], v[152:153], v[154:155], v[158:159]
	v_div_fixup_f64 v[150:151], v[152:153], v[150:151], 1.0
	ds_write_b64 v222, v[150:151]
.LBB73_4:
	s_or_b64 exec, exec, s[6:7]
	s_waitcnt lgkmcnt(0)
	s_barrier
	ds_read_b64 v[150:151], v222
	s_and_saveexec_b64 s[6:7], s[2:3]
	s_cbranch_execz .LBB73_6
; %bb.5:
	ds_read2_b64 v[152:155], v223 offset0:1 offset1:2
	ds_read2_b64 v[156:159], v223 offset0:3 offset1:4
	;; [unrolled: 1-line block ×3, first 2 shown]
	s_waitcnt vmcnt(36) lgkmcnt(3)
	v_mul_f64 v[76:77], v[150:151], v[76:77]
	s_waitcnt vmcnt(35) lgkmcnt(2)
	v_fma_f64 v[112:113], -v[76:77], v[152:153], v[112:113]
	s_waitcnt vmcnt(34)
	v_fma_f64 v[146:147], -v[76:77], v[154:155], v[146:147]
	ds_read2_b64 v[152:155], v223 offset0:7 offset1:8
	s_waitcnt vmcnt(33) lgkmcnt(2)
	v_fma_f64 v[110:111], -v[76:77], v[156:157], v[110:111]
	s_waitcnt vmcnt(32)
	v_fma_f64 v[144:145], -v[76:77], v[158:159], v[144:145]
	s_waitcnt vmcnt(31) lgkmcnt(1)
	v_fma_f64 v[108:109], -v[76:77], v[160:161], v[108:109]
	ds_read2_b64 v[156:159], v223 offset0:9 offset1:10
	s_waitcnt vmcnt(30)
	v_fma_f64 v[142:143], -v[76:77], v[162:163], v[142:143]
	ds_read2_b64 v[160:163], v223 offset0:11 offset1:12
	s_waitcnt vmcnt(29) lgkmcnt(2)
	v_fma_f64 v[106:107], -v[76:77], v[152:153], v[106:107]
	s_waitcnt vmcnt(28)
	v_fma_f64 v[140:141], -v[76:77], v[154:155], v[140:141]
	s_waitcnt vmcnt(27) lgkmcnt(1)
	v_fma_f64 v[104:105], -v[76:77], v[156:157], v[104:105]
	ds_read2_b64 v[152:155], v223 offset0:13 offset1:14
	s_waitcnt vmcnt(26)
	v_fma_f64 v[138:139], -v[76:77], v[158:159], v[138:139]
	ds_read2_b64 v[156:159], v223 offset0:15 offset1:16
	s_waitcnt vmcnt(25) lgkmcnt(2)
	v_fma_f64 v[102:103], -v[76:77], v[160:161], v[102:103]
	s_waitcnt vmcnt(24)
	v_fma_f64 v[136:137], -v[76:77], v[162:163], v[136:137]
	ds_read2_b64 v[160:163], v223 offset0:17 offset1:18
	s_waitcnt vmcnt(23) lgkmcnt(2)
	v_fma_f64 v[100:101], -v[76:77], v[152:153], v[100:101]
	;; [unrolled: 5-line block ×3, first 2 shown]
	s_waitcnt vmcnt(20)
	v_fma_f64 v[132:133], -v[76:77], v[158:159], v[132:133]
	s_waitcnt vmcnt(19) lgkmcnt(1)
	v_fma_f64 v[96:97], -v[76:77], v[160:161], v[96:97]
	ds_read2_b64 v[156:159], v223 offset0:21 offset1:22
	s_waitcnt vmcnt(18)
	v_fma_f64 v[130:131], -v[76:77], v[162:163], v[130:131]
	ds_read2_b64 v[160:163], v223 offset0:23 offset1:24
	s_waitcnt vmcnt(17) lgkmcnt(2)
	v_fma_f64 v[94:95], -v[76:77], v[152:153], v[94:95]
	s_waitcnt vmcnt(16)
	v_fma_f64 v[128:129], -v[76:77], v[154:155], v[128:129]
	s_waitcnt vmcnt(15) lgkmcnt(1)
	v_fma_f64 v[92:93], -v[76:77], v[156:157], v[92:93]
	ds_read2_b64 v[152:155], v223 offset0:25 offset1:26
	s_waitcnt vmcnt(14)
	v_fma_f64 v[126:127], -v[76:77], v[158:159], v[126:127]
	ds_read2_b64 v[156:159], v223 offset0:27 offset1:28
	s_waitcnt vmcnt(13) lgkmcnt(2)
	v_fma_f64 v[90:91], -v[76:77], v[160:161], v[90:91]
	s_waitcnt vmcnt(12)
	v_fma_f64 v[124:125], -v[76:77], v[162:163], v[124:125]
	ds_read2_b64 v[160:163], v223 offset0:29 offset1:30
	s_waitcnt vmcnt(11) lgkmcnt(2)
	v_fma_f64 v[88:89], -v[76:77], v[152:153], v[88:89]
	;; [unrolled: 5-line block ×3, first 2 shown]
	s_waitcnt vmcnt(8)
	v_fma_f64 v[120:121], -v[76:77], v[158:159], v[120:121]
	s_waitcnt vmcnt(7) lgkmcnt(1)
	v_fma_f64 v[84:85], -v[76:77], v[160:161], v[84:85]
	ds_read2_b64 v[156:159], v223 offset0:33 offset1:34
	s_waitcnt vmcnt(6)
	v_fma_f64 v[118:119], -v[76:77], v[162:163], v[118:119]
	ds_read2_b64 v[160:163], v223 offset0:35 offset1:36
	s_waitcnt vmcnt(5) lgkmcnt(2)
	v_fma_f64 v[82:83], -v[76:77], v[152:153], v[82:83]
	s_waitcnt vmcnt(4)
	v_fma_f64 v[116:117], -v[76:77], v[154:155], v[116:117]
	s_waitcnt vmcnt(3) lgkmcnt(1)
	v_fma_f64 v[80:81], -v[76:77], v[156:157], v[80:81]
	s_waitcnt vmcnt(2)
	v_fma_f64 v[114:115], -v[76:77], v[158:159], v[114:115]
	;; [unrolled: 4-line block ×3, first 2 shown]
.LBB73_6:
	s_or_b64 exec, exec, s[6:7]
	v_cmp_eq_u32_e32 vcc, 1, v224
	s_waitcnt lgkmcnt(0)
	s_barrier
	s_and_saveexec_b64 s[2:3], vcc
	s_cbranch_execz .LBB73_9
; %bb.7:
	s_waitcnt vmcnt(34)
	v_mov_b32_e32 v152, v146
	v_mov_b32_e32 v153, v147
	s_waitcnt vmcnt(33)
	v_mov_b32_e32 v154, v110
	v_mov_b32_e32 v155, v111
	ds_write_b64 v222, v[112:113]
	ds_write2_b64 v223, v[152:153], v[154:155] offset0:2 offset1:3
	s_waitcnt vmcnt(32)
	v_mov_b32_e32 v152, v144
	v_mov_b32_e32 v153, v145
	s_waitcnt vmcnt(31)
	v_mov_b32_e32 v154, v108
	v_mov_b32_e32 v155, v109
	ds_write2_b64 v223, v[152:153], v[154:155] offset0:4 offset1:5
	s_waitcnt vmcnt(30)
	v_mov_b32_e32 v152, v142
	v_mov_b32_e32 v153, v143
	s_waitcnt vmcnt(29)
	v_mov_b32_e32 v154, v106
	v_mov_b32_e32 v155, v107
	;; [unrolled: 7-line block ×16, first 2 shown]
	ds_write2_b64 v223, v[152:153], v[154:155] offset0:34 offset1:35
	s_waitcnt vmcnt(0)
	ds_write_b64 v223, v[148:149] offset:288
	ds_read_b64 v[152:153], v222
	s_waitcnt lgkmcnt(0)
	v_cmp_neq_f64_e32 vcc, 0, v[152:153]
	s_and_b64 exec, exec, vcc
	s_cbranch_execz .LBB73_9
; %bb.8:
	v_div_scale_f64 v[154:155], s[6:7], v[152:153], v[152:153], 1.0
	v_rcp_f64_e32 v[156:157], v[154:155]
	v_div_scale_f64 v[158:159], vcc, 1.0, v[152:153], 1.0
	v_fma_f64 v[160:161], -v[154:155], v[156:157], 1.0
	v_fmac_f64_e32 v[156:157], v[156:157], v[160:161]
	v_fma_f64 v[160:161], -v[154:155], v[156:157], 1.0
	v_fmac_f64_e32 v[156:157], v[156:157], v[160:161]
	v_mul_f64 v[160:161], v[158:159], v[156:157]
	v_fma_f64 v[154:155], -v[154:155], v[160:161], v[158:159]
	v_div_fmas_f64 v[154:155], v[154:155], v[156:157], v[160:161]
	v_div_fixup_f64 v[152:153], v[154:155], v[152:153], 1.0
	ds_write_b64 v222, v[152:153]
.LBB73_9:
	s_or_b64 exec, exec, s[2:3]
	s_waitcnt lgkmcnt(0)
	s_barrier
	ds_read_b64 v[152:153], v222
	v_cmp_lt_u32_e32 vcc, 1, v224
	s_and_saveexec_b64 s[2:3], vcc
	s_cbranch_execz .LBB73_11
; %bb.10:
	ds_read2_b64 v[154:157], v223 offset0:2 offset1:3
	ds_read2_b64 v[158:161], v223 offset0:4 offset1:5
	;; [unrolled: 1-line block ×3, first 2 shown]
	s_waitcnt vmcnt(35) lgkmcnt(3)
	v_mul_f64 v[112:113], v[152:153], v[112:113]
	s_waitcnt vmcnt(34) lgkmcnt(2)
	v_fma_f64 v[146:147], -v[112:113], v[154:155], v[146:147]
	s_waitcnt vmcnt(33)
	v_fma_f64 v[110:111], -v[112:113], v[156:157], v[110:111]
	ds_read2_b64 v[154:157], v223 offset0:8 offset1:9
	s_waitcnt vmcnt(32) lgkmcnt(2)
	v_fma_f64 v[144:145], -v[112:113], v[158:159], v[144:145]
	s_waitcnt vmcnt(31)
	v_fma_f64 v[108:109], -v[112:113], v[160:161], v[108:109]
	s_waitcnt vmcnt(30) lgkmcnt(1)
	v_fma_f64 v[142:143], -v[112:113], v[162:163], v[142:143]
	ds_read2_b64 v[158:161], v223 offset0:10 offset1:11
	s_waitcnt vmcnt(29)
	v_fma_f64 v[106:107], -v[112:113], v[164:165], v[106:107]
	ds_read2_b64 v[162:165], v223 offset0:12 offset1:13
	s_waitcnt vmcnt(28) lgkmcnt(2)
	v_fma_f64 v[140:141], -v[112:113], v[154:155], v[140:141]
	s_waitcnt vmcnt(27)
	v_fma_f64 v[104:105], -v[112:113], v[156:157], v[104:105]
	s_waitcnt vmcnt(26) lgkmcnt(1)
	v_fma_f64 v[138:139], -v[112:113], v[158:159], v[138:139]
	ds_read2_b64 v[154:157], v223 offset0:14 offset1:15
	s_waitcnt vmcnt(25)
	v_fma_f64 v[102:103], -v[112:113], v[160:161], v[102:103]
	ds_read2_b64 v[158:161], v223 offset0:16 offset1:17
	s_waitcnt vmcnt(24) lgkmcnt(2)
	v_fma_f64 v[136:137], -v[112:113], v[162:163], v[136:137]
	s_waitcnt vmcnt(23)
	v_fma_f64 v[100:101], -v[112:113], v[164:165], v[100:101]
	ds_read2_b64 v[162:165], v223 offset0:18 offset1:19
	s_waitcnt vmcnt(22) lgkmcnt(2)
	v_fma_f64 v[134:135], -v[112:113], v[154:155], v[134:135]
	;; [unrolled: 5-line block ×3, first 2 shown]
	s_waitcnt vmcnt(19)
	v_fma_f64 v[96:97], -v[112:113], v[160:161], v[96:97]
	s_waitcnt vmcnt(18) lgkmcnt(1)
	v_fma_f64 v[130:131], -v[112:113], v[162:163], v[130:131]
	ds_read2_b64 v[158:161], v223 offset0:22 offset1:23
	s_waitcnt vmcnt(17)
	v_fma_f64 v[94:95], -v[112:113], v[164:165], v[94:95]
	ds_read2_b64 v[162:165], v223 offset0:24 offset1:25
	s_waitcnt vmcnt(16) lgkmcnt(2)
	v_fma_f64 v[128:129], -v[112:113], v[154:155], v[128:129]
	s_waitcnt vmcnt(15)
	v_fma_f64 v[92:93], -v[112:113], v[156:157], v[92:93]
	s_waitcnt vmcnt(14) lgkmcnt(1)
	v_fma_f64 v[126:127], -v[112:113], v[158:159], v[126:127]
	ds_read2_b64 v[154:157], v223 offset0:26 offset1:27
	s_waitcnt vmcnt(13)
	v_fma_f64 v[90:91], -v[112:113], v[160:161], v[90:91]
	ds_read2_b64 v[158:161], v223 offset0:28 offset1:29
	s_waitcnt vmcnt(12) lgkmcnt(2)
	v_fma_f64 v[124:125], -v[112:113], v[162:163], v[124:125]
	s_waitcnt vmcnt(11)
	v_fma_f64 v[88:89], -v[112:113], v[164:165], v[88:89]
	ds_read2_b64 v[162:165], v223 offset0:30 offset1:31
	s_waitcnt vmcnt(10) lgkmcnt(2)
	v_fma_f64 v[122:123], -v[112:113], v[154:155], v[122:123]
	s_waitcnt vmcnt(9)
	v_fma_f64 v[86:87], -v[112:113], v[156:157], v[86:87]
	ds_read2_b64 v[154:157], v223 offset0:32 offset1:33
	s_waitcnt vmcnt(8) lgkmcnt(2)
	v_fma_f64 v[120:121], -v[112:113], v[158:159], v[120:121]
	s_waitcnt vmcnt(7)
	v_fma_f64 v[84:85], -v[112:113], v[160:161], v[84:85]
	s_waitcnt vmcnt(6) lgkmcnt(1)
	v_fma_f64 v[118:119], -v[112:113], v[162:163], v[118:119]
	ds_read2_b64 v[158:161], v223 offset0:34 offset1:35
	ds_read_b64 v[162:163], v223 offset:288
	s_waitcnt vmcnt(5)
	v_fma_f64 v[82:83], -v[112:113], v[164:165], v[82:83]
	s_waitcnt vmcnt(4) lgkmcnt(2)
	v_fma_f64 v[116:117], -v[112:113], v[154:155], v[116:117]
	s_waitcnt vmcnt(3)
	v_fma_f64 v[80:81], -v[112:113], v[156:157], v[80:81]
	s_waitcnt vmcnt(2) lgkmcnt(1)
	v_fma_f64 v[114:115], -v[112:113], v[158:159], v[114:115]
	;; [unrolled: 4-line block ×3, first 2 shown]
.LBB73_11:
	s_or_b64 exec, exec, s[2:3]
	v_cmp_eq_u32_e32 vcc, 2, v224
	s_waitcnt lgkmcnt(0)
	s_barrier
	s_and_saveexec_b64 s[2:3], vcc
	s_cbranch_execz .LBB73_14
; %bb.12:
	s_waitcnt vmcnt(34)
	ds_write_b64 v222, v[146:147]
	s_waitcnt vmcnt(32)
	ds_write2_b64 v223, v[110:111], v[144:145] offset0:3 offset1:4
	s_waitcnt vmcnt(30)
	ds_write2_b64 v223, v[108:109], v[142:143] offset0:5 offset1:6
	;; [unrolled: 2-line block ×17, first 2 shown]
	ds_read_b64 v[154:155], v222
	s_waitcnt lgkmcnt(0)
	v_cmp_neq_f64_e32 vcc, 0, v[154:155]
	s_and_b64 exec, exec, vcc
	s_cbranch_execz .LBB73_14
; %bb.13:
	v_div_scale_f64 v[156:157], s[6:7], v[154:155], v[154:155], 1.0
	v_rcp_f64_e32 v[158:159], v[156:157]
	v_div_scale_f64 v[160:161], vcc, 1.0, v[154:155], 1.0
	v_fma_f64 v[162:163], -v[156:157], v[158:159], 1.0
	v_fmac_f64_e32 v[158:159], v[158:159], v[162:163]
	v_fma_f64 v[162:163], -v[156:157], v[158:159], 1.0
	v_fmac_f64_e32 v[158:159], v[158:159], v[162:163]
	v_mul_f64 v[162:163], v[160:161], v[158:159]
	v_fma_f64 v[156:157], -v[156:157], v[162:163], v[160:161]
	v_div_fmas_f64 v[156:157], v[156:157], v[158:159], v[162:163]
	v_div_fixup_f64 v[154:155], v[156:157], v[154:155], 1.0
	ds_write_b64 v222, v[154:155]
.LBB73_14:
	s_or_b64 exec, exec, s[2:3]
	s_waitcnt lgkmcnt(0)
	s_barrier
	ds_read_b64 v[154:155], v222
	v_cmp_lt_u32_e32 vcc, 2, v224
	s_and_saveexec_b64 s[2:3], vcc
	s_cbranch_execz .LBB73_16
; %bb.15:
	ds_read2_b64 v[156:159], v223 offset0:3 offset1:4
	ds_read2_b64 v[160:163], v223 offset0:5 offset1:6
	s_waitcnt vmcnt(34) lgkmcnt(2)
	v_mul_f64 v[146:147], v[154:155], v[146:147]
	ds_read2_b64 v[164:167], v223 offset0:7 offset1:8
	s_waitcnt vmcnt(33) lgkmcnt(2)
	v_fma_f64 v[110:111], -v[146:147], v[156:157], v[110:111]
	s_waitcnt vmcnt(32)
	v_fma_f64 v[144:145], -v[146:147], v[158:159], v[144:145]
	ds_read2_b64 v[156:159], v223 offset0:9 offset1:10
	s_waitcnt vmcnt(31) lgkmcnt(2)
	v_fma_f64 v[108:109], -v[146:147], v[160:161], v[108:109]
	s_waitcnt vmcnt(30)
	v_fma_f64 v[142:143], -v[146:147], v[162:163], v[142:143]
	;; [unrolled: 5-line block ×4, first 2 shown]
	s_waitcnt vmcnt(25) lgkmcnt(1)
	v_fma_f64 v[102:103], -v[146:147], v[160:161], v[102:103]
	ds_read2_b64 v[156:159], v223 offset0:15 offset1:16
	s_waitcnt vmcnt(24)
	v_fma_f64 v[136:137], -v[146:147], v[162:163], v[136:137]
	ds_read2_b64 v[160:163], v223 offset0:17 offset1:18
	s_waitcnt vmcnt(23) lgkmcnt(2)
	v_fma_f64 v[100:101], -v[146:147], v[164:165], v[100:101]
	s_waitcnt vmcnt(22)
	v_fma_f64 v[134:135], -v[146:147], v[166:167], v[134:135]
	s_waitcnt vmcnt(21) lgkmcnt(1)
	v_fma_f64 v[98:99], -v[146:147], v[156:157], v[98:99]
	ds_read2_b64 v[164:167], v223 offset0:19 offset1:20
	s_waitcnt vmcnt(20)
	v_fma_f64 v[132:133], -v[146:147], v[158:159], v[132:133]
	ds_read2_b64 v[156:159], v223 offset0:21 offset1:22
	s_waitcnt vmcnt(19) lgkmcnt(2)
	v_fma_f64 v[96:97], -v[146:147], v[160:161], v[96:97]
	s_waitcnt vmcnt(18)
	v_fma_f64 v[130:131], -v[146:147], v[162:163], v[130:131]
	ds_read2_b64 v[160:163], v223 offset0:23 offset1:24
	s_waitcnt vmcnt(17) lgkmcnt(2)
	v_fma_f64 v[94:95], -v[146:147], v[164:165], v[94:95]
	;; [unrolled: 5-line block ×3, first 2 shown]
	s_waitcnt vmcnt(14)
	v_fma_f64 v[126:127], -v[146:147], v[158:159], v[126:127]
	s_waitcnt vmcnt(13) lgkmcnt(1)
	v_fma_f64 v[90:91], -v[146:147], v[160:161], v[90:91]
	ds_read2_b64 v[156:159], v223 offset0:27 offset1:28
	s_waitcnt vmcnt(12)
	v_fma_f64 v[124:125], -v[146:147], v[162:163], v[124:125]
	ds_read2_b64 v[160:163], v223 offset0:29 offset1:30
	s_waitcnt vmcnt(11) lgkmcnt(2)
	v_fma_f64 v[88:89], -v[146:147], v[164:165], v[88:89]
	s_waitcnt vmcnt(10)
	v_fma_f64 v[122:123], -v[146:147], v[166:167], v[122:123]
	s_waitcnt vmcnt(9) lgkmcnt(1)
	v_fma_f64 v[86:87], -v[146:147], v[156:157], v[86:87]
	s_waitcnt vmcnt(8)
	v_fma_f64 v[120:121], -v[146:147], v[158:159], v[120:121]
	ds_read2_b64 v[156:159], v223 offset0:31 offset1:32
	ds_read2_b64 v[164:167], v223 offset0:33 offset1:34
	s_waitcnt vmcnt(7) lgkmcnt(2)
	v_fma_f64 v[84:85], -v[146:147], v[160:161], v[84:85]
	s_waitcnt vmcnt(6)
	v_fma_f64 v[118:119], -v[146:147], v[162:163], v[118:119]
	ds_read2_b64 v[160:163], v223 offset0:35 offset1:36
	s_waitcnt vmcnt(5) lgkmcnt(2)
	v_fma_f64 v[82:83], -v[146:147], v[156:157], v[82:83]
	s_waitcnt vmcnt(4)
	v_fma_f64 v[116:117], -v[146:147], v[158:159], v[116:117]
	s_waitcnt vmcnt(3) lgkmcnt(1)
	v_fma_f64 v[80:81], -v[146:147], v[164:165], v[80:81]
	s_waitcnt vmcnt(2)
	v_fma_f64 v[114:115], -v[146:147], v[166:167], v[114:115]
	;; [unrolled: 4-line block ×3, first 2 shown]
.LBB73_16:
	s_or_b64 exec, exec, s[2:3]
	v_cmp_eq_u32_e32 vcc, 3, v224
	s_waitcnt lgkmcnt(0)
	s_barrier
	s_and_saveexec_b64 s[2:3], vcc
	s_cbranch_execz .LBB73_19
; %bb.17:
	s_waitcnt vmcnt(32)
	v_mov_b32_e32 v156, v144
	v_mov_b32_e32 v157, v145
	s_waitcnt vmcnt(31)
	v_mov_b32_e32 v158, v108
	v_mov_b32_e32 v159, v109
	ds_write_b64 v222, v[110:111]
	ds_write2_b64 v223, v[156:157], v[158:159] offset0:4 offset1:5
	s_waitcnt vmcnt(30)
	v_mov_b32_e32 v156, v142
	v_mov_b32_e32 v157, v143
	s_waitcnt vmcnt(29)
	v_mov_b32_e32 v158, v106
	v_mov_b32_e32 v159, v107
	ds_write2_b64 v223, v[156:157], v[158:159] offset0:6 offset1:7
	s_waitcnt vmcnt(28)
	v_mov_b32_e32 v156, v140
	v_mov_b32_e32 v157, v141
	s_waitcnt vmcnt(27)
	v_mov_b32_e32 v158, v104
	v_mov_b32_e32 v159, v105
	ds_write2_b64 v223, v[156:157], v[158:159] offset0:8 offset1:9
	s_waitcnt vmcnt(26)
	v_mov_b32_e32 v156, v138
	v_mov_b32_e32 v157, v139
	s_waitcnt vmcnt(25)
	v_mov_b32_e32 v158, v102
	v_mov_b32_e32 v159, v103
	ds_write2_b64 v223, v[156:157], v[158:159] offset0:10 offset1:11
	s_waitcnt vmcnt(24)
	v_mov_b32_e32 v156, v136
	v_mov_b32_e32 v157, v137
	s_waitcnt vmcnt(23)
	v_mov_b32_e32 v158, v100
	v_mov_b32_e32 v159, v101
	ds_write2_b64 v223, v[156:157], v[158:159] offset0:12 offset1:13
	s_waitcnt vmcnt(22)
	v_mov_b32_e32 v156, v134
	v_mov_b32_e32 v157, v135
	s_waitcnt vmcnt(21)
	v_mov_b32_e32 v158, v98
	v_mov_b32_e32 v159, v99
	ds_write2_b64 v223, v[156:157], v[158:159] offset0:14 offset1:15
	s_waitcnt vmcnt(20)
	v_mov_b32_e32 v156, v132
	v_mov_b32_e32 v157, v133
	s_waitcnt vmcnt(19)
	v_mov_b32_e32 v158, v96
	v_mov_b32_e32 v159, v97
	ds_write2_b64 v223, v[156:157], v[158:159] offset0:16 offset1:17
	s_waitcnt vmcnt(18)
	v_mov_b32_e32 v156, v130
	v_mov_b32_e32 v157, v131
	s_waitcnt vmcnt(17)
	v_mov_b32_e32 v158, v94
	v_mov_b32_e32 v159, v95
	ds_write2_b64 v223, v[156:157], v[158:159] offset0:18 offset1:19
	s_waitcnt vmcnt(16)
	v_mov_b32_e32 v156, v128
	v_mov_b32_e32 v157, v129
	s_waitcnt vmcnt(15)
	v_mov_b32_e32 v158, v92
	v_mov_b32_e32 v159, v93
	ds_write2_b64 v223, v[156:157], v[158:159] offset0:20 offset1:21
	s_waitcnt vmcnt(14)
	v_mov_b32_e32 v156, v126
	v_mov_b32_e32 v157, v127
	s_waitcnt vmcnt(13)
	v_mov_b32_e32 v158, v90
	v_mov_b32_e32 v159, v91
	ds_write2_b64 v223, v[156:157], v[158:159] offset0:22 offset1:23
	s_waitcnt vmcnt(12)
	v_mov_b32_e32 v156, v124
	v_mov_b32_e32 v157, v125
	s_waitcnt vmcnt(11)
	v_mov_b32_e32 v158, v88
	v_mov_b32_e32 v159, v89
	ds_write2_b64 v223, v[156:157], v[158:159] offset0:24 offset1:25
	s_waitcnt vmcnt(10)
	v_mov_b32_e32 v156, v122
	v_mov_b32_e32 v157, v123
	s_waitcnt vmcnt(9)
	v_mov_b32_e32 v158, v86
	v_mov_b32_e32 v159, v87
	ds_write2_b64 v223, v[156:157], v[158:159] offset0:26 offset1:27
	s_waitcnt vmcnt(8)
	v_mov_b32_e32 v156, v120
	v_mov_b32_e32 v157, v121
	s_waitcnt vmcnt(7)
	v_mov_b32_e32 v158, v84
	v_mov_b32_e32 v159, v85
	ds_write2_b64 v223, v[156:157], v[158:159] offset0:28 offset1:29
	s_waitcnt vmcnt(6)
	v_mov_b32_e32 v156, v118
	v_mov_b32_e32 v157, v119
	s_waitcnt vmcnt(5)
	v_mov_b32_e32 v158, v82
	v_mov_b32_e32 v159, v83
	ds_write2_b64 v223, v[156:157], v[158:159] offset0:30 offset1:31
	s_waitcnt vmcnt(4)
	v_mov_b32_e32 v156, v116
	v_mov_b32_e32 v157, v117
	s_waitcnt vmcnt(3)
	v_mov_b32_e32 v158, v80
	v_mov_b32_e32 v159, v81
	ds_write2_b64 v223, v[156:157], v[158:159] offset0:32 offset1:33
	s_waitcnt vmcnt(2)
	v_mov_b32_e32 v156, v114
	v_mov_b32_e32 v157, v115
	s_waitcnt vmcnt(1)
	v_mov_b32_e32 v158, v78
	v_mov_b32_e32 v159, v79
	ds_write2_b64 v223, v[156:157], v[158:159] offset0:34 offset1:35
	s_waitcnt vmcnt(0)
	ds_write_b64 v223, v[148:149] offset:288
	ds_read_b64 v[156:157], v222
	s_waitcnt lgkmcnt(0)
	v_cmp_neq_f64_e32 vcc, 0, v[156:157]
	s_and_b64 exec, exec, vcc
	s_cbranch_execz .LBB73_19
; %bb.18:
	v_div_scale_f64 v[158:159], s[6:7], v[156:157], v[156:157], 1.0
	v_rcp_f64_e32 v[160:161], v[158:159]
	v_div_scale_f64 v[162:163], vcc, 1.0, v[156:157], 1.0
	v_fma_f64 v[164:165], -v[158:159], v[160:161], 1.0
	v_fmac_f64_e32 v[160:161], v[160:161], v[164:165]
	v_fma_f64 v[164:165], -v[158:159], v[160:161], 1.0
	v_fmac_f64_e32 v[160:161], v[160:161], v[164:165]
	v_mul_f64 v[164:165], v[162:163], v[160:161]
	v_fma_f64 v[158:159], -v[158:159], v[164:165], v[162:163]
	v_div_fmas_f64 v[158:159], v[158:159], v[160:161], v[164:165]
	v_div_fixup_f64 v[156:157], v[158:159], v[156:157], 1.0
	ds_write_b64 v222, v[156:157]
.LBB73_19:
	s_or_b64 exec, exec, s[2:3]
	s_waitcnt lgkmcnt(0)
	s_barrier
	ds_read_b64 v[156:157], v222
	v_cmp_lt_u32_e32 vcc, 3, v224
	s_and_saveexec_b64 s[2:3], vcc
	s_cbranch_execz .LBB73_21
; %bb.20:
	ds_read2_b64 v[158:161], v223 offset0:4 offset1:5
	ds_read2_b64 v[162:165], v223 offset0:6 offset1:7
	s_waitcnt vmcnt(33) lgkmcnt(2)
	v_mul_f64 v[110:111], v[156:157], v[110:111]
	ds_read2_b64 v[166:169], v223 offset0:8 offset1:9
	s_waitcnt vmcnt(32) lgkmcnt(2)
	v_fma_f64 v[144:145], -v[110:111], v[158:159], v[144:145]
	s_waitcnt vmcnt(31)
	v_fma_f64 v[108:109], -v[110:111], v[160:161], v[108:109]
	ds_read2_b64 v[158:161], v223 offset0:10 offset1:11
	s_waitcnt vmcnt(30) lgkmcnt(2)
	v_fma_f64 v[142:143], -v[110:111], v[162:163], v[142:143]
	s_waitcnt vmcnt(29)
	v_fma_f64 v[106:107], -v[110:111], v[164:165], v[106:107]
	;; [unrolled: 5-line block ×4, first 2 shown]
	s_waitcnt vmcnt(24) lgkmcnt(1)
	v_fma_f64 v[136:137], -v[110:111], v[162:163], v[136:137]
	ds_read2_b64 v[158:161], v223 offset0:16 offset1:17
	s_waitcnt vmcnt(23)
	v_fma_f64 v[100:101], -v[110:111], v[164:165], v[100:101]
	ds_read2_b64 v[162:165], v223 offset0:18 offset1:19
	s_waitcnt vmcnt(22) lgkmcnt(2)
	v_fma_f64 v[134:135], -v[110:111], v[166:167], v[134:135]
	s_waitcnt vmcnt(21)
	v_fma_f64 v[98:99], -v[110:111], v[168:169], v[98:99]
	s_waitcnt vmcnt(20) lgkmcnt(1)
	v_fma_f64 v[132:133], -v[110:111], v[158:159], v[132:133]
	ds_read2_b64 v[166:169], v223 offset0:20 offset1:21
	s_waitcnt vmcnt(19)
	v_fma_f64 v[96:97], -v[110:111], v[160:161], v[96:97]
	ds_read2_b64 v[158:161], v223 offset0:22 offset1:23
	s_waitcnt vmcnt(18) lgkmcnt(2)
	v_fma_f64 v[130:131], -v[110:111], v[162:163], v[130:131]
	s_waitcnt vmcnt(17)
	v_fma_f64 v[94:95], -v[110:111], v[164:165], v[94:95]
	ds_read2_b64 v[162:165], v223 offset0:24 offset1:25
	s_waitcnt vmcnt(16) lgkmcnt(2)
	v_fma_f64 v[128:129], -v[110:111], v[166:167], v[128:129]
	;; [unrolled: 5-line block ×3, first 2 shown]
	s_waitcnt vmcnt(13)
	v_fma_f64 v[90:91], -v[110:111], v[160:161], v[90:91]
	s_waitcnt vmcnt(12) lgkmcnt(1)
	v_fma_f64 v[124:125], -v[110:111], v[162:163], v[124:125]
	ds_read2_b64 v[158:161], v223 offset0:28 offset1:29
	s_waitcnt vmcnt(11)
	v_fma_f64 v[88:89], -v[110:111], v[164:165], v[88:89]
	ds_read2_b64 v[162:165], v223 offset0:30 offset1:31
	s_waitcnt vmcnt(10) lgkmcnt(2)
	v_fma_f64 v[122:123], -v[110:111], v[166:167], v[122:123]
	s_waitcnt vmcnt(9)
	v_fma_f64 v[86:87], -v[110:111], v[168:169], v[86:87]
	s_waitcnt vmcnt(8) lgkmcnt(1)
	v_fma_f64 v[120:121], -v[110:111], v[158:159], v[120:121]
	s_waitcnt vmcnt(7)
	v_fma_f64 v[84:85], -v[110:111], v[160:161], v[84:85]
	ds_read2_b64 v[158:161], v223 offset0:32 offset1:33
	ds_read2_b64 v[166:169], v223 offset0:34 offset1:35
	s_waitcnt vmcnt(6) lgkmcnt(2)
	v_fma_f64 v[118:119], -v[110:111], v[162:163], v[118:119]
	ds_read_b64 v[162:163], v223 offset:288
	s_waitcnt vmcnt(5)
	v_fma_f64 v[82:83], -v[110:111], v[164:165], v[82:83]
	s_waitcnt vmcnt(4) lgkmcnt(2)
	v_fma_f64 v[116:117], -v[110:111], v[158:159], v[116:117]
	s_waitcnt vmcnt(3)
	v_fma_f64 v[80:81], -v[110:111], v[160:161], v[80:81]
	s_waitcnt vmcnt(2) lgkmcnt(1)
	v_fma_f64 v[114:115], -v[110:111], v[166:167], v[114:115]
	;; [unrolled: 4-line block ×3, first 2 shown]
.LBB73_21:
	s_or_b64 exec, exec, s[2:3]
	v_cmp_eq_u32_e32 vcc, 4, v224
	s_waitcnt lgkmcnt(0)
	s_barrier
	s_and_saveexec_b64 s[2:3], vcc
	s_cbranch_execz .LBB73_24
; %bb.22:
	s_waitcnt vmcnt(32)
	ds_write_b64 v222, v[144:145]
	s_waitcnt vmcnt(30)
	ds_write2_b64 v223, v[108:109], v[142:143] offset0:5 offset1:6
	s_waitcnt vmcnt(28)
	ds_write2_b64 v223, v[106:107], v[140:141] offset0:7 offset1:8
	;; [unrolled: 2-line block ×16, first 2 shown]
	ds_read_b64 v[158:159], v222
	s_waitcnt lgkmcnt(0)
	v_cmp_neq_f64_e32 vcc, 0, v[158:159]
	s_and_b64 exec, exec, vcc
	s_cbranch_execz .LBB73_24
; %bb.23:
	v_div_scale_f64 v[160:161], s[6:7], v[158:159], v[158:159], 1.0
	v_rcp_f64_e32 v[162:163], v[160:161]
	v_div_scale_f64 v[164:165], vcc, 1.0, v[158:159], 1.0
	v_fma_f64 v[166:167], -v[160:161], v[162:163], 1.0
	v_fmac_f64_e32 v[162:163], v[162:163], v[166:167]
	v_fma_f64 v[166:167], -v[160:161], v[162:163], 1.0
	v_fmac_f64_e32 v[162:163], v[162:163], v[166:167]
	v_mul_f64 v[166:167], v[164:165], v[162:163]
	v_fma_f64 v[160:161], -v[160:161], v[166:167], v[164:165]
	v_div_fmas_f64 v[160:161], v[160:161], v[162:163], v[166:167]
	v_div_fixup_f64 v[158:159], v[160:161], v[158:159], 1.0
	ds_write_b64 v222, v[158:159]
.LBB73_24:
	s_or_b64 exec, exec, s[2:3]
	s_waitcnt lgkmcnt(0)
	s_barrier
	ds_read_b64 v[158:159], v222
	v_cmp_lt_u32_e32 vcc, 4, v224
	s_and_saveexec_b64 s[2:3], vcc
	s_cbranch_execz .LBB73_26
; %bb.25:
	ds_read2_b64 v[160:163], v223 offset0:5 offset1:6
	ds_read2_b64 v[164:167], v223 offset0:7 offset1:8
	s_waitcnt vmcnt(32) lgkmcnt(2)
	v_mul_f64 v[144:145], v[158:159], v[144:145]
	ds_read2_b64 v[168:171], v223 offset0:9 offset1:10
	s_waitcnt vmcnt(31) lgkmcnt(2)
	v_fma_f64 v[108:109], -v[144:145], v[160:161], v[108:109]
	s_waitcnt vmcnt(30)
	v_fma_f64 v[142:143], -v[144:145], v[162:163], v[142:143]
	ds_read2_b64 v[160:163], v223 offset0:11 offset1:12
	s_waitcnt vmcnt(29) lgkmcnt(2)
	v_fma_f64 v[106:107], -v[144:145], v[164:165], v[106:107]
	s_waitcnt vmcnt(28)
	v_fma_f64 v[140:141], -v[144:145], v[166:167], v[140:141]
	s_waitcnt vmcnt(27) lgkmcnt(1)
	v_fma_f64 v[104:105], -v[144:145], v[168:169], v[104:105]
	ds_read2_b64 v[164:167], v223 offset0:13 offset1:14
	s_waitcnt vmcnt(26)
	v_fma_f64 v[138:139], -v[144:145], v[170:171], v[138:139]
	ds_read2_b64 v[168:171], v223 offset0:15 offset1:16
	s_waitcnt vmcnt(25) lgkmcnt(2)
	v_fma_f64 v[102:103], -v[144:145], v[160:161], v[102:103]
	s_waitcnt vmcnt(24)
	v_fma_f64 v[136:137], -v[144:145], v[162:163], v[136:137]
	ds_read2_b64 v[160:163], v223 offset0:17 offset1:18
	s_waitcnt vmcnt(23) lgkmcnt(2)
	v_fma_f64 v[100:101], -v[144:145], v[164:165], v[100:101]
	;; [unrolled: 5-line block ×3, first 2 shown]
	s_waitcnt vmcnt(20)
	v_fma_f64 v[132:133], -v[144:145], v[170:171], v[132:133]
	s_waitcnt vmcnt(19) lgkmcnt(1)
	v_fma_f64 v[96:97], -v[144:145], v[160:161], v[96:97]
	ds_read2_b64 v[168:171], v223 offset0:21 offset1:22
	s_waitcnt vmcnt(18)
	v_fma_f64 v[130:131], -v[144:145], v[162:163], v[130:131]
	ds_read2_b64 v[160:163], v223 offset0:23 offset1:24
	s_waitcnt vmcnt(17) lgkmcnt(2)
	v_fma_f64 v[94:95], -v[144:145], v[164:165], v[94:95]
	s_waitcnt vmcnt(16)
	v_fma_f64 v[128:129], -v[144:145], v[166:167], v[128:129]
	s_waitcnt vmcnt(15) lgkmcnt(1)
	v_fma_f64 v[92:93], -v[144:145], v[168:169], v[92:93]
	ds_read2_b64 v[164:167], v223 offset0:25 offset1:26
	s_waitcnt vmcnt(14)
	v_fma_f64 v[126:127], -v[144:145], v[170:171], v[126:127]
	ds_read2_b64 v[168:171], v223 offset0:27 offset1:28
	s_waitcnt vmcnt(13) lgkmcnt(2)
	v_fma_f64 v[90:91], -v[144:145], v[160:161], v[90:91]
	s_waitcnt vmcnt(12)
	v_fma_f64 v[124:125], -v[144:145], v[162:163], v[124:125]
	ds_read2_b64 v[160:163], v223 offset0:29 offset1:30
	s_waitcnt vmcnt(11) lgkmcnt(2)
	v_fma_f64 v[88:89], -v[144:145], v[164:165], v[88:89]
	;; [unrolled: 5-line block ×3, first 2 shown]
	s_waitcnt vmcnt(8)
	v_fma_f64 v[120:121], -v[144:145], v[170:171], v[120:121]
	s_waitcnt vmcnt(7) lgkmcnt(1)
	v_fma_f64 v[84:85], -v[144:145], v[160:161], v[84:85]
	ds_read2_b64 v[168:171], v223 offset0:33 offset1:34
	s_waitcnt vmcnt(6)
	v_fma_f64 v[118:119], -v[144:145], v[162:163], v[118:119]
	ds_read2_b64 v[160:163], v223 offset0:35 offset1:36
	s_waitcnt vmcnt(5) lgkmcnt(2)
	v_fma_f64 v[82:83], -v[144:145], v[164:165], v[82:83]
	s_waitcnt vmcnt(4)
	v_fma_f64 v[116:117], -v[144:145], v[166:167], v[116:117]
	s_waitcnt vmcnt(3) lgkmcnt(1)
	v_fma_f64 v[80:81], -v[144:145], v[168:169], v[80:81]
	s_waitcnt vmcnt(2)
	v_fma_f64 v[114:115], -v[144:145], v[170:171], v[114:115]
	s_waitcnt vmcnt(1) lgkmcnt(0)
	v_fma_f64 v[78:79], -v[144:145], v[160:161], v[78:79]
	s_waitcnt vmcnt(0)
	v_fma_f64 v[148:149], -v[144:145], v[162:163], v[148:149]
.LBB73_26:
	s_or_b64 exec, exec, s[2:3]
	v_cmp_eq_u32_e32 vcc, 5, v224
	s_waitcnt lgkmcnt(0)
	s_barrier
	s_and_saveexec_b64 s[2:3], vcc
	s_cbranch_execz .LBB73_29
; %bb.27:
	s_waitcnt vmcnt(30)
	v_mov_b32_e32 v160, v142
	v_mov_b32_e32 v161, v143
	s_waitcnt vmcnt(29)
	v_mov_b32_e32 v162, v106
	v_mov_b32_e32 v163, v107
	ds_write_b64 v222, v[108:109]
	ds_write2_b64 v223, v[160:161], v[162:163] offset0:6 offset1:7
	s_waitcnt vmcnt(28)
	v_mov_b32_e32 v160, v140
	v_mov_b32_e32 v161, v141
	s_waitcnt vmcnt(27)
	v_mov_b32_e32 v162, v104
	v_mov_b32_e32 v163, v105
	ds_write2_b64 v223, v[160:161], v[162:163] offset0:8 offset1:9
	s_waitcnt vmcnt(26)
	v_mov_b32_e32 v160, v138
	v_mov_b32_e32 v161, v139
	s_waitcnt vmcnt(25)
	v_mov_b32_e32 v162, v102
	v_mov_b32_e32 v163, v103
	;; [unrolled: 7-line block ×14, first 2 shown]
	ds_write2_b64 v223, v[160:161], v[162:163] offset0:34 offset1:35
	s_waitcnt vmcnt(0)
	ds_write_b64 v223, v[148:149] offset:288
	ds_read_b64 v[160:161], v222
	s_waitcnt lgkmcnt(0)
	v_cmp_neq_f64_e32 vcc, 0, v[160:161]
	s_and_b64 exec, exec, vcc
	s_cbranch_execz .LBB73_29
; %bb.28:
	v_div_scale_f64 v[162:163], s[6:7], v[160:161], v[160:161], 1.0
	v_rcp_f64_e32 v[164:165], v[162:163]
	v_div_scale_f64 v[166:167], vcc, 1.0, v[160:161], 1.0
	v_fma_f64 v[168:169], -v[162:163], v[164:165], 1.0
	v_fmac_f64_e32 v[164:165], v[164:165], v[168:169]
	v_fma_f64 v[168:169], -v[162:163], v[164:165], 1.0
	v_fmac_f64_e32 v[164:165], v[164:165], v[168:169]
	v_mul_f64 v[168:169], v[166:167], v[164:165]
	v_fma_f64 v[162:163], -v[162:163], v[168:169], v[166:167]
	v_div_fmas_f64 v[162:163], v[162:163], v[164:165], v[168:169]
	v_div_fixup_f64 v[160:161], v[162:163], v[160:161], 1.0
	ds_write_b64 v222, v[160:161]
.LBB73_29:
	s_or_b64 exec, exec, s[2:3]
	s_waitcnt lgkmcnt(0)
	s_barrier
	ds_read_b64 v[160:161], v222
	v_cmp_lt_u32_e32 vcc, 5, v224
	s_and_saveexec_b64 s[2:3], vcc
	s_cbranch_execz .LBB73_31
; %bb.30:
	ds_read2_b64 v[162:165], v223 offset0:6 offset1:7
	ds_read2_b64 v[166:169], v223 offset0:8 offset1:9
	s_waitcnt vmcnt(31) lgkmcnt(2)
	v_mul_f64 v[108:109], v[160:161], v[108:109]
	ds_read2_b64 v[170:173], v223 offset0:10 offset1:11
	s_waitcnt vmcnt(30) lgkmcnt(2)
	v_fma_f64 v[142:143], -v[108:109], v[162:163], v[142:143]
	s_waitcnt vmcnt(29)
	v_fma_f64 v[106:107], -v[108:109], v[164:165], v[106:107]
	ds_read2_b64 v[162:165], v223 offset0:12 offset1:13
	s_waitcnt vmcnt(28) lgkmcnt(2)
	v_fma_f64 v[140:141], -v[108:109], v[166:167], v[140:141]
	s_waitcnt vmcnt(27)
	v_fma_f64 v[104:105], -v[108:109], v[168:169], v[104:105]
	s_waitcnt vmcnt(26) lgkmcnt(1)
	v_fma_f64 v[138:139], -v[108:109], v[170:171], v[138:139]
	ds_read2_b64 v[166:169], v223 offset0:14 offset1:15
	s_waitcnt vmcnt(25)
	v_fma_f64 v[102:103], -v[108:109], v[172:173], v[102:103]
	ds_read2_b64 v[170:173], v223 offset0:16 offset1:17
	s_waitcnt vmcnt(24) lgkmcnt(2)
	v_fma_f64 v[136:137], -v[108:109], v[162:163], v[136:137]
	s_waitcnt vmcnt(23)
	v_fma_f64 v[100:101], -v[108:109], v[164:165], v[100:101]
	ds_read2_b64 v[162:165], v223 offset0:18 offset1:19
	s_waitcnt vmcnt(22) lgkmcnt(2)
	v_fma_f64 v[134:135], -v[108:109], v[166:167], v[134:135]
	;; [unrolled: 5-line block ×3, first 2 shown]
	s_waitcnt vmcnt(19)
	v_fma_f64 v[96:97], -v[108:109], v[172:173], v[96:97]
	s_waitcnt vmcnt(18) lgkmcnt(1)
	v_fma_f64 v[130:131], -v[108:109], v[162:163], v[130:131]
	ds_read2_b64 v[170:173], v223 offset0:22 offset1:23
	s_waitcnt vmcnt(17)
	v_fma_f64 v[94:95], -v[108:109], v[164:165], v[94:95]
	ds_read2_b64 v[162:165], v223 offset0:24 offset1:25
	s_waitcnt vmcnt(16) lgkmcnt(2)
	v_fma_f64 v[128:129], -v[108:109], v[166:167], v[128:129]
	s_waitcnt vmcnt(15)
	v_fma_f64 v[92:93], -v[108:109], v[168:169], v[92:93]
	s_waitcnt vmcnt(14) lgkmcnt(1)
	v_fma_f64 v[126:127], -v[108:109], v[170:171], v[126:127]
	ds_read2_b64 v[166:169], v223 offset0:26 offset1:27
	s_waitcnt vmcnt(13)
	v_fma_f64 v[90:91], -v[108:109], v[172:173], v[90:91]
	ds_read2_b64 v[170:173], v223 offset0:28 offset1:29
	s_waitcnt vmcnt(12) lgkmcnt(2)
	v_fma_f64 v[124:125], -v[108:109], v[162:163], v[124:125]
	s_waitcnt vmcnt(11)
	v_fma_f64 v[88:89], -v[108:109], v[164:165], v[88:89]
	ds_read2_b64 v[162:165], v223 offset0:30 offset1:31
	s_waitcnt vmcnt(10) lgkmcnt(2)
	v_fma_f64 v[122:123], -v[108:109], v[166:167], v[122:123]
	;; [unrolled: 5-line block ×3, first 2 shown]
	s_waitcnt vmcnt(7)
	v_fma_f64 v[84:85], -v[108:109], v[172:173], v[84:85]
	s_waitcnt vmcnt(6) lgkmcnt(1)
	v_fma_f64 v[118:119], -v[108:109], v[162:163], v[118:119]
	ds_read2_b64 v[170:173], v223 offset0:34 offset1:35
	ds_read_b64 v[162:163], v223 offset:288
	s_waitcnt vmcnt(5)
	v_fma_f64 v[82:83], -v[108:109], v[164:165], v[82:83]
	s_waitcnt vmcnt(4) lgkmcnt(2)
	v_fma_f64 v[116:117], -v[108:109], v[166:167], v[116:117]
	s_waitcnt vmcnt(3)
	v_fma_f64 v[80:81], -v[108:109], v[168:169], v[80:81]
	s_waitcnt vmcnt(2) lgkmcnt(1)
	v_fma_f64 v[114:115], -v[108:109], v[170:171], v[114:115]
	;; [unrolled: 4-line block ×3, first 2 shown]
.LBB73_31:
	s_or_b64 exec, exec, s[2:3]
	v_cmp_eq_u32_e32 vcc, 6, v224
	s_waitcnt lgkmcnt(0)
	s_barrier
	s_and_saveexec_b64 s[2:3], vcc
	s_cbranch_execz .LBB73_34
; %bb.32:
	s_waitcnt vmcnt(30)
	ds_write_b64 v222, v[142:143]
	s_waitcnt vmcnt(28)
	ds_write2_b64 v223, v[106:107], v[140:141] offset0:7 offset1:8
	s_waitcnt vmcnt(26)
	ds_write2_b64 v223, v[104:105], v[138:139] offset0:9 offset1:10
	;; [unrolled: 2-line block ×15, first 2 shown]
	ds_read_b64 v[162:163], v222
	s_waitcnt lgkmcnt(0)
	v_cmp_neq_f64_e32 vcc, 0, v[162:163]
	s_and_b64 exec, exec, vcc
	s_cbranch_execz .LBB73_34
; %bb.33:
	v_div_scale_f64 v[164:165], s[6:7], v[162:163], v[162:163], 1.0
	v_rcp_f64_e32 v[166:167], v[164:165]
	v_div_scale_f64 v[168:169], vcc, 1.0, v[162:163], 1.0
	v_fma_f64 v[170:171], -v[164:165], v[166:167], 1.0
	v_fmac_f64_e32 v[166:167], v[166:167], v[170:171]
	v_fma_f64 v[170:171], -v[164:165], v[166:167], 1.0
	v_fmac_f64_e32 v[166:167], v[166:167], v[170:171]
	v_mul_f64 v[170:171], v[168:169], v[166:167]
	v_fma_f64 v[164:165], -v[164:165], v[170:171], v[168:169]
	v_div_fmas_f64 v[164:165], v[164:165], v[166:167], v[170:171]
	v_div_fixup_f64 v[162:163], v[164:165], v[162:163], 1.0
	ds_write_b64 v222, v[162:163]
.LBB73_34:
	s_or_b64 exec, exec, s[2:3]
	s_waitcnt lgkmcnt(0)
	s_barrier
	ds_read_b64 v[162:163], v222
	v_cmp_lt_u32_e32 vcc, 6, v224
	s_and_saveexec_b64 s[2:3], vcc
	s_cbranch_execz .LBB73_36
; %bb.35:
	ds_read2_b64 v[164:167], v223 offset0:7 offset1:8
	ds_read2_b64 v[168:171], v223 offset0:9 offset1:10
	;; [unrolled: 1-line block ×3, first 2 shown]
	s_waitcnt vmcnt(30) lgkmcnt(3)
	v_mul_f64 v[142:143], v[162:163], v[142:143]
	s_waitcnt vmcnt(29) lgkmcnt(2)
	v_fma_f64 v[106:107], -v[142:143], v[164:165], v[106:107]
	s_waitcnt vmcnt(28)
	v_fma_f64 v[140:141], -v[142:143], v[166:167], v[140:141]
	ds_read2_b64 v[164:167], v223 offset0:13 offset1:14
	s_waitcnt vmcnt(27) lgkmcnt(2)
	v_fma_f64 v[104:105], -v[142:143], v[168:169], v[104:105]
	s_waitcnt vmcnt(26)
	v_fma_f64 v[138:139], -v[142:143], v[170:171], v[138:139]
	s_waitcnt vmcnt(25) lgkmcnt(1)
	v_fma_f64 v[102:103], -v[142:143], v[172:173], v[102:103]
	ds_read2_b64 v[168:171], v223 offset0:15 offset1:16
	s_waitcnt vmcnt(24)
	v_fma_f64 v[136:137], -v[142:143], v[174:175], v[136:137]
	ds_read2_b64 v[172:175], v223 offset0:17 offset1:18
	s_waitcnt vmcnt(23) lgkmcnt(2)
	v_fma_f64 v[100:101], -v[142:143], v[164:165], v[100:101]
	s_waitcnt vmcnt(22)
	v_fma_f64 v[134:135], -v[142:143], v[166:167], v[134:135]
	s_waitcnt vmcnt(21) lgkmcnt(1)
	v_fma_f64 v[98:99], -v[142:143], v[168:169], v[98:99]
	ds_read2_b64 v[164:167], v223 offset0:19 offset1:20
	s_waitcnt vmcnt(20)
	v_fma_f64 v[132:133], -v[142:143], v[170:171], v[132:133]
	ds_read2_b64 v[168:171], v223 offset0:21 offset1:22
	s_waitcnt vmcnt(19) lgkmcnt(2)
	v_fma_f64 v[96:97], -v[142:143], v[172:173], v[96:97]
	s_waitcnt vmcnt(18)
	v_fma_f64 v[130:131], -v[142:143], v[174:175], v[130:131]
	ds_read2_b64 v[172:175], v223 offset0:23 offset1:24
	s_waitcnt vmcnt(17) lgkmcnt(2)
	v_fma_f64 v[94:95], -v[142:143], v[164:165], v[94:95]
	;; [unrolled: 5-line block ×3, first 2 shown]
	s_waitcnt vmcnt(14)
	v_fma_f64 v[126:127], -v[142:143], v[170:171], v[126:127]
	s_waitcnt vmcnt(13) lgkmcnt(1)
	v_fma_f64 v[90:91], -v[142:143], v[172:173], v[90:91]
	ds_read2_b64 v[168:171], v223 offset0:27 offset1:28
	s_waitcnt vmcnt(12)
	v_fma_f64 v[124:125], -v[142:143], v[174:175], v[124:125]
	ds_read2_b64 v[172:175], v223 offset0:29 offset1:30
	s_waitcnt vmcnt(11) lgkmcnt(2)
	v_fma_f64 v[88:89], -v[142:143], v[164:165], v[88:89]
	s_waitcnt vmcnt(10)
	v_fma_f64 v[122:123], -v[142:143], v[166:167], v[122:123]
	s_waitcnt vmcnt(9) lgkmcnt(1)
	v_fma_f64 v[86:87], -v[142:143], v[168:169], v[86:87]
	s_waitcnt vmcnt(8)
	v_fma_f64 v[120:121], -v[142:143], v[170:171], v[120:121]
	ds_read2_b64 v[164:167], v223 offset0:31 offset1:32
	ds_read2_b64 v[168:171], v223 offset0:33 offset1:34
	s_waitcnt vmcnt(7) lgkmcnt(2)
	v_fma_f64 v[84:85], -v[142:143], v[172:173], v[84:85]
	s_waitcnt vmcnt(6)
	v_fma_f64 v[118:119], -v[142:143], v[174:175], v[118:119]
	ds_read2_b64 v[172:175], v223 offset0:35 offset1:36
	s_waitcnt vmcnt(5) lgkmcnt(2)
	v_fma_f64 v[82:83], -v[142:143], v[164:165], v[82:83]
	s_waitcnt vmcnt(4)
	v_fma_f64 v[116:117], -v[142:143], v[166:167], v[116:117]
	s_waitcnt vmcnt(3) lgkmcnt(1)
	v_fma_f64 v[80:81], -v[142:143], v[168:169], v[80:81]
	s_waitcnt vmcnt(2)
	v_fma_f64 v[114:115], -v[142:143], v[170:171], v[114:115]
	;; [unrolled: 4-line block ×3, first 2 shown]
.LBB73_36:
	s_or_b64 exec, exec, s[2:3]
	v_cmp_eq_u32_e32 vcc, 7, v224
	s_waitcnt lgkmcnt(0)
	s_barrier
	s_and_saveexec_b64 s[2:3], vcc
	s_cbranch_execz .LBB73_39
; %bb.37:
	s_waitcnt vmcnt(28)
	v_mov_b32_e32 v164, v140
	v_mov_b32_e32 v165, v141
	s_waitcnt vmcnt(27)
	v_mov_b32_e32 v166, v104
	v_mov_b32_e32 v167, v105
	ds_write_b64 v222, v[106:107]
	ds_write2_b64 v223, v[164:165], v[166:167] offset0:8 offset1:9
	s_waitcnt vmcnt(26)
	v_mov_b32_e32 v164, v138
	v_mov_b32_e32 v165, v139
	s_waitcnt vmcnt(25)
	v_mov_b32_e32 v166, v102
	v_mov_b32_e32 v167, v103
	ds_write2_b64 v223, v[164:165], v[166:167] offset0:10 offset1:11
	s_waitcnt vmcnt(24)
	v_mov_b32_e32 v164, v136
	v_mov_b32_e32 v165, v137
	s_waitcnt vmcnt(23)
	v_mov_b32_e32 v166, v100
	v_mov_b32_e32 v167, v101
	;; [unrolled: 7-line block ×13, first 2 shown]
	ds_write2_b64 v223, v[164:165], v[166:167] offset0:34 offset1:35
	s_waitcnt vmcnt(0)
	ds_write_b64 v223, v[148:149] offset:288
	ds_read_b64 v[164:165], v222
	s_waitcnt lgkmcnt(0)
	v_cmp_neq_f64_e32 vcc, 0, v[164:165]
	s_and_b64 exec, exec, vcc
	s_cbranch_execz .LBB73_39
; %bb.38:
	v_div_scale_f64 v[166:167], s[6:7], v[164:165], v[164:165], 1.0
	v_rcp_f64_e32 v[168:169], v[166:167]
	v_div_scale_f64 v[170:171], vcc, 1.0, v[164:165], 1.0
	v_fma_f64 v[172:173], -v[166:167], v[168:169], 1.0
	v_fmac_f64_e32 v[168:169], v[168:169], v[172:173]
	v_fma_f64 v[172:173], -v[166:167], v[168:169], 1.0
	v_fmac_f64_e32 v[168:169], v[168:169], v[172:173]
	v_mul_f64 v[172:173], v[170:171], v[168:169]
	v_fma_f64 v[166:167], -v[166:167], v[172:173], v[170:171]
	v_div_fmas_f64 v[166:167], v[166:167], v[168:169], v[172:173]
	v_div_fixup_f64 v[164:165], v[166:167], v[164:165], 1.0
	ds_write_b64 v222, v[164:165]
.LBB73_39:
	s_or_b64 exec, exec, s[2:3]
	s_waitcnt lgkmcnt(0)
	s_barrier
	ds_read_b64 v[164:165], v222
	v_cmp_lt_u32_e32 vcc, 7, v224
	s_and_saveexec_b64 s[2:3], vcc
	s_cbranch_execz .LBB73_41
; %bb.40:
	ds_read2_b64 v[166:169], v223 offset0:8 offset1:9
	ds_read2_b64 v[170:173], v223 offset0:10 offset1:11
	;; [unrolled: 1-line block ×3, first 2 shown]
	s_waitcnt vmcnt(29) lgkmcnt(3)
	v_mul_f64 v[106:107], v[164:165], v[106:107]
	s_waitcnt vmcnt(28) lgkmcnt(2)
	v_fma_f64 v[140:141], -v[106:107], v[166:167], v[140:141]
	s_waitcnt vmcnt(27)
	v_fma_f64 v[104:105], -v[106:107], v[168:169], v[104:105]
	ds_read2_b64 v[166:169], v223 offset0:14 offset1:15
	s_waitcnt vmcnt(26) lgkmcnt(2)
	v_fma_f64 v[138:139], -v[106:107], v[170:171], v[138:139]
	s_waitcnt vmcnt(25)
	v_fma_f64 v[102:103], -v[106:107], v[172:173], v[102:103]
	s_waitcnt vmcnt(24) lgkmcnt(1)
	v_fma_f64 v[136:137], -v[106:107], v[174:175], v[136:137]
	ds_read2_b64 v[170:173], v223 offset0:16 offset1:17
	s_waitcnt vmcnt(23)
	v_fma_f64 v[100:101], -v[106:107], v[176:177], v[100:101]
	ds_read2_b64 v[174:177], v223 offset0:18 offset1:19
	s_waitcnt vmcnt(22) lgkmcnt(2)
	v_fma_f64 v[134:135], -v[106:107], v[166:167], v[134:135]
	s_waitcnt vmcnt(21)
	v_fma_f64 v[98:99], -v[106:107], v[168:169], v[98:99]
	s_waitcnt vmcnt(20) lgkmcnt(1)
	v_fma_f64 v[132:133], -v[106:107], v[170:171], v[132:133]
	ds_read2_b64 v[166:169], v223 offset0:20 offset1:21
	s_waitcnt vmcnt(19)
	v_fma_f64 v[96:97], -v[106:107], v[172:173], v[96:97]
	ds_read2_b64 v[170:173], v223 offset0:22 offset1:23
	s_waitcnt vmcnt(18) lgkmcnt(2)
	v_fma_f64 v[130:131], -v[106:107], v[174:175], v[130:131]
	s_waitcnt vmcnt(17)
	v_fma_f64 v[94:95], -v[106:107], v[176:177], v[94:95]
	ds_read2_b64 v[174:177], v223 offset0:24 offset1:25
	s_waitcnt vmcnt(16) lgkmcnt(2)
	v_fma_f64 v[128:129], -v[106:107], v[166:167], v[128:129]
	s_waitcnt vmcnt(15)
	v_fma_f64 v[92:93], -v[106:107], v[168:169], v[92:93]
	ds_read2_b64 v[166:169], v223 offset0:26 offset1:27
	s_waitcnt vmcnt(14) lgkmcnt(2)
	v_fma_f64 v[126:127], -v[106:107], v[170:171], v[126:127]
	s_waitcnt vmcnt(13)
	v_fma_f64 v[90:91], -v[106:107], v[172:173], v[90:91]
	s_waitcnt vmcnt(12) lgkmcnt(1)
	v_fma_f64 v[124:125], -v[106:107], v[174:175], v[124:125]
	ds_read2_b64 v[170:173], v223 offset0:28 offset1:29
	s_waitcnt vmcnt(11)
	v_fma_f64 v[88:89], -v[106:107], v[176:177], v[88:89]
	ds_read2_b64 v[174:177], v223 offset0:30 offset1:31
	s_waitcnt vmcnt(10) lgkmcnt(2)
	v_fma_f64 v[122:123], -v[106:107], v[166:167], v[122:123]
	s_waitcnt vmcnt(9)
	v_fma_f64 v[86:87], -v[106:107], v[168:169], v[86:87]
	s_waitcnt vmcnt(8) lgkmcnt(1)
	v_fma_f64 v[120:121], -v[106:107], v[170:171], v[120:121]
	s_waitcnt vmcnt(7)
	v_fma_f64 v[84:85], -v[106:107], v[172:173], v[84:85]
	ds_read2_b64 v[166:169], v223 offset0:32 offset1:33
	ds_read2_b64 v[170:173], v223 offset0:34 offset1:35
	s_waitcnt vmcnt(6) lgkmcnt(2)
	v_fma_f64 v[118:119], -v[106:107], v[174:175], v[118:119]
	ds_read_b64 v[174:175], v223 offset:288
	s_waitcnt vmcnt(5)
	v_fma_f64 v[82:83], -v[106:107], v[176:177], v[82:83]
	s_waitcnt vmcnt(4) lgkmcnt(2)
	v_fma_f64 v[116:117], -v[106:107], v[166:167], v[116:117]
	s_waitcnt vmcnt(3)
	v_fma_f64 v[80:81], -v[106:107], v[168:169], v[80:81]
	s_waitcnt vmcnt(2) lgkmcnt(1)
	v_fma_f64 v[114:115], -v[106:107], v[170:171], v[114:115]
	;; [unrolled: 4-line block ×3, first 2 shown]
.LBB73_41:
	s_or_b64 exec, exec, s[2:3]
	v_cmp_eq_u32_e32 vcc, 8, v224
	s_waitcnt lgkmcnt(0)
	s_barrier
	s_and_saveexec_b64 s[2:3], vcc
	s_cbranch_execz .LBB73_44
; %bb.42:
	s_waitcnt vmcnt(28)
	ds_write_b64 v222, v[140:141]
	s_waitcnt vmcnt(26)
	ds_write2_b64 v223, v[104:105], v[138:139] offset0:9 offset1:10
	s_waitcnt vmcnt(24)
	ds_write2_b64 v223, v[102:103], v[136:137] offset0:11 offset1:12
	;; [unrolled: 2-line block ×14, first 2 shown]
	ds_read_b64 v[166:167], v222
	s_waitcnt lgkmcnt(0)
	v_cmp_neq_f64_e32 vcc, 0, v[166:167]
	s_and_b64 exec, exec, vcc
	s_cbranch_execz .LBB73_44
; %bb.43:
	v_div_scale_f64 v[168:169], s[6:7], v[166:167], v[166:167], 1.0
	v_rcp_f64_e32 v[170:171], v[168:169]
	v_div_scale_f64 v[172:173], vcc, 1.0, v[166:167], 1.0
	v_fma_f64 v[174:175], -v[168:169], v[170:171], 1.0
	v_fmac_f64_e32 v[170:171], v[170:171], v[174:175]
	v_fma_f64 v[174:175], -v[168:169], v[170:171], 1.0
	v_fmac_f64_e32 v[170:171], v[170:171], v[174:175]
	v_mul_f64 v[174:175], v[172:173], v[170:171]
	v_fma_f64 v[168:169], -v[168:169], v[174:175], v[172:173]
	v_div_fmas_f64 v[168:169], v[168:169], v[170:171], v[174:175]
	v_div_fixup_f64 v[166:167], v[168:169], v[166:167], 1.0
	ds_write_b64 v222, v[166:167]
.LBB73_44:
	s_or_b64 exec, exec, s[2:3]
	s_waitcnt lgkmcnt(0)
	s_barrier
	ds_read_b64 v[166:167], v222
	v_cmp_lt_u32_e32 vcc, 8, v224
	s_and_saveexec_b64 s[2:3], vcc
	s_cbranch_execz .LBB73_46
; %bb.45:
	ds_read2_b64 v[168:171], v223 offset0:9 offset1:10
	ds_read2_b64 v[172:175], v223 offset0:11 offset1:12
	s_waitcnt vmcnt(28) lgkmcnt(2)
	v_mul_f64 v[140:141], v[166:167], v[140:141]
	ds_read2_b64 v[176:179], v223 offset0:13 offset1:14
	s_waitcnt vmcnt(27) lgkmcnt(2)
	v_fma_f64 v[104:105], -v[140:141], v[168:169], v[104:105]
	s_waitcnt vmcnt(26)
	v_fma_f64 v[138:139], -v[140:141], v[170:171], v[138:139]
	ds_read2_b64 v[168:171], v223 offset0:15 offset1:16
	s_waitcnt vmcnt(25) lgkmcnt(2)
	v_fma_f64 v[102:103], -v[140:141], v[172:173], v[102:103]
	s_waitcnt vmcnt(24)
	v_fma_f64 v[136:137], -v[140:141], v[174:175], v[136:137]
	;; [unrolled: 5-line block ×4, first 2 shown]
	s_waitcnt vmcnt(19) lgkmcnt(1)
	v_fma_f64 v[96:97], -v[140:141], v[172:173], v[96:97]
	ds_read2_b64 v[168:171], v223 offset0:21 offset1:22
	s_waitcnt vmcnt(18)
	v_fma_f64 v[130:131], -v[140:141], v[174:175], v[130:131]
	ds_read2_b64 v[172:175], v223 offset0:23 offset1:24
	s_waitcnt vmcnt(17) lgkmcnt(2)
	v_fma_f64 v[94:95], -v[140:141], v[176:177], v[94:95]
	s_waitcnt vmcnt(16)
	v_fma_f64 v[128:129], -v[140:141], v[178:179], v[128:129]
	s_waitcnt vmcnt(15) lgkmcnt(1)
	v_fma_f64 v[92:93], -v[140:141], v[168:169], v[92:93]
	ds_read2_b64 v[176:179], v223 offset0:25 offset1:26
	s_waitcnt vmcnt(14)
	v_fma_f64 v[126:127], -v[140:141], v[170:171], v[126:127]
	ds_read2_b64 v[168:171], v223 offset0:27 offset1:28
	s_waitcnt vmcnt(13) lgkmcnt(2)
	v_fma_f64 v[90:91], -v[140:141], v[172:173], v[90:91]
	s_waitcnt vmcnt(12)
	v_fma_f64 v[124:125], -v[140:141], v[174:175], v[124:125]
	ds_read2_b64 v[172:175], v223 offset0:29 offset1:30
	s_waitcnt vmcnt(11) lgkmcnt(2)
	v_fma_f64 v[88:89], -v[140:141], v[176:177], v[88:89]
	s_waitcnt vmcnt(10)
	v_fma_f64 v[122:123], -v[140:141], v[178:179], v[122:123]
	s_waitcnt vmcnt(9) lgkmcnt(1)
	v_fma_f64 v[86:87], -v[140:141], v[168:169], v[86:87]
	s_waitcnt vmcnt(8)
	v_fma_f64 v[120:121], -v[140:141], v[170:171], v[120:121]
	ds_read2_b64 v[168:171], v223 offset0:31 offset1:32
	s_waitcnt vmcnt(7) lgkmcnt(1)
	v_fma_f64 v[84:85], -v[140:141], v[172:173], v[84:85]
	ds_read2_b64 v[176:179], v223 offset0:33 offset1:34
	s_waitcnt vmcnt(6)
	v_fma_f64 v[118:119], -v[140:141], v[174:175], v[118:119]
	ds_read2_b64 v[172:175], v223 offset0:35 offset1:36
	s_waitcnt vmcnt(5) lgkmcnt(2)
	v_fma_f64 v[82:83], -v[140:141], v[168:169], v[82:83]
	s_waitcnt vmcnt(4)
	v_fma_f64 v[116:117], -v[140:141], v[170:171], v[116:117]
	s_waitcnt vmcnt(3) lgkmcnt(1)
	v_fma_f64 v[80:81], -v[140:141], v[176:177], v[80:81]
	s_waitcnt vmcnt(2)
	v_fma_f64 v[114:115], -v[140:141], v[178:179], v[114:115]
	;; [unrolled: 4-line block ×3, first 2 shown]
.LBB73_46:
	s_or_b64 exec, exec, s[2:3]
	v_cmp_eq_u32_e32 vcc, 9, v224
	s_waitcnt lgkmcnt(0)
	s_barrier
	s_and_saveexec_b64 s[2:3], vcc
	s_cbranch_execz .LBB73_49
; %bb.47:
	s_waitcnt vmcnt(26)
	v_mov_b32_e32 v168, v138
	v_mov_b32_e32 v169, v139
	s_waitcnt vmcnt(25)
	v_mov_b32_e32 v170, v102
	v_mov_b32_e32 v171, v103
	ds_write_b64 v222, v[104:105]
	ds_write2_b64 v223, v[168:169], v[170:171] offset0:10 offset1:11
	s_waitcnt vmcnt(24)
	v_mov_b32_e32 v168, v136
	v_mov_b32_e32 v169, v137
	s_waitcnt vmcnt(23)
	v_mov_b32_e32 v170, v100
	v_mov_b32_e32 v171, v101
	ds_write2_b64 v223, v[168:169], v[170:171] offset0:12 offset1:13
	s_waitcnt vmcnt(22)
	v_mov_b32_e32 v168, v134
	v_mov_b32_e32 v169, v135
	s_waitcnt vmcnt(21)
	v_mov_b32_e32 v170, v98
	v_mov_b32_e32 v171, v99
	;; [unrolled: 7-line block ×12, first 2 shown]
	ds_write2_b64 v223, v[168:169], v[170:171] offset0:34 offset1:35
	s_waitcnt vmcnt(0)
	ds_write_b64 v223, v[148:149] offset:288
	ds_read_b64 v[168:169], v222
	s_waitcnt lgkmcnt(0)
	v_cmp_neq_f64_e32 vcc, 0, v[168:169]
	s_and_b64 exec, exec, vcc
	s_cbranch_execz .LBB73_49
; %bb.48:
	v_div_scale_f64 v[170:171], s[6:7], v[168:169], v[168:169], 1.0
	v_rcp_f64_e32 v[172:173], v[170:171]
	v_div_scale_f64 v[174:175], vcc, 1.0, v[168:169], 1.0
	v_fma_f64 v[176:177], -v[170:171], v[172:173], 1.0
	v_fmac_f64_e32 v[172:173], v[172:173], v[176:177]
	v_fma_f64 v[176:177], -v[170:171], v[172:173], 1.0
	v_fmac_f64_e32 v[172:173], v[172:173], v[176:177]
	v_mul_f64 v[176:177], v[174:175], v[172:173]
	v_fma_f64 v[170:171], -v[170:171], v[176:177], v[174:175]
	v_div_fmas_f64 v[170:171], v[170:171], v[172:173], v[176:177]
	v_div_fixup_f64 v[168:169], v[170:171], v[168:169], 1.0
	ds_write_b64 v222, v[168:169]
.LBB73_49:
	s_or_b64 exec, exec, s[2:3]
	s_waitcnt lgkmcnt(0)
	s_barrier
	ds_read_b64 v[168:169], v222
	v_cmp_lt_u32_e32 vcc, 9, v224
	s_and_saveexec_b64 s[2:3], vcc
	s_cbranch_execz .LBB73_51
; %bb.50:
	ds_read2_b64 v[170:173], v223 offset0:10 offset1:11
	ds_read2_b64 v[174:177], v223 offset0:12 offset1:13
	s_waitcnt vmcnt(27) lgkmcnt(2)
	v_mul_f64 v[104:105], v[168:169], v[104:105]
	ds_read2_b64 v[178:181], v223 offset0:14 offset1:15
	s_waitcnt vmcnt(26) lgkmcnt(2)
	v_fma_f64 v[138:139], -v[104:105], v[170:171], v[138:139]
	s_waitcnt vmcnt(25)
	v_fma_f64 v[102:103], -v[104:105], v[172:173], v[102:103]
	ds_read2_b64 v[170:173], v223 offset0:16 offset1:17
	s_waitcnt vmcnt(24) lgkmcnt(2)
	v_fma_f64 v[136:137], -v[104:105], v[174:175], v[136:137]
	s_waitcnt vmcnt(23)
	v_fma_f64 v[100:101], -v[104:105], v[176:177], v[100:101]
	;; [unrolled: 5-line block ×4, first 2 shown]
	s_waitcnt vmcnt(18) lgkmcnt(1)
	v_fma_f64 v[130:131], -v[104:105], v[174:175], v[130:131]
	ds_read2_b64 v[170:173], v223 offset0:22 offset1:23
	s_waitcnt vmcnt(17)
	v_fma_f64 v[94:95], -v[104:105], v[176:177], v[94:95]
	ds_read2_b64 v[174:177], v223 offset0:24 offset1:25
	s_waitcnt vmcnt(16) lgkmcnt(2)
	v_fma_f64 v[128:129], -v[104:105], v[178:179], v[128:129]
	s_waitcnt vmcnt(15)
	v_fma_f64 v[92:93], -v[104:105], v[180:181], v[92:93]
	s_waitcnt vmcnt(14) lgkmcnt(1)
	v_fma_f64 v[126:127], -v[104:105], v[170:171], v[126:127]
	ds_read2_b64 v[178:181], v223 offset0:26 offset1:27
	s_waitcnt vmcnt(13)
	v_fma_f64 v[90:91], -v[104:105], v[172:173], v[90:91]
	ds_read2_b64 v[170:173], v223 offset0:28 offset1:29
	s_waitcnt vmcnt(12) lgkmcnt(2)
	v_fma_f64 v[124:125], -v[104:105], v[174:175], v[124:125]
	s_waitcnt vmcnt(11)
	v_fma_f64 v[88:89], -v[104:105], v[176:177], v[88:89]
	ds_read2_b64 v[174:177], v223 offset0:30 offset1:31
	s_waitcnt vmcnt(10) lgkmcnt(2)
	v_fma_f64 v[122:123], -v[104:105], v[178:179], v[122:123]
	s_waitcnt vmcnt(9)
	v_fma_f64 v[86:87], -v[104:105], v[180:181], v[86:87]
	s_waitcnt vmcnt(8) lgkmcnt(1)
	v_fma_f64 v[120:121], -v[104:105], v[170:171], v[120:121]
	s_waitcnt vmcnt(7)
	v_fma_f64 v[84:85], -v[104:105], v[172:173], v[84:85]
	ds_read2_b64 v[170:173], v223 offset0:32 offset1:33
	s_waitcnt vmcnt(6) lgkmcnt(1)
	v_fma_f64 v[118:119], -v[104:105], v[174:175], v[118:119]
	ds_read2_b64 v[178:181], v223 offset0:34 offset1:35
	ds_read_b64 v[174:175], v223 offset:288
	s_waitcnt vmcnt(5)
	v_fma_f64 v[82:83], -v[104:105], v[176:177], v[82:83]
	s_waitcnt vmcnt(4) lgkmcnt(2)
	v_fma_f64 v[116:117], -v[104:105], v[170:171], v[116:117]
	s_waitcnt vmcnt(3)
	v_fma_f64 v[80:81], -v[104:105], v[172:173], v[80:81]
	s_waitcnt vmcnt(2) lgkmcnt(1)
	v_fma_f64 v[114:115], -v[104:105], v[178:179], v[114:115]
	;; [unrolled: 4-line block ×3, first 2 shown]
.LBB73_51:
	s_or_b64 exec, exec, s[2:3]
	v_cmp_eq_u32_e32 vcc, 10, v224
	s_waitcnt lgkmcnt(0)
	s_barrier
	s_and_saveexec_b64 s[2:3], vcc
	s_cbranch_execz .LBB73_54
; %bb.52:
	s_waitcnt vmcnt(26)
	ds_write_b64 v222, v[138:139]
	s_waitcnt vmcnt(24)
	ds_write2_b64 v223, v[102:103], v[136:137] offset0:11 offset1:12
	s_waitcnt vmcnt(22)
	ds_write2_b64 v223, v[100:101], v[134:135] offset0:13 offset1:14
	;; [unrolled: 2-line block ×13, first 2 shown]
	ds_read_b64 v[170:171], v222
	s_waitcnt lgkmcnt(0)
	v_cmp_neq_f64_e32 vcc, 0, v[170:171]
	s_and_b64 exec, exec, vcc
	s_cbranch_execz .LBB73_54
; %bb.53:
	v_div_scale_f64 v[172:173], s[6:7], v[170:171], v[170:171], 1.0
	v_rcp_f64_e32 v[174:175], v[172:173]
	v_div_scale_f64 v[176:177], vcc, 1.0, v[170:171], 1.0
	v_fma_f64 v[178:179], -v[172:173], v[174:175], 1.0
	v_fmac_f64_e32 v[174:175], v[174:175], v[178:179]
	v_fma_f64 v[178:179], -v[172:173], v[174:175], 1.0
	v_fmac_f64_e32 v[174:175], v[174:175], v[178:179]
	v_mul_f64 v[178:179], v[176:177], v[174:175]
	v_fma_f64 v[172:173], -v[172:173], v[178:179], v[176:177]
	v_div_fmas_f64 v[172:173], v[172:173], v[174:175], v[178:179]
	v_div_fixup_f64 v[170:171], v[172:173], v[170:171], 1.0
	ds_write_b64 v222, v[170:171]
.LBB73_54:
	s_or_b64 exec, exec, s[2:3]
	s_waitcnt lgkmcnt(0)
	s_barrier
	ds_read_b64 v[170:171], v222
	v_cmp_lt_u32_e32 vcc, 10, v224
	s_and_saveexec_b64 s[2:3], vcc
	s_cbranch_execz .LBB73_56
; %bb.55:
	ds_read2_b64 v[172:175], v223 offset0:11 offset1:12
	ds_read2_b64 v[176:179], v223 offset0:13 offset1:14
	s_waitcnt vmcnt(26) lgkmcnt(2)
	v_mul_f64 v[138:139], v[170:171], v[138:139]
	ds_read2_b64 v[180:183], v223 offset0:15 offset1:16
	s_waitcnt vmcnt(25) lgkmcnt(2)
	v_fma_f64 v[102:103], -v[138:139], v[172:173], v[102:103]
	s_waitcnt vmcnt(24)
	v_fma_f64 v[136:137], -v[138:139], v[174:175], v[136:137]
	ds_read2_b64 v[172:175], v223 offset0:17 offset1:18
	s_waitcnt vmcnt(23) lgkmcnt(2)
	v_fma_f64 v[100:101], -v[138:139], v[176:177], v[100:101]
	s_waitcnt vmcnt(22)
	v_fma_f64 v[134:135], -v[138:139], v[178:179], v[134:135]
	s_waitcnt vmcnt(21) lgkmcnt(1)
	v_fma_f64 v[98:99], -v[138:139], v[180:181], v[98:99]
	ds_read2_b64 v[176:179], v223 offset0:19 offset1:20
	s_waitcnt vmcnt(20)
	v_fma_f64 v[132:133], -v[138:139], v[182:183], v[132:133]
	ds_read2_b64 v[180:183], v223 offset0:21 offset1:22
	s_waitcnt vmcnt(19) lgkmcnt(2)
	v_fma_f64 v[96:97], -v[138:139], v[172:173], v[96:97]
	s_waitcnt vmcnt(18)
	v_fma_f64 v[130:131], -v[138:139], v[174:175], v[130:131]
	ds_read2_b64 v[172:175], v223 offset0:23 offset1:24
	s_waitcnt vmcnt(17) lgkmcnt(2)
	v_fma_f64 v[94:95], -v[138:139], v[176:177], v[94:95]
	;; [unrolled: 5-line block ×3, first 2 shown]
	s_waitcnt vmcnt(14)
	v_fma_f64 v[126:127], -v[138:139], v[182:183], v[126:127]
	s_waitcnt vmcnt(13) lgkmcnt(1)
	v_fma_f64 v[90:91], -v[138:139], v[172:173], v[90:91]
	ds_read2_b64 v[180:183], v223 offset0:27 offset1:28
	s_waitcnt vmcnt(12)
	v_fma_f64 v[124:125], -v[138:139], v[174:175], v[124:125]
	ds_read2_b64 v[172:175], v223 offset0:29 offset1:30
	s_waitcnt vmcnt(11) lgkmcnt(2)
	v_fma_f64 v[88:89], -v[138:139], v[176:177], v[88:89]
	s_waitcnt vmcnt(10)
	v_fma_f64 v[122:123], -v[138:139], v[178:179], v[122:123]
	s_waitcnt vmcnt(9) lgkmcnt(1)
	v_fma_f64 v[86:87], -v[138:139], v[180:181], v[86:87]
	s_waitcnt vmcnt(8)
	v_fma_f64 v[120:121], -v[138:139], v[182:183], v[120:121]
	ds_read2_b64 v[176:179], v223 offset0:31 offset1:32
	ds_read2_b64 v[180:183], v223 offset0:33 offset1:34
	s_waitcnt vmcnt(7) lgkmcnt(2)
	v_fma_f64 v[84:85], -v[138:139], v[172:173], v[84:85]
	s_waitcnt vmcnt(6)
	v_fma_f64 v[118:119], -v[138:139], v[174:175], v[118:119]
	ds_read2_b64 v[172:175], v223 offset0:35 offset1:36
	s_waitcnt vmcnt(5) lgkmcnt(2)
	v_fma_f64 v[82:83], -v[138:139], v[176:177], v[82:83]
	s_waitcnt vmcnt(4)
	v_fma_f64 v[116:117], -v[138:139], v[178:179], v[116:117]
	s_waitcnt vmcnt(3) lgkmcnt(1)
	v_fma_f64 v[80:81], -v[138:139], v[180:181], v[80:81]
	s_waitcnt vmcnt(2)
	v_fma_f64 v[114:115], -v[138:139], v[182:183], v[114:115]
	;; [unrolled: 4-line block ×3, first 2 shown]
.LBB73_56:
	s_or_b64 exec, exec, s[2:3]
	v_cmp_eq_u32_e32 vcc, 11, v224
	s_waitcnt lgkmcnt(0)
	s_barrier
	s_and_saveexec_b64 s[2:3], vcc
	s_cbranch_execz .LBB73_59
; %bb.57:
	s_waitcnt vmcnt(24)
	v_mov_b32_e32 v172, v136
	v_mov_b32_e32 v173, v137
	s_waitcnt vmcnt(23)
	v_mov_b32_e32 v174, v100
	v_mov_b32_e32 v175, v101
	ds_write_b64 v222, v[102:103]
	ds_write2_b64 v223, v[172:173], v[174:175] offset0:12 offset1:13
	s_waitcnt vmcnt(22)
	v_mov_b32_e32 v172, v134
	v_mov_b32_e32 v173, v135
	s_waitcnt vmcnt(21)
	v_mov_b32_e32 v174, v98
	v_mov_b32_e32 v175, v99
	ds_write2_b64 v223, v[172:173], v[174:175] offset0:14 offset1:15
	s_waitcnt vmcnt(20)
	v_mov_b32_e32 v172, v132
	v_mov_b32_e32 v173, v133
	s_waitcnt vmcnt(19)
	v_mov_b32_e32 v174, v96
	v_mov_b32_e32 v175, v97
	;; [unrolled: 7-line block ×11, first 2 shown]
	ds_write2_b64 v223, v[172:173], v[174:175] offset0:34 offset1:35
	s_waitcnt vmcnt(0)
	ds_write_b64 v223, v[148:149] offset:288
	ds_read_b64 v[172:173], v222
	s_waitcnt lgkmcnt(0)
	v_cmp_neq_f64_e32 vcc, 0, v[172:173]
	s_and_b64 exec, exec, vcc
	s_cbranch_execz .LBB73_59
; %bb.58:
	v_div_scale_f64 v[174:175], s[6:7], v[172:173], v[172:173], 1.0
	v_rcp_f64_e32 v[176:177], v[174:175]
	v_div_scale_f64 v[178:179], vcc, 1.0, v[172:173], 1.0
	v_fma_f64 v[180:181], -v[174:175], v[176:177], 1.0
	v_fmac_f64_e32 v[176:177], v[176:177], v[180:181]
	v_fma_f64 v[180:181], -v[174:175], v[176:177], 1.0
	v_fmac_f64_e32 v[176:177], v[176:177], v[180:181]
	v_mul_f64 v[180:181], v[178:179], v[176:177]
	v_fma_f64 v[174:175], -v[174:175], v[180:181], v[178:179]
	v_div_fmas_f64 v[174:175], v[174:175], v[176:177], v[180:181]
	v_div_fixup_f64 v[172:173], v[174:175], v[172:173], 1.0
	ds_write_b64 v222, v[172:173]
.LBB73_59:
	s_or_b64 exec, exec, s[2:3]
	s_waitcnt lgkmcnt(0)
	s_barrier
	ds_read_b64 v[172:173], v222
	v_cmp_lt_u32_e32 vcc, 11, v224
	s_and_saveexec_b64 s[2:3], vcc
	s_cbranch_execz .LBB73_61
; %bb.60:
	ds_read2_b64 v[174:177], v223 offset0:12 offset1:13
	ds_read2_b64 v[178:181], v223 offset0:14 offset1:15
	s_waitcnt vmcnt(25) lgkmcnt(2)
	v_mul_f64 v[102:103], v[172:173], v[102:103]
	ds_read2_b64 v[182:185], v223 offset0:16 offset1:17
	s_waitcnt vmcnt(24) lgkmcnt(2)
	v_fma_f64 v[136:137], -v[102:103], v[174:175], v[136:137]
	s_waitcnt vmcnt(23)
	v_fma_f64 v[100:101], -v[102:103], v[176:177], v[100:101]
	ds_read2_b64 v[174:177], v223 offset0:18 offset1:19
	s_waitcnt vmcnt(22) lgkmcnt(2)
	v_fma_f64 v[134:135], -v[102:103], v[178:179], v[134:135]
	s_waitcnt vmcnt(21)
	v_fma_f64 v[98:99], -v[102:103], v[180:181], v[98:99]
	s_waitcnt vmcnt(20) lgkmcnt(1)
	v_fma_f64 v[132:133], -v[102:103], v[182:183], v[132:133]
	ds_read2_b64 v[178:181], v223 offset0:20 offset1:21
	s_waitcnt vmcnt(19)
	v_fma_f64 v[96:97], -v[102:103], v[184:185], v[96:97]
	ds_read2_b64 v[182:185], v223 offset0:22 offset1:23
	s_waitcnt vmcnt(18) lgkmcnt(2)
	v_fma_f64 v[130:131], -v[102:103], v[174:175], v[130:131]
	s_waitcnt vmcnt(17)
	v_fma_f64 v[94:95], -v[102:103], v[176:177], v[94:95]
	ds_read2_b64 v[174:177], v223 offset0:24 offset1:25
	s_waitcnt vmcnt(16) lgkmcnt(2)
	v_fma_f64 v[128:129], -v[102:103], v[178:179], v[128:129]
	;; [unrolled: 5-line block ×3, first 2 shown]
	s_waitcnt vmcnt(13)
	v_fma_f64 v[90:91], -v[102:103], v[184:185], v[90:91]
	s_waitcnt vmcnt(12) lgkmcnt(1)
	v_fma_f64 v[124:125], -v[102:103], v[174:175], v[124:125]
	ds_read2_b64 v[182:185], v223 offset0:28 offset1:29
	s_waitcnt vmcnt(11)
	v_fma_f64 v[88:89], -v[102:103], v[176:177], v[88:89]
	ds_read2_b64 v[174:177], v223 offset0:30 offset1:31
	s_waitcnt vmcnt(10) lgkmcnt(2)
	v_fma_f64 v[122:123], -v[102:103], v[178:179], v[122:123]
	s_waitcnt vmcnt(9)
	v_fma_f64 v[86:87], -v[102:103], v[180:181], v[86:87]
	s_waitcnt vmcnt(8) lgkmcnt(1)
	v_fma_f64 v[120:121], -v[102:103], v[182:183], v[120:121]
	s_waitcnt vmcnt(7)
	v_fma_f64 v[84:85], -v[102:103], v[184:185], v[84:85]
	ds_read2_b64 v[178:181], v223 offset0:32 offset1:33
	ds_read2_b64 v[182:185], v223 offset0:34 offset1:35
	s_waitcnt vmcnt(6) lgkmcnt(2)
	v_fma_f64 v[118:119], -v[102:103], v[174:175], v[118:119]
	ds_read_b64 v[174:175], v223 offset:288
	s_waitcnt vmcnt(5)
	v_fma_f64 v[82:83], -v[102:103], v[176:177], v[82:83]
	s_waitcnt vmcnt(4) lgkmcnt(2)
	v_fma_f64 v[116:117], -v[102:103], v[178:179], v[116:117]
	s_waitcnt vmcnt(3)
	v_fma_f64 v[80:81], -v[102:103], v[180:181], v[80:81]
	s_waitcnt vmcnt(2) lgkmcnt(1)
	v_fma_f64 v[114:115], -v[102:103], v[182:183], v[114:115]
	;; [unrolled: 4-line block ×3, first 2 shown]
.LBB73_61:
	s_or_b64 exec, exec, s[2:3]
	v_cmp_eq_u32_e32 vcc, 12, v224
	s_waitcnt lgkmcnt(0)
	s_barrier
	s_and_saveexec_b64 s[2:3], vcc
	s_cbranch_execz .LBB73_64
; %bb.62:
	s_waitcnt vmcnt(24)
	ds_write_b64 v222, v[136:137]
	s_waitcnt vmcnt(22)
	ds_write2_b64 v223, v[100:101], v[134:135] offset0:13 offset1:14
	s_waitcnt vmcnt(20)
	ds_write2_b64 v223, v[98:99], v[132:133] offset0:15 offset1:16
	;; [unrolled: 2-line block ×12, first 2 shown]
	ds_read_b64 v[174:175], v222
	s_waitcnt lgkmcnt(0)
	v_cmp_neq_f64_e32 vcc, 0, v[174:175]
	s_and_b64 exec, exec, vcc
	s_cbranch_execz .LBB73_64
; %bb.63:
	v_div_scale_f64 v[176:177], s[6:7], v[174:175], v[174:175], 1.0
	v_rcp_f64_e32 v[178:179], v[176:177]
	v_div_scale_f64 v[180:181], vcc, 1.0, v[174:175], 1.0
	v_fma_f64 v[182:183], -v[176:177], v[178:179], 1.0
	v_fmac_f64_e32 v[178:179], v[178:179], v[182:183]
	v_fma_f64 v[182:183], -v[176:177], v[178:179], 1.0
	v_fmac_f64_e32 v[178:179], v[178:179], v[182:183]
	v_mul_f64 v[182:183], v[180:181], v[178:179]
	v_fma_f64 v[176:177], -v[176:177], v[182:183], v[180:181]
	v_div_fmas_f64 v[176:177], v[176:177], v[178:179], v[182:183]
	v_div_fixup_f64 v[174:175], v[176:177], v[174:175], 1.0
	ds_write_b64 v222, v[174:175]
.LBB73_64:
	s_or_b64 exec, exec, s[2:3]
	s_waitcnt lgkmcnt(0)
	s_barrier
	ds_read_b64 v[174:175], v222
	v_cmp_lt_u32_e32 vcc, 12, v224
	s_and_saveexec_b64 s[2:3], vcc
	s_cbranch_execz .LBB73_66
; %bb.65:
	ds_read2_b64 v[176:179], v223 offset0:13 offset1:14
	ds_read2_b64 v[180:183], v223 offset0:15 offset1:16
	;; [unrolled: 1-line block ×3, first 2 shown]
	s_waitcnt vmcnt(24) lgkmcnt(3)
	v_mul_f64 v[136:137], v[174:175], v[136:137]
	s_waitcnt vmcnt(23) lgkmcnt(2)
	v_fma_f64 v[100:101], -v[136:137], v[176:177], v[100:101]
	s_waitcnt vmcnt(22)
	v_fma_f64 v[134:135], -v[136:137], v[178:179], v[134:135]
	ds_read2_b64 v[176:179], v223 offset0:19 offset1:20
	s_waitcnt vmcnt(21) lgkmcnt(2)
	v_fma_f64 v[98:99], -v[136:137], v[180:181], v[98:99]
	s_waitcnt vmcnt(20)
	v_fma_f64 v[132:133], -v[136:137], v[182:183], v[132:133]
	s_waitcnt vmcnt(19) lgkmcnt(1)
	v_fma_f64 v[96:97], -v[136:137], v[184:185], v[96:97]
	ds_read2_b64 v[180:183], v223 offset0:21 offset1:22
	s_waitcnt vmcnt(18)
	v_fma_f64 v[130:131], -v[136:137], v[186:187], v[130:131]
	ds_read2_b64 v[184:187], v223 offset0:23 offset1:24
	s_waitcnt vmcnt(17) lgkmcnt(2)
	v_fma_f64 v[94:95], -v[136:137], v[176:177], v[94:95]
	s_waitcnt vmcnt(16)
	v_fma_f64 v[128:129], -v[136:137], v[178:179], v[128:129]
	s_waitcnt vmcnt(15) lgkmcnt(1)
	v_fma_f64 v[92:93], -v[136:137], v[180:181], v[92:93]
	ds_read2_b64 v[176:179], v223 offset0:25 offset1:26
	s_waitcnt vmcnt(14)
	v_fma_f64 v[126:127], -v[136:137], v[182:183], v[126:127]
	ds_read2_b64 v[180:183], v223 offset0:27 offset1:28
	s_waitcnt vmcnt(13) lgkmcnt(2)
	v_fma_f64 v[90:91], -v[136:137], v[184:185], v[90:91]
	s_waitcnt vmcnt(12)
	v_fma_f64 v[124:125], -v[136:137], v[186:187], v[124:125]
	ds_read2_b64 v[184:187], v223 offset0:29 offset1:30
	s_waitcnt vmcnt(11) lgkmcnt(2)
	v_fma_f64 v[88:89], -v[136:137], v[176:177], v[88:89]
	;; [unrolled: 5-line block ×3, first 2 shown]
	s_waitcnt vmcnt(8)
	v_fma_f64 v[120:121], -v[136:137], v[182:183], v[120:121]
	s_waitcnt vmcnt(7) lgkmcnt(1)
	v_fma_f64 v[84:85], -v[136:137], v[184:185], v[84:85]
	ds_read2_b64 v[180:183], v223 offset0:33 offset1:34
	s_waitcnt vmcnt(6)
	v_fma_f64 v[118:119], -v[136:137], v[186:187], v[118:119]
	ds_read2_b64 v[184:187], v223 offset0:35 offset1:36
	s_waitcnt vmcnt(5) lgkmcnt(2)
	v_fma_f64 v[82:83], -v[136:137], v[176:177], v[82:83]
	s_waitcnt vmcnt(4)
	v_fma_f64 v[116:117], -v[136:137], v[178:179], v[116:117]
	s_waitcnt vmcnt(3) lgkmcnt(1)
	v_fma_f64 v[80:81], -v[136:137], v[180:181], v[80:81]
	s_waitcnt vmcnt(2)
	v_fma_f64 v[114:115], -v[136:137], v[182:183], v[114:115]
	s_waitcnt vmcnt(1) lgkmcnt(0)
	v_fma_f64 v[78:79], -v[136:137], v[184:185], v[78:79]
	s_waitcnt vmcnt(0)
	v_fma_f64 v[148:149], -v[136:137], v[186:187], v[148:149]
.LBB73_66:
	s_or_b64 exec, exec, s[2:3]
	v_cmp_eq_u32_e32 vcc, 13, v224
	s_waitcnt lgkmcnt(0)
	s_barrier
	s_and_saveexec_b64 s[2:3], vcc
	s_cbranch_execz .LBB73_69
; %bb.67:
	s_waitcnt vmcnt(22)
	v_mov_b32_e32 v176, v134
	v_mov_b32_e32 v177, v135
	s_waitcnt vmcnt(21)
	v_mov_b32_e32 v178, v98
	v_mov_b32_e32 v179, v99
	ds_write_b64 v222, v[100:101]
	ds_write2_b64 v223, v[176:177], v[178:179] offset0:14 offset1:15
	s_waitcnt vmcnt(20)
	v_mov_b32_e32 v176, v132
	v_mov_b32_e32 v177, v133
	s_waitcnt vmcnt(19)
	v_mov_b32_e32 v178, v96
	v_mov_b32_e32 v179, v97
	ds_write2_b64 v223, v[176:177], v[178:179] offset0:16 offset1:17
	s_waitcnt vmcnt(18)
	v_mov_b32_e32 v176, v130
	v_mov_b32_e32 v177, v131
	s_waitcnt vmcnt(17)
	v_mov_b32_e32 v178, v94
	v_mov_b32_e32 v179, v95
	;; [unrolled: 7-line block ×10, first 2 shown]
	ds_write2_b64 v223, v[176:177], v[178:179] offset0:34 offset1:35
	s_waitcnt vmcnt(0)
	ds_write_b64 v223, v[148:149] offset:288
	ds_read_b64 v[176:177], v222
	s_waitcnt lgkmcnt(0)
	v_cmp_neq_f64_e32 vcc, 0, v[176:177]
	s_and_b64 exec, exec, vcc
	s_cbranch_execz .LBB73_69
; %bb.68:
	v_div_scale_f64 v[178:179], s[6:7], v[176:177], v[176:177], 1.0
	v_rcp_f64_e32 v[180:181], v[178:179]
	v_div_scale_f64 v[182:183], vcc, 1.0, v[176:177], 1.0
	v_fma_f64 v[184:185], -v[178:179], v[180:181], 1.0
	v_fmac_f64_e32 v[180:181], v[180:181], v[184:185]
	v_fma_f64 v[184:185], -v[178:179], v[180:181], 1.0
	v_fmac_f64_e32 v[180:181], v[180:181], v[184:185]
	v_mul_f64 v[184:185], v[182:183], v[180:181]
	v_fma_f64 v[178:179], -v[178:179], v[184:185], v[182:183]
	v_div_fmas_f64 v[178:179], v[178:179], v[180:181], v[184:185]
	v_div_fixup_f64 v[176:177], v[178:179], v[176:177], 1.0
	ds_write_b64 v222, v[176:177]
.LBB73_69:
	s_or_b64 exec, exec, s[2:3]
	s_waitcnt lgkmcnt(0)
	s_barrier
	ds_read_b64 v[176:177], v222
	v_cmp_lt_u32_e32 vcc, 13, v224
	s_and_saveexec_b64 s[2:3], vcc
	s_cbranch_execz .LBB73_71
; %bb.70:
	ds_read2_b64 v[178:181], v223 offset0:14 offset1:15
	ds_read2_b64 v[182:185], v223 offset0:16 offset1:17
	;; [unrolled: 1-line block ×3, first 2 shown]
	s_waitcnt vmcnt(23) lgkmcnt(3)
	v_mul_f64 v[100:101], v[176:177], v[100:101]
	s_waitcnt vmcnt(22) lgkmcnt(2)
	v_fma_f64 v[134:135], -v[100:101], v[178:179], v[134:135]
	s_waitcnt vmcnt(21)
	v_fma_f64 v[98:99], -v[100:101], v[180:181], v[98:99]
	ds_read2_b64 v[178:181], v223 offset0:20 offset1:21
	s_waitcnt vmcnt(20) lgkmcnt(2)
	v_fma_f64 v[132:133], -v[100:101], v[182:183], v[132:133]
	s_waitcnt vmcnt(19)
	v_fma_f64 v[96:97], -v[100:101], v[184:185], v[96:97]
	s_waitcnt vmcnt(18) lgkmcnt(1)
	v_fma_f64 v[130:131], -v[100:101], v[186:187], v[130:131]
	ds_read2_b64 v[182:185], v223 offset0:22 offset1:23
	s_waitcnt vmcnt(17)
	v_fma_f64 v[94:95], -v[100:101], v[188:189], v[94:95]
	ds_read2_b64 v[186:189], v223 offset0:24 offset1:25
	s_waitcnt vmcnt(16) lgkmcnt(2)
	v_fma_f64 v[128:129], -v[100:101], v[178:179], v[128:129]
	s_waitcnt vmcnt(15)
	v_fma_f64 v[92:93], -v[100:101], v[180:181], v[92:93]
	s_waitcnt vmcnt(14) lgkmcnt(1)
	v_fma_f64 v[126:127], -v[100:101], v[182:183], v[126:127]
	ds_read2_b64 v[178:181], v223 offset0:26 offset1:27
	s_waitcnt vmcnt(13)
	v_fma_f64 v[90:91], -v[100:101], v[184:185], v[90:91]
	ds_read2_b64 v[182:185], v223 offset0:28 offset1:29
	s_waitcnt vmcnt(12) lgkmcnt(2)
	v_fma_f64 v[124:125], -v[100:101], v[186:187], v[124:125]
	s_waitcnt vmcnt(11)
	v_fma_f64 v[88:89], -v[100:101], v[188:189], v[88:89]
	ds_read2_b64 v[186:189], v223 offset0:30 offset1:31
	s_waitcnt vmcnt(10) lgkmcnt(2)
	v_fma_f64 v[122:123], -v[100:101], v[178:179], v[122:123]
	;; [unrolled: 5-line block ×3, first 2 shown]
	s_waitcnt vmcnt(7)
	v_fma_f64 v[84:85], -v[100:101], v[184:185], v[84:85]
	s_waitcnt vmcnt(6) lgkmcnt(1)
	v_fma_f64 v[118:119], -v[100:101], v[186:187], v[118:119]
	ds_read2_b64 v[182:185], v223 offset0:34 offset1:35
	ds_read_b64 v[186:187], v223 offset:288
	s_waitcnt vmcnt(5)
	v_fma_f64 v[82:83], -v[100:101], v[188:189], v[82:83]
	s_waitcnt vmcnt(4) lgkmcnt(2)
	v_fma_f64 v[116:117], -v[100:101], v[178:179], v[116:117]
	s_waitcnt vmcnt(3)
	v_fma_f64 v[80:81], -v[100:101], v[180:181], v[80:81]
	s_waitcnt vmcnt(2) lgkmcnt(1)
	v_fma_f64 v[114:115], -v[100:101], v[182:183], v[114:115]
	;; [unrolled: 4-line block ×3, first 2 shown]
.LBB73_71:
	s_or_b64 exec, exec, s[2:3]
	v_cmp_eq_u32_e32 vcc, 14, v224
	s_waitcnt lgkmcnt(0)
	s_barrier
	s_and_saveexec_b64 s[2:3], vcc
	s_cbranch_execz .LBB73_74
; %bb.72:
	s_waitcnt vmcnt(22)
	ds_write_b64 v222, v[134:135]
	s_waitcnt vmcnt(20)
	ds_write2_b64 v223, v[98:99], v[132:133] offset0:15 offset1:16
	s_waitcnt vmcnt(18)
	ds_write2_b64 v223, v[96:97], v[130:131] offset0:17 offset1:18
	;; [unrolled: 2-line block ×11, first 2 shown]
	ds_read_b64 v[178:179], v222
	s_waitcnt lgkmcnt(0)
	v_cmp_neq_f64_e32 vcc, 0, v[178:179]
	s_and_b64 exec, exec, vcc
	s_cbranch_execz .LBB73_74
; %bb.73:
	v_div_scale_f64 v[180:181], s[6:7], v[178:179], v[178:179], 1.0
	v_rcp_f64_e32 v[182:183], v[180:181]
	v_div_scale_f64 v[184:185], vcc, 1.0, v[178:179], 1.0
	v_fma_f64 v[186:187], -v[180:181], v[182:183], 1.0
	v_fmac_f64_e32 v[182:183], v[182:183], v[186:187]
	v_fma_f64 v[186:187], -v[180:181], v[182:183], 1.0
	v_fmac_f64_e32 v[182:183], v[182:183], v[186:187]
	v_mul_f64 v[186:187], v[184:185], v[182:183]
	v_fma_f64 v[180:181], -v[180:181], v[186:187], v[184:185]
	v_div_fmas_f64 v[180:181], v[180:181], v[182:183], v[186:187]
	v_div_fixup_f64 v[178:179], v[180:181], v[178:179], 1.0
	ds_write_b64 v222, v[178:179]
.LBB73_74:
	s_or_b64 exec, exec, s[2:3]
	s_waitcnt lgkmcnt(0)
	s_barrier
	ds_read_b64 v[178:179], v222
	v_cmp_lt_u32_e32 vcc, 14, v224
	s_and_saveexec_b64 s[2:3], vcc
	s_cbranch_execz .LBB73_76
; %bb.75:
	ds_read2_b64 v[180:183], v223 offset0:15 offset1:16
	ds_read2_b64 v[184:187], v223 offset0:17 offset1:18
	s_waitcnt vmcnt(22) lgkmcnt(2)
	v_mul_f64 v[134:135], v[178:179], v[134:135]
	ds_read2_b64 v[188:191], v223 offset0:19 offset1:20
	s_waitcnt vmcnt(21) lgkmcnt(2)
	v_fma_f64 v[98:99], -v[134:135], v[180:181], v[98:99]
	s_waitcnt vmcnt(20)
	v_fma_f64 v[132:133], -v[134:135], v[182:183], v[132:133]
	ds_read2_b64 v[180:183], v223 offset0:21 offset1:22
	s_waitcnt vmcnt(19) lgkmcnt(2)
	v_fma_f64 v[96:97], -v[134:135], v[184:185], v[96:97]
	s_waitcnt vmcnt(18)
	v_fma_f64 v[130:131], -v[134:135], v[186:187], v[130:131]
	;; [unrolled: 5-line block ×4, first 2 shown]
	s_waitcnt vmcnt(13) lgkmcnt(1)
	v_fma_f64 v[90:91], -v[134:135], v[184:185], v[90:91]
	ds_read2_b64 v[180:183], v223 offset0:27 offset1:28
	s_waitcnt vmcnt(12)
	v_fma_f64 v[124:125], -v[134:135], v[186:187], v[124:125]
	ds_read2_b64 v[184:187], v223 offset0:29 offset1:30
	s_waitcnt vmcnt(11) lgkmcnt(2)
	v_fma_f64 v[88:89], -v[134:135], v[188:189], v[88:89]
	s_waitcnt vmcnt(10)
	v_fma_f64 v[122:123], -v[134:135], v[190:191], v[122:123]
	s_waitcnt vmcnt(9) lgkmcnt(1)
	v_fma_f64 v[86:87], -v[134:135], v[180:181], v[86:87]
	s_waitcnt vmcnt(8)
	v_fma_f64 v[120:121], -v[134:135], v[182:183], v[120:121]
	ds_read2_b64 v[180:183], v223 offset0:31 offset1:32
	ds_read2_b64 v[188:191], v223 offset0:33 offset1:34
	s_waitcnt vmcnt(7) lgkmcnt(2)
	v_fma_f64 v[84:85], -v[134:135], v[184:185], v[84:85]
	s_waitcnt vmcnt(6)
	v_fma_f64 v[118:119], -v[134:135], v[186:187], v[118:119]
	ds_read2_b64 v[184:187], v223 offset0:35 offset1:36
	s_waitcnt vmcnt(5) lgkmcnt(2)
	v_fma_f64 v[82:83], -v[134:135], v[180:181], v[82:83]
	s_waitcnt vmcnt(4)
	v_fma_f64 v[116:117], -v[134:135], v[182:183], v[116:117]
	s_waitcnt vmcnt(3) lgkmcnt(1)
	v_fma_f64 v[80:81], -v[134:135], v[188:189], v[80:81]
	s_waitcnt vmcnt(2)
	v_fma_f64 v[114:115], -v[134:135], v[190:191], v[114:115]
	s_waitcnt vmcnt(1) lgkmcnt(0)
	v_fma_f64 v[78:79], -v[134:135], v[184:185], v[78:79]
	s_waitcnt vmcnt(0)
	v_fma_f64 v[148:149], -v[134:135], v[186:187], v[148:149]
.LBB73_76:
	s_or_b64 exec, exec, s[2:3]
	v_cmp_eq_u32_e32 vcc, 15, v224
	s_waitcnt lgkmcnt(0)
	s_barrier
	s_and_saveexec_b64 s[2:3], vcc
	s_cbranch_execz .LBB73_79
; %bb.77:
	s_waitcnt vmcnt(20)
	v_mov_b32_e32 v180, v132
	v_mov_b32_e32 v181, v133
	s_waitcnt vmcnt(19)
	v_mov_b32_e32 v182, v96
	v_mov_b32_e32 v183, v97
	ds_write_b64 v222, v[98:99]
	ds_write2_b64 v223, v[180:181], v[182:183] offset0:16 offset1:17
	s_waitcnt vmcnt(18)
	v_mov_b32_e32 v180, v130
	v_mov_b32_e32 v181, v131
	s_waitcnt vmcnt(17)
	v_mov_b32_e32 v182, v94
	v_mov_b32_e32 v183, v95
	ds_write2_b64 v223, v[180:181], v[182:183] offset0:18 offset1:19
	s_waitcnt vmcnt(16)
	v_mov_b32_e32 v180, v128
	v_mov_b32_e32 v181, v129
	s_waitcnt vmcnt(15)
	v_mov_b32_e32 v182, v92
	v_mov_b32_e32 v183, v93
	;; [unrolled: 7-line block ×9, first 2 shown]
	ds_write2_b64 v223, v[180:181], v[182:183] offset0:34 offset1:35
	s_waitcnt vmcnt(0)
	ds_write_b64 v223, v[148:149] offset:288
	ds_read_b64 v[180:181], v222
	s_waitcnt lgkmcnt(0)
	v_cmp_neq_f64_e32 vcc, 0, v[180:181]
	s_and_b64 exec, exec, vcc
	s_cbranch_execz .LBB73_79
; %bb.78:
	v_div_scale_f64 v[182:183], s[6:7], v[180:181], v[180:181], 1.0
	v_rcp_f64_e32 v[184:185], v[182:183]
	v_div_scale_f64 v[186:187], vcc, 1.0, v[180:181], 1.0
	v_fma_f64 v[188:189], -v[182:183], v[184:185], 1.0
	v_fmac_f64_e32 v[184:185], v[184:185], v[188:189]
	v_fma_f64 v[188:189], -v[182:183], v[184:185], 1.0
	v_fmac_f64_e32 v[184:185], v[184:185], v[188:189]
	v_mul_f64 v[188:189], v[186:187], v[184:185]
	v_fma_f64 v[182:183], -v[182:183], v[188:189], v[186:187]
	v_div_fmas_f64 v[182:183], v[182:183], v[184:185], v[188:189]
	v_div_fixup_f64 v[180:181], v[182:183], v[180:181], 1.0
	ds_write_b64 v222, v[180:181]
.LBB73_79:
	s_or_b64 exec, exec, s[2:3]
	s_waitcnt lgkmcnt(0)
	s_barrier
	ds_read_b64 v[180:181], v222
	v_cmp_lt_u32_e32 vcc, 15, v224
	s_and_saveexec_b64 s[2:3], vcc
	s_cbranch_execz .LBB73_81
; %bb.80:
	ds_read2_b64 v[182:185], v223 offset0:16 offset1:17
	ds_read2_b64 v[186:189], v223 offset0:18 offset1:19
	s_waitcnt vmcnt(21) lgkmcnt(2)
	v_mul_f64 v[98:99], v[180:181], v[98:99]
	ds_read2_b64 v[190:193], v223 offset0:20 offset1:21
	s_waitcnt vmcnt(20) lgkmcnt(2)
	v_fma_f64 v[132:133], -v[98:99], v[182:183], v[132:133]
	s_waitcnt vmcnt(19)
	v_fma_f64 v[96:97], -v[98:99], v[184:185], v[96:97]
	ds_read2_b64 v[182:185], v223 offset0:22 offset1:23
	s_waitcnt vmcnt(18) lgkmcnt(2)
	v_fma_f64 v[130:131], -v[98:99], v[186:187], v[130:131]
	s_waitcnt vmcnt(17)
	v_fma_f64 v[94:95], -v[98:99], v[188:189], v[94:95]
	;; [unrolled: 5-line block ×4, first 2 shown]
	s_waitcnt vmcnt(12) lgkmcnt(1)
	v_fma_f64 v[124:125], -v[98:99], v[186:187], v[124:125]
	ds_read2_b64 v[182:185], v223 offset0:28 offset1:29
	s_waitcnt vmcnt(11)
	v_fma_f64 v[88:89], -v[98:99], v[188:189], v[88:89]
	ds_read2_b64 v[186:189], v223 offset0:30 offset1:31
	s_waitcnt vmcnt(10) lgkmcnt(2)
	v_fma_f64 v[122:123], -v[98:99], v[190:191], v[122:123]
	s_waitcnt vmcnt(9)
	v_fma_f64 v[86:87], -v[98:99], v[192:193], v[86:87]
	s_waitcnt vmcnt(8) lgkmcnt(1)
	v_fma_f64 v[120:121], -v[98:99], v[182:183], v[120:121]
	s_waitcnt vmcnt(7)
	v_fma_f64 v[84:85], -v[98:99], v[184:185], v[84:85]
	ds_read2_b64 v[182:185], v223 offset0:32 offset1:33
	ds_read2_b64 v[190:193], v223 offset0:34 offset1:35
	s_waitcnt vmcnt(6) lgkmcnt(2)
	v_fma_f64 v[118:119], -v[98:99], v[186:187], v[118:119]
	ds_read_b64 v[186:187], v223 offset:288
	s_waitcnt vmcnt(5)
	v_fma_f64 v[82:83], -v[98:99], v[188:189], v[82:83]
	s_waitcnt vmcnt(4) lgkmcnt(2)
	v_fma_f64 v[116:117], -v[98:99], v[182:183], v[116:117]
	s_waitcnt vmcnt(3)
	v_fma_f64 v[80:81], -v[98:99], v[184:185], v[80:81]
	s_waitcnt vmcnt(2) lgkmcnt(1)
	v_fma_f64 v[114:115], -v[98:99], v[190:191], v[114:115]
	;; [unrolled: 4-line block ×3, first 2 shown]
.LBB73_81:
	s_or_b64 exec, exec, s[2:3]
	v_cmp_eq_u32_e32 vcc, 16, v224
	s_waitcnt lgkmcnt(0)
	s_barrier
	s_and_saveexec_b64 s[2:3], vcc
	s_cbranch_execz .LBB73_84
; %bb.82:
	s_waitcnt vmcnt(20)
	ds_write_b64 v222, v[132:133]
	s_waitcnt vmcnt(18)
	ds_write2_b64 v223, v[96:97], v[130:131] offset0:17 offset1:18
	s_waitcnt vmcnt(16)
	ds_write2_b64 v223, v[94:95], v[128:129] offset0:19 offset1:20
	;; [unrolled: 2-line block ×10, first 2 shown]
	ds_read_b64 v[182:183], v222
	s_waitcnt lgkmcnt(0)
	v_cmp_neq_f64_e32 vcc, 0, v[182:183]
	s_and_b64 exec, exec, vcc
	s_cbranch_execz .LBB73_84
; %bb.83:
	v_div_scale_f64 v[184:185], s[6:7], v[182:183], v[182:183], 1.0
	v_rcp_f64_e32 v[186:187], v[184:185]
	v_div_scale_f64 v[188:189], vcc, 1.0, v[182:183], 1.0
	v_fma_f64 v[190:191], -v[184:185], v[186:187], 1.0
	v_fmac_f64_e32 v[186:187], v[186:187], v[190:191]
	v_fma_f64 v[190:191], -v[184:185], v[186:187], 1.0
	v_fmac_f64_e32 v[186:187], v[186:187], v[190:191]
	v_mul_f64 v[190:191], v[188:189], v[186:187]
	v_fma_f64 v[184:185], -v[184:185], v[190:191], v[188:189]
	v_div_fmas_f64 v[184:185], v[184:185], v[186:187], v[190:191]
	v_div_fixup_f64 v[182:183], v[184:185], v[182:183], 1.0
	ds_write_b64 v222, v[182:183]
.LBB73_84:
	s_or_b64 exec, exec, s[2:3]
	s_waitcnt lgkmcnt(0)
	s_barrier
	ds_read_b64 v[182:183], v222
	v_cmp_lt_u32_e32 vcc, 16, v224
	s_and_saveexec_b64 s[2:3], vcc
	s_cbranch_execz .LBB73_86
; %bb.85:
	ds_read2_b64 v[184:187], v223 offset0:17 offset1:18
	ds_read2_b64 v[188:191], v223 offset0:19 offset1:20
	s_waitcnt vmcnt(20) lgkmcnt(2)
	v_mul_f64 v[132:133], v[182:183], v[132:133]
	ds_read2_b64 v[192:195], v223 offset0:21 offset1:22
	s_waitcnt vmcnt(19) lgkmcnt(2)
	v_fma_f64 v[96:97], -v[132:133], v[184:185], v[96:97]
	s_waitcnt vmcnt(18)
	v_fma_f64 v[130:131], -v[132:133], v[186:187], v[130:131]
	ds_read2_b64 v[184:187], v223 offset0:23 offset1:24
	s_waitcnt vmcnt(17) lgkmcnt(2)
	v_fma_f64 v[94:95], -v[132:133], v[188:189], v[94:95]
	s_waitcnt vmcnt(16)
	v_fma_f64 v[128:129], -v[132:133], v[190:191], v[128:129]
	s_waitcnt vmcnt(15) lgkmcnt(1)
	v_fma_f64 v[92:93], -v[132:133], v[192:193], v[92:93]
	ds_read2_b64 v[188:191], v223 offset0:25 offset1:26
	s_waitcnt vmcnt(14)
	v_fma_f64 v[126:127], -v[132:133], v[194:195], v[126:127]
	ds_read2_b64 v[192:195], v223 offset0:27 offset1:28
	s_waitcnt vmcnt(13) lgkmcnt(2)
	v_fma_f64 v[90:91], -v[132:133], v[184:185], v[90:91]
	s_waitcnt vmcnt(12)
	v_fma_f64 v[124:125], -v[132:133], v[186:187], v[124:125]
	ds_read2_b64 v[184:187], v223 offset0:29 offset1:30
	s_waitcnt vmcnt(11) lgkmcnt(2)
	v_fma_f64 v[88:89], -v[132:133], v[188:189], v[88:89]
	;; [unrolled: 5-line block ×3, first 2 shown]
	s_waitcnt vmcnt(8)
	v_fma_f64 v[120:121], -v[132:133], v[194:195], v[120:121]
	s_waitcnt vmcnt(7) lgkmcnt(1)
	v_fma_f64 v[84:85], -v[132:133], v[184:185], v[84:85]
	ds_read2_b64 v[192:195], v223 offset0:33 offset1:34
	s_waitcnt vmcnt(6)
	v_fma_f64 v[118:119], -v[132:133], v[186:187], v[118:119]
	ds_read2_b64 v[184:187], v223 offset0:35 offset1:36
	s_waitcnt vmcnt(5) lgkmcnt(2)
	v_fma_f64 v[82:83], -v[132:133], v[188:189], v[82:83]
	s_waitcnt vmcnt(4)
	v_fma_f64 v[116:117], -v[132:133], v[190:191], v[116:117]
	s_waitcnt vmcnt(3) lgkmcnt(1)
	v_fma_f64 v[80:81], -v[132:133], v[192:193], v[80:81]
	s_waitcnt vmcnt(2)
	v_fma_f64 v[114:115], -v[132:133], v[194:195], v[114:115]
	;; [unrolled: 4-line block ×3, first 2 shown]
.LBB73_86:
	s_or_b64 exec, exec, s[2:3]
	v_cmp_eq_u32_e32 vcc, 17, v224
	s_waitcnt lgkmcnt(0)
	s_barrier
	s_and_saveexec_b64 s[2:3], vcc
	s_cbranch_execz .LBB73_89
; %bb.87:
	s_waitcnt vmcnt(18)
	v_mov_b32_e32 v184, v130
	v_mov_b32_e32 v185, v131
	s_waitcnt vmcnt(17)
	v_mov_b32_e32 v186, v94
	v_mov_b32_e32 v187, v95
	ds_write_b64 v222, v[96:97]
	ds_write2_b64 v223, v[184:185], v[186:187] offset0:18 offset1:19
	s_waitcnt vmcnt(16)
	v_mov_b32_e32 v184, v128
	v_mov_b32_e32 v185, v129
	s_waitcnt vmcnt(15)
	v_mov_b32_e32 v186, v92
	v_mov_b32_e32 v187, v93
	ds_write2_b64 v223, v[184:185], v[186:187] offset0:20 offset1:21
	s_waitcnt vmcnt(14)
	v_mov_b32_e32 v184, v126
	v_mov_b32_e32 v185, v127
	s_waitcnt vmcnt(13)
	v_mov_b32_e32 v186, v90
	v_mov_b32_e32 v187, v91
	;; [unrolled: 7-line block ×8, first 2 shown]
	ds_write2_b64 v223, v[184:185], v[186:187] offset0:34 offset1:35
	s_waitcnt vmcnt(0)
	ds_write_b64 v223, v[148:149] offset:288
	ds_read_b64 v[184:185], v222
	s_waitcnt lgkmcnt(0)
	v_cmp_neq_f64_e32 vcc, 0, v[184:185]
	s_and_b64 exec, exec, vcc
	s_cbranch_execz .LBB73_89
; %bb.88:
	v_div_scale_f64 v[186:187], s[6:7], v[184:185], v[184:185], 1.0
	v_rcp_f64_e32 v[188:189], v[186:187]
	v_div_scale_f64 v[190:191], vcc, 1.0, v[184:185], 1.0
	v_fma_f64 v[192:193], -v[186:187], v[188:189], 1.0
	v_fmac_f64_e32 v[188:189], v[188:189], v[192:193]
	v_fma_f64 v[192:193], -v[186:187], v[188:189], 1.0
	v_fmac_f64_e32 v[188:189], v[188:189], v[192:193]
	v_mul_f64 v[192:193], v[190:191], v[188:189]
	v_fma_f64 v[186:187], -v[186:187], v[192:193], v[190:191]
	v_div_fmas_f64 v[186:187], v[186:187], v[188:189], v[192:193]
	v_div_fixup_f64 v[184:185], v[186:187], v[184:185], 1.0
	ds_write_b64 v222, v[184:185]
.LBB73_89:
	s_or_b64 exec, exec, s[2:3]
	s_waitcnt lgkmcnt(0)
	s_barrier
	ds_read_b64 v[184:185], v222
	v_cmp_lt_u32_e32 vcc, 17, v224
	s_and_saveexec_b64 s[2:3], vcc
	s_cbranch_execz .LBB73_91
; %bb.90:
	ds_read2_b64 v[186:189], v223 offset0:18 offset1:19
	ds_read2_b64 v[190:193], v223 offset0:20 offset1:21
	s_waitcnt vmcnt(19) lgkmcnt(2)
	v_mul_f64 v[96:97], v[184:185], v[96:97]
	ds_read2_b64 v[194:197], v223 offset0:22 offset1:23
	s_waitcnt vmcnt(18) lgkmcnt(2)
	v_fma_f64 v[130:131], -v[96:97], v[186:187], v[130:131]
	s_waitcnt vmcnt(17)
	v_fma_f64 v[94:95], -v[96:97], v[188:189], v[94:95]
	ds_read2_b64 v[186:189], v223 offset0:24 offset1:25
	s_waitcnt vmcnt(16) lgkmcnt(2)
	v_fma_f64 v[128:129], -v[96:97], v[190:191], v[128:129]
	s_waitcnt vmcnt(15)
	v_fma_f64 v[92:93], -v[96:97], v[192:193], v[92:93]
	s_waitcnt vmcnt(14) lgkmcnt(1)
	v_fma_f64 v[126:127], -v[96:97], v[194:195], v[126:127]
	ds_read2_b64 v[190:193], v223 offset0:26 offset1:27
	s_waitcnt vmcnt(13)
	v_fma_f64 v[90:91], -v[96:97], v[196:197], v[90:91]
	ds_read2_b64 v[194:197], v223 offset0:28 offset1:29
	s_waitcnt vmcnt(12) lgkmcnt(2)
	v_fma_f64 v[124:125], -v[96:97], v[186:187], v[124:125]
	s_waitcnt vmcnt(11)
	v_fma_f64 v[88:89], -v[96:97], v[188:189], v[88:89]
	ds_read2_b64 v[186:189], v223 offset0:30 offset1:31
	s_waitcnt vmcnt(10) lgkmcnt(2)
	v_fma_f64 v[122:123], -v[96:97], v[190:191], v[122:123]
	;; [unrolled: 5-line block ×3, first 2 shown]
	s_waitcnt vmcnt(7)
	v_fma_f64 v[84:85], -v[96:97], v[196:197], v[84:85]
	s_waitcnt vmcnt(6) lgkmcnt(1)
	v_fma_f64 v[118:119], -v[96:97], v[186:187], v[118:119]
	ds_read2_b64 v[194:197], v223 offset0:34 offset1:35
	ds_read_b64 v[186:187], v223 offset:288
	s_waitcnt vmcnt(5)
	v_fma_f64 v[82:83], -v[96:97], v[188:189], v[82:83]
	s_waitcnt vmcnt(4) lgkmcnt(2)
	v_fma_f64 v[116:117], -v[96:97], v[190:191], v[116:117]
	s_waitcnt vmcnt(3)
	v_fma_f64 v[80:81], -v[96:97], v[192:193], v[80:81]
	s_waitcnt vmcnt(2) lgkmcnt(1)
	v_fma_f64 v[114:115], -v[96:97], v[194:195], v[114:115]
	;; [unrolled: 4-line block ×3, first 2 shown]
.LBB73_91:
	s_or_b64 exec, exec, s[2:3]
	v_cmp_eq_u32_e32 vcc, 18, v224
	s_waitcnt lgkmcnt(0)
	s_barrier
	s_and_saveexec_b64 s[2:3], vcc
	s_cbranch_execz .LBB73_94
; %bb.92:
	s_waitcnt vmcnt(18)
	ds_write_b64 v222, v[130:131]
	s_waitcnt vmcnt(16)
	ds_write2_b64 v223, v[94:95], v[128:129] offset0:19 offset1:20
	s_waitcnt vmcnt(14)
	ds_write2_b64 v223, v[92:93], v[126:127] offset0:21 offset1:22
	;; [unrolled: 2-line block ×9, first 2 shown]
	ds_read_b64 v[186:187], v222
	s_waitcnt lgkmcnt(0)
	v_cmp_neq_f64_e32 vcc, 0, v[186:187]
	s_and_b64 exec, exec, vcc
	s_cbranch_execz .LBB73_94
; %bb.93:
	v_div_scale_f64 v[188:189], s[6:7], v[186:187], v[186:187], 1.0
	v_rcp_f64_e32 v[190:191], v[188:189]
	v_div_scale_f64 v[192:193], vcc, 1.0, v[186:187], 1.0
	v_fma_f64 v[194:195], -v[188:189], v[190:191], 1.0
	v_fmac_f64_e32 v[190:191], v[190:191], v[194:195]
	v_fma_f64 v[194:195], -v[188:189], v[190:191], 1.0
	v_fmac_f64_e32 v[190:191], v[190:191], v[194:195]
	v_mul_f64 v[194:195], v[192:193], v[190:191]
	v_fma_f64 v[188:189], -v[188:189], v[194:195], v[192:193]
	v_div_fmas_f64 v[188:189], v[188:189], v[190:191], v[194:195]
	v_div_fixup_f64 v[186:187], v[188:189], v[186:187], 1.0
	ds_write_b64 v222, v[186:187]
.LBB73_94:
	s_or_b64 exec, exec, s[2:3]
	s_waitcnt lgkmcnt(0)
	s_barrier
	ds_read_b64 v[186:187], v222
	v_cmp_lt_u32_e32 vcc, 18, v224
	s_and_saveexec_b64 s[2:3], vcc
	s_cbranch_execz .LBB73_96
; %bb.95:
	ds_read2_b64 v[188:191], v223 offset0:19 offset1:20
	ds_read2_b64 v[192:195], v223 offset0:21 offset1:22
	;; [unrolled: 1-line block ×3, first 2 shown]
	s_waitcnt vmcnt(18) lgkmcnt(3)
	v_mul_f64 v[130:131], v[186:187], v[130:131]
	s_waitcnt vmcnt(17) lgkmcnt(2)
	v_fma_f64 v[94:95], -v[130:131], v[188:189], v[94:95]
	s_waitcnt vmcnt(16)
	v_fma_f64 v[128:129], -v[130:131], v[190:191], v[128:129]
	ds_read2_b64 v[188:191], v223 offset0:25 offset1:26
	s_waitcnt vmcnt(15) lgkmcnt(2)
	v_fma_f64 v[92:93], -v[130:131], v[192:193], v[92:93]
	s_waitcnt vmcnt(14)
	v_fma_f64 v[126:127], -v[130:131], v[194:195], v[126:127]
	s_waitcnt vmcnt(13) lgkmcnt(1)
	v_fma_f64 v[90:91], -v[130:131], v[196:197], v[90:91]
	ds_read2_b64 v[192:195], v223 offset0:27 offset1:28
	s_waitcnt vmcnt(12)
	v_fma_f64 v[124:125], -v[130:131], v[198:199], v[124:125]
	ds_read2_b64 v[196:199], v223 offset0:29 offset1:30
	s_waitcnt vmcnt(11) lgkmcnt(2)
	v_fma_f64 v[88:89], -v[130:131], v[188:189], v[88:89]
	s_waitcnt vmcnt(10)
	v_fma_f64 v[122:123], -v[130:131], v[190:191], v[122:123]
	s_waitcnt vmcnt(9) lgkmcnt(1)
	v_fma_f64 v[86:87], -v[130:131], v[192:193], v[86:87]
	s_waitcnt vmcnt(8)
	v_fma_f64 v[120:121], -v[130:131], v[194:195], v[120:121]
	ds_read2_b64 v[188:191], v223 offset0:31 offset1:32
	ds_read2_b64 v[192:195], v223 offset0:33 offset1:34
	s_waitcnt vmcnt(7) lgkmcnt(2)
	v_fma_f64 v[84:85], -v[130:131], v[196:197], v[84:85]
	s_waitcnt vmcnt(6)
	v_fma_f64 v[118:119], -v[130:131], v[198:199], v[118:119]
	ds_read2_b64 v[196:199], v223 offset0:35 offset1:36
	s_waitcnt vmcnt(5) lgkmcnt(2)
	v_fma_f64 v[82:83], -v[130:131], v[188:189], v[82:83]
	s_waitcnt vmcnt(4)
	v_fma_f64 v[116:117], -v[130:131], v[190:191], v[116:117]
	s_waitcnt vmcnt(3) lgkmcnt(1)
	v_fma_f64 v[80:81], -v[130:131], v[192:193], v[80:81]
	s_waitcnt vmcnt(2)
	v_fma_f64 v[114:115], -v[130:131], v[194:195], v[114:115]
	;; [unrolled: 4-line block ×3, first 2 shown]
.LBB73_96:
	s_or_b64 exec, exec, s[2:3]
	v_cmp_eq_u32_e32 vcc, 19, v224
	s_waitcnt lgkmcnt(0)
	s_barrier
	s_and_saveexec_b64 s[2:3], vcc
	s_cbranch_execz .LBB73_99
; %bb.97:
	s_waitcnt vmcnt(16)
	v_mov_b32_e32 v188, v128
	v_mov_b32_e32 v189, v129
	s_waitcnt vmcnt(15)
	v_mov_b32_e32 v190, v92
	v_mov_b32_e32 v191, v93
	ds_write_b64 v222, v[94:95]
	ds_write2_b64 v223, v[188:189], v[190:191] offset0:20 offset1:21
	s_waitcnt vmcnt(14)
	v_mov_b32_e32 v188, v126
	v_mov_b32_e32 v189, v127
	s_waitcnt vmcnt(13)
	v_mov_b32_e32 v190, v90
	v_mov_b32_e32 v191, v91
	ds_write2_b64 v223, v[188:189], v[190:191] offset0:22 offset1:23
	s_waitcnt vmcnt(12)
	v_mov_b32_e32 v188, v124
	v_mov_b32_e32 v189, v125
	s_waitcnt vmcnt(11)
	v_mov_b32_e32 v190, v88
	v_mov_b32_e32 v191, v89
	;; [unrolled: 7-line block ×7, first 2 shown]
	ds_write2_b64 v223, v[188:189], v[190:191] offset0:34 offset1:35
	s_waitcnt vmcnt(0)
	ds_write_b64 v223, v[148:149] offset:288
	ds_read_b64 v[188:189], v222
	s_waitcnt lgkmcnt(0)
	v_cmp_neq_f64_e32 vcc, 0, v[188:189]
	s_and_b64 exec, exec, vcc
	s_cbranch_execz .LBB73_99
; %bb.98:
	v_div_scale_f64 v[190:191], s[6:7], v[188:189], v[188:189], 1.0
	v_rcp_f64_e32 v[192:193], v[190:191]
	v_div_scale_f64 v[194:195], vcc, 1.0, v[188:189], 1.0
	v_fma_f64 v[196:197], -v[190:191], v[192:193], 1.0
	v_fmac_f64_e32 v[192:193], v[192:193], v[196:197]
	v_fma_f64 v[196:197], -v[190:191], v[192:193], 1.0
	v_fmac_f64_e32 v[192:193], v[192:193], v[196:197]
	v_mul_f64 v[196:197], v[194:195], v[192:193]
	v_fma_f64 v[190:191], -v[190:191], v[196:197], v[194:195]
	v_div_fmas_f64 v[190:191], v[190:191], v[192:193], v[196:197]
	v_div_fixup_f64 v[188:189], v[190:191], v[188:189], 1.0
	ds_write_b64 v222, v[188:189]
.LBB73_99:
	s_or_b64 exec, exec, s[2:3]
	s_waitcnt lgkmcnt(0)
	s_barrier
	ds_read_b64 v[188:189], v222
	v_cmp_lt_u32_e32 vcc, 19, v224
	s_and_saveexec_b64 s[2:3], vcc
	s_cbranch_execz .LBB73_101
; %bb.100:
	ds_read2_b64 v[190:193], v223 offset0:20 offset1:21
	ds_read2_b64 v[194:197], v223 offset0:22 offset1:23
	;; [unrolled: 1-line block ×3, first 2 shown]
	s_waitcnt vmcnt(17) lgkmcnt(3)
	v_mul_f64 v[94:95], v[188:189], v[94:95]
	s_waitcnt vmcnt(16) lgkmcnt(2)
	v_fma_f64 v[128:129], -v[94:95], v[190:191], v[128:129]
	s_waitcnt vmcnt(15)
	v_fma_f64 v[92:93], -v[94:95], v[192:193], v[92:93]
	ds_read2_b64 v[190:193], v223 offset0:26 offset1:27
	s_waitcnt vmcnt(14) lgkmcnt(2)
	v_fma_f64 v[126:127], -v[94:95], v[194:195], v[126:127]
	s_waitcnt vmcnt(13)
	v_fma_f64 v[90:91], -v[94:95], v[196:197], v[90:91]
	s_waitcnt vmcnt(12) lgkmcnt(1)
	v_fma_f64 v[124:125], -v[94:95], v[198:199], v[124:125]
	ds_read2_b64 v[194:197], v223 offset0:28 offset1:29
	s_waitcnt vmcnt(11)
	v_fma_f64 v[88:89], -v[94:95], v[200:201], v[88:89]
	ds_read2_b64 v[198:201], v223 offset0:30 offset1:31
	s_waitcnt vmcnt(10) lgkmcnt(2)
	v_fma_f64 v[122:123], -v[94:95], v[190:191], v[122:123]
	s_waitcnt vmcnt(9)
	v_fma_f64 v[86:87], -v[94:95], v[192:193], v[86:87]
	s_waitcnt vmcnt(8) lgkmcnt(1)
	v_fma_f64 v[120:121], -v[94:95], v[194:195], v[120:121]
	s_waitcnt vmcnt(7)
	v_fma_f64 v[84:85], -v[94:95], v[196:197], v[84:85]
	ds_read2_b64 v[190:193], v223 offset0:32 offset1:33
	ds_read2_b64 v[194:197], v223 offset0:34 offset1:35
	s_waitcnt vmcnt(6) lgkmcnt(2)
	v_fma_f64 v[118:119], -v[94:95], v[198:199], v[118:119]
	ds_read_b64 v[198:199], v223 offset:288
	s_waitcnt vmcnt(5)
	v_fma_f64 v[82:83], -v[94:95], v[200:201], v[82:83]
	s_waitcnt vmcnt(4) lgkmcnt(2)
	v_fma_f64 v[116:117], -v[94:95], v[190:191], v[116:117]
	s_waitcnt vmcnt(3)
	v_fma_f64 v[80:81], -v[94:95], v[192:193], v[80:81]
	s_waitcnt vmcnt(2) lgkmcnt(1)
	v_fma_f64 v[114:115], -v[94:95], v[194:195], v[114:115]
	;; [unrolled: 4-line block ×3, first 2 shown]
.LBB73_101:
	s_or_b64 exec, exec, s[2:3]
	v_cmp_eq_u32_e32 vcc, 20, v224
	s_waitcnt lgkmcnt(0)
	s_barrier
	s_and_saveexec_b64 s[2:3], vcc
	s_cbranch_execz .LBB73_104
; %bb.102:
	s_waitcnt vmcnt(16)
	ds_write_b64 v222, v[128:129]
	s_waitcnt vmcnt(14)
	ds_write2_b64 v223, v[92:93], v[126:127] offset0:21 offset1:22
	s_waitcnt vmcnt(12)
	ds_write2_b64 v223, v[90:91], v[124:125] offset0:23 offset1:24
	;; [unrolled: 2-line block ×8, first 2 shown]
	ds_read_b64 v[190:191], v222
	s_waitcnt lgkmcnt(0)
	v_cmp_neq_f64_e32 vcc, 0, v[190:191]
	s_and_b64 exec, exec, vcc
	s_cbranch_execz .LBB73_104
; %bb.103:
	v_div_scale_f64 v[192:193], s[6:7], v[190:191], v[190:191], 1.0
	v_rcp_f64_e32 v[194:195], v[192:193]
	v_div_scale_f64 v[196:197], vcc, 1.0, v[190:191], 1.0
	v_fma_f64 v[198:199], -v[192:193], v[194:195], 1.0
	v_fmac_f64_e32 v[194:195], v[194:195], v[198:199]
	v_fma_f64 v[198:199], -v[192:193], v[194:195], 1.0
	v_fmac_f64_e32 v[194:195], v[194:195], v[198:199]
	v_mul_f64 v[198:199], v[196:197], v[194:195]
	v_fma_f64 v[192:193], -v[192:193], v[198:199], v[196:197]
	v_div_fmas_f64 v[192:193], v[192:193], v[194:195], v[198:199]
	v_div_fixup_f64 v[190:191], v[192:193], v[190:191], 1.0
	ds_write_b64 v222, v[190:191]
.LBB73_104:
	s_or_b64 exec, exec, s[2:3]
	s_waitcnt lgkmcnt(0)
	s_barrier
	ds_read_b64 v[190:191], v222
	v_cmp_lt_u32_e32 vcc, 20, v224
	s_and_saveexec_b64 s[2:3], vcc
	s_cbranch_execz .LBB73_106
; %bb.105:
	ds_read2_b64 v[192:195], v223 offset0:21 offset1:22
	ds_read2_b64 v[196:199], v223 offset0:23 offset1:24
	s_waitcnt vmcnt(16) lgkmcnt(2)
	v_mul_f64 v[128:129], v[190:191], v[128:129]
	ds_read2_b64 v[200:203], v223 offset0:25 offset1:26
	s_waitcnt vmcnt(15) lgkmcnt(2)
	v_fma_f64 v[92:93], -v[128:129], v[192:193], v[92:93]
	s_waitcnt vmcnt(14)
	v_fma_f64 v[126:127], -v[128:129], v[194:195], v[126:127]
	ds_read2_b64 v[192:195], v223 offset0:27 offset1:28
	s_waitcnt vmcnt(13) lgkmcnt(2)
	v_fma_f64 v[90:91], -v[128:129], v[196:197], v[90:91]
	s_waitcnt vmcnt(12)
	v_fma_f64 v[124:125], -v[128:129], v[198:199], v[124:125]
	;; [unrolled: 5-line block ×3, first 2 shown]
	s_waitcnt vmcnt(9) lgkmcnt(1)
	v_fma_f64 v[86:87], -v[128:129], v[192:193], v[86:87]
	s_waitcnt vmcnt(8)
	v_fma_f64 v[120:121], -v[128:129], v[194:195], v[120:121]
	ds_read2_b64 v[192:195], v223 offset0:31 offset1:32
	s_waitcnt vmcnt(7) lgkmcnt(1)
	v_fma_f64 v[84:85], -v[128:129], v[196:197], v[84:85]
	ds_read2_b64 v[200:203], v223 offset0:33 offset1:34
	s_waitcnt vmcnt(6)
	v_fma_f64 v[118:119], -v[128:129], v[198:199], v[118:119]
	ds_read2_b64 v[196:199], v223 offset0:35 offset1:36
	s_waitcnt vmcnt(5) lgkmcnt(2)
	v_fma_f64 v[82:83], -v[128:129], v[192:193], v[82:83]
	s_waitcnt vmcnt(4)
	v_fma_f64 v[116:117], -v[128:129], v[194:195], v[116:117]
	s_waitcnt vmcnt(3) lgkmcnt(1)
	v_fma_f64 v[80:81], -v[128:129], v[200:201], v[80:81]
	s_waitcnt vmcnt(2)
	v_fma_f64 v[114:115], -v[128:129], v[202:203], v[114:115]
	;; [unrolled: 4-line block ×3, first 2 shown]
.LBB73_106:
	s_or_b64 exec, exec, s[2:3]
	v_cmp_eq_u32_e32 vcc, 21, v224
	s_waitcnt lgkmcnt(0)
	s_barrier
	s_and_saveexec_b64 s[2:3], vcc
	s_cbranch_execz .LBB73_109
; %bb.107:
	s_waitcnt vmcnt(14)
	v_mov_b32_e32 v192, v126
	v_mov_b32_e32 v193, v127
	s_waitcnt vmcnt(13)
	v_mov_b32_e32 v194, v90
	v_mov_b32_e32 v195, v91
	ds_write_b64 v222, v[92:93]
	ds_write2_b64 v223, v[192:193], v[194:195] offset0:22 offset1:23
	s_waitcnt vmcnt(12)
	v_mov_b32_e32 v192, v124
	v_mov_b32_e32 v193, v125
	s_waitcnt vmcnt(11)
	v_mov_b32_e32 v194, v88
	v_mov_b32_e32 v195, v89
	ds_write2_b64 v223, v[192:193], v[194:195] offset0:24 offset1:25
	s_waitcnt vmcnt(10)
	v_mov_b32_e32 v192, v122
	v_mov_b32_e32 v193, v123
	s_waitcnt vmcnt(9)
	v_mov_b32_e32 v194, v86
	v_mov_b32_e32 v195, v87
	;; [unrolled: 7-line block ×6, first 2 shown]
	ds_write2_b64 v223, v[192:193], v[194:195] offset0:34 offset1:35
	s_waitcnt vmcnt(0)
	ds_write_b64 v223, v[148:149] offset:288
	ds_read_b64 v[192:193], v222
	s_waitcnt lgkmcnt(0)
	v_cmp_neq_f64_e32 vcc, 0, v[192:193]
	s_and_b64 exec, exec, vcc
	s_cbranch_execz .LBB73_109
; %bb.108:
	v_div_scale_f64 v[194:195], s[6:7], v[192:193], v[192:193], 1.0
	v_rcp_f64_e32 v[196:197], v[194:195]
	v_div_scale_f64 v[198:199], vcc, 1.0, v[192:193], 1.0
	v_fma_f64 v[200:201], -v[194:195], v[196:197], 1.0
	v_fmac_f64_e32 v[196:197], v[196:197], v[200:201]
	v_fma_f64 v[200:201], -v[194:195], v[196:197], 1.0
	v_fmac_f64_e32 v[196:197], v[196:197], v[200:201]
	v_mul_f64 v[200:201], v[198:199], v[196:197]
	v_fma_f64 v[194:195], -v[194:195], v[200:201], v[198:199]
	v_div_fmas_f64 v[194:195], v[194:195], v[196:197], v[200:201]
	v_div_fixup_f64 v[192:193], v[194:195], v[192:193], 1.0
	ds_write_b64 v222, v[192:193]
.LBB73_109:
	s_or_b64 exec, exec, s[2:3]
	s_waitcnt lgkmcnt(0)
	s_barrier
	ds_read_b64 v[192:193], v222
	v_cmp_lt_u32_e32 vcc, 21, v224
	s_and_saveexec_b64 s[2:3], vcc
	s_cbranch_execz .LBB73_111
; %bb.110:
	ds_read2_b64 v[194:197], v223 offset0:22 offset1:23
	ds_read2_b64 v[198:201], v223 offset0:24 offset1:25
	s_waitcnt vmcnt(15) lgkmcnt(2)
	v_mul_f64 v[92:93], v[192:193], v[92:93]
	ds_read2_b64 v[202:205], v223 offset0:26 offset1:27
	s_waitcnt vmcnt(14) lgkmcnt(2)
	v_fma_f64 v[126:127], -v[92:93], v[194:195], v[126:127]
	s_waitcnt vmcnt(13)
	v_fma_f64 v[90:91], -v[92:93], v[196:197], v[90:91]
	ds_read2_b64 v[194:197], v223 offset0:28 offset1:29
	s_waitcnt vmcnt(12) lgkmcnt(2)
	v_fma_f64 v[124:125], -v[92:93], v[198:199], v[124:125]
	s_waitcnt vmcnt(11)
	v_fma_f64 v[88:89], -v[92:93], v[200:201], v[88:89]
	;; [unrolled: 5-line block ×3, first 2 shown]
	s_waitcnt vmcnt(8) lgkmcnt(1)
	v_fma_f64 v[120:121], -v[92:93], v[194:195], v[120:121]
	s_waitcnt vmcnt(7)
	v_fma_f64 v[84:85], -v[92:93], v[196:197], v[84:85]
	ds_read2_b64 v[194:197], v223 offset0:32 offset1:33
	s_waitcnt vmcnt(6) lgkmcnt(1)
	v_fma_f64 v[118:119], -v[92:93], v[198:199], v[118:119]
	ds_read2_b64 v[202:205], v223 offset0:34 offset1:35
	ds_read_b64 v[198:199], v223 offset:288
	s_waitcnt vmcnt(5)
	v_fma_f64 v[82:83], -v[92:93], v[200:201], v[82:83]
	s_waitcnt vmcnt(4) lgkmcnt(2)
	v_fma_f64 v[116:117], -v[92:93], v[194:195], v[116:117]
	s_waitcnt vmcnt(3)
	v_fma_f64 v[80:81], -v[92:93], v[196:197], v[80:81]
	s_waitcnt vmcnt(2) lgkmcnt(1)
	v_fma_f64 v[114:115], -v[92:93], v[202:203], v[114:115]
	s_waitcnt vmcnt(1)
	v_fma_f64 v[78:79], -v[92:93], v[204:205], v[78:79]
	s_waitcnt vmcnt(0) lgkmcnt(0)
	v_fma_f64 v[148:149], -v[92:93], v[198:199], v[148:149]
.LBB73_111:
	s_or_b64 exec, exec, s[2:3]
	v_cmp_eq_u32_e32 vcc, 22, v224
	s_waitcnt lgkmcnt(0)
	s_barrier
	s_and_saveexec_b64 s[2:3], vcc
	s_cbranch_execz .LBB73_114
; %bb.112:
	s_waitcnt vmcnt(14)
	ds_write_b64 v222, v[126:127]
	s_waitcnt vmcnt(12)
	ds_write2_b64 v223, v[90:91], v[124:125] offset0:23 offset1:24
	s_waitcnt vmcnt(10)
	ds_write2_b64 v223, v[88:89], v[122:123] offset0:25 offset1:26
	;; [unrolled: 2-line block ×7, first 2 shown]
	ds_read_b64 v[194:195], v222
	s_waitcnt lgkmcnt(0)
	v_cmp_neq_f64_e32 vcc, 0, v[194:195]
	s_and_b64 exec, exec, vcc
	s_cbranch_execz .LBB73_114
; %bb.113:
	v_div_scale_f64 v[196:197], s[6:7], v[194:195], v[194:195], 1.0
	v_rcp_f64_e32 v[198:199], v[196:197]
	v_div_scale_f64 v[200:201], vcc, 1.0, v[194:195], 1.0
	v_fma_f64 v[202:203], -v[196:197], v[198:199], 1.0
	v_fmac_f64_e32 v[198:199], v[198:199], v[202:203]
	v_fma_f64 v[202:203], -v[196:197], v[198:199], 1.0
	v_fmac_f64_e32 v[198:199], v[198:199], v[202:203]
	v_mul_f64 v[202:203], v[200:201], v[198:199]
	v_fma_f64 v[196:197], -v[196:197], v[202:203], v[200:201]
	v_div_fmas_f64 v[196:197], v[196:197], v[198:199], v[202:203]
	v_div_fixup_f64 v[194:195], v[196:197], v[194:195], 1.0
	ds_write_b64 v222, v[194:195]
.LBB73_114:
	s_or_b64 exec, exec, s[2:3]
	s_waitcnt lgkmcnt(0)
	s_barrier
	ds_read_b64 v[194:195], v222
	v_cmp_lt_u32_e32 vcc, 22, v224
	s_and_saveexec_b64 s[2:3], vcc
	s_cbranch_execz .LBB73_116
; %bb.115:
	ds_read2_b64 v[196:199], v223 offset0:23 offset1:24
	ds_read2_b64 v[200:203], v223 offset0:25 offset1:26
	s_waitcnt vmcnt(14) lgkmcnt(2)
	v_mul_f64 v[126:127], v[194:195], v[126:127]
	ds_read2_b64 v[204:207], v223 offset0:27 offset1:28
	s_waitcnt vmcnt(13) lgkmcnt(2)
	v_fma_f64 v[90:91], -v[126:127], v[196:197], v[90:91]
	s_waitcnt vmcnt(12)
	v_fma_f64 v[124:125], -v[126:127], v[198:199], v[124:125]
	ds_read2_b64 v[196:199], v223 offset0:29 offset1:30
	s_waitcnt vmcnt(11) lgkmcnt(2)
	v_fma_f64 v[88:89], -v[126:127], v[200:201], v[88:89]
	s_waitcnt vmcnt(10)
	v_fma_f64 v[122:123], -v[126:127], v[202:203], v[122:123]
	s_waitcnt vmcnt(9) lgkmcnt(1)
	v_fma_f64 v[86:87], -v[126:127], v[204:205], v[86:87]
	s_waitcnt vmcnt(8)
	v_fma_f64 v[120:121], -v[126:127], v[206:207], v[120:121]
	ds_read2_b64 v[200:203], v223 offset0:31 offset1:32
	ds_read2_b64 v[204:207], v223 offset0:33 offset1:34
	s_waitcnt vmcnt(7) lgkmcnt(2)
	v_fma_f64 v[84:85], -v[126:127], v[196:197], v[84:85]
	s_waitcnt vmcnt(6)
	v_fma_f64 v[118:119], -v[126:127], v[198:199], v[118:119]
	ds_read2_b64 v[196:199], v223 offset0:35 offset1:36
	s_waitcnt vmcnt(5) lgkmcnt(2)
	v_fma_f64 v[82:83], -v[126:127], v[200:201], v[82:83]
	s_waitcnt vmcnt(4)
	v_fma_f64 v[116:117], -v[126:127], v[202:203], v[116:117]
	s_waitcnt vmcnt(3) lgkmcnt(1)
	v_fma_f64 v[80:81], -v[126:127], v[204:205], v[80:81]
	s_waitcnt vmcnt(2)
	v_fma_f64 v[114:115], -v[126:127], v[206:207], v[114:115]
	;; [unrolled: 4-line block ×3, first 2 shown]
.LBB73_116:
	s_or_b64 exec, exec, s[2:3]
	v_cmp_eq_u32_e32 vcc, 23, v224
	s_waitcnt lgkmcnt(0)
	s_barrier
	s_and_saveexec_b64 s[2:3], vcc
	s_cbranch_execz .LBB73_119
; %bb.117:
	s_waitcnt vmcnt(12)
	v_mov_b32_e32 v196, v124
	v_mov_b32_e32 v197, v125
	s_waitcnt vmcnt(11)
	v_mov_b32_e32 v198, v88
	v_mov_b32_e32 v199, v89
	ds_write_b64 v222, v[90:91]
	ds_write2_b64 v223, v[196:197], v[198:199] offset0:24 offset1:25
	s_waitcnt vmcnt(10)
	v_mov_b32_e32 v196, v122
	v_mov_b32_e32 v197, v123
	s_waitcnt vmcnt(9)
	v_mov_b32_e32 v198, v86
	v_mov_b32_e32 v199, v87
	ds_write2_b64 v223, v[196:197], v[198:199] offset0:26 offset1:27
	s_waitcnt vmcnt(8)
	v_mov_b32_e32 v196, v120
	v_mov_b32_e32 v197, v121
	s_waitcnt vmcnt(7)
	v_mov_b32_e32 v198, v84
	v_mov_b32_e32 v199, v85
	;; [unrolled: 7-line block ×5, first 2 shown]
	ds_write2_b64 v223, v[196:197], v[198:199] offset0:34 offset1:35
	s_waitcnt vmcnt(0)
	ds_write_b64 v223, v[148:149] offset:288
	ds_read_b64 v[196:197], v222
	s_waitcnt lgkmcnt(0)
	v_cmp_neq_f64_e32 vcc, 0, v[196:197]
	s_and_b64 exec, exec, vcc
	s_cbranch_execz .LBB73_119
; %bb.118:
	v_div_scale_f64 v[198:199], s[6:7], v[196:197], v[196:197], 1.0
	v_rcp_f64_e32 v[200:201], v[198:199]
	v_div_scale_f64 v[202:203], vcc, 1.0, v[196:197], 1.0
	v_fma_f64 v[204:205], -v[198:199], v[200:201], 1.0
	v_fmac_f64_e32 v[200:201], v[200:201], v[204:205]
	v_fma_f64 v[204:205], -v[198:199], v[200:201], 1.0
	v_fmac_f64_e32 v[200:201], v[200:201], v[204:205]
	v_mul_f64 v[204:205], v[202:203], v[200:201]
	v_fma_f64 v[198:199], -v[198:199], v[204:205], v[202:203]
	v_div_fmas_f64 v[198:199], v[198:199], v[200:201], v[204:205]
	v_div_fixup_f64 v[196:197], v[198:199], v[196:197], 1.0
	ds_write_b64 v222, v[196:197]
.LBB73_119:
	s_or_b64 exec, exec, s[2:3]
	s_waitcnt lgkmcnt(0)
	s_barrier
	ds_read_b64 v[196:197], v222
	v_cmp_lt_u32_e32 vcc, 23, v224
	s_and_saveexec_b64 s[2:3], vcc
	s_cbranch_execz .LBB73_121
; %bb.120:
	ds_read2_b64 v[198:201], v223 offset0:24 offset1:25
	ds_read2_b64 v[202:205], v223 offset0:26 offset1:27
	s_waitcnt vmcnt(13) lgkmcnt(2)
	v_mul_f64 v[90:91], v[196:197], v[90:91]
	ds_read2_b64 v[206:209], v223 offset0:28 offset1:29
	s_waitcnt vmcnt(12) lgkmcnt(2)
	v_fma_f64 v[124:125], -v[90:91], v[198:199], v[124:125]
	s_waitcnt vmcnt(11)
	v_fma_f64 v[88:89], -v[90:91], v[200:201], v[88:89]
	ds_read2_b64 v[198:201], v223 offset0:30 offset1:31
	s_waitcnt vmcnt(10) lgkmcnt(2)
	v_fma_f64 v[122:123], -v[90:91], v[202:203], v[122:123]
	s_waitcnt vmcnt(9)
	v_fma_f64 v[86:87], -v[90:91], v[204:205], v[86:87]
	s_waitcnt vmcnt(8) lgkmcnt(1)
	v_fma_f64 v[120:121], -v[90:91], v[206:207], v[120:121]
	s_waitcnt vmcnt(7)
	v_fma_f64 v[84:85], -v[90:91], v[208:209], v[84:85]
	ds_read2_b64 v[202:205], v223 offset0:32 offset1:33
	ds_read2_b64 v[206:209], v223 offset0:34 offset1:35
	s_waitcnt vmcnt(6) lgkmcnt(2)
	v_fma_f64 v[118:119], -v[90:91], v[198:199], v[118:119]
	ds_read_b64 v[198:199], v223 offset:288
	s_waitcnt vmcnt(5)
	v_fma_f64 v[82:83], -v[90:91], v[200:201], v[82:83]
	s_waitcnt vmcnt(4) lgkmcnt(2)
	v_fma_f64 v[116:117], -v[90:91], v[202:203], v[116:117]
	s_waitcnt vmcnt(3)
	v_fma_f64 v[80:81], -v[90:91], v[204:205], v[80:81]
	s_waitcnt vmcnt(2) lgkmcnt(1)
	v_fma_f64 v[114:115], -v[90:91], v[206:207], v[114:115]
	;; [unrolled: 4-line block ×3, first 2 shown]
.LBB73_121:
	s_or_b64 exec, exec, s[2:3]
	v_cmp_eq_u32_e32 vcc, 24, v224
	s_waitcnt lgkmcnt(0)
	s_barrier
	s_and_saveexec_b64 s[2:3], vcc
	s_cbranch_execz .LBB73_124
; %bb.122:
	s_waitcnt vmcnt(12)
	ds_write_b64 v222, v[124:125]
	s_waitcnt vmcnt(10)
	ds_write2_b64 v223, v[88:89], v[122:123] offset0:25 offset1:26
	s_waitcnt vmcnt(8)
	ds_write2_b64 v223, v[86:87], v[120:121] offset0:27 offset1:28
	;; [unrolled: 2-line block ×6, first 2 shown]
	ds_read_b64 v[198:199], v222
	s_waitcnt lgkmcnt(0)
	v_cmp_neq_f64_e32 vcc, 0, v[198:199]
	s_and_b64 exec, exec, vcc
	s_cbranch_execz .LBB73_124
; %bb.123:
	v_div_scale_f64 v[200:201], s[6:7], v[198:199], v[198:199], 1.0
	v_rcp_f64_e32 v[202:203], v[200:201]
	v_div_scale_f64 v[204:205], vcc, 1.0, v[198:199], 1.0
	v_fma_f64 v[206:207], -v[200:201], v[202:203], 1.0
	v_fmac_f64_e32 v[202:203], v[202:203], v[206:207]
	v_fma_f64 v[206:207], -v[200:201], v[202:203], 1.0
	v_fmac_f64_e32 v[202:203], v[202:203], v[206:207]
	v_mul_f64 v[206:207], v[204:205], v[202:203]
	v_fma_f64 v[200:201], -v[200:201], v[206:207], v[204:205]
	v_div_fmas_f64 v[200:201], v[200:201], v[202:203], v[206:207]
	v_div_fixup_f64 v[198:199], v[200:201], v[198:199], 1.0
	ds_write_b64 v222, v[198:199]
.LBB73_124:
	s_or_b64 exec, exec, s[2:3]
	s_waitcnt lgkmcnt(0)
	s_barrier
	ds_read_b64 v[198:199], v222
	v_cmp_lt_u32_e32 vcc, 24, v224
	s_and_saveexec_b64 s[2:3], vcc
	s_cbranch_execz .LBB73_126
; %bb.125:
	ds_read2_b64 v[200:203], v223 offset0:25 offset1:26
	ds_read2_b64 v[204:207], v223 offset0:27 offset1:28
	;; [unrolled: 1-line block ×3, first 2 shown]
	s_waitcnt vmcnt(12) lgkmcnt(3)
	v_mul_f64 v[124:125], v[198:199], v[124:125]
	s_waitcnt vmcnt(11) lgkmcnt(2)
	v_fma_f64 v[88:89], -v[124:125], v[200:201], v[88:89]
	s_waitcnt vmcnt(10)
	v_fma_f64 v[122:123], -v[124:125], v[202:203], v[122:123]
	ds_read2_b64 v[200:203], v223 offset0:31 offset1:32
	s_waitcnt vmcnt(9) lgkmcnt(2)
	v_fma_f64 v[86:87], -v[124:125], v[204:205], v[86:87]
	s_waitcnt vmcnt(8)
	v_fma_f64 v[120:121], -v[124:125], v[206:207], v[120:121]
	s_waitcnt vmcnt(7) lgkmcnt(1)
	v_fma_f64 v[84:85], -v[124:125], v[208:209], v[84:85]
	ds_read2_b64 v[204:207], v223 offset0:33 offset1:34
	s_waitcnt vmcnt(6)
	v_fma_f64 v[118:119], -v[124:125], v[210:211], v[118:119]
	ds_read2_b64 v[208:211], v223 offset0:35 offset1:36
	s_waitcnt vmcnt(5) lgkmcnt(2)
	v_fma_f64 v[82:83], -v[124:125], v[200:201], v[82:83]
	s_waitcnt vmcnt(4)
	v_fma_f64 v[116:117], -v[124:125], v[202:203], v[116:117]
	s_waitcnt vmcnt(3) lgkmcnt(1)
	v_fma_f64 v[80:81], -v[124:125], v[204:205], v[80:81]
	s_waitcnt vmcnt(2)
	v_fma_f64 v[114:115], -v[124:125], v[206:207], v[114:115]
	;; [unrolled: 4-line block ×3, first 2 shown]
.LBB73_126:
	s_or_b64 exec, exec, s[2:3]
	v_cmp_eq_u32_e32 vcc, 25, v224
	s_waitcnt lgkmcnt(0)
	s_barrier
	s_and_saveexec_b64 s[2:3], vcc
	s_cbranch_execz .LBB73_129
; %bb.127:
	s_waitcnt vmcnt(10)
	v_mov_b32_e32 v200, v122
	v_mov_b32_e32 v201, v123
	s_waitcnt vmcnt(9)
	v_mov_b32_e32 v202, v86
	v_mov_b32_e32 v203, v87
	ds_write_b64 v222, v[88:89]
	ds_write2_b64 v223, v[200:201], v[202:203] offset0:26 offset1:27
	s_waitcnt vmcnt(8)
	v_mov_b32_e32 v200, v120
	v_mov_b32_e32 v201, v121
	s_waitcnt vmcnt(7)
	v_mov_b32_e32 v202, v84
	v_mov_b32_e32 v203, v85
	ds_write2_b64 v223, v[200:201], v[202:203] offset0:28 offset1:29
	s_waitcnt vmcnt(6)
	v_mov_b32_e32 v200, v118
	v_mov_b32_e32 v201, v119
	s_waitcnt vmcnt(5)
	v_mov_b32_e32 v202, v82
	v_mov_b32_e32 v203, v83
	;; [unrolled: 7-line block ×4, first 2 shown]
	ds_write2_b64 v223, v[200:201], v[202:203] offset0:34 offset1:35
	s_waitcnt vmcnt(0)
	ds_write_b64 v223, v[148:149] offset:288
	ds_read_b64 v[200:201], v222
	s_waitcnt lgkmcnt(0)
	v_cmp_neq_f64_e32 vcc, 0, v[200:201]
	s_and_b64 exec, exec, vcc
	s_cbranch_execz .LBB73_129
; %bb.128:
	v_div_scale_f64 v[202:203], s[6:7], v[200:201], v[200:201], 1.0
	v_rcp_f64_e32 v[204:205], v[202:203]
	v_div_scale_f64 v[206:207], vcc, 1.0, v[200:201], 1.0
	v_fma_f64 v[208:209], -v[202:203], v[204:205], 1.0
	v_fmac_f64_e32 v[204:205], v[204:205], v[208:209]
	v_fma_f64 v[208:209], -v[202:203], v[204:205], 1.0
	v_fmac_f64_e32 v[204:205], v[204:205], v[208:209]
	v_mul_f64 v[208:209], v[206:207], v[204:205]
	v_fma_f64 v[202:203], -v[202:203], v[208:209], v[206:207]
	v_div_fmas_f64 v[202:203], v[202:203], v[204:205], v[208:209]
	v_div_fixup_f64 v[200:201], v[202:203], v[200:201], 1.0
	ds_write_b64 v222, v[200:201]
.LBB73_129:
	s_or_b64 exec, exec, s[2:3]
	s_waitcnt lgkmcnt(0)
	s_barrier
	ds_read_b64 v[200:201], v222
	v_cmp_lt_u32_e32 vcc, 25, v224
	s_and_saveexec_b64 s[2:3], vcc
	s_cbranch_execz .LBB73_131
; %bb.130:
	ds_read2_b64 v[202:205], v223 offset0:26 offset1:27
	ds_read2_b64 v[206:209], v223 offset0:28 offset1:29
	;; [unrolled: 1-line block ×3, first 2 shown]
	s_waitcnt vmcnt(11) lgkmcnt(3)
	v_mul_f64 v[88:89], v[200:201], v[88:89]
	s_waitcnt vmcnt(10) lgkmcnt(2)
	v_fma_f64 v[122:123], -v[88:89], v[202:203], v[122:123]
	s_waitcnt vmcnt(9)
	v_fma_f64 v[86:87], -v[88:89], v[204:205], v[86:87]
	ds_read2_b64 v[202:205], v223 offset0:32 offset1:33
	s_waitcnt vmcnt(8) lgkmcnt(2)
	v_fma_f64 v[120:121], -v[88:89], v[206:207], v[120:121]
	s_waitcnt vmcnt(7)
	v_fma_f64 v[84:85], -v[88:89], v[208:209], v[84:85]
	s_waitcnt vmcnt(6) lgkmcnt(1)
	v_fma_f64 v[118:119], -v[88:89], v[210:211], v[118:119]
	ds_read2_b64 v[206:209], v223 offset0:34 offset1:35
	ds_read_b64 v[210:211], v223 offset:288
	s_waitcnt vmcnt(5)
	v_fma_f64 v[82:83], -v[88:89], v[212:213], v[82:83]
	s_waitcnt vmcnt(4) lgkmcnt(2)
	v_fma_f64 v[116:117], -v[88:89], v[202:203], v[116:117]
	s_waitcnt vmcnt(3)
	v_fma_f64 v[80:81], -v[88:89], v[204:205], v[80:81]
	s_waitcnt vmcnt(2) lgkmcnt(1)
	v_fma_f64 v[114:115], -v[88:89], v[206:207], v[114:115]
	;; [unrolled: 4-line block ×3, first 2 shown]
.LBB73_131:
	s_or_b64 exec, exec, s[2:3]
	v_cmp_eq_u32_e32 vcc, 26, v224
	s_waitcnt lgkmcnt(0)
	s_barrier
	s_and_saveexec_b64 s[2:3], vcc
	s_cbranch_execz .LBB73_134
; %bb.132:
	s_waitcnt vmcnt(10)
	ds_write_b64 v222, v[122:123]
	s_waitcnt vmcnt(8)
	ds_write2_b64 v223, v[86:87], v[120:121] offset0:27 offset1:28
	s_waitcnt vmcnt(6)
	ds_write2_b64 v223, v[84:85], v[118:119] offset0:29 offset1:30
	;; [unrolled: 2-line block ×5, first 2 shown]
	ds_read_b64 v[202:203], v222
	s_waitcnt lgkmcnt(0)
	v_cmp_neq_f64_e32 vcc, 0, v[202:203]
	s_and_b64 exec, exec, vcc
	s_cbranch_execz .LBB73_134
; %bb.133:
	v_div_scale_f64 v[204:205], s[6:7], v[202:203], v[202:203], 1.0
	v_rcp_f64_e32 v[206:207], v[204:205]
	v_div_scale_f64 v[208:209], vcc, 1.0, v[202:203], 1.0
	v_fma_f64 v[210:211], -v[204:205], v[206:207], 1.0
	v_fmac_f64_e32 v[206:207], v[206:207], v[210:211]
	v_fma_f64 v[210:211], -v[204:205], v[206:207], 1.0
	v_fmac_f64_e32 v[206:207], v[206:207], v[210:211]
	v_mul_f64 v[210:211], v[208:209], v[206:207]
	v_fma_f64 v[204:205], -v[204:205], v[210:211], v[208:209]
	v_div_fmas_f64 v[204:205], v[204:205], v[206:207], v[210:211]
	v_div_fixup_f64 v[202:203], v[204:205], v[202:203], 1.0
	ds_write_b64 v222, v[202:203]
.LBB73_134:
	s_or_b64 exec, exec, s[2:3]
	s_waitcnt lgkmcnt(0)
	s_barrier
	ds_read_b64 v[202:203], v222
	v_cmp_lt_u32_e32 vcc, 26, v224
	s_and_saveexec_b64 s[2:3], vcc
	s_cbranch_execz .LBB73_136
; %bb.135:
	ds_read2_b64 v[204:207], v223 offset0:27 offset1:28
	ds_read2_b64 v[208:211], v223 offset0:29 offset1:30
	s_waitcnt vmcnt(10) lgkmcnt(2)
	v_mul_f64 v[122:123], v[202:203], v[122:123]
	ds_read2_b64 v[212:215], v223 offset0:33 offset1:34
	s_waitcnt vmcnt(9) lgkmcnt(2)
	v_fma_f64 v[86:87], -v[122:123], v[204:205], v[86:87]
	s_waitcnt vmcnt(8)
	v_fma_f64 v[120:121], -v[122:123], v[206:207], v[120:121]
	ds_read2_b64 v[204:207], v223 offset0:31 offset1:32
	s_waitcnt vmcnt(7) lgkmcnt(2)
	v_fma_f64 v[84:85], -v[122:123], v[208:209], v[84:85]
	s_waitcnt vmcnt(6)
	v_fma_f64 v[118:119], -v[122:123], v[210:211], v[118:119]
	ds_read2_b64 v[208:211], v223 offset0:35 offset1:36
	s_waitcnt vmcnt(3) lgkmcnt(2)
	v_fma_f64 v[80:81], -v[122:123], v[212:213], v[80:81]
	s_waitcnt lgkmcnt(1)
	v_fma_f64 v[82:83], -v[122:123], v[204:205], v[82:83]
	v_fma_f64 v[116:117], -v[122:123], v[206:207], v[116:117]
	s_waitcnt vmcnt(2)
	v_fma_f64 v[114:115], -v[122:123], v[214:215], v[114:115]
	s_waitcnt vmcnt(1) lgkmcnt(0)
	v_fma_f64 v[78:79], -v[122:123], v[208:209], v[78:79]
	s_waitcnt vmcnt(0)
	v_fma_f64 v[148:149], -v[122:123], v[210:211], v[148:149]
.LBB73_136:
	s_or_b64 exec, exec, s[2:3]
	v_cmp_eq_u32_e32 vcc, 27, v224
	s_waitcnt lgkmcnt(0)
	s_barrier
	s_and_saveexec_b64 s[2:3], vcc
	s_cbranch_execz .LBB73_139
; %bb.137:
	s_waitcnt vmcnt(8)
	v_mov_b32_e32 v204, v120
	v_mov_b32_e32 v205, v121
	s_waitcnt vmcnt(7)
	v_mov_b32_e32 v206, v84
	v_mov_b32_e32 v207, v85
	ds_write_b64 v222, v[86:87]
	ds_write2_b64 v223, v[204:205], v[206:207] offset0:28 offset1:29
	s_waitcnt vmcnt(6)
	v_mov_b32_e32 v204, v118
	v_mov_b32_e32 v205, v119
	s_waitcnt vmcnt(5)
	v_mov_b32_e32 v206, v82
	v_mov_b32_e32 v207, v83
	ds_write2_b64 v223, v[204:205], v[206:207] offset0:30 offset1:31
	s_waitcnt vmcnt(4)
	v_mov_b32_e32 v204, v116
	v_mov_b32_e32 v205, v117
	s_waitcnt vmcnt(3)
	v_mov_b32_e32 v206, v80
	v_mov_b32_e32 v207, v81
	;; [unrolled: 7-line block ×3, first 2 shown]
	ds_write2_b64 v223, v[204:205], v[206:207] offset0:34 offset1:35
	s_waitcnt vmcnt(0)
	ds_write_b64 v223, v[148:149] offset:288
	ds_read_b64 v[204:205], v222
	s_waitcnt lgkmcnt(0)
	v_cmp_neq_f64_e32 vcc, 0, v[204:205]
	s_and_b64 exec, exec, vcc
	s_cbranch_execz .LBB73_139
; %bb.138:
	v_div_scale_f64 v[206:207], s[6:7], v[204:205], v[204:205], 1.0
	v_rcp_f64_e32 v[208:209], v[206:207]
	v_div_scale_f64 v[210:211], vcc, 1.0, v[204:205], 1.0
	v_fma_f64 v[212:213], -v[206:207], v[208:209], 1.0
	v_fmac_f64_e32 v[208:209], v[208:209], v[212:213]
	v_fma_f64 v[212:213], -v[206:207], v[208:209], 1.0
	v_fmac_f64_e32 v[208:209], v[208:209], v[212:213]
	v_mul_f64 v[212:213], v[210:211], v[208:209]
	v_fma_f64 v[206:207], -v[206:207], v[212:213], v[210:211]
	v_div_fmas_f64 v[206:207], v[206:207], v[208:209], v[212:213]
	v_div_fixup_f64 v[204:205], v[206:207], v[204:205], 1.0
	ds_write_b64 v222, v[204:205]
.LBB73_139:
	s_or_b64 exec, exec, s[2:3]
	s_waitcnt lgkmcnt(0)
	s_barrier
	ds_read_b64 v[204:205], v222
	v_cmp_lt_u32_e32 vcc, 27, v224
	s_and_saveexec_b64 s[2:3], vcc
	s_cbranch_execz .LBB73_141
; %bb.140:
	ds_read2_b64 v[206:209], v223 offset0:28 offset1:29
	ds_read2_b64 v[210:213], v223 offset0:30 offset1:31
	s_waitcnt vmcnt(9) lgkmcnt(2)
	v_mul_f64 v[86:87], v[204:205], v[86:87]
	ds_read2_b64 v[214:217], v223 offset0:34 offset1:35
	s_waitcnt vmcnt(8) lgkmcnt(2)
	v_fma_f64 v[120:121], -v[86:87], v[206:207], v[120:121]
	s_waitcnt vmcnt(7)
	v_fma_f64 v[84:85], -v[86:87], v[208:209], v[84:85]
	ds_read2_b64 v[206:209], v223 offset0:32 offset1:33
	s_waitcnt vmcnt(6) lgkmcnt(2)
	v_fma_f64 v[118:119], -v[86:87], v[210:211], v[118:119]
	ds_read_b64 v[210:211], v223 offset:288
	s_waitcnt vmcnt(5)
	v_fma_f64 v[82:83], -v[86:87], v[212:213], v[82:83]
	s_waitcnt vmcnt(2) lgkmcnt(2)
	v_fma_f64 v[114:115], -v[86:87], v[214:215], v[114:115]
	s_waitcnt lgkmcnt(1)
	v_fma_f64 v[116:117], -v[86:87], v[206:207], v[116:117]
	v_fma_f64 v[80:81], -v[86:87], v[208:209], v[80:81]
	s_waitcnt vmcnt(1)
	v_fma_f64 v[78:79], -v[86:87], v[216:217], v[78:79]
	s_waitcnt vmcnt(0) lgkmcnt(0)
	v_fma_f64 v[148:149], -v[86:87], v[210:211], v[148:149]
.LBB73_141:
	s_or_b64 exec, exec, s[2:3]
	v_cmp_eq_u32_e32 vcc, 28, v224
	s_waitcnt lgkmcnt(0)
	s_barrier
	s_and_saveexec_b64 s[2:3], vcc
	s_cbranch_execz .LBB73_144
; %bb.142:
	s_waitcnt vmcnt(8)
	ds_write_b64 v222, v[120:121]
	s_waitcnt vmcnt(6)
	ds_write2_b64 v223, v[84:85], v[118:119] offset0:29 offset1:30
	s_waitcnt vmcnt(4)
	ds_write2_b64 v223, v[82:83], v[116:117] offset0:31 offset1:32
	;; [unrolled: 2-line block ×4, first 2 shown]
	ds_read_b64 v[206:207], v222
	s_waitcnt lgkmcnt(0)
	v_cmp_neq_f64_e32 vcc, 0, v[206:207]
	s_and_b64 exec, exec, vcc
	s_cbranch_execz .LBB73_144
; %bb.143:
	v_div_scale_f64 v[208:209], s[6:7], v[206:207], v[206:207], 1.0
	v_rcp_f64_e32 v[210:211], v[208:209]
	v_div_scale_f64 v[212:213], vcc, 1.0, v[206:207], 1.0
	v_fma_f64 v[214:215], -v[208:209], v[210:211], 1.0
	v_fmac_f64_e32 v[210:211], v[210:211], v[214:215]
	v_fma_f64 v[214:215], -v[208:209], v[210:211], 1.0
	v_fmac_f64_e32 v[210:211], v[210:211], v[214:215]
	v_mul_f64 v[214:215], v[212:213], v[210:211]
	v_fma_f64 v[208:209], -v[208:209], v[214:215], v[212:213]
	v_div_fmas_f64 v[208:209], v[208:209], v[210:211], v[214:215]
	v_div_fixup_f64 v[206:207], v[208:209], v[206:207], 1.0
	ds_write_b64 v222, v[206:207]
.LBB73_144:
	s_or_b64 exec, exec, s[2:3]
	s_waitcnt lgkmcnt(0)
	s_barrier
	ds_read_b64 v[206:207], v222
	v_cmp_lt_u32_e32 vcc, 28, v224
	s_and_saveexec_b64 s[2:3], vcc
	s_cbranch_execz .LBB73_146
; %bb.145:
	ds_read2_b64 v[208:211], v223 offset0:29 offset1:30
	ds_read2_b64 v[212:215], v223 offset0:31 offset1:32
	s_waitcnt vmcnt(8) lgkmcnt(2)
	v_mul_f64 v[120:121], v[206:207], v[120:121]
	ds_read2_b64 v[216:219], v223 offset0:33 offset1:34
	s_waitcnt vmcnt(7) lgkmcnt(2)
	v_fma_f64 v[84:85], -v[120:121], v[208:209], v[84:85]
	s_waitcnt vmcnt(6)
	v_fma_f64 v[118:119], -v[120:121], v[210:211], v[118:119]
	ds_read2_b64 v[208:211], v223 offset0:35 offset1:36
	s_waitcnt vmcnt(5) lgkmcnt(2)
	v_fma_f64 v[82:83], -v[120:121], v[212:213], v[82:83]
	s_waitcnt vmcnt(4)
	v_fma_f64 v[116:117], -v[120:121], v[214:215], v[116:117]
	s_waitcnt vmcnt(3) lgkmcnt(1)
	v_fma_f64 v[80:81], -v[120:121], v[216:217], v[80:81]
	s_waitcnt vmcnt(2)
	v_fma_f64 v[114:115], -v[120:121], v[218:219], v[114:115]
	;; [unrolled: 4-line block ×3, first 2 shown]
.LBB73_146:
	s_or_b64 exec, exec, s[2:3]
	v_cmp_eq_u32_e32 vcc, 29, v224
	s_waitcnt lgkmcnt(0)
	s_barrier
	s_and_saveexec_b64 s[2:3], vcc
	s_cbranch_execz .LBB73_149
; %bb.147:
	s_waitcnt vmcnt(6)
	v_mov_b32_e32 v208, v118
	v_mov_b32_e32 v209, v119
	s_waitcnt vmcnt(5)
	v_mov_b32_e32 v210, v82
	v_mov_b32_e32 v211, v83
	ds_write_b64 v222, v[84:85]
	ds_write2_b64 v223, v[208:209], v[210:211] offset0:30 offset1:31
	s_waitcnt vmcnt(4)
	v_mov_b32_e32 v208, v116
	v_mov_b32_e32 v209, v117
	s_waitcnt vmcnt(3)
	v_mov_b32_e32 v210, v80
	v_mov_b32_e32 v211, v81
	ds_write2_b64 v223, v[208:209], v[210:211] offset0:32 offset1:33
	s_waitcnt vmcnt(2)
	v_mov_b32_e32 v208, v114
	v_mov_b32_e32 v209, v115
	s_waitcnt vmcnt(1)
	v_mov_b32_e32 v210, v78
	v_mov_b32_e32 v211, v79
	ds_write2_b64 v223, v[208:209], v[210:211] offset0:34 offset1:35
	s_waitcnt vmcnt(0)
	ds_write_b64 v223, v[148:149] offset:288
	ds_read_b64 v[208:209], v222
	s_waitcnt lgkmcnt(0)
	v_cmp_neq_f64_e32 vcc, 0, v[208:209]
	s_and_b64 exec, exec, vcc
	s_cbranch_execz .LBB73_149
; %bb.148:
	v_div_scale_f64 v[210:211], s[6:7], v[208:209], v[208:209], 1.0
	v_rcp_f64_e32 v[212:213], v[210:211]
	v_div_scale_f64 v[214:215], vcc, 1.0, v[208:209], 1.0
	v_fma_f64 v[216:217], -v[210:211], v[212:213], 1.0
	v_fmac_f64_e32 v[212:213], v[212:213], v[216:217]
	v_fma_f64 v[216:217], -v[210:211], v[212:213], 1.0
	v_fmac_f64_e32 v[212:213], v[212:213], v[216:217]
	v_mul_f64 v[216:217], v[214:215], v[212:213]
	v_fma_f64 v[210:211], -v[210:211], v[216:217], v[214:215]
	v_div_fmas_f64 v[210:211], v[210:211], v[212:213], v[216:217]
	v_div_fixup_f64 v[208:209], v[210:211], v[208:209], 1.0
	ds_write_b64 v222, v[208:209]
.LBB73_149:
	s_or_b64 exec, exec, s[2:3]
	s_waitcnt lgkmcnt(0)
	s_barrier
	ds_read_b64 v[208:209], v222
	v_cmp_lt_u32_e32 vcc, 29, v224
	s_and_saveexec_b64 s[2:3], vcc
	s_cbranch_execz .LBB73_151
; %bb.150:
	ds_read2_b64 v[210:213], v223 offset0:30 offset1:31
	ds_read2_b64 v[214:217], v223 offset0:32 offset1:33
	s_waitcnt vmcnt(7) lgkmcnt(2)
	v_mul_f64 v[84:85], v[208:209], v[84:85]
	ds_read2_b64 v[218:221], v223 offset0:34 offset1:35
	s_waitcnt vmcnt(6) lgkmcnt(2)
	v_fma_f64 v[118:119], -v[84:85], v[210:211], v[118:119]
	ds_read_b64 v[210:211], v223 offset:288
	s_waitcnt vmcnt(5)
	v_fma_f64 v[82:83], -v[84:85], v[212:213], v[82:83]
	s_waitcnt vmcnt(4) lgkmcnt(2)
	v_fma_f64 v[116:117], -v[84:85], v[214:215], v[116:117]
	s_waitcnt vmcnt(3)
	v_fma_f64 v[80:81], -v[84:85], v[216:217], v[80:81]
	s_waitcnt vmcnt(2) lgkmcnt(1)
	v_fma_f64 v[114:115], -v[84:85], v[218:219], v[114:115]
	;; [unrolled: 4-line block ×3, first 2 shown]
.LBB73_151:
	s_or_b64 exec, exec, s[2:3]
	v_cmp_eq_u32_e32 vcc, 30, v224
	s_waitcnt lgkmcnt(0)
	s_barrier
	s_and_saveexec_b64 s[2:3], vcc
	s_cbranch_execz .LBB73_154
; %bb.152:
	s_waitcnt vmcnt(6)
	ds_write_b64 v222, v[118:119]
	s_waitcnt vmcnt(4)
	ds_write2_b64 v223, v[82:83], v[116:117] offset0:31 offset1:32
	s_waitcnt vmcnt(2)
	ds_write2_b64 v223, v[80:81], v[114:115] offset0:33 offset1:34
	;; [unrolled: 2-line block ×3, first 2 shown]
	ds_read_b64 v[210:211], v222
	s_waitcnt lgkmcnt(0)
	v_cmp_neq_f64_e32 vcc, 0, v[210:211]
	s_and_b64 exec, exec, vcc
	s_cbranch_execz .LBB73_154
; %bb.153:
	v_div_scale_f64 v[212:213], s[6:7], v[210:211], v[210:211], 1.0
	v_rcp_f64_e32 v[214:215], v[212:213]
	v_div_scale_f64 v[216:217], vcc, 1.0, v[210:211], 1.0
	v_fma_f64 v[218:219], -v[212:213], v[214:215], 1.0
	v_fmac_f64_e32 v[214:215], v[214:215], v[218:219]
	v_fma_f64 v[218:219], -v[212:213], v[214:215], 1.0
	v_fmac_f64_e32 v[214:215], v[214:215], v[218:219]
	v_mul_f64 v[218:219], v[216:217], v[214:215]
	v_fma_f64 v[212:213], -v[212:213], v[218:219], v[216:217]
	v_div_fmas_f64 v[212:213], v[212:213], v[214:215], v[218:219]
	v_div_fixup_f64 v[210:211], v[212:213], v[210:211], 1.0
	ds_write_b64 v222, v[210:211]
.LBB73_154:
	s_or_b64 exec, exec, s[2:3]
	s_waitcnt lgkmcnt(0)
	s_barrier
	ds_read_b64 v[210:211], v222
	v_cmp_lt_u32_e32 vcc, 30, v224
	s_and_saveexec_b64 s[2:3], vcc
	s_cbranch_execz .LBB73_156
; %bb.155:
	ds_read2_b64 v[212:215], v223 offset0:31 offset1:32
	ds_read2_b64 v[216:219], v223 offset0:33 offset1:34
	;; [unrolled: 1-line block ×3, first 2 shown]
	s_waitcnt vmcnt(6) lgkmcnt(3)
	v_mul_f64 v[118:119], v[210:211], v[118:119]
	s_waitcnt vmcnt(5) lgkmcnt(2)
	v_fma_f64 v[82:83], -v[118:119], v[212:213], v[82:83]
	s_waitcnt vmcnt(4)
	v_fma_f64 v[116:117], -v[118:119], v[214:215], v[116:117]
	s_waitcnt vmcnt(3) lgkmcnt(1)
	v_fma_f64 v[80:81], -v[118:119], v[216:217], v[80:81]
	s_waitcnt vmcnt(2)
	v_fma_f64 v[114:115], -v[118:119], v[218:219], v[114:115]
	s_waitcnt vmcnt(1) lgkmcnt(0)
	v_fma_f64 v[78:79], -v[118:119], v[226:227], v[78:79]
	s_waitcnt vmcnt(0)
	v_fma_f64 v[148:149], -v[118:119], v[228:229], v[148:149]
.LBB73_156:
	s_or_b64 exec, exec, s[2:3]
	v_cmp_eq_u32_e32 vcc, 31, v224
	s_waitcnt lgkmcnt(0)
	s_barrier
	s_and_saveexec_b64 s[2:3], vcc
	s_cbranch_execz .LBB73_159
; %bb.157:
	s_waitcnt vmcnt(4)
	v_mov_b32_e32 v212, v116
	v_mov_b32_e32 v213, v117
	s_waitcnt vmcnt(3)
	v_mov_b32_e32 v214, v80
	v_mov_b32_e32 v215, v81
	ds_write_b64 v222, v[82:83]
	ds_write2_b64 v223, v[212:213], v[214:215] offset0:32 offset1:33
	s_waitcnt vmcnt(2)
	v_mov_b32_e32 v212, v114
	v_mov_b32_e32 v213, v115
	s_waitcnt vmcnt(1)
	v_mov_b32_e32 v214, v78
	v_mov_b32_e32 v215, v79
	ds_write2_b64 v223, v[212:213], v[214:215] offset0:34 offset1:35
	s_waitcnt vmcnt(0)
	ds_write_b64 v223, v[148:149] offset:288
	ds_read_b64 v[212:213], v222
	s_waitcnt lgkmcnt(0)
	v_cmp_neq_f64_e32 vcc, 0, v[212:213]
	s_and_b64 exec, exec, vcc
	s_cbranch_execz .LBB73_159
; %bb.158:
	v_div_scale_f64 v[214:215], s[6:7], v[212:213], v[212:213], 1.0
	v_rcp_f64_e32 v[216:217], v[214:215]
	v_div_scale_f64 v[218:219], vcc, 1.0, v[212:213], 1.0
	v_fma_f64 v[220:221], -v[214:215], v[216:217], 1.0
	v_fmac_f64_e32 v[216:217], v[216:217], v[220:221]
	v_fma_f64 v[220:221], -v[214:215], v[216:217], 1.0
	v_fmac_f64_e32 v[216:217], v[216:217], v[220:221]
	v_mul_f64 v[220:221], v[218:219], v[216:217]
	v_fma_f64 v[214:215], -v[214:215], v[220:221], v[218:219]
	v_div_fmas_f64 v[214:215], v[214:215], v[216:217], v[220:221]
	v_div_fixup_f64 v[212:213], v[214:215], v[212:213], 1.0
	ds_write_b64 v222, v[212:213]
.LBB73_159:
	s_or_b64 exec, exec, s[2:3]
	s_waitcnt lgkmcnt(0)
	s_barrier
	ds_read_b64 v[212:213], v222
	v_cmp_lt_u32_e32 vcc, 31, v224
	s_and_saveexec_b64 s[2:3], vcc
	s_cbranch_execz .LBB73_161
; %bb.160:
	ds_read2_b64 v[214:217], v223 offset0:32 offset1:33
	ds_read2_b64 v[218:221], v223 offset0:34 offset1:35
	ds_read_b64 v[226:227], v223 offset:288
	s_waitcnt vmcnt(5) lgkmcnt(3)
	v_mul_f64 v[82:83], v[212:213], v[82:83]
	s_waitcnt vmcnt(4) lgkmcnt(2)
	v_fma_f64 v[116:117], -v[82:83], v[214:215], v[116:117]
	s_waitcnt vmcnt(3)
	v_fma_f64 v[80:81], -v[82:83], v[216:217], v[80:81]
	s_waitcnt vmcnt(2) lgkmcnt(1)
	v_fma_f64 v[114:115], -v[82:83], v[218:219], v[114:115]
	s_waitcnt vmcnt(1)
	v_fma_f64 v[78:79], -v[82:83], v[220:221], v[78:79]
	s_waitcnt vmcnt(0) lgkmcnt(0)
	v_fma_f64 v[148:149], -v[82:83], v[226:227], v[148:149]
.LBB73_161:
	s_or_b64 exec, exec, s[2:3]
	v_cmp_eq_u32_e32 vcc, 32, v224
	s_waitcnt lgkmcnt(0)
	s_barrier
	s_and_saveexec_b64 s[2:3], vcc
	s_cbranch_execz .LBB73_164
; %bb.162:
	s_waitcnt vmcnt(4)
	ds_write_b64 v222, v[116:117]
	s_waitcnt vmcnt(2)
	ds_write2_b64 v223, v[80:81], v[114:115] offset0:33 offset1:34
	s_waitcnt vmcnt(0)
	ds_write2_b64 v223, v[78:79], v[148:149] offset0:35 offset1:36
	ds_read_b64 v[214:215], v222
	s_waitcnt lgkmcnt(0)
	v_cmp_neq_f64_e32 vcc, 0, v[214:215]
	s_and_b64 exec, exec, vcc
	s_cbranch_execz .LBB73_164
; %bb.163:
	v_div_scale_f64 v[216:217], s[6:7], v[214:215], v[214:215], 1.0
	v_rcp_f64_e32 v[218:219], v[216:217]
	v_div_scale_f64 v[220:221], vcc, 1.0, v[214:215], 1.0
	v_fma_f64 v[226:227], -v[216:217], v[218:219], 1.0
	v_fmac_f64_e32 v[218:219], v[218:219], v[226:227]
	v_fma_f64 v[226:227], -v[216:217], v[218:219], 1.0
	v_fmac_f64_e32 v[218:219], v[218:219], v[226:227]
	v_mul_f64 v[226:227], v[220:221], v[218:219]
	v_fma_f64 v[216:217], -v[216:217], v[226:227], v[220:221]
	v_div_fmas_f64 v[216:217], v[216:217], v[218:219], v[226:227]
	v_div_fixup_f64 v[214:215], v[216:217], v[214:215], 1.0
	ds_write_b64 v222, v[214:215]
.LBB73_164:
	s_or_b64 exec, exec, s[2:3]
	s_waitcnt lgkmcnt(0)
	s_barrier
	ds_read_b64 v[214:215], v222
	v_cmp_lt_u32_e32 vcc, 32, v224
	s_and_saveexec_b64 s[2:3], vcc
	s_cbranch_execz .LBB73_166
; %bb.165:
	ds_read2_b64 v[216:219], v223 offset0:33 offset1:34
	ds_read2_b64 v[226:229], v223 offset0:35 offset1:36
	s_waitcnt vmcnt(4) lgkmcnt(2)
	v_mul_f64 v[116:117], v[214:215], v[116:117]
	s_waitcnt vmcnt(3) lgkmcnt(1)
	v_fma_f64 v[80:81], -v[116:117], v[216:217], v[80:81]
	s_waitcnt vmcnt(2)
	v_fma_f64 v[114:115], -v[116:117], v[218:219], v[114:115]
	s_waitcnt vmcnt(1) lgkmcnt(0)
	v_fma_f64 v[78:79], -v[116:117], v[226:227], v[78:79]
	s_waitcnt vmcnt(0)
	v_fma_f64 v[148:149], -v[116:117], v[228:229], v[148:149]
.LBB73_166:
	s_or_b64 exec, exec, s[2:3]
	v_cmp_eq_u32_e32 vcc, 33, v224
	s_waitcnt lgkmcnt(0)
	s_barrier
	s_and_saveexec_b64 s[2:3], vcc
	s_cbranch_execz .LBB73_169
; %bb.167:
	s_waitcnt vmcnt(2)
	v_mov_b32_e32 v216, v114
	v_mov_b32_e32 v217, v115
	s_waitcnt vmcnt(1)
	v_mov_b32_e32 v218, v78
	v_mov_b32_e32 v219, v79
	ds_write_b64 v222, v[80:81]
	ds_write2_b64 v223, v[216:217], v[218:219] offset0:34 offset1:35
	s_waitcnt vmcnt(0)
	ds_write_b64 v223, v[148:149] offset:288
	ds_read_b64 v[216:217], v222
	s_waitcnt lgkmcnt(0)
	v_cmp_neq_f64_e32 vcc, 0, v[216:217]
	s_and_b64 exec, exec, vcc
	s_cbranch_execz .LBB73_169
; %bb.168:
	v_div_scale_f64 v[218:219], s[6:7], v[216:217], v[216:217], 1.0
	v_rcp_f64_e32 v[220:221], v[218:219]
	v_div_scale_f64 v[226:227], vcc, 1.0, v[216:217], 1.0
	v_fma_f64 v[228:229], -v[218:219], v[220:221], 1.0
	v_fmac_f64_e32 v[220:221], v[220:221], v[228:229]
	v_fma_f64 v[228:229], -v[218:219], v[220:221], 1.0
	v_fmac_f64_e32 v[220:221], v[220:221], v[228:229]
	v_mul_f64 v[228:229], v[226:227], v[220:221]
	v_fma_f64 v[218:219], -v[218:219], v[228:229], v[226:227]
	v_div_fmas_f64 v[218:219], v[218:219], v[220:221], v[228:229]
	v_div_fixup_f64 v[216:217], v[218:219], v[216:217], 1.0
	ds_write_b64 v222, v[216:217]
.LBB73_169:
	s_or_b64 exec, exec, s[2:3]
	s_waitcnt lgkmcnt(0)
	s_barrier
	ds_read_b64 v[216:217], v222
	v_cmp_lt_u32_e32 vcc, 33, v224
	s_and_saveexec_b64 s[2:3], vcc
	s_cbranch_execz .LBB73_171
; %bb.170:
	ds_read2_b64 v[218:221], v223 offset0:34 offset1:35
	ds_read_b64 v[226:227], v223 offset:288
	s_waitcnt vmcnt(3) lgkmcnt(2)
	v_mul_f64 v[80:81], v[216:217], v[80:81]
	s_waitcnt vmcnt(2) lgkmcnt(1)
	v_fma_f64 v[114:115], -v[80:81], v[218:219], v[114:115]
	s_waitcnt vmcnt(1)
	v_fma_f64 v[78:79], -v[80:81], v[220:221], v[78:79]
	s_waitcnt vmcnt(0) lgkmcnt(0)
	v_fma_f64 v[148:149], -v[80:81], v[226:227], v[148:149]
.LBB73_171:
	s_or_b64 exec, exec, s[2:3]
	v_cmp_eq_u32_e32 vcc, 34, v224
	s_waitcnt lgkmcnt(0)
	s_barrier
	s_and_saveexec_b64 s[2:3], vcc
	s_cbranch_execz .LBB73_174
; %bb.172:
	s_waitcnt vmcnt(2)
	ds_write_b64 v222, v[114:115]
	s_waitcnt vmcnt(0)
	ds_write2_b64 v223, v[78:79], v[148:149] offset0:35 offset1:36
	ds_read_b64 v[218:219], v222
	s_waitcnt lgkmcnt(0)
	v_cmp_neq_f64_e32 vcc, 0, v[218:219]
	s_and_b64 exec, exec, vcc
	s_cbranch_execz .LBB73_174
; %bb.173:
	v_div_scale_f64 v[220:221], s[6:7], v[218:219], v[218:219], 1.0
	v_rcp_f64_e32 v[226:227], v[220:221]
	v_div_scale_f64 v[228:229], vcc, 1.0, v[218:219], 1.0
	v_fma_f64 v[230:231], -v[220:221], v[226:227], 1.0
	v_fmac_f64_e32 v[226:227], v[226:227], v[230:231]
	v_fma_f64 v[230:231], -v[220:221], v[226:227], 1.0
	v_fmac_f64_e32 v[226:227], v[226:227], v[230:231]
	v_mul_f64 v[230:231], v[228:229], v[226:227]
	v_fma_f64 v[220:221], -v[220:221], v[230:231], v[228:229]
	v_div_fmas_f64 v[220:221], v[220:221], v[226:227], v[230:231]
	v_div_fixup_f64 v[218:219], v[220:221], v[218:219], 1.0
	ds_write_b64 v222, v[218:219]
.LBB73_174:
	s_or_b64 exec, exec, s[2:3]
	s_waitcnt lgkmcnt(0)
	s_barrier
	ds_read_b64 v[218:219], v222
	v_cmp_lt_u32_e32 vcc, 34, v224
	s_and_saveexec_b64 s[2:3], vcc
	s_cbranch_execz .LBB73_176
; %bb.175:
	ds_read2_b64 v[226:229], v223 offset0:35 offset1:36
	s_waitcnt vmcnt(2) lgkmcnt(1)
	v_mul_f64 v[114:115], v[218:219], v[114:115]
	s_waitcnt vmcnt(1) lgkmcnt(0)
	v_fma_f64 v[78:79], -v[114:115], v[226:227], v[78:79]
	s_waitcnt vmcnt(0)
	v_fma_f64 v[148:149], -v[114:115], v[228:229], v[148:149]
.LBB73_176:
	s_or_b64 exec, exec, s[2:3]
	v_cmp_eq_u32_e32 vcc, 35, v224
	s_waitcnt lgkmcnt(0)
	s_barrier
	s_and_saveexec_b64 s[2:3], vcc
	s_cbranch_execz .LBB73_179
; %bb.177:
	s_waitcnt vmcnt(1)
	ds_write_b64 v222, v[78:79]
	s_waitcnt vmcnt(0)
	ds_write_b64 v223, v[148:149] offset:288
	ds_read_b64 v[220:221], v222
	s_waitcnt lgkmcnt(0)
	v_cmp_neq_f64_e32 vcc, 0, v[220:221]
	s_and_b64 exec, exec, vcc
	s_cbranch_execz .LBB73_179
; %bb.178:
	v_div_scale_f64 v[226:227], s[6:7], v[220:221], v[220:221], 1.0
	v_rcp_f64_e32 v[228:229], v[226:227]
	v_div_scale_f64 v[230:231], vcc, 1.0, v[220:221], 1.0
	v_fma_f64 v[232:233], -v[226:227], v[228:229], 1.0
	v_fmac_f64_e32 v[228:229], v[228:229], v[232:233]
	v_fma_f64 v[232:233], -v[226:227], v[228:229], 1.0
	v_fmac_f64_e32 v[228:229], v[228:229], v[232:233]
	v_mul_f64 v[232:233], v[230:231], v[228:229]
	v_fma_f64 v[226:227], -v[226:227], v[232:233], v[230:231]
	v_div_fmas_f64 v[226:227], v[226:227], v[228:229], v[232:233]
	v_div_fixup_f64 v[220:221], v[226:227], v[220:221], 1.0
	ds_write_b64 v222, v[220:221]
.LBB73_179:
	s_or_b64 exec, exec, s[2:3]
	s_waitcnt lgkmcnt(0)
	s_barrier
	ds_read_b64 v[220:221], v222
	v_cmp_lt_u32_e32 vcc, 35, v224
	s_and_saveexec_b64 s[2:3], vcc
	s_cbranch_execz .LBB73_181
; %bb.180:
	ds_read_b64 v[226:227], v223 offset:288
	s_waitcnt vmcnt(1) lgkmcnt(1)
	v_mul_f64 v[78:79], v[220:221], v[78:79]
	s_waitcnt vmcnt(0) lgkmcnt(0)
	v_fma_f64 v[148:149], -v[78:79], v[226:227], v[148:149]
.LBB73_181:
	s_or_b64 exec, exec, s[2:3]
	v_cmp_eq_u32_e32 vcc, 36, v224
	s_waitcnt lgkmcnt(0)
	s_barrier
	s_and_saveexec_b64 s[2:3], vcc
	s_cbranch_execz .LBB73_184
; %bb.182:
	s_waitcnt vmcnt(0)
	v_cmp_neq_f64_e32 vcc, 0, v[148:149]
	ds_write_b64 v222, v[148:149]
	s_and_b64 exec, exec, vcc
	s_cbranch_execz .LBB73_184
; %bb.183:
	v_div_scale_f64 v[226:227], s[6:7], v[148:149], v[148:149], 1.0
	v_rcp_f64_e32 v[228:229], v[226:227]
	v_div_scale_f64 v[230:231], vcc, 1.0, v[148:149], 1.0
	v_fma_f64 v[232:233], -v[226:227], v[228:229], 1.0
	v_fmac_f64_e32 v[228:229], v[228:229], v[232:233]
	v_fma_f64 v[232:233], -v[226:227], v[228:229], 1.0
	v_fmac_f64_e32 v[228:229], v[228:229], v[232:233]
	v_mul_f64 v[232:233], v[230:231], v[228:229]
	v_fma_f64 v[226:227], -v[226:227], v[232:233], v[230:231]
	v_div_fmas_f64 v[226:227], v[226:227], v[228:229], v[232:233]
	v_div_fixup_f64 v[226:227], v[226:227], v[148:149], 1.0
	ds_write_b64 v222, v[226:227]
.LBB73_184:
	s_or_b64 exec, exec, s[2:3]
	s_waitcnt lgkmcnt(0)
	s_barrier
	ds_read_b64 v[222:223], v222
	s_waitcnt lgkmcnt(0)
	s_barrier
	s_and_saveexec_b64 s[2:3], s[0:1]
	s_cbranch_execz .LBB73_187
; %bb.185:
	v_cmp_eq_f64_e32 vcc, 0, v[150:151]
	v_cmp_neq_f64_e64 s[0:1], 0, v[152:153]
	v_cndmask_b32_e64 v150, 0, 1, vcc
	s_or_b64 vcc, s[0:1], vcc
	v_cndmask_b32_e32 v150, 2, v150, vcc
	v_cmp_eq_f64_e32 vcc, 0, v[154:155]
	v_cmp_eq_u32_e64 s[0:1], 0, v150
	s_and_b64 s[0:1], vcc, s[0:1]
	v_cndmask_b32_e64 v150, v150, 3, s[0:1]
	v_cmp_eq_f64_e32 vcc, 0, v[156:157]
	v_cmp_eq_u32_e64 s[0:1], 0, v150
	s_and_b64 s[0:1], vcc, s[0:1]
	v_cndmask_b32_e64 v150, v150, 4, s[0:1]
	;; [unrolled: 4-line block ×13, first 2 shown]
	v_cmp_eq_f64_e32 vcc, 0, v[180:181]
	v_cmp_eq_u32_e64 s[0:1], 0, v150
	s_load_dwordx2 s[4:5], s[4:5], 0x28
	s_and_b64 s[0:1], vcc, s[0:1]
	v_cndmask_b32_e64 v150, v150, 16, s[0:1]
	v_cmp_eq_f64_e32 vcc, 0, v[182:183]
	v_cmp_eq_u32_e64 s[0:1], 0, v150
	s_and_b64 s[0:1], vcc, s[0:1]
	v_lshlrev_b64 v[2:3], 2, v[2:3]
	v_cndmask_b32_e64 v150, v150, 17, s[0:1]
	s_waitcnt lgkmcnt(0)
	v_mov_b32_e32 v151, s5
	v_add_co_u32_e64 v2, s[0:1], s4, v2
	v_addc_co_u32_e64 v3, s[0:1], v151, v3, s[0:1]
	global_load_dword v151, v[2:3], off
	v_cmp_eq_f64_e32 vcc, 0, v[184:185]
	v_cmp_eq_u32_e64 s[0:1], 0, v150
	s_and_b64 s[0:1], vcc, s[0:1]
	v_cndmask_b32_e64 v150, v150, 18, s[0:1]
	v_cmp_eq_f64_e32 vcc, 0, v[186:187]
	v_cmp_eq_u32_e64 s[0:1], 0, v150
	s_and_b64 s[0:1], vcc, s[0:1]
	v_cndmask_b32_e64 v150, v150, 19, s[0:1]
	;; [unrolled: 4-line block ×20, first 2 shown]
	s_waitcnt vmcnt(0)
	v_cmp_eq_u32_e32 vcc, 0, v151
	v_cmp_ne_u32_e64 s[0:1], 0, v150
	s_and_b64 s[0:1], vcc, s[0:1]
	s_and_b64 exec, exec, s[0:1]
	s_cbranch_execz .LBB73_187
; %bb.186:
	v_add_u32_e32 v150, s9, v150
	global_store_dword v[2:3], v150, off
.LBB73_187:
	s_or_b64 exec, exec, s[2:3]
	s_waitcnt vmcnt(0)
	v_mul_f64 v[2:3], v[222:223], v[148:149]
	v_cmp_lt_u32_e32 vcc, 36, v224
	v_cndmask_b32_e32 v3, v149, v3, vcc
	v_cndmask_b32_e32 v2, v148, v2, vcc
	global_store_dwordx2 v[72:73], v[76:77], off
	global_store_dwordx2 v[74:75], v[112:113], off
	;; [unrolled: 1-line block ×37, first 2 shown]
.LBB73_188:
	s_endpgm
	.section	.rodata,"a",@progbits
	.p2align	6, 0x0
	.amdhsa_kernel _ZN9rocsolver6v33100L23getf2_npvt_small_kernelILi37EdiiPKPdEEvT1_T3_lS5_lPT2_S5_S5_
		.amdhsa_group_segment_fixed_size 0
		.amdhsa_private_segment_fixed_size 0
		.amdhsa_kernarg_size 312
		.amdhsa_user_sgpr_count 6
		.amdhsa_user_sgpr_private_segment_buffer 1
		.amdhsa_user_sgpr_dispatch_ptr 0
		.amdhsa_user_sgpr_queue_ptr 0
		.amdhsa_user_sgpr_kernarg_segment_ptr 1
		.amdhsa_user_sgpr_dispatch_id 0
		.amdhsa_user_sgpr_flat_scratch_init 0
		.amdhsa_user_sgpr_kernarg_preload_length 0
		.amdhsa_user_sgpr_kernarg_preload_offset 0
		.amdhsa_user_sgpr_private_segment_size 0
		.amdhsa_uses_dynamic_stack 0
		.amdhsa_system_sgpr_private_segment_wavefront_offset 0
		.amdhsa_system_sgpr_workgroup_id_x 1
		.amdhsa_system_sgpr_workgroup_id_y 1
		.amdhsa_system_sgpr_workgroup_id_z 0
		.amdhsa_system_sgpr_workgroup_info 0
		.amdhsa_system_vgpr_workitem_id 1
		.amdhsa_next_free_vgpr 234
		.amdhsa_next_free_sgpr 16
		.amdhsa_accum_offset 236
		.amdhsa_reserve_vcc 1
		.amdhsa_reserve_flat_scratch 0
		.amdhsa_float_round_mode_32 0
		.amdhsa_float_round_mode_16_64 0
		.amdhsa_float_denorm_mode_32 3
		.amdhsa_float_denorm_mode_16_64 3
		.amdhsa_dx10_clamp 1
		.amdhsa_ieee_mode 1
		.amdhsa_fp16_overflow 0
		.amdhsa_tg_split 0
		.amdhsa_exception_fp_ieee_invalid_op 0
		.amdhsa_exception_fp_denorm_src 0
		.amdhsa_exception_fp_ieee_div_zero 0
		.amdhsa_exception_fp_ieee_overflow 0
		.amdhsa_exception_fp_ieee_underflow 0
		.amdhsa_exception_fp_ieee_inexact 0
		.amdhsa_exception_int_div_zero 0
	.end_amdhsa_kernel
	.section	.text._ZN9rocsolver6v33100L23getf2_npvt_small_kernelILi37EdiiPKPdEEvT1_T3_lS5_lPT2_S5_S5_,"axG",@progbits,_ZN9rocsolver6v33100L23getf2_npvt_small_kernelILi37EdiiPKPdEEvT1_T3_lS5_lPT2_S5_S5_,comdat
.Lfunc_end73:
	.size	_ZN9rocsolver6v33100L23getf2_npvt_small_kernelILi37EdiiPKPdEEvT1_T3_lS5_lPT2_S5_S5_, .Lfunc_end73-_ZN9rocsolver6v33100L23getf2_npvt_small_kernelILi37EdiiPKPdEEvT1_T3_lS5_lPT2_S5_S5_
                                        ; -- End function
	.section	.AMDGPU.csdata,"",@progbits
; Kernel info:
; codeLenInByte = 27364
; NumSgprs: 20
; NumVgprs: 234
; NumAgprs: 0
; TotalNumVgprs: 234
; ScratchSize: 0
; MemoryBound: 0
; FloatMode: 240
; IeeeMode: 1
; LDSByteSize: 0 bytes/workgroup (compile time only)
; SGPRBlocks: 2
; VGPRBlocks: 29
; NumSGPRsForWavesPerEU: 20
; NumVGPRsForWavesPerEU: 234
; AccumOffset: 236
; Occupancy: 2
; WaveLimiterHint : 1
; COMPUTE_PGM_RSRC2:SCRATCH_EN: 0
; COMPUTE_PGM_RSRC2:USER_SGPR: 6
; COMPUTE_PGM_RSRC2:TRAP_HANDLER: 0
; COMPUTE_PGM_RSRC2:TGID_X_EN: 1
; COMPUTE_PGM_RSRC2:TGID_Y_EN: 1
; COMPUTE_PGM_RSRC2:TGID_Z_EN: 0
; COMPUTE_PGM_RSRC2:TIDIG_COMP_CNT: 1
; COMPUTE_PGM_RSRC3_GFX90A:ACCUM_OFFSET: 58
; COMPUTE_PGM_RSRC3_GFX90A:TG_SPLIT: 0
	.section	.text._ZN9rocsolver6v33100L18getf2_small_kernelILi38EdiiPKPdEEvT1_T3_lS5_lPS5_llPT2_S5_S5_S7_l,"axG",@progbits,_ZN9rocsolver6v33100L18getf2_small_kernelILi38EdiiPKPdEEvT1_T3_lS5_lPS5_llPT2_S5_S5_S7_l,comdat
	.globl	_ZN9rocsolver6v33100L18getf2_small_kernelILi38EdiiPKPdEEvT1_T3_lS5_lPS5_llPT2_S5_S5_S7_l ; -- Begin function _ZN9rocsolver6v33100L18getf2_small_kernelILi38EdiiPKPdEEvT1_T3_lS5_lPS5_llPT2_S5_S5_S7_l
	.p2align	8
	.type	_ZN9rocsolver6v33100L18getf2_small_kernelILi38EdiiPKPdEEvT1_T3_lS5_lPS5_llPT2_S5_S5_S7_l,@function
_ZN9rocsolver6v33100L18getf2_small_kernelILi38EdiiPKPdEEvT1_T3_lS5_lPS5_llPT2_S5_S5_S7_l: ; @_ZN9rocsolver6v33100L18getf2_small_kernelILi38EdiiPKPdEEvT1_T3_lS5_lPS5_llPT2_S5_S5_S7_l
; %bb.0:
	s_load_dword s0, s[4:5], 0x6c
	s_load_dwordx2 s[12:13], s[4:5], 0x48
	v_bfe_u32 v80, v0, 10, 10
	s_waitcnt lgkmcnt(0)
	s_lshr_b32 s0, s0, 16
	s_mul_i32 s7, s7, s0
	v_add_u32_e32 v2, s7, v80
	v_cmp_gt_i32_e32 vcc, s12, v2
	s_and_saveexec_b64 s[0:1], vcc
	s_cbranch_execz .LBB74_643
; %bb.1:
	s_load_dwordx4 s[0:3], s[4:5], 0x8
	s_load_dwordx4 s[8:11], s[4:5], 0x50
	v_ashrrev_i32_e32 v3, 31, v2
	v_lshlrev_b64 v[4:5], 3, v[2:3]
	s_waitcnt lgkmcnt(0)
	v_mov_b32_e32 v1, s1
	v_add_co_u32_e32 v4, vcc, s0, v4
	v_addc_co_u32_e32 v5, vcc, v1, v5, vcc
	global_load_dwordx2 v[6:7], v[4:5], off
	s_cmp_eq_u64 s[8:9], 0
	s_cselect_b64 s[6:7], -1, 0
	s_and_b64 vcc, exec, s[6:7]
	v_pk_mov_b32 v[4:5], 0, 0
	s_cbranch_vccnz .LBB74_3
; %bb.2:
	v_mul_lo_u32 v1, v3, s10
	v_mul_lo_u32 v8, v2, s11
	v_mad_u64_u32 v[4:5], s[0:1], v2, s10, 0
	v_add3_u32 v5, v5, v8, v1
	v_lshlrev_b64 v[4:5], 2, v[4:5]
	v_mov_b32_e32 v1, s9
	v_add_co_u32_e32 v4, vcc, s8, v4
	v_addc_co_u32_e32 v5, vcc, v1, v5, vcc
.LBB74_3:
	s_load_dword s8, s[4:5], 0x18
	s_load_dword s18, s[4:5], 0x0
	s_lshl_b64 s[0:1], s[2:3], 3
	v_and_b32_e32 v88, 0x3ff, v0
	v_mov_b32_e32 v1, s1
	s_waitcnt lgkmcnt(0)
	s_add_i32 s12, s8, s8
	s_waitcnt vmcnt(0)
	v_add_co_u32_e32 v86, vcc, s0, v6
	v_add_u32_e32 v0, s12, v88
	v_addc_co_u32_e32 v87, vcc, v7, v1, vcc
	v_ashrrev_i32_e32 v1, 31, v0
	v_lshlrev_b64 v[6:7], 3, v[0:1]
	v_add_u32_e32 v0, s8, v0
	v_add_co_u32_e32 v6, vcc, v86, v6
	v_ashrrev_i32_e32 v1, 31, v0
	v_addc_co_u32_e32 v7, vcc, v87, v7, vcc
	v_lshlrev_b64 v[8:9], 3, v[0:1]
	v_add_u32_e32 v0, s8, v0
	v_add_co_u32_e32 v8, vcc, v86, v8
	v_ashrrev_i32_e32 v1, 31, v0
	v_addc_co_u32_e32 v9, vcc, v87, v9, vcc
	;; [unrolled: 5-line block ×35, first 2 shown]
	v_lshlrev_b64 v[0:1], 3, v[0:1]
	v_add_co_u32_e32 v128, vcc, v86, v0
	v_addc_co_u32_e32 v129, vcc, v87, v1, vcc
	v_lshlrev_b32_e32 v81, 3, v88
	v_add_co_u32_e32 v0, vcc, v86, v81
	s_ashr_i32 s9, s8, 31
	v_addc_co_u32_e32 v1, vcc, 0, v87, vcc
	s_lshl_b64 s[10:11], s[8:9], 3
	v_mov_b32_e32 v33, s11
	v_add_co_u32_e32 v32, vcc, s10, v0
	v_addc_co_u32_e32 v33, vcc, v1, v33, vcc
	global_load_dwordx2 v[76:77], v[0:1], off
	global_load_dwordx2 v[74:75], v[32:33], off
	;; [unrolled: 1-line block ×15, first 2 shown]
                                        ; kill: killed $vgpr20 killed $vgpr21
                                        ; kill: killed $vgpr24 killed $vgpr25
                                        ; kill: killed $vgpr28 killed $vgpr29
                                        ; kill: killed $vgpr0 killed $vgpr1
                                        ; kill: killed $vgpr6 killed $vgpr7
                                        ; kill: killed $vgpr32 killed $vgpr33
                                        ; kill: killed $vgpr10 killed $vgpr11
                                        ; kill: killed $vgpr14 killed $vgpr15
                                        ; kill: killed $vgpr18 killed $vgpr19
                                        ; kill: killed $vgpr22 killed $vgpr23
                                        ; kill: killed $vgpr26 killed $vgpr27
                                        ; kill: killed $vgpr30 killed $vgpr31
                                        ; kill: killed $vgpr8 killed $vgpr9
                                        ; kill: killed $vgpr12 killed $vgpr13
                                        ; kill: killed $vgpr16 killed $vgpr17
	global_load_dwordx2 v[48:49], v[78:79], off
	global_load_dwordx2 v[44:45], v[82:83], off
	;; [unrolled: 1-line block ×15, first 2 shown]
                                        ; kill: killed $vgpr102 killed $vgpr103
                                        ; kill: killed $vgpr106 killed $vgpr107
                                        ; kill: killed $vgpr110 killed $vgpr111
                                        ; kill: killed $vgpr78 killed $vgpr79
                                        ; kill: killed $vgpr84 killed $vgpr85
                                        ; kill: killed $vgpr92 killed $vgpr93
                                        ; kill: killed $vgpr96 killed $vgpr97
                                        ; kill: killed $vgpr100 killed $vgpr101
                                        ; kill: killed $vgpr104 killed $vgpr105
                                        ; kill: killed $vgpr108 killed $vgpr109
                                        ; kill: killed $vgpr112 killed $vgpr113
                                        ; kill: killed $vgpr82 killed $vgpr83
                                        ; kill: killed $vgpr90 killed $vgpr91
                                        ; kill: killed $vgpr94 killed $vgpr95
                                        ; kill: killed $vgpr98 killed $vgpr99
	global_load_dwordx2 v[18:19], v[114:115], off
	global_load_dwordx2 v[14:15], v[116:117], off
	;; [unrolled: 1-line block ×8, first 2 shown]
	s_max_i32 s0, s18, 38
	v_mul_lo_u32 v82, s0, v80
	v_lshl_add_u32 v84, v82, 3, 0
	v_add_u32_e32 v80, v84, v81
	s_cmp_lt_i32 s18, 2
	v_lshlrev_b32_e32 v89, 3, v82
	v_mov_b32_e32 v82, 0
	s_waitcnt vmcnt(37)
	ds_write_b64 v80, v[76:77]
	s_waitcnt lgkmcnt(0)
	s_barrier
	ds_read_b64 v[80:81], v84
	s_cbranch_scc1 .LBB74_6
; %bb.4:
	v_add3_u32 v83, v89, 0, 8
	s_mov_b32 s0, 1
	v_mov_b32_e32 v82, 0
.LBB74_5:                               ; =>This Inner Loop Header: Depth=1
	ds_read_b64 v[90:91], v83
	v_mov_b32_e32 v85, s0
	s_add_i32 s0, s0, 1
	v_add_u32_e32 v83, 8, v83
	s_cmp_eq_u32 s18, s0
	s_waitcnt lgkmcnt(0)
	v_cmp_lt_f64_e64 vcc, |v[80:81]|, |v[90:91]|
	v_cndmask_b32_e32 v81, v81, v91, vcc
	v_cndmask_b32_e32 v80, v80, v90, vcc
	;; [unrolled: 1-line block ×3, first 2 shown]
	s_cbranch_scc0 .LBB74_5
.LBB74_6:
	v_cmp_ne_u32_e32 vcc, v88, v82
                                        ; implicit-def: $vgpr85
	s_and_saveexec_b64 s[0:1], vcc
	s_xor_b64 s[0:1], exec, s[0:1]
	s_cbranch_execz .LBB74_12
; %bb.7:
	v_cmp_eq_u32_e32 vcc, 0, v88
	s_and_saveexec_b64 s[2:3], vcc
	s_cbranch_execz .LBB74_11
; %bb.8:
	v_cmp_ne_u32_e32 vcc, 0, v82
	s_xor_b64 s[14:15], s[6:7], -1
	s_and_b64 s[16:17], s[14:15], vcc
	s_and_saveexec_b64 s[14:15], s[16:17]
	s_cbranch_execz .LBB74_10
; %bb.9:
	v_ashrrev_i32_e32 v83, 31, v82
	v_lshlrev_b64 v[90:91], 2, v[82:83]
	v_add_co_u32_e32 v90, vcc, v4, v90
	v_addc_co_u32_e32 v91, vcc, v5, v91, vcc
	flat_load_dword v83, v[90:91]
	flat_load_dword v85, v[4:5]
	s_waitcnt vmcnt(0) lgkmcnt(0)
	flat_store_dword v[4:5], v83
	flat_store_dword v[90:91], v85
.LBB74_10:
	s_or_b64 exec, exec, s[14:15]
	v_mov_b32_e32 v88, v82
.LBB74_11:
	s_or_b64 exec, exec, s[2:3]
	v_mov_b32_e32 v85, v88
                                        ; implicit-def: $vgpr88
.LBB74_12:
	s_or_saveexec_b64 s[0:1], s[0:1]
	v_mov_b32_e32 v83, v85
	s_xor_b64 exec, exec, s[0:1]
	s_cbranch_execz .LBB74_14
; %bb.13:
	v_mov_b32_e32 v85, 0
	v_mov_b32_e32 v83, v88
	s_waitcnt vmcnt(0)
	ds_write2_b64 v84, v[74:75], v[72:73] offset0:1 offset1:2
	ds_write2_b64 v84, v[70:71], v[68:69] offset0:3 offset1:4
	;; [unrolled: 1-line block ×18, first 2 shown]
	ds_write_b64 v84, v[78:79] offset:296
.LBB74_14:
	s_or_b64 exec, exec, s[0:1]
	s_waitcnt lgkmcnt(0)
	v_cmp_eq_f64_e64 s[0:1], 0, v[80:81]
	v_cmp_lt_i32_e32 vcc, 0, v85
	s_barrier
	s_and_saveexec_b64 s[2:3], vcc
	s_cbranch_execz .LBB74_16
; %bb.15:
	v_div_scale_f64 v[90:91], s[14:15], v[80:81], v[80:81], 1.0
	v_rcp_f64_e32 v[92:93], v[90:91]
	v_div_scale_f64 v[94:95], vcc, 1.0, v[80:81], 1.0
	ds_read2_b64 v[98:101], v84 offset0:5 offset1:6
	v_fma_f64 v[96:97], -v[90:91], v[92:93], 1.0
	v_fmac_f64_e32 v[92:93], v[92:93], v[96:97]
	v_fma_f64 v[96:97], -v[90:91], v[92:93], 1.0
	v_fmac_f64_e32 v[92:93], v[92:93], v[96:97]
	v_mul_f64 v[96:97], v[94:95], v[92:93]
	v_fma_f64 v[90:91], -v[90:91], v[96:97], v[94:95]
	v_div_fmas_f64 v[90:91], v[90:91], v[92:93], v[96:97]
	v_div_fixup_f64 v[94:95], v[90:91], v[80:81], 1.0
	ds_read2_b64 v[90:93], v84 offset0:1 offset1:2
	v_cndmask_b32_e64 v81, v95, v81, s[0:1]
	v_cndmask_b32_e64 v80, v94, v80, s[0:1]
	ds_read2_b64 v[94:97], v84 offset0:3 offset1:4
	v_mul_f64 v[76:77], v[80:81], v[76:77]
	s_waitcnt vmcnt(0) lgkmcnt(0)
	v_fma_f64 v[74:75], -v[76:77], v[90:91], v[74:75]
	v_fma_f64 v[72:73], -v[76:77], v[92:93], v[72:73]
	ds_read2_b64 v[90:93], v84 offset0:7 offset1:8
	v_fma_f64 v[70:71], -v[76:77], v[94:95], v[70:71]
	v_fma_f64 v[68:69], -v[76:77], v[96:97], v[68:69]
	;; [unrolled: 1-line block ×3, first 2 shown]
	ds_read2_b64 v[94:97], v84 offset0:9 offset1:10
	v_fma_f64 v[64:65], -v[76:77], v[100:101], v[64:65]
	ds_read2_b64 v[98:101], v84 offset0:11 offset1:12
	s_waitcnt lgkmcnt(2)
	v_fma_f64 v[62:63], -v[76:77], v[90:91], v[62:63]
	v_fma_f64 v[60:61], -v[76:77], v[92:93], v[60:61]
	s_waitcnt lgkmcnt(1)
	v_fma_f64 v[58:59], -v[76:77], v[94:95], v[58:59]
	ds_read2_b64 v[90:93], v84 offset0:13 offset1:14
	v_fma_f64 v[56:57], -v[76:77], v[96:97], v[56:57]
	ds_read2_b64 v[94:97], v84 offset0:15 offset1:16
	s_waitcnt lgkmcnt(2)
	v_fma_f64 v[54:55], -v[76:77], v[98:99], v[54:55]
	v_fma_f64 v[52:53], -v[76:77], v[100:101], v[52:53]
	ds_read2_b64 v[98:101], v84 offset0:17 offset1:18
	s_waitcnt lgkmcnt(2)
	v_fma_f64 v[50:51], -v[76:77], v[90:91], v[50:51]
	;; [unrolled: 4-line block ×3, first 2 shown]
	v_fma_f64 v[44:45], -v[76:77], v[96:97], v[44:45]
	s_waitcnt lgkmcnt(1)
	v_fma_f64 v[42:43], -v[76:77], v[98:99], v[42:43]
	ds_read2_b64 v[94:97], v84 offset0:21 offset1:22
	v_fma_f64 v[40:41], -v[76:77], v[100:101], v[40:41]
	ds_read2_b64 v[98:101], v84 offset0:23 offset1:24
	s_waitcnt lgkmcnt(2)
	v_fma_f64 v[38:39], -v[76:77], v[90:91], v[38:39]
	v_fma_f64 v[36:37], -v[76:77], v[92:93], v[36:37]
	s_waitcnt lgkmcnt(1)
	v_fma_f64 v[34:35], -v[76:77], v[94:95], v[34:35]
	ds_read2_b64 v[90:93], v84 offset0:25 offset1:26
	v_fma_f64 v[32:33], -v[76:77], v[96:97], v[32:33]
	ds_read2_b64 v[94:97], v84 offset0:27 offset1:28
	s_waitcnt lgkmcnt(2)
	v_fma_f64 v[30:31], -v[76:77], v[98:99], v[30:31]
	v_fma_f64 v[28:29], -v[76:77], v[100:101], v[28:29]
	ds_read2_b64 v[98:101], v84 offset0:29 offset1:30
	s_waitcnt lgkmcnt(2)
	v_fma_f64 v[26:27], -v[76:77], v[90:91], v[26:27]
	;; [unrolled: 4-line block ×3, first 2 shown]
	v_fma_f64 v[20:21], -v[76:77], v[96:97], v[20:21]
	s_waitcnt lgkmcnt(1)
	v_fma_f64 v[16:17], -v[76:77], v[98:99], v[16:17]
	v_fma_f64 v[18:19], -v[76:77], v[100:101], v[18:19]
	ds_read2_b64 v[94:97], v84 offset0:33 offset1:34
	ds_read2_b64 v[98:101], v84 offset0:35 offset1:36
	ds_read_b64 v[80:81], v84 offset:296
	s_waitcnt lgkmcnt(3)
	v_fma_f64 v[14:15], -v[76:77], v[90:91], v[14:15]
	v_fma_f64 v[12:13], -v[76:77], v[92:93], v[12:13]
	s_waitcnt lgkmcnt(2)
	v_fma_f64 v[10:11], -v[76:77], v[94:95], v[10:11]
	v_fma_f64 v[8:9], -v[76:77], v[96:97], v[8:9]
	;; [unrolled: 3-line block ×3, first 2 shown]
	s_waitcnt lgkmcnt(0)
	v_fma_f64 v[78:79], -v[76:77], v[80:81], v[78:79]
.LBB74_16:
	s_or_b64 exec, exec, s[2:3]
	v_lshl_add_u32 v80, v85, 3, v84
	s_barrier
	s_waitcnt vmcnt(0)
	ds_write_b64 v80, v[74:75]
	s_waitcnt lgkmcnt(0)
	s_barrier
	ds_read_b64 v[80:81], v84 offset:8
	s_cmp_lt_i32 s18, 3
	v_mov_b32_e32 v82, 1
	s_cbranch_scc1 .LBB74_19
; %bb.17:
	v_add3_u32 v88, v89, 0, 16
	s_mov_b32 s2, 2
	v_mov_b32_e32 v82, 1
.LBB74_18:                              ; =>This Inner Loop Header: Depth=1
	ds_read_b64 v[90:91], v88
	v_mov_b32_e32 v92, s2
	s_add_i32 s2, s2, 1
	v_add_u32_e32 v88, 8, v88
	s_cmp_lg_u32 s18, s2
	s_waitcnt lgkmcnt(0)
	v_cmp_lt_f64_e64 vcc, |v[80:81]|, |v[90:91]|
	v_cndmask_b32_e32 v81, v81, v91, vcc
	v_cndmask_b32_e32 v80, v80, v90, vcc
	;; [unrolled: 1-line block ×3, first 2 shown]
	s_cbranch_scc1 .LBB74_18
.LBB74_19:
	v_cmp_ne_u32_e32 vcc, v85, v82
	s_and_saveexec_b64 s[2:3], vcc
	s_xor_b64 s[2:3], exec, s[2:3]
	s_cbranch_execz .LBB74_25
; %bb.20:
	v_cmp_eq_u32_e32 vcc, 1, v85
	s_and_saveexec_b64 s[14:15], vcc
	s_cbranch_execz .LBB74_24
; %bb.21:
	v_cmp_ne_u32_e32 vcc, 1, v82
	s_xor_b64 s[16:17], s[6:7], -1
	s_and_b64 s[20:21], s[16:17], vcc
	s_and_saveexec_b64 s[16:17], s[20:21]
	s_cbranch_execz .LBB74_23
; %bb.22:
	v_ashrrev_i32_e32 v83, 31, v82
	v_lshlrev_b64 v[90:91], 2, v[82:83]
	v_add_co_u32_e32 v90, vcc, v4, v90
	v_addc_co_u32_e32 v91, vcc, v5, v91, vcc
	flat_load_dword v83, v[90:91]
	flat_load_dword v85, v[4:5] offset:4
	s_waitcnt vmcnt(0) lgkmcnt(0)
	flat_store_dword v[4:5], v83 offset:4
	flat_store_dword v[90:91], v85
.LBB74_23:
	s_or_b64 exec, exec, s[16:17]
	v_mov_b32_e32 v83, v82
	v_mov_b32_e32 v85, v82
.LBB74_24:
	s_or_b64 exec, exec, s[14:15]
.LBB74_25:
	s_andn2_saveexec_b64 s[2:3], s[2:3]
	s_cbranch_execz .LBB74_27
; %bb.26:
	v_mov_b32_e32 v90, v72
	v_mov_b32_e32 v91, v73
	v_mov_b32_e32 v92, v70
	v_mov_b32_e32 v93, v71
	ds_write2_b64 v84, v[90:91], v[92:93] offset0:2 offset1:3
	v_mov_b32_e32 v90, v68
	v_mov_b32_e32 v91, v69
	v_mov_b32_e32 v92, v66
	v_mov_b32_e32 v93, v67
	ds_write2_b64 v84, v[90:91], v[92:93] offset0:4 offset1:5
	;; [unrolled: 5-line block ×17, first 2 shown]
	v_mov_b32_e32 v90, v0
	v_mov_b32_e32 v91, v1
	;; [unrolled: 1-line block ×3, first 2 shown]
	ds_write2_b64 v84, v[90:91], v[78:79] offset0:36 offset1:37
.LBB74_27:
	s_or_b64 exec, exec, s[2:3]
	s_waitcnt lgkmcnt(0)
	v_cmp_neq_f64_e64 s[2:3], 0, v[80:81]
	v_cmp_lt_i32_e32 vcc, 1, v85
	s_barrier
	s_and_saveexec_b64 s[14:15], vcc
	s_cbranch_execz .LBB74_29
; %bb.28:
	v_div_scale_f64 v[90:91], s[16:17], v[80:81], v[80:81], 1.0
	v_rcp_f64_e32 v[92:93], v[90:91]
	v_div_scale_f64 v[94:95], vcc, 1.0, v[80:81], 1.0
	ds_read2_b64 v[98:101], v84 offset0:6 offset1:7
	v_fma_f64 v[96:97], -v[90:91], v[92:93], 1.0
	v_fmac_f64_e32 v[92:93], v[92:93], v[96:97]
	v_fma_f64 v[96:97], -v[90:91], v[92:93], 1.0
	v_fmac_f64_e32 v[92:93], v[92:93], v[96:97]
	v_mul_f64 v[96:97], v[94:95], v[92:93]
	v_fma_f64 v[90:91], -v[90:91], v[96:97], v[94:95]
	v_div_fmas_f64 v[90:91], v[90:91], v[92:93], v[96:97]
	v_div_fixup_f64 v[94:95], v[90:91], v[80:81], 1.0
	ds_read2_b64 v[90:93], v84 offset0:2 offset1:3
	v_cndmask_b32_e64 v81, v81, v95, s[2:3]
	v_cndmask_b32_e64 v80, v80, v94, s[2:3]
	ds_read2_b64 v[94:97], v84 offset0:4 offset1:5
	v_mul_f64 v[74:75], v[80:81], v[74:75]
	s_waitcnt lgkmcnt(0)
	v_fma_f64 v[72:73], -v[74:75], v[90:91], v[72:73]
	v_fma_f64 v[70:71], -v[74:75], v[92:93], v[70:71]
	ds_read2_b64 v[90:93], v84 offset0:8 offset1:9
	v_fma_f64 v[68:69], -v[74:75], v[94:95], v[68:69]
	v_fma_f64 v[66:67], -v[74:75], v[96:97], v[66:67]
	;; [unrolled: 1-line block ×3, first 2 shown]
	ds_read2_b64 v[94:97], v84 offset0:10 offset1:11
	v_fma_f64 v[62:63], -v[74:75], v[100:101], v[62:63]
	ds_read2_b64 v[98:101], v84 offset0:12 offset1:13
	s_waitcnt lgkmcnt(0)
	v_fma_f64 v[60:61], -v[74:75], v[90:91], v[60:61]
	v_fma_f64 v[58:59], -v[74:75], v[92:93], v[58:59]
	;; [unrolled: 1-line block ×3, first 2 shown]
	ds_read2_b64 v[90:93], v84 offset0:14 offset1:15
	v_fma_f64 v[54:55], -v[74:75], v[96:97], v[54:55]
	ds_read2_b64 v[94:97], v84 offset0:16 offset1:17
	v_fma_f64 v[52:53], -v[74:75], v[98:99], v[52:53]
	v_fma_f64 v[50:51], -v[74:75], v[100:101], v[50:51]
	ds_read2_b64 v[98:101], v84 offset0:18 offset1:19
	s_waitcnt lgkmcnt(0)
	v_fma_f64 v[46:47], -v[74:75], v[90:91], v[46:47]
	v_fma_f64 v[48:49], -v[74:75], v[92:93], v[48:49]
	ds_read2_b64 v[90:93], v84 offset0:20 offset1:21
	v_fma_f64 v[44:45], -v[74:75], v[94:95], v[44:45]
	v_fma_f64 v[42:43], -v[74:75], v[96:97], v[42:43]
	;; [unrolled: 1-line block ×3, first 2 shown]
	ds_read2_b64 v[94:97], v84 offset0:22 offset1:23
	v_fma_f64 v[38:39], -v[74:75], v[100:101], v[38:39]
	ds_read2_b64 v[98:101], v84 offset0:24 offset1:25
	s_waitcnt lgkmcnt(0)
	v_fma_f64 v[36:37], -v[74:75], v[90:91], v[36:37]
	v_fma_f64 v[34:35], -v[74:75], v[92:93], v[34:35]
	;; [unrolled: 1-line block ×3, first 2 shown]
	ds_read2_b64 v[90:93], v84 offset0:26 offset1:27
	v_fma_f64 v[30:31], -v[74:75], v[96:97], v[30:31]
	ds_read2_b64 v[94:97], v84 offset0:28 offset1:29
	v_fma_f64 v[28:29], -v[74:75], v[98:99], v[28:29]
	v_fma_f64 v[26:27], -v[74:75], v[100:101], v[26:27]
	ds_read2_b64 v[98:101], v84 offset0:30 offset1:31
	s_waitcnt lgkmcnt(0)
	v_fma_f64 v[24:25], -v[74:75], v[90:91], v[24:25]
	v_fma_f64 v[22:23], -v[74:75], v[92:93], v[22:23]
	ds_read2_b64 v[90:93], v84 offset0:32 offset1:33
	v_fma_f64 v[20:21], -v[74:75], v[94:95], v[20:21]
	v_fma_f64 v[16:17], -v[74:75], v[96:97], v[16:17]
	;; [unrolled: 1-line block ×3, first 2 shown]
	ds_read2_b64 v[94:97], v84 offset0:34 offset1:35
	v_fma_f64 v[14:15], -v[74:75], v[100:101], v[14:15]
	ds_read2_b64 v[98:101], v84 offset0:36 offset1:37
	s_waitcnt lgkmcnt(0)
	v_fma_f64 v[12:13], -v[74:75], v[90:91], v[12:13]
	v_fma_f64 v[10:11], -v[74:75], v[92:93], v[10:11]
	;; [unrolled: 1-line block ×6, first 2 shown]
.LBB74_29:
	s_or_b64 exec, exec, s[14:15]
	v_lshl_add_u32 v80, v85, 3, v84
	s_barrier
	ds_write_b64 v80, v[72:73]
	s_waitcnt lgkmcnt(0)
	s_barrier
	ds_read_b64 v[80:81], v84 offset:16
	s_mov_b32 s9, 3
	s_cmp_lt_i32 s18, 4
	v_mov_b32_e32 v82, 2
	s_cbranch_scc1 .LBB74_32
; %bb.30:
	v_add3_u32 v88, v89, 0, 24
	v_mov_b32_e32 v82, 2
.LBB74_31:                              ; =>This Inner Loop Header: Depth=1
	ds_read_b64 v[90:91], v88
	v_mov_b32_e32 v92, s9
	s_add_i32 s9, s9, 1
	v_add_u32_e32 v88, 8, v88
	s_cmp_lg_u32 s18, s9
	s_waitcnt lgkmcnt(0)
	v_cmp_lt_f64_e64 vcc, |v[80:81]|, |v[90:91]|
	v_cndmask_b32_e32 v81, v81, v91, vcc
	v_cndmask_b32_e32 v80, v80, v90, vcc
	;; [unrolled: 1-line block ×3, first 2 shown]
	s_cbranch_scc1 .LBB74_31
.LBB74_32:
	v_cndmask_b32_e64 v88, 2, 1, s[0:1]
	v_cndmask_b32_e64 v90, 0, 1, s[0:1]
	;; [unrolled: 1-line block ×3, first 2 shown]
	s_waitcnt lgkmcnt(0)
	v_cmp_eq_f64_e32 vcc, 0, v[80:81]
	s_and_saveexec_b64 s[0:1], vcc
	s_xor_b64 s[0:1], exec, s[0:1]
; %bb.33:
	v_cmp_ne_u32_e32 vcc, 0, v88
	v_cndmask_b32_e32 v88, 3, v88, vcc
; %bb.34:
	s_andn2_saveexec_b64 s[0:1], s[0:1]
; %bb.35:
	v_div_scale_f64 v[90:91], s[2:3], v[80:81], v[80:81], 1.0
	v_rcp_f64_e32 v[92:93], v[90:91]
	v_div_scale_f64 v[94:95], vcc, 1.0, v[80:81], 1.0
	v_fma_f64 v[96:97], -v[90:91], v[92:93], 1.0
	v_fmac_f64_e32 v[92:93], v[92:93], v[96:97]
	v_fma_f64 v[96:97], -v[90:91], v[92:93], 1.0
	v_fmac_f64_e32 v[92:93], v[92:93], v[96:97]
	v_mul_f64 v[96:97], v[94:95], v[92:93]
	v_fma_f64 v[90:91], -v[90:91], v[96:97], v[94:95]
	v_div_fmas_f64 v[90:91], v[90:91], v[92:93], v[96:97]
	v_div_fixup_f64 v[80:81], v[90:91], v[80:81], 1.0
; %bb.36:
	s_or_b64 exec, exec, s[0:1]
	v_cmp_ne_u32_e32 vcc, v85, v82
	s_and_saveexec_b64 s[0:1], vcc
	s_xor_b64 s[0:1], exec, s[0:1]
	s_cbranch_execz .LBB74_42
; %bb.37:
	v_cmp_eq_u32_e32 vcc, 2, v85
	s_and_saveexec_b64 s[2:3], vcc
	s_cbranch_execz .LBB74_41
; %bb.38:
	v_cmp_ne_u32_e32 vcc, 2, v82
	s_xor_b64 s[14:15], s[6:7], -1
	s_and_b64 s[16:17], s[14:15], vcc
	s_and_saveexec_b64 s[14:15], s[16:17]
	s_cbranch_execz .LBB74_40
; %bb.39:
	v_ashrrev_i32_e32 v83, 31, v82
	v_lshlrev_b64 v[90:91], 2, v[82:83]
	v_add_co_u32_e32 v90, vcc, v4, v90
	v_addc_co_u32_e32 v91, vcc, v5, v91, vcc
	flat_load_dword v83, v[90:91]
	flat_load_dword v85, v[4:5] offset:8
	s_waitcnt vmcnt(0) lgkmcnt(0)
	flat_store_dword v[4:5], v83 offset:8
	flat_store_dword v[90:91], v85
.LBB74_40:
	s_or_b64 exec, exec, s[14:15]
	v_mov_b32_e32 v83, v82
	v_mov_b32_e32 v85, v82
.LBB74_41:
	s_or_b64 exec, exec, s[2:3]
.LBB74_42:
	s_andn2_saveexec_b64 s[0:1], s[0:1]
	s_cbranch_execz .LBB74_44
; %bb.43:
	v_mov_b32_e32 v85, 2
	ds_write2_b64 v84, v[70:71], v[68:69] offset0:3 offset1:4
	ds_write2_b64 v84, v[66:67], v[64:65] offset0:5 offset1:6
	;; [unrolled: 1-line block ×17, first 2 shown]
	ds_write_b64 v84, v[78:79] offset:296
.LBB74_44:
	s_or_b64 exec, exec, s[0:1]
	v_cmp_lt_i32_e32 vcc, 2, v85
	s_waitcnt lgkmcnt(0)
	s_barrier
	s_and_saveexec_b64 s[0:1], vcc
	s_cbranch_execz .LBB74_46
; %bb.45:
	ds_read2_b64 v[90:93], v84 offset0:3 offset1:4
	ds_read2_b64 v[94:97], v84 offset0:5 offset1:6
	v_mul_f64 v[72:73], v[80:81], v[72:73]
	ds_read2_b64 v[98:101], v84 offset0:7 offset1:8
	ds_read_b64 v[80:81], v84 offset:296
	s_waitcnt lgkmcnt(0)
	v_fma_f64 v[70:71], -v[72:73], v[90:91], v[70:71]
	v_fma_f64 v[68:69], -v[72:73], v[92:93], v[68:69]
	ds_read2_b64 v[90:93], v84 offset0:9 offset1:10
	v_fma_f64 v[66:67], -v[72:73], v[94:95], v[66:67]
	v_fma_f64 v[64:65], -v[72:73], v[96:97], v[64:65]
	ds_read2_b64 v[94:97], v84 offset0:11 offset1:12
	;; [unrolled: 3-line block ×3, first 2 shown]
	s_waitcnt lgkmcnt(0)
	v_fma_f64 v[58:59], -v[72:73], v[90:91], v[58:59]
	v_fma_f64 v[56:57], -v[72:73], v[92:93], v[56:57]
	;; [unrolled: 1-line block ×3, first 2 shown]
	ds_read2_b64 v[90:93], v84 offset0:15 offset1:16
	v_fma_f64 v[52:53], -v[72:73], v[96:97], v[52:53]
	ds_read2_b64 v[94:97], v84 offset0:17 offset1:18
	v_fma_f64 v[50:51], -v[72:73], v[98:99], v[50:51]
	v_fma_f64 v[46:47], -v[72:73], v[100:101], v[46:47]
	s_waitcnt lgkmcnt(0)
	v_fma_f64 v[48:49], -v[72:73], v[90:91], v[48:49]
	ds_read2_b64 v[98:101], v84 offset0:19 offset1:20
	v_fma_f64 v[44:45], -v[72:73], v[92:93], v[44:45]
	ds_read2_b64 v[90:93], v84 offset0:21 offset1:22
	v_fma_f64 v[42:43], -v[72:73], v[94:95], v[42:43]
	v_fma_f64 v[40:41], -v[72:73], v[96:97], v[40:41]
	ds_read2_b64 v[94:97], v84 offset0:23 offset1:24
	s_waitcnt lgkmcnt(0)
	v_fma_f64 v[38:39], -v[72:73], v[98:99], v[38:39]
	v_fma_f64 v[36:37], -v[72:73], v[100:101], v[36:37]
	ds_read2_b64 v[98:101], v84 offset0:25 offset1:26
	v_fma_f64 v[34:35], -v[72:73], v[90:91], v[34:35]
	v_fma_f64 v[32:33], -v[72:73], v[92:93], v[32:33]
	;; [unrolled: 1-line block ×3, first 2 shown]
	ds_read2_b64 v[90:93], v84 offset0:27 offset1:28
	v_fma_f64 v[28:29], -v[72:73], v[96:97], v[28:29]
	ds_read2_b64 v[94:97], v84 offset0:29 offset1:30
	s_waitcnt lgkmcnt(0)
	v_fma_f64 v[26:27], -v[72:73], v[98:99], v[26:27]
	v_fma_f64 v[24:25], -v[72:73], v[100:101], v[24:25]
	;; [unrolled: 1-line block ×3, first 2 shown]
	ds_read2_b64 v[98:101], v84 offset0:31 offset1:32
	v_fma_f64 v[20:21], -v[72:73], v[92:93], v[20:21]
	ds_read2_b64 v[90:93], v84 offset0:33 offset1:34
	v_fma_f64 v[16:17], -v[72:73], v[94:95], v[16:17]
	v_fma_f64 v[18:19], -v[72:73], v[96:97], v[18:19]
	ds_read2_b64 v[94:97], v84 offset0:35 offset1:36
	s_waitcnt lgkmcnt(0)
	v_fma_f64 v[14:15], -v[72:73], v[98:99], v[14:15]
	v_fma_f64 v[12:13], -v[72:73], v[100:101], v[12:13]
	;; [unrolled: 1-line block ×7, first 2 shown]
.LBB74_46:
	s_or_b64 exec, exec, s[0:1]
	v_lshl_add_u32 v80, v85, 3, v84
	s_barrier
	ds_write_b64 v80, v[70:71]
	s_waitcnt lgkmcnt(0)
	s_barrier
	ds_read_b64 v[80:81], v84 offset:24
	s_cmp_lt_i32 s18, 5
	v_mov_b32_e32 v82, 3
	s_cbranch_scc1 .LBB74_49
; %bb.47:
	v_add3_u32 v90, v89, 0, 32
	s_mov_b32 s0, 4
	v_mov_b32_e32 v82, 3
.LBB74_48:                              ; =>This Inner Loop Header: Depth=1
	ds_read_b64 v[92:93], v90
	v_mov_b32_e32 v91, s0
	s_add_i32 s0, s0, 1
	v_add_u32_e32 v90, 8, v90
	s_cmp_lg_u32 s18, s0
	s_waitcnt lgkmcnt(0)
	v_cmp_lt_f64_e64 vcc, |v[80:81]|, |v[92:93]|
	v_cndmask_b32_e32 v81, v81, v93, vcc
	v_cndmask_b32_e32 v80, v80, v92, vcc
	;; [unrolled: 1-line block ×3, first 2 shown]
	s_cbranch_scc1 .LBB74_48
.LBB74_49:
	s_waitcnt lgkmcnt(0)
	v_cmp_eq_f64_e32 vcc, 0, v[80:81]
	s_and_saveexec_b64 s[0:1], vcc
	s_xor_b64 s[0:1], exec, s[0:1]
; %bb.50:
	v_cmp_ne_u32_e32 vcc, 0, v88
	v_cndmask_b32_e32 v88, 4, v88, vcc
; %bb.51:
	s_andn2_saveexec_b64 s[0:1], s[0:1]
; %bb.52:
	v_div_scale_f64 v[90:91], s[2:3], v[80:81], v[80:81], 1.0
	v_rcp_f64_e32 v[92:93], v[90:91]
	v_div_scale_f64 v[94:95], vcc, 1.0, v[80:81], 1.0
	v_fma_f64 v[96:97], -v[90:91], v[92:93], 1.0
	v_fmac_f64_e32 v[92:93], v[92:93], v[96:97]
	v_fma_f64 v[96:97], -v[90:91], v[92:93], 1.0
	v_fmac_f64_e32 v[92:93], v[92:93], v[96:97]
	v_mul_f64 v[96:97], v[94:95], v[92:93]
	v_fma_f64 v[90:91], -v[90:91], v[96:97], v[94:95]
	v_div_fmas_f64 v[90:91], v[90:91], v[92:93], v[96:97]
	v_div_fixup_f64 v[80:81], v[90:91], v[80:81], 1.0
; %bb.53:
	s_or_b64 exec, exec, s[0:1]
	v_cmp_ne_u32_e32 vcc, v85, v82
	s_and_saveexec_b64 s[0:1], vcc
	s_xor_b64 s[0:1], exec, s[0:1]
	s_cbranch_execz .LBB74_59
; %bb.54:
	v_cmp_eq_u32_e32 vcc, 3, v85
	s_and_saveexec_b64 s[2:3], vcc
	s_cbranch_execz .LBB74_58
; %bb.55:
	v_cmp_ne_u32_e32 vcc, 3, v82
	s_xor_b64 s[14:15], s[6:7], -1
	s_and_b64 s[16:17], s[14:15], vcc
	s_and_saveexec_b64 s[14:15], s[16:17]
	s_cbranch_execz .LBB74_57
; %bb.56:
	v_ashrrev_i32_e32 v83, 31, v82
	v_lshlrev_b64 v[90:91], 2, v[82:83]
	v_add_co_u32_e32 v90, vcc, v4, v90
	v_addc_co_u32_e32 v91, vcc, v5, v91, vcc
	flat_load_dword v83, v[90:91]
	flat_load_dword v85, v[4:5] offset:12
	s_waitcnt vmcnt(0) lgkmcnt(0)
	flat_store_dword v[4:5], v83 offset:12
	flat_store_dword v[90:91], v85
.LBB74_57:
	s_or_b64 exec, exec, s[14:15]
	v_mov_b32_e32 v83, v82
	v_mov_b32_e32 v85, v82
.LBB74_58:
	s_or_b64 exec, exec, s[2:3]
.LBB74_59:
	s_andn2_saveexec_b64 s[0:1], s[0:1]
	s_cbranch_execz .LBB74_61
; %bb.60:
	v_mov_b32_e32 v90, v68
	v_mov_b32_e32 v91, v69
	v_mov_b32_e32 v92, v66
	v_mov_b32_e32 v93, v67
	ds_write2_b64 v84, v[90:91], v[92:93] offset0:4 offset1:5
	v_mov_b32_e32 v90, v64
	v_mov_b32_e32 v91, v65
	v_mov_b32_e32 v92, v62
	v_mov_b32_e32 v93, v63
	ds_write2_b64 v84, v[90:91], v[92:93] offset0:6 offset1:7
	;; [unrolled: 5-line block ×16, first 2 shown]
	v_mov_b32_e32 v90, v0
	v_mov_b32_e32 v91, v1
	;; [unrolled: 1-line block ×3, first 2 shown]
	ds_write2_b64 v84, v[90:91], v[78:79] offset0:36 offset1:37
.LBB74_61:
	s_or_b64 exec, exec, s[0:1]
	v_cmp_lt_i32_e32 vcc, 3, v85
	s_waitcnt lgkmcnt(0)
	s_barrier
	s_and_saveexec_b64 s[0:1], vcc
	s_cbranch_execz .LBB74_63
; %bb.62:
	ds_read2_b64 v[90:93], v84 offset0:4 offset1:5
	ds_read2_b64 v[94:97], v84 offset0:6 offset1:7
	v_mul_f64 v[70:71], v[80:81], v[70:71]
	ds_read2_b64 v[98:101], v84 offset0:8 offset1:9
	s_waitcnt lgkmcnt(0)
	v_fma_f64 v[68:69], -v[70:71], v[90:91], v[68:69]
	v_fma_f64 v[66:67], -v[70:71], v[92:93], v[66:67]
	ds_read2_b64 v[90:93], v84 offset0:10 offset1:11
	v_fma_f64 v[64:65], -v[70:71], v[94:95], v[64:65]
	v_fma_f64 v[62:63], -v[70:71], v[96:97], v[62:63]
	ds_read2_b64 v[94:97], v84 offset0:12 offset1:13
	;; [unrolled: 3-line block ×3, first 2 shown]
	s_waitcnt lgkmcnt(0)
	v_fma_f64 v[56:57], -v[70:71], v[90:91], v[56:57]
	v_fma_f64 v[54:55], -v[70:71], v[92:93], v[54:55]
	;; [unrolled: 1-line block ×3, first 2 shown]
	ds_read2_b64 v[90:93], v84 offset0:16 offset1:17
	v_fma_f64 v[50:51], -v[70:71], v[96:97], v[50:51]
	ds_read2_b64 v[94:97], v84 offset0:18 offset1:19
	v_fma_f64 v[46:47], -v[70:71], v[98:99], v[46:47]
	v_fma_f64 v[48:49], -v[70:71], v[100:101], v[48:49]
	s_waitcnt lgkmcnt(0)
	v_fma_f64 v[44:45], -v[70:71], v[90:91], v[44:45]
	ds_read2_b64 v[98:101], v84 offset0:20 offset1:21
	v_fma_f64 v[42:43], -v[70:71], v[92:93], v[42:43]
	ds_read2_b64 v[90:93], v84 offset0:22 offset1:23
	v_fma_f64 v[40:41], -v[70:71], v[94:95], v[40:41]
	v_fma_f64 v[38:39], -v[70:71], v[96:97], v[38:39]
	ds_read2_b64 v[94:97], v84 offset0:24 offset1:25
	s_waitcnt lgkmcnt(0)
	v_fma_f64 v[36:37], -v[70:71], v[98:99], v[36:37]
	v_fma_f64 v[34:35], -v[70:71], v[100:101], v[34:35]
	ds_read2_b64 v[98:101], v84 offset0:26 offset1:27
	v_fma_f64 v[32:33], -v[70:71], v[90:91], v[32:33]
	v_fma_f64 v[30:31], -v[70:71], v[92:93], v[30:31]
	;; [unrolled: 1-line block ×3, first 2 shown]
	ds_read2_b64 v[90:93], v84 offset0:28 offset1:29
	v_fma_f64 v[26:27], -v[70:71], v[96:97], v[26:27]
	ds_read2_b64 v[94:97], v84 offset0:30 offset1:31
	s_waitcnt lgkmcnt(0)
	v_fma_f64 v[24:25], -v[70:71], v[98:99], v[24:25]
	v_fma_f64 v[22:23], -v[70:71], v[100:101], v[22:23]
	;; [unrolled: 1-line block ×4, first 2 shown]
	ds_read2_b64 v[90:93], v84 offset0:32 offset1:33
	ds_read2_b64 v[98:101], v84 offset0:34 offset1:35
	v_fma_f64 v[18:19], -v[70:71], v[94:95], v[18:19]
	v_fma_f64 v[14:15], -v[70:71], v[96:97], v[14:15]
	ds_read2_b64 v[94:97], v84 offset0:36 offset1:37
	s_waitcnt lgkmcnt(0)
	v_fma_f64 v[12:13], -v[70:71], v[90:91], v[12:13]
	v_fma_f64 v[10:11], -v[70:71], v[92:93], v[10:11]
	;; [unrolled: 1-line block ×6, first 2 shown]
.LBB74_63:
	s_or_b64 exec, exec, s[0:1]
	v_lshl_add_u32 v80, v85, 3, v84
	s_barrier
	ds_write_b64 v80, v[68:69]
	s_waitcnt lgkmcnt(0)
	s_barrier
	ds_read_b64 v[80:81], v84 offset:32
	s_cmp_lt_i32 s18, 6
	v_mov_b32_e32 v82, 4
	s_cbranch_scc1 .LBB74_66
; %bb.64:
	v_add3_u32 v90, v89, 0, 40
	s_mov_b32 s0, 5
	v_mov_b32_e32 v82, 4
.LBB74_65:                              ; =>This Inner Loop Header: Depth=1
	ds_read_b64 v[92:93], v90
	v_mov_b32_e32 v91, s0
	s_add_i32 s0, s0, 1
	v_add_u32_e32 v90, 8, v90
	s_cmp_lg_u32 s18, s0
	s_waitcnt lgkmcnt(0)
	v_cmp_lt_f64_e64 vcc, |v[80:81]|, |v[92:93]|
	v_cndmask_b32_e32 v81, v81, v93, vcc
	v_cndmask_b32_e32 v80, v80, v92, vcc
	;; [unrolled: 1-line block ×3, first 2 shown]
	s_cbranch_scc1 .LBB74_65
.LBB74_66:
	s_waitcnt lgkmcnt(0)
	v_cmp_eq_f64_e32 vcc, 0, v[80:81]
	s_and_saveexec_b64 s[0:1], vcc
	s_xor_b64 s[0:1], exec, s[0:1]
; %bb.67:
	v_cmp_ne_u32_e32 vcc, 0, v88
	v_cndmask_b32_e32 v88, 5, v88, vcc
; %bb.68:
	s_andn2_saveexec_b64 s[0:1], s[0:1]
; %bb.69:
	v_div_scale_f64 v[90:91], s[2:3], v[80:81], v[80:81], 1.0
	v_rcp_f64_e32 v[92:93], v[90:91]
	v_div_scale_f64 v[94:95], vcc, 1.0, v[80:81], 1.0
	v_fma_f64 v[96:97], -v[90:91], v[92:93], 1.0
	v_fmac_f64_e32 v[92:93], v[92:93], v[96:97]
	v_fma_f64 v[96:97], -v[90:91], v[92:93], 1.0
	v_fmac_f64_e32 v[92:93], v[92:93], v[96:97]
	v_mul_f64 v[96:97], v[94:95], v[92:93]
	v_fma_f64 v[90:91], -v[90:91], v[96:97], v[94:95]
	v_div_fmas_f64 v[90:91], v[90:91], v[92:93], v[96:97]
	v_div_fixup_f64 v[80:81], v[90:91], v[80:81], 1.0
; %bb.70:
	s_or_b64 exec, exec, s[0:1]
	v_cmp_ne_u32_e32 vcc, v85, v82
	s_and_saveexec_b64 s[0:1], vcc
	s_xor_b64 s[0:1], exec, s[0:1]
	s_cbranch_execz .LBB74_76
; %bb.71:
	v_cmp_eq_u32_e32 vcc, 4, v85
	s_and_saveexec_b64 s[2:3], vcc
	s_cbranch_execz .LBB74_75
; %bb.72:
	v_cmp_ne_u32_e32 vcc, 4, v82
	s_xor_b64 s[14:15], s[6:7], -1
	s_and_b64 s[16:17], s[14:15], vcc
	s_and_saveexec_b64 s[14:15], s[16:17]
	s_cbranch_execz .LBB74_74
; %bb.73:
	v_ashrrev_i32_e32 v83, 31, v82
	v_lshlrev_b64 v[90:91], 2, v[82:83]
	v_add_co_u32_e32 v90, vcc, v4, v90
	v_addc_co_u32_e32 v91, vcc, v5, v91, vcc
	flat_load_dword v83, v[90:91]
	flat_load_dword v85, v[4:5] offset:16
	s_waitcnt vmcnt(0) lgkmcnt(0)
	flat_store_dword v[4:5], v83 offset:16
	flat_store_dword v[90:91], v85
.LBB74_74:
	s_or_b64 exec, exec, s[14:15]
	v_mov_b32_e32 v83, v82
	v_mov_b32_e32 v85, v82
.LBB74_75:
	s_or_b64 exec, exec, s[2:3]
.LBB74_76:
	s_andn2_saveexec_b64 s[0:1], s[0:1]
	s_cbranch_execz .LBB74_78
; %bb.77:
	v_mov_b32_e32 v85, 4
	ds_write2_b64 v84, v[66:67], v[64:65] offset0:5 offset1:6
	ds_write2_b64 v84, v[62:63], v[60:61] offset0:7 offset1:8
	;; [unrolled: 1-line block ×16, first 2 shown]
	ds_write_b64 v84, v[78:79] offset:296
.LBB74_78:
	s_or_b64 exec, exec, s[0:1]
	v_cmp_lt_i32_e32 vcc, 4, v85
	s_waitcnt lgkmcnt(0)
	s_barrier
	s_and_saveexec_b64 s[0:1], vcc
	s_cbranch_execz .LBB74_80
; %bb.79:
	ds_read2_b64 v[90:93], v84 offset0:5 offset1:6
	ds_read2_b64 v[94:97], v84 offset0:7 offset1:8
	v_mul_f64 v[68:69], v[80:81], v[68:69]
	ds_read2_b64 v[98:101], v84 offset0:9 offset1:10
	ds_read_b64 v[80:81], v84 offset:296
	s_waitcnt lgkmcnt(0)
	v_fma_f64 v[66:67], -v[68:69], v[90:91], v[66:67]
	v_fma_f64 v[64:65], -v[68:69], v[92:93], v[64:65]
	ds_read2_b64 v[90:93], v84 offset0:11 offset1:12
	v_fma_f64 v[62:63], -v[68:69], v[94:95], v[62:63]
	v_fma_f64 v[60:61], -v[68:69], v[96:97], v[60:61]
	;; [unrolled: 1-line block ×3, first 2 shown]
	ds_read2_b64 v[94:97], v84 offset0:13 offset1:14
	v_fma_f64 v[56:57], -v[68:69], v[100:101], v[56:57]
	ds_read2_b64 v[98:101], v84 offset0:15 offset1:16
	s_waitcnt lgkmcnt(0)
	v_fma_f64 v[54:55], -v[68:69], v[90:91], v[54:55]
	v_fma_f64 v[52:53], -v[68:69], v[92:93], v[52:53]
	ds_read2_b64 v[90:93], v84 offset0:17 offset1:18
	v_fma_f64 v[50:51], -v[68:69], v[94:95], v[50:51]
	v_fma_f64 v[46:47], -v[68:69], v[96:97], v[46:47]
	ds_read2_b64 v[94:97], v84 offset0:19 offset1:20
	v_fma_f64 v[48:49], -v[68:69], v[98:99], v[48:49]
	v_fma_f64 v[44:45], -v[68:69], v[100:101], v[44:45]
	s_waitcnt lgkmcnt(0)
	v_fma_f64 v[42:43], -v[68:69], v[90:91], v[42:43]
	ds_read2_b64 v[98:101], v84 offset0:21 offset1:22
	v_fma_f64 v[40:41], -v[68:69], v[92:93], v[40:41]
	ds_read2_b64 v[90:93], v84 offset0:23 offset1:24
	v_fma_f64 v[38:39], -v[68:69], v[94:95], v[38:39]
	v_fma_f64 v[36:37], -v[68:69], v[96:97], v[36:37]
	s_waitcnt lgkmcnt(0)
	v_fma_f64 v[34:35], -v[68:69], v[98:99], v[34:35]
	ds_read2_b64 v[94:97], v84 offset0:25 offset1:26
	v_fma_f64 v[32:33], -v[68:69], v[100:101], v[32:33]
	ds_read2_b64 v[98:101], v84 offset0:27 offset1:28
	v_fma_f64 v[30:31], -v[68:69], v[90:91], v[30:31]
	v_fma_f64 v[28:29], -v[68:69], v[92:93], v[28:29]
	ds_read2_b64 v[90:93], v84 offset0:29 offset1:30
	s_waitcnt lgkmcnt(0)
	v_fma_f64 v[26:27], -v[68:69], v[94:95], v[26:27]
	v_fma_f64 v[24:25], -v[68:69], v[96:97], v[24:25]
	ds_read2_b64 v[94:97], v84 offset0:31 offset1:32
	v_fma_f64 v[22:23], -v[68:69], v[98:99], v[22:23]
	v_fma_f64 v[20:21], -v[68:69], v[100:101], v[20:21]
	;; [unrolled: 1-line block ×4, first 2 shown]
	ds_read2_b64 v[90:93], v84 offset0:33 offset1:34
	ds_read2_b64 v[98:101], v84 offset0:35 offset1:36
	s_waitcnt lgkmcnt(0)
	v_fma_f64 v[14:15], -v[68:69], v[94:95], v[14:15]
	v_fma_f64 v[12:13], -v[68:69], v[96:97], v[12:13]
	;; [unrolled: 1-line block ×7, first 2 shown]
.LBB74_80:
	s_or_b64 exec, exec, s[0:1]
	v_lshl_add_u32 v80, v85, 3, v84
	s_barrier
	ds_write_b64 v80, v[66:67]
	s_waitcnt lgkmcnt(0)
	s_barrier
	ds_read_b64 v[80:81], v84 offset:40
	s_cmp_lt_i32 s18, 7
	v_mov_b32_e32 v82, 5
	s_cbranch_scc1 .LBB74_83
; %bb.81:
	v_add3_u32 v90, v89, 0, 48
	s_mov_b32 s0, 6
	v_mov_b32_e32 v82, 5
.LBB74_82:                              ; =>This Inner Loop Header: Depth=1
	ds_read_b64 v[92:93], v90
	v_mov_b32_e32 v91, s0
	s_add_i32 s0, s0, 1
	v_add_u32_e32 v90, 8, v90
	s_cmp_lg_u32 s18, s0
	s_waitcnt lgkmcnt(0)
	v_cmp_lt_f64_e64 vcc, |v[80:81]|, |v[92:93]|
	v_cndmask_b32_e32 v81, v81, v93, vcc
	v_cndmask_b32_e32 v80, v80, v92, vcc
	;; [unrolled: 1-line block ×3, first 2 shown]
	s_cbranch_scc1 .LBB74_82
.LBB74_83:
	s_waitcnt lgkmcnt(0)
	v_cmp_eq_f64_e32 vcc, 0, v[80:81]
	s_and_saveexec_b64 s[0:1], vcc
	s_xor_b64 s[0:1], exec, s[0:1]
; %bb.84:
	v_cmp_ne_u32_e32 vcc, 0, v88
	v_cndmask_b32_e32 v88, 6, v88, vcc
; %bb.85:
	s_andn2_saveexec_b64 s[0:1], s[0:1]
; %bb.86:
	v_div_scale_f64 v[90:91], s[2:3], v[80:81], v[80:81], 1.0
	v_rcp_f64_e32 v[92:93], v[90:91]
	v_div_scale_f64 v[94:95], vcc, 1.0, v[80:81], 1.0
	v_fma_f64 v[96:97], -v[90:91], v[92:93], 1.0
	v_fmac_f64_e32 v[92:93], v[92:93], v[96:97]
	v_fma_f64 v[96:97], -v[90:91], v[92:93], 1.0
	v_fmac_f64_e32 v[92:93], v[92:93], v[96:97]
	v_mul_f64 v[96:97], v[94:95], v[92:93]
	v_fma_f64 v[90:91], -v[90:91], v[96:97], v[94:95]
	v_div_fmas_f64 v[90:91], v[90:91], v[92:93], v[96:97]
	v_div_fixup_f64 v[80:81], v[90:91], v[80:81], 1.0
; %bb.87:
	s_or_b64 exec, exec, s[0:1]
	v_cmp_ne_u32_e32 vcc, v85, v82
	s_and_saveexec_b64 s[0:1], vcc
	s_xor_b64 s[0:1], exec, s[0:1]
	s_cbranch_execz .LBB74_93
; %bb.88:
	v_cmp_eq_u32_e32 vcc, 5, v85
	s_and_saveexec_b64 s[2:3], vcc
	s_cbranch_execz .LBB74_92
; %bb.89:
	v_cmp_ne_u32_e32 vcc, 5, v82
	s_xor_b64 s[14:15], s[6:7], -1
	s_and_b64 s[16:17], s[14:15], vcc
	s_and_saveexec_b64 s[14:15], s[16:17]
	s_cbranch_execz .LBB74_91
; %bb.90:
	v_ashrrev_i32_e32 v83, 31, v82
	v_lshlrev_b64 v[90:91], 2, v[82:83]
	v_add_co_u32_e32 v90, vcc, v4, v90
	v_addc_co_u32_e32 v91, vcc, v5, v91, vcc
	flat_load_dword v83, v[90:91]
	flat_load_dword v85, v[4:5] offset:20
	s_waitcnt vmcnt(0) lgkmcnt(0)
	flat_store_dword v[4:5], v83 offset:20
	flat_store_dword v[90:91], v85
.LBB74_91:
	s_or_b64 exec, exec, s[14:15]
	v_mov_b32_e32 v83, v82
	v_mov_b32_e32 v85, v82
.LBB74_92:
	s_or_b64 exec, exec, s[2:3]
.LBB74_93:
	s_andn2_saveexec_b64 s[0:1], s[0:1]
	s_cbranch_execz .LBB74_95
; %bb.94:
	v_mov_b32_e32 v90, v64
	v_mov_b32_e32 v91, v65
	v_mov_b32_e32 v92, v62
	v_mov_b32_e32 v93, v63
	ds_write2_b64 v84, v[90:91], v[92:93] offset0:6 offset1:7
	v_mov_b32_e32 v90, v60
	v_mov_b32_e32 v91, v61
	v_mov_b32_e32 v92, v58
	v_mov_b32_e32 v93, v59
	ds_write2_b64 v84, v[90:91], v[92:93] offset0:8 offset1:9
	;; [unrolled: 5-line block ×15, first 2 shown]
	v_mov_b32_e32 v90, v0
	v_mov_b32_e32 v91, v1
	;; [unrolled: 1-line block ×3, first 2 shown]
	ds_write2_b64 v84, v[90:91], v[78:79] offset0:36 offset1:37
.LBB74_95:
	s_or_b64 exec, exec, s[0:1]
	v_cmp_lt_i32_e32 vcc, 5, v85
	s_waitcnt lgkmcnt(0)
	s_barrier
	s_and_saveexec_b64 s[0:1], vcc
	s_cbranch_execz .LBB74_97
; %bb.96:
	ds_read2_b64 v[90:93], v84 offset0:6 offset1:7
	ds_read2_b64 v[94:97], v84 offset0:8 offset1:9
	v_mul_f64 v[66:67], v[80:81], v[66:67]
	ds_read2_b64 v[98:101], v84 offset0:10 offset1:11
	s_waitcnt lgkmcnt(0)
	v_fma_f64 v[64:65], -v[66:67], v[90:91], v[64:65]
	v_fma_f64 v[62:63], -v[66:67], v[92:93], v[62:63]
	ds_read2_b64 v[90:93], v84 offset0:12 offset1:13
	v_fma_f64 v[60:61], -v[66:67], v[94:95], v[60:61]
	v_fma_f64 v[58:59], -v[66:67], v[96:97], v[58:59]
	;; [unrolled: 1-line block ×3, first 2 shown]
	ds_read2_b64 v[94:97], v84 offset0:14 offset1:15
	v_fma_f64 v[54:55], -v[66:67], v[100:101], v[54:55]
	ds_read2_b64 v[98:101], v84 offset0:16 offset1:17
	s_waitcnt lgkmcnt(0)
	v_fma_f64 v[52:53], -v[66:67], v[90:91], v[52:53]
	v_fma_f64 v[50:51], -v[66:67], v[92:93], v[50:51]
	ds_read2_b64 v[90:93], v84 offset0:18 offset1:19
	v_fma_f64 v[46:47], -v[66:67], v[94:95], v[46:47]
	v_fma_f64 v[48:49], -v[66:67], v[96:97], v[48:49]
	ds_read2_b64 v[94:97], v84 offset0:20 offset1:21
	v_fma_f64 v[44:45], -v[66:67], v[98:99], v[44:45]
	v_fma_f64 v[42:43], -v[66:67], v[100:101], v[42:43]
	s_waitcnt lgkmcnt(0)
	v_fma_f64 v[40:41], -v[66:67], v[90:91], v[40:41]
	ds_read2_b64 v[98:101], v84 offset0:22 offset1:23
	v_fma_f64 v[38:39], -v[66:67], v[92:93], v[38:39]
	ds_read2_b64 v[90:93], v84 offset0:24 offset1:25
	v_fma_f64 v[36:37], -v[66:67], v[94:95], v[36:37]
	v_fma_f64 v[34:35], -v[66:67], v[96:97], v[34:35]
	s_waitcnt lgkmcnt(0)
	v_fma_f64 v[32:33], -v[66:67], v[98:99], v[32:33]
	ds_read2_b64 v[94:97], v84 offset0:26 offset1:27
	v_fma_f64 v[30:31], -v[66:67], v[100:101], v[30:31]
	ds_read2_b64 v[98:101], v84 offset0:28 offset1:29
	v_fma_f64 v[28:29], -v[66:67], v[90:91], v[28:29]
	v_fma_f64 v[26:27], -v[66:67], v[92:93], v[26:27]
	ds_read2_b64 v[90:93], v84 offset0:30 offset1:31
	s_waitcnt lgkmcnt(0)
	v_fma_f64 v[24:25], -v[66:67], v[94:95], v[24:25]
	v_fma_f64 v[22:23], -v[66:67], v[96:97], v[22:23]
	ds_read2_b64 v[94:97], v84 offset0:32 offset1:33
	v_fma_f64 v[20:21], -v[66:67], v[98:99], v[20:21]
	v_fma_f64 v[16:17], -v[66:67], v[100:101], v[16:17]
	;; [unrolled: 1-line block ×3, first 2 shown]
	ds_read2_b64 v[98:101], v84 offset0:34 offset1:35
	v_fma_f64 v[14:15], -v[66:67], v[92:93], v[14:15]
	ds_read2_b64 v[90:93], v84 offset0:36 offset1:37
	s_waitcnt lgkmcnt(0)
	v_fma_f64 v[12:13], -v[66:67], v[94:95], v[12:13]
	v_fma_f64 v[10:11], -v[66:67], v[96:97], v[10:11]
	;; [unrolled: 1-line block ×6, first 2 shown]
.LBB74_97:
	s_or_b64 exec, exec, s[0:1]
	v_lshl_add_u32 v80, v85, 3, v84
	s_barrier
	ds_write_b64 v80, v[64:65]
	s_waitcnt lgkmcnt(0)
	s_barrier
	ds_read_b64 v[80:81], v84 offset:48
	s_cmp_lt_i32 s18, 8
	v_mov_b32_e32 v82, 6
	s_cbranch_scc1 .LBB74_100
; %bb.98:
	v_add3_u32 v90, v89, 0, 56
	s_mov_b32 s0, 7
	v_mov_b32_e32 v82, 6
.LBB74_99:                              ; =>This Inner Loop Header: Depth=1
	ds_read_b64 v[92:93], v90
	v_mov_b32_e32 v91, s0
	s_add_i32 s0, s0, 1
	v_add_u32_e32 v90, 8, v90
	s_cmp_lg_u32 s18, s0
	s_waitcnt lgkmcnt(0)
	v_cmp_lt_f64_e64 vcc, |v[80:81]|, |v[92:93]|
	v_cndmask_b32_e32 v81, v81, v93, vcc
	v_cndmask_b32_e32 v80, v80, v92, vcc
	;; [unrolled: 1-line block ×3, first 2 shown]
	s_cbranch_scc1 .LBB74_99
.LBB74_100:
	s_waitcnt lgkmcnt(0)
	v_cmp_eq_f64_e32 vcc, 0, v[80:81]
	s_and_saveexec_b64 s[0:1], vcc
	s_xor_b64 s[0:1], exec, s[0:1]
; %bb.101:
	v_cmp_ne_u32_e32 vcc, 0, v88
	v_cndmask_b32_e32 v88, 7, v88, vcc
; %bb.102:
	s_andn2_saveexec_b64 s[0:1], s[0:1]
; %bb.103:
	v_div_scale_f64 v[90:91], s[2:3], v[80:81], v[80:81], 1.0
	v_rcp_f64_e32 v[92:93], v[90:91]
	v_div_scale_f64 v[94:95], vcc, 1.0, v[80:81], 1.0
	v_fma_f64 v[96:97], -v[90:91], v[92:93], 1.0
	v_fmac_f64_e32 v[92:93], v[92:93], v[96:97]
	v_fma_f64 v[96:97], -v[90:91], v[92:93], 1.0
	v_fmac_f64_e32 v[92:93], v[92:93], v[96:97]
	v_mul_f64 v[96:97], v[94:95], v[92:93]
	v_fma_f64 v[90:91], -v[90:91], v[96:97], v[94:95]
	v_div_fmas_f64 v[90:91], v[90:91], v[92:93], v[96:97]
	v_div_fixup_f64 v[80:81], v[90:91], v[80:81], 1.0
; %bb.104:
	s_or_b64 exec, exec, s[0:1]
	v_cmp_ne_u32_e32 vcc, v85, v82
	s_and_saveexec_b64 s[0:1], vcc
	s_xor_b64 s[0:1], exec, s[0:1]
	s_cbranch_execz .LBB74_110
; %bb.105:
	v_cmp_eq_u32_e32 vcc, 6, v85
	s_and_saveexec_b64 s[2:3], vcc
	s_cbranch_execz .LBB74_109
; %bb.106:
	v_cmp_ne_u32_e32 vcc, 6, v82
	s_xor_b64 s[14:15], s[6:7], -1
	s_and_b64 s[16:17], s[14:15], vcc
	s_and_saveexec_b64 s[14:15], s[16:17]
	s_cbranch_execz .LBB74_108
; %bb.107:
	v_ashrrev_i32_e32 v83, 31, v82
	v_lshlrev_b64 v[90:91], 2, v[82:83]
	v_add_co_u32_e32 v90, vcc, v4, v90
	v_addc_co_u32_e32 v91, vcc, v5, v91, vcc
	flat_load_dword v83, v[90:91]
	flat_load_dword v85, v[4:5] offset:24
	s_waitcnt vmcnt(0) lgkmcnt(0)
	flat_store_dword v[4:5], v83 offset:24
	flat_store_dword v[90:91], v85
.LBB74_108:
	s_or_b64 exec, exec, s[14:15]
	v_mov_b32_e32 v83, v82
	v_mov_b32_e32 v85, v82
.LBB74_109:
	s_or_b64 exec, exec, s[2:3]
.LBB74_110:
	s_andn2_saveexec_b64 s[0:1], s[0:1]
	s_cbranch_execz .LBB74_112
; %bb.111:
	v_mov_b32_e32 v85, 6
	ds_write2_b64 v84, v[62:63], v[60:61] offset0:7 offset1:8
	ds_write2_b64 v84, v[58:59], v[56:57] offset0:9 offset1:10
	;; [unrolled: 1-line block ×15, first 2 shown]
	ds_write_b64 v84, v[78:79] offset:296
.LBB74_112:
	s_or_b64 exec, exec, s[0:1]
	v_cmp_lt_i32_e32 vcc, 6, v85
	s_waitcnt lgkmcnt(0)
	s_barrier
	s_and_saveexec_b64 s[0:1], vcc
	s_cbranch_execz .LBB74_114
; %bb.113:
	ds_read2_b64 v[90:93], v84 offset0:7 offset1:8
	ds_read2_b64 v[94:97], v84 offset0:9 offset1:10
	;; [unrolled: 1-line block ×3, first 2 shown]
	v_mul_f64 v[64:65], v[80:81], v[64:65]
	ds_read_b64 v[80:81], v84 offset:296
	s_waitcnt lgkmcnt(0)
	v_fma_f64 v[62:63], -v[64:65], v[90:91], v[62:63]
	v_fma_f64 v[60:61], -v[64:65], v[92:93], v[60:61]
	ds_read2_b64 v[90:93], v84 offset0:13 offset1:14
	v_fma_f64 v[58:59], -v[64:65], v[94:95], v[58:59]
	v_fma_f64 v[56:57], -v[64:65], v[96:97], v[56:57]
	;; [unrolled: 1-line block ×3, first 2 shown]
	ds_read2_b64 v[94:97], v84 offset0:15 offset1:16
	v_fma_f64 v[52:53], -v[64:65], v[100:101], v[52:53]
	ds_read2_b64 v[98:101], v84 offset0:17 offset1:18
	s_waitcnt lgkmcnt(0)
	v_fma_f64 v[50:51], -v[64:65], v[90:91], v[50:51]
	v_fma_f64 v[46:47], -v[64:65], v[92:93], v[46:47]
	;; [unrolled: 1-line block ×3, first 2 shown]
	ds_read2_b64 v[90:93], v84 offset0:19 offset1:20
	v_fma_f64 v[44:45], -v[64:65], v[96:97], v[44:45]
	ds_read2_b64 v[94:97], v84 offset0:21 offset1:22
	v_fma_f64 v[42:43], -v[64:65], v[98:99], v[42:43]
	v_fma_f64 v[40:41], -v[64:65], v[100:101], v[40:41]
	ds_read2_b64 v[98:101], v84 offset0:23 offset1:24
	s_waitcnt lgkmcnt(0)
	v_fma_f64 v[38:39], -v[64:65], v[90:91], v[38:39]
	v_fma_f64 v[36:37], -v[64:65], v[92:93], v[36:37]
	ds_read2_b64 v[90:93], v84 offset0:25 offset1:26
	v_fma_f64 v[34:35], -v[64:65], v[94:95], v[34:35]
	v_fma_f64 v[32:33], -v[64:65], v[96:97], v[32:33]
	;; [unrolled: 1-line block ×3, first 2 shown]
	ds_read2_b64 v[94:97], v84 offset0:27 offset1:28
	v_fma_f64 v[28:29], -v[64:65], v[100:101], v[28:29]
	ds_read2_b64 v[98:101], v84 offset0:29 offset1:30
	s_waitcnt lgkmcnt(0)
	v_fma_f64 v[26:27], -v[64:65], v[90:91], v[26:27]
	v_fma_f64 v[24:25], -v[64:65], v[92:93], v[24:25]
	;; [unrolled: 1-line block ×3, first 2 shown]
	ds_read2_b64 v[90:93], v84 offset0:31 offset1:32
	v_fma_f64 v[20:21], -v[64:65], v[96:97], v[20:21]
	ds_read2_b64 v[94:97], v84 offset0:33 offset1:34
	v_fma_f64 v[16:17], -v[64:65], v[98:99], v[16:17]
	v_fma_f64 v[18:19], -v[64:65], v[100:101], v[18:19]
	ds_read2_b64 v[98:101], v84 offset0:35 offset1:36
	s_waitcnt lgkmcnt(0)
	v_fma_f64 v[14:15], -v[64:65], v[90:91], v[14:15]
	v_fma_f64 v[12:13], -v[64:65], v[92:93], v[12:13]
	v_fma_f64 v[10:11], -v[64:65], v[94:95], v[10:11]
	v_fma_f64 v[8:9], -v[64:65], v[96:97], v[8:9]
	v_fma_f64 v[6:7], -v[64:65], v[98:99], v[6:7]
	v_fma_f64 v[0:1], -v[64:65], v[100:101], v[0:1]
	v_fma_f64 v[78:79], -v[64:65], v[80:81], v[78:79]
.LBB74_114:
	s_or_b64 exec, exec, s[0:1]
	v_lshl_add_u32 v80, v85, 3, v84
	s_barrier
	ds_write_b64 v80, v[62:63]
	s_waitcnt lgkmcnt(0)
	s_barrier
	ds_read_b64 v[80:81], v84 offset:56
	s_cmp_lt_i32 s18, 9
	v_mov_b32_e32 v82, 7
	s_cbranch_scc1 .LBB74_117
; %bb.115:
	v_add3_u32 v89, v89, 0, 64
	s_mov_b32 s0, 8
	v_mov_b32_e32 v82, 7
.LBB74_116:                             ; =>This Inner Loop Header: Depth=1
	ds_read_b64 v[90:91], v89
	v_mov_b32_e32 v92, s0
	s_add_i32 s0, s0, 1
	v_add_u32_e32 v89, 8, v89
	s_cmp_lg_u32 s18, s0
	s_waitcnt lgkmcnt(0)
	v_cmp_lt_f64_e64 vcc, |v[80:81]|, |v[90:91]|
	v_cndmask_b32_e32 v81, v81, v91, vcc
	v_cndmask_b32_e32 v80, v80, v90, vcc
	;; [unrolled: 1-line block ×3, first 2 shown]
	s_cbranch_scc1 .LBB74_116
.LBB74_117:
	s_waitcnt lgkmcnt(0)
	v_cmp_eq_f64_e32 vcc, 0, v[80:81]
	s_and_saveexec_b64 s[0:1], vcc
	s_xor_b64 s[0:1], exec, s[0:1]
; %bb.118:
	v_cmp_ne_u32_e32 vcc, 0, v88
	v_cndmask_b32_e32 v88, 8, v88, vcc
; %bb.119:
	s_andn2_saveexec_b64 s[0:1], s[0:1]
; %bb.120:
	v_div_scale_f64 v[90:91], s[2:3], v[80:81], v[80:81], 1.0
	v_rcp_f64_e32 v[92:93], v[90:91]
	v_div_scale_f64 v[94:95], vcc, 1.0, v[80:81], 1.0
	v_fma_f64 v[96:97], -v[90:91], v[92:93], 1.0
	v_fmac_f64_e32 v[92:93], v[92:93], v[96:97]
	v_fma_f64 v[96:97], -v[90:91], v[92:93], 1.0
	v_fmac_f64_e32 v[92:93], v[92:93], v[96:97]
	v_mul_f64 v[96:97], v[94:95], v[92:93]
	v_fma_f64 v[90:91], -v[90:91], v[96:97], v[94:95]
	v_div_fmas_f64 v[90:91], v[90:91], v[92:93], v[96:97]
	v_div_fixup_f64 v[80:81], v[90:91], v[80:81], 1.0
; %bb.121:
	s_or_b64 exec, exec, s[0:1]
	v_cmp_ne_u32_e32 vcc, v85, v82
	s_and_saveexec_b64 s[0:1], vcc
	s_xor_b64 s[0:1], exec, s[0:1]
	s_cbranch_execz .LBB74_127
; %bb.122:
	v_cmp_eq_u32_e32 vcc, 7, v85
	s_and_saveexec_b64 s[2:3], vcc
	s_cbranch_execz .LBB74_126
; %bb.123:
	v_cmp_ne_u32_e32 vcc, 7, v82
	s_xor_b64 s[14:15], s[6:7], -1
	s_and_b64 s[16:17], s[14:15], vcc
	s_and_saveexec_b64 s[14:15], s[16:17]
	s_cbranch_execz .LBB74_125
; %bb.124:
	v_ashrrev_i32_e32 v83, 31, v82
	v_lshlrev_b64 v[90:91], 2, v[82:83]
	v_add_co_u32_e32 v90, vcc, v4, v90
	v_addc_co_u32_e32 v91, vcc, v5, v91, vcc
	flat_load_dword v83, v[90:91]
	flat_load_dword v85, v[4:5] offset:28
	s_waitcnt vmcnt(0) lgkmcnt(0)
	flat_store_dword v[4:5], v83 offset:28
	flat_store_dword v[90:91], v85
.LBB74_125:
	s_or_b64 exec, exec, s[14:15]
	v_mov_b32_e32 v83, v82
	v_mov_b32_e32 v85, v82
.LBB74_126:
	s_or_b64 exec, exec, s[2:3]
.LBB74_127:
	s_andn2_saveexec_b64 s[0:1], s[0:1]
	s_cbranch_execz .LBB74_129
; %bb.128:
	v_mov_b32_e32 v90, v60
	v_mov_b32_e32 v91, v61
	v_mov_b32_e32 v92, v58
	v_mov_b32_e32 v93, v59
	ds_write2_b64 v84, v[90:91], v[92:93] offset0:8 offset1:9
	v_mov_b32_e32 v90, v56
	v_mov_b32_e32 v91, v57
	v_mov_b32_e32 v92, v54
	v_mov_b32_e32 v93, v55
	ds_write2_b64 v84, v[90:91], v[92:93] offset0:10 offset1:11
	;; [unrolled: 5-line block ×14, first 2 shown]
	v_mov_b32_e32 v90, v0
	v_mov_b32_e32 v91, v1
	;; [unrolled: 1-line block ×3, first 2 shown]
	ds_write2_b64 v84, v[90:91], v[78:79] offset0:36 offset1:37
.LBB74_129:
	s_or_b64 exec, exec, s[0:1]
	v_cmp_lt_i32_e32 vcc, 7, v85
	s_waitcnt lgkmcnt(0)
	s_barrier
	s_and_saveexec_b64 s[0:1], vcc
	s_cbranch_execz .LBB74_131
; %bb.130:
	ds_read2_b64 v[90:93], v84 offset0:8 offset1:9
	ds_read2_b64 v[94:97], v84 offset0:10 offset1:11
	;; [unrolled: 1-line block ×3, first 2 shown]
	v_mul_f64 v[62:63], v[80:81], v[62:63]
	s_waitcnt lgkmcnt(0)
	v_fma_f64 v[60:61], -v[62:63], v[90:91], v[60:61]
	v_fma_f64 v[58:59], -v[62:63], v[92:93], v[58:59]
	ds_read2_b64 v[90:93], v84 offset0:14 offset1:15
	v_fma_f64 v[56:57], -v[62:63], v[94:95], v[56:57]
	v_fma_f64 v[54:55], -v[62:63], v[96:97], v[54:55]
	;; [unrolled: 1-line block ×3, first 2 shown]
	ds_read2_b64 v[94:97], v84 offset0:16 offset1:17
	v_fma_f64 v[50:51], -v[62:63], v[100:101], v[50:51]
	ds_read2_b64 v[98:101], v84 offset0:18 offset1:19
	s_waitcnt lgkmcnt(0)
	v_fma_f64 v[46:47], -v[62:63], v[90:91], v[46:47]
	v_fma_f64 v[48:49], -v[62:63], v[92:93], v[48:49]
	;; [unrolled: 1-line block ×3, first 2 shown]
	ds_read2_b64 v[90:93], v84 offset0:20 offset1:21
	v_fma_f64 v[42:43], -v[62:63], v[96:97], v[42:43]
	ds_read2_b64 v[94:97], v84 offset0:22 offset1:23
	v_fma_f64 v[40:41], -v[62:63], v[98:99], v[40:41]
	v_fma_f64 v[38:39], -v[62:63], v[100:101], v[38:39]
	ds_read2_b64 v[98:101], v84 offset0:24 offset1:25
	s_waitcnt lgkmcnt(0)
	v_fma_f64 v[36:37], -v[62:63], v[90:91], v[36:37]
	v_fma_f64 v[34:35], -v[62:63], v[92:93], v[34:35]
	ds_read2_b64 v[90:93], v84 offset0:26 offset1:27
	v_fma_f64 v[32:33], -v[62:63], v[94:95], v[32:33]
	v_fma_f64 v[30:31], -v[62:63], v[96:97], v[30:31]
	;; [unrolled: 1-line block ×3, first 2 shown]
	ds_read2_b64 v[94:97], v84 offset0:28 offset1:29
	v_fma_f64 v[26:27], -v[62:63], v[100:101], v[26:27]
	ds_read2_b64 v[98:101], v84 offset0:30 offset1:31
	s_waitcnt lgkmcnt(0)
	v_fma_f64 v[24:25], -v[62:63], v[90:91], v[24:25]
	v_fma_f64 v[22:23], -v[62:63], v[92:93], v[22:23]
	;; [unrolled: 1-line block ×4, first 2 shown]
	ds_read2_b64 v[90:93], v84 offset0:32 offset1:33
	ds_read2_b64 v[94:97], v84 offset0:34 offset1:35
	v_fma_f64 v[18:19], -v[62:63], v[98:99], v[18:19]
	v_fma_f64 v[14:15], -v[62:63], v[100:101], v[14:15]
	ds_read2_b64 v[98:101], v84 offset0:36 offset1:37
	s_waitcnt lgkmcnt(0)
	v_fma_f64 v[12:13], -v[62:63], v[90:91], v[12:13]
	v_fma_f64 v[10:11], -v[62:63], v[92:93], v[10:11]
	;; [unrolled: 1-line block ×6, first 2 shown]
.LBB74_131:
	s_or_b64 exec, exec, s[0:1]
	v_lshl_add_u32 v80, v85, 3, v84
	s_barrier
	ds_write_b64 v80, v[60:61]
	s_waitcnt lgkmcnt(0)
	s_barrier
	ds_read_b64 v[80:81], v84 offset:64
	s_cmp_lt_i32 s18, 10
	v_mov_b32_e32 v82, 8
	s_cbranch_scc1 .LBB74_134
; %bb.132:
	v_add_u32_e32 v89, 0x48, v84
	s_mov_b32 s0, 9
	v_mov_b32_e32 v82, 8
.LBB74_133:                             ; =>This Inner Loop Header: Depth=1
	ds_read_b64 v[90:91], v89
	v_mov_b32_e32 v92, s0
	s_add_i32 s0, s0, 1
	v_add_u32_e32 v89, 8, v89
	s_cmp_lg_u32 s18, s0
	s_waitcnt lgkmcnt(0)
	v_cmp_lt_f64_e64 vcc, |v[80:81]|, |v[90:91]|
	v_cndmask_b32_e32 v81, v81, v91, vcc
	v_cndmask_b32_e32 v80, v80, v90, vcc
	v_cndmask_b32_e32 v82, v82, v92, vcc
	s_cbranch_scc1 .LBB74_133
.LBB74_134:
	s_waitcnt lgkmcnt(0)
	v_cmp_eq_f64_e32 vcc, 0, v[80:81]
	s_and_saveexec_b64 s[0:1], vcc
	s_xor_b64 s[0:1], exec, s[0:1]
; %bb.135:
	v_cmp_ne_u32_e32 vcc, 0, v88
	v_cndmask_b32_e32 v88, 9, v88, vcc
; %bb.136:
	s_andn2_saveexec_b64 s[0:1], s[0:1]
; %bb.137:
	v_div_scale_f64 v[90:91], s[2:3], v[80:81], v[80:81], 1.0
	v_rcp_f64_e32 v[92:93], v[90:91]
	v_div_scale_f64 v[94:95], vcc, 1.0, v[80:81], 1.0
	v_fma_f64 v[96:97], -v[90:91], v[92:93], 1.0
	v_fmac_f64_e32 v[92:93], v[92:93], v[96:97]
	v_fma_f64 v[96:97], -v[90:91], v[92:93], 1.0
	v_fmac_f64_e32 v[92:93], v[92:93], v[96:97]
	v_mul_f64 v[96:97], v[94:95], v[92:93]
	v_fma_f64 v[90:91], -v[90:91], v[96:97], v[94:95]
	v_div_fmas_f64 v[90:91], v[90:91], v[92:93], v[96:97]
	v_div_fixup_f64 v[80:81], v[90:91], v[80:81], 1.0
; %bb.138:
	s_or_b64 exec, exec, s[0:1]
	v_cmp_ne_u32_e32 vcc, v85, v82
	s_and_saveexec_b64 s[0:1], vcc
	s_xor_b64 s[0:1], exec, s[0:1]
	s_cbranch_execz .LBB74_144
; %bb.139:
	v_cmp_eq_u32_e32 vcc, 8, v85
	s_and_saveexec_b64 s[2:3], vcc
	s_cbranch_execz .LBB74_143
; %bb.140:
	v_cmp_ne_u32_e32 vcc, 8, v82
	s_xor_b64 s[14:15], s[6:7], -1
	s_and_b64 s[16:17], s[14:15], vcc
	s_and_saveexec_b64 s[14:15], s[16:17]
	s_cbranch_execz .LBB74_142
; %bb.141:
	v_ashrrev_i32_e32 v83, 31, v82
	v_lshlrev_b64 v[90:91], 2, v[82:83]
	v_add_co_u32_e32 v90, vcc, v4, v90
	v_addc_co_u32_e32 v91, vcc, v5, v91, vcc
	flat_load_dword v83, v[90:91]
	flat_load_dword v85, v[4:5] offset:32
	s_waitcnt vmcnt(0) lgkmcnt(0)
	flat_store_dword v[4:5], v83 offset:32
	flat_store_dword v[90:91], v85
.LBB74_142:
	s_or_b64 exec, exec, s[14:15]
	v_mov_b32_e32 v83, v82
	v_mov_b32_e32 v85, v82
.LBB74_143:
	s_or_b64 exec, exec, s[2:3]
.LBB74_144:
	s_andn2_saveexec_b64 s[0:1], s[0:1]
	s_cbranch_execz .LBB74_146
; %bb.145:
	v_mov_b32_e32 v85, 8
	ds_write2_b64 v84, v[58:59], v[56:57] offset0:9 offset1:10
	ds_write2_b64 v84, v[54:55], v[52:53] offset0:11 offset1:12
	;; [unrolled: 1-line block ×14, first 2 shown]
	ds_write_b64 v84, v[78:79] offset:296
.LBB74_146:
	s_or_b64 exec, exec, s[0:1]
	v_cmp_lt_i32_e32 vcc, 8, v85
	s_waitcnt lgkmcnt(0)
	s_barrier
	s_and_saveexec_b64 s[0:1], vcc
	s_cbranch_execz .LBB74_148
; %bb.147:
	ds_read2_b64 v[90:93], v84 offset0:9 offset1:10
	ds_read2_b64 v[94:97], v84 offset0:11 offset1:12
	v_mul_f64 v[60:61], v[80:81], v[60:61]
	ds_read2_b64 v[98:101], v84 offset0:13 offset1:14
	ds_read_b64 v[80:81], v84 offset:296
	s_waitcnt lgkmcnt(0)
	v_fma_f64 v[58:59], -v[60:61], v[90:91], v[58:59]
	v_fma_f64 v[56:57], -v[60:61], v[92:93], v[56:57]
	ds_read2_b64 v[90:93], v84 offset0:15 offset1:16
	v_fma_f64 v[54:55], -v[60:61], v[94:95], v[54:55]
	v_fma_f64 v[52:53], -v[60:61], v[96:97], v[52:53]
	ds_read2_b64 v[94:97], v84 offset0:17 offset1:18
	;; [unrolled: 3-line block ×3, first 2 shown]
	s_waitcnt lgkmcnt(0)
	v_fma_f64 v[48:49], -v[60:61], v[90:91], v[48:49]
	v_fma_f64 v[44:45], -v[60:61], v[92:93], v[44:45]
	;; [unrolled: 1-line block ×3, first 2 shown]
	ds_read2_b64 v[90:93], v84 offset0:21 offset1:22
	v_fma_f64 v[40:41], -v[60:61], v[96:97], v[40:41]
	ds_read2_b64 v[94:97], v84 offset0:23 offset1:24
	v_fma_f64 v[38:39], -v[60:61], v[98:99], v[38:39]
	v_fma_f64 v[36:37], -v[60:61], v[100:101], v[36:37]
	s_waitcnt lgkmcnt(0)
	v_fma_f64 v[34:35], -v[60:61], v[90:91], v[34:35]
	ds_read2_b64 v[98:101], v84 offset0:25 offset1:26
	v_fma_f64 v[32:33], -v[60:61], v[92:93], v[32:33]
	ds_read2_b64 v[90:93], v84 offset0:27 offset1:28
	v_fma_f64 v[30:31], -v[60:61], v[94:95], v[30:31]
	v_fma_f64 v[28:29], -v[60:61], v[96:97], v[28:29]
	ds_read2_b64 v[94:97], v84 offset0:29 offset1:30
	s_waitcnt lgkmcnt(0)
	v_fma_f64 v[26:27], -v[60:61], v[98:99], v[26:27]
	v_fma_f64 v[24:25], -v[60:61], v[100:101], v[24:25]
	ds_read2_b64 v[98:101], v84 offset0:31 offset1:32
	v_fma_f64 v[22:23], -v[60:61], v[90:91], v[22:23]
	v_fma_f64 v[20:21], -v[60:61], v[92:93], v[20:21]
	;; [unrolled: 1-line block ×4, first 2 shown]
	ds_read2_b64 v[90:93], v84 offset0:33 offset1:34
	ds_read2_b64 v[94:97], v84 offset0:35 offset1:36
	s_waitcnt lgkmcnt(0)
	v_fma_f64 v[14:15], -v[60:61], v[98:99], v[14:15]
	v_fma_f64 v[12:13], -v[60:61], v[100:101], v[12:13]
	;; [unrolled: 1-line block ×7, first 2 shown]
.LBB74_148:
	s_or_b64 exec, exec, s[0:1]
	v_lshl_add_u32 v80, v85, 3, v84
	s_barrier
	ds_write_b64 v80, v[58:59]
	s_waitcnt lgkmcnt(0)
	s_barrier
	ds_read_b64 v[80:81], v84 offset:72
	s_cmp_lt_i32 s18, 11
	v_mov_b32_e32 v82, 9
	s_cbranch_scc1 .LBB74_151
; %bb.149:
	v_add_u32_e32 v89, 0x50, v84
	s_mov_b32 s0, 10
	v_mov_b32_e32 v82, 9
.LBB74_150:                             ; =>This Inner Loop Header: Depth=1
	ds_read_b64 v[90:91], v89
	v_mov_b32_e32 v92, s0
	s_add_i32 s0, s0, 1
	v_add_u32_e32 v89, 8, v89
	s_cmp_lg_u32 s18, s0
	s_waitcnt lgkmcnt(0)
	v_cmp_lt_f64_e64 vcc, |v[80:81]|, |v[90:91]|
	v_cndmask_b32_e32 v81, v81, v91, vcc
	v_cndmask_b32_e32 v80, v80, v90, vcc
	;; [unrolled: 1-line block ×3, first 2 shown]
	s_cbranch_scc1 .LBB74_150
.LBB74_151:
	s_waitcnt lgkmcnt(0)
	v_cmp_eq_f64_e32 vcc, 0, v[80:81]
	s_and_saveexec_b64 s[0:1], vcc
	s_xor_b64 s[0:1], exec, s[0:1]
; %bb.152:
	v_cmp_ne_u32_e32 vcc, 0, v88
	v_cndmask_b32_e32 v88, 10, v88, vcc
; %bb.153:
	s_andn2_saveexec_b64 s[0:1], s[0:1]
; %bb.154:
	v_div_scale_f64 v[90:91], s[2:3], v[80:81], v[80:81], 1.0
	v_rcp_f64_e32 v[92:93], v[90:91]
	v_div_scale_f64 v[94:95], vcc, 1.0, v[80:81], 1.0
	v_fma_f64 v[96:97], -v[90:91], v[92:93], 1.0
	v_fmac_f64_e32 v[92:93], v[92:93], v[96:97]
	v_fma_f64 v[96:97], -v[90:91], v[92:93], 1.0
	v_fmac_f64_e32 v[92:93], v[92:93], v[96:97]
	v_mul_f64 v[96:97], v[94:95], v[92:93]
	v_fma_f64 v[90:91], -v[90:91], v[96:97], v[94:95]
	v_div_fmas_f64 v[90:91], v[90:91], v[92:93], v[96:97]
	v_div_fixup_f64 v[80:81], v[90:91], v[80:81], 1.0
; %bb.155:
	s_or_b64 exec, exec, s[0:1]
	v_cmp_ne_u32_e32 vcc, v85, v82
	s_and_saveexec_b64 s[0:1], vcc
	s_xor_b64 s[0:1], exec, s[0:1]
	s_cbranch_execz .LBB74_161
; %bb.156:
	v_cmp_eq_u32_e32 vcc, 9, v85
	s_and_saveexec_b64 s[2:3], vcc
	s_cbranch_execz .LBB74_160
; %bb.157:
	v_cmp_ne_u32_e32 vcc, 9, v82
	s_xor_b64 s[14:15], s[6:7], -1
	s_and_b64 s[16:17], s[14:15], vcc
	s_and_saveexec_b64 s[14:15], s[16:17]
	s_cbranch_execz .LBB74_159
; %bb.158:
	v_ashrrev_i32_e32 v83, 31, v82
	v_lshlrev_b64 v[90:91], 2, v[82:83]
	v_add_co_u32_e32 v90, vcc, v4, v90
	v_addc_co_u32_e32 v91, vcc, v5, v91, vcc
	flat_load_dword v83, v[90:91]
	flat_load_dword v85, v[4:5] offset:36
	s_waitcnt vmcnt(0) lgkmcnt(0)
	flat_store_dword v[4:5], v83 offset:36
	flat_store_dword v[90:91], v85
.LBB74_159:
	s_or_b64 exec, exec, s[14:15]
	v_mov_b32_e32 v83, v82
	v_mov_b32_e32 v85, v82
.LBB74_160:
	s_or_b64 exec, exec, s[2:3]
.LBB74_161:
	s_andn2_saveexec_b64 s[0:1], s[0:1]
	s_cbranch_execz .LBB74_163
; %bb.162:
	v_mov_b32_e32 v90, v56
	v_mov_b32_e32 v91, v57
	v_mov_b32_e32 v92, v54
	v_mov_b32_e32 v93, v55
	ds_write2_b64 v84, v[90:91], v[92:93] offset0:10 offset1:11
	v_mov_b32_e32 v90, v52
	v_mov_b32_e32 v91, v53
	v_mov_b32_e32 v92, v50
	v_mov_b32_e32 v93, v51
	ds_write2_b64 v84, v[90:91], v[92:93] offset0:12 offset1:13
	;; [unrolled: 5-line block ×13, first 2 shown]
	v_mov_b32_e32 v90, v0
	v_mov_b32_e32 v91, v1
	;; [unrolled: 1-line block ×3, first 2 shown]
	ds_write2_b64 v84, v[90:91], v[78:79] offset0:36 offset1:37
.LBB74_163:
	s_or_b64 exec, exec, s[0:1]
	v_cmp_lt_i32_e32 vcc, 9, v85
	s_waitcnt lgkmcnt(0)
	s_barrier
	s_and_saveexec_b64 s[0:1], vcc
	s_cbranch_execz .LBB74_165
; %bb.164:
	ds_read2_b64 v[90:93], v84 offset0:10 offset1:11
	ds_read2_b64 v[94:97], v84 offset0:12 offset1:13
	v_mul_f64 v[58:59], v[80:81], v[58:59]
	ds_read2_b64 v[98:101], v84 offset0:14 offset1:15
	s_waitcnt lgkmcnt(0)
	v_fma_f64 v[56:57], -v[58:59], v[90:91], v[56:57]
	v_fma_f64 v[54:55], -v[58:59], v[92:93], v[54:55]
	ds_read2_b64 v[90:93], v84 offset0:16 offset1:17
	v_fma_f64 v[52:53], -v[58:59], v[94:95], v[52:53]
	v_fma_f64 v[50:51], -v[58:59], v[96:97], v[50:51]
	ds_read2_b64 v[94:97], v84 offset0:18 offset1:19
	;; [unrolled: 3-line block ×3, first 2 shown]
	s_waitcnt lgkmcnt(0)
	v_fma_f64 v[44:45], -v[58:59], v[90:91], v[44:45]
	v_fma_f64 v[42:43], -v[58:59], v[92:93], v[42:43]
	;; [unrolled: 1-line block ×3, first 2 shown]
	ds_read2_b64 v[90:93], v84 offset0:22 offset1:23
	v_fma_f64 v[38:39], -v[58:59], v[96:97], v[38:39]
	ds_read2_b64 v[94:97], v84 offset0:24 offset1:25
	v_fma_f64 v[36:37], -v[58:59], v[98:99], v[36:37]
	v_fma_f64 v[34:35], -v[58:59], v[100:101], v[34:35]
	s_waitcnt lgkmcnt(0)
	v_fma_f64 v[32:33], -v[58:59], v[90:91], v[32:33]
	ds_read2_b64 v[98:101], v84 offset0:26 offset1:27
	v_fma_f64 v[30:31], -v[58:59], v[92:93], v[30:31]
	ds_read2_b64 v[90:93], v84 offset0:28 offset1:29
	v_fma_f64 v[28:29], -v[58:59], v[94:95], v[28:29]
	v_fma_f64 v[26:27], -v[58:59], v[96:97], v[26:27]
	ds_read2_b64 v[94:97], v84 offset0:30 offset1:31
	s_waitcnt lgkmcnt(0)
	v_fma_f64 v[24:25], -v[58:59], v[98:99], v[24:25]
	v_fma_f64 v[22:23], -v[58:59], v[100:101], v[22:23]
	;; [unrolled: 1-line block ×4, first 2 shown]
	ds_read2_b64 v[90:93], v84 offset0:32 offset1:33
	v_fma_f64 v[18:19], -v[58:59], v[94:95], v[18:19]
	ds_read2_b64 v[98:101], v84 offset0:34 offset1:35
	v_fma_f64 v[14:15], -v[58:59], v[96:97], v[14:15]
	ds_read2_b64 v[94:97], v84 offset0:36 offset1:37
	s_waitcnt lgkmcnt(0)
	v_fma_f64 v[12:13], -v[58:59], v[90:91], v[12:13]
	v_fma_f64 v[10:11], -v[58:59], v[92:93], v[10:11]
	v_fma_f64 v[8:9], -v[58:59], v[98:99], v[8:9]
	v_fma_f64 v[6:7], -v[58:59], v[100:101], v[6:7]
	v_fma_f64 v[0:1], -v[58:59], v[94:95], v[0:1]
	v_fma_f64 v[78:79], -v[58:59], v[96:97], v[78:79]
.LBB74_165:
	s_or_b64 exec, exec, s[0:1]
	v_lshl_add_u32 v80, v85, 3, v84
	s_barrier
	ds_write_b64 v80, v[56:57]
	s_waitcnt lgkmcnt(0)
	s_barrier
	ds_read_b64 v[80:81], v84 offset:80
	s_cmp_lt_i32 s18, 12
	v_mov_b32_e32 v82, 10
	s_cbranch_scc1 .LBB74_168
; %bb.166:
	v_add_u32_e32 v89, 0x58, v84
	s_mov_b32 s0, 11
	v_mov_b32_e32 v82, 10
.LBB74_167:                             ; =>This Inner Loop Header: Depth=1
	ds_read_b64 v[90:91], v89
	v_mov_b32_e32 v92, s0
	s_add_i32 s0, s0, 1
	v_add_u32_e32 v89, 8, v89
	s_cmp_lg_u32 s18, s0
	s_waitcnt lgkmcnt(0)
	v_cmp_lt_f64_e64 vcc, |v[80:81]|, |v[90:91]|
	v_cndmask_b32_e32 v81, v81, v91, vcc
	v_cndmask_b32_e32 v80, v80, v90, vcc
	;; [unrolled: 1-line block ×3, first 2 shown]
	s_cbranch_scc1 .LBB74_167
.LBB74_168:
	s_waitcnt lgkmcnt(0)
	v_cmp_eq_f64_e32 vcc, 0, v[80:81]
	s_and_saveexec_b64 s[0:1], vcc
	s_xor_b64 s[0:1], exec, s[0:1]
; %bb.169:
	v_cmp_ne_u32_e32 vcc, 0, v88
	v_cndmask_b32_e32 v88, 11, v88, vcc
; %bb.170:
	s_andn2_saveexec_b64 s[0:1], s[0:1]
; %bb.171:
	v_div_scale_f64 v[90:91], s[2:3], v[80:81], v[80:81], 1.0
	v_rcp_f64_e32 v[92:93], v[90:91]
	v_div_scale_f64 v[94:95], vcc, 1.0, v[80:81], 1.0
	v_fma_f64 v[96:97], -v[90:91], v[92:93], 1.0
	v_fmac_f64_e32 v[92:93], v[92:93], v[96:97]
	v_fma_f64 v[96:97], -v[90:91], v[92:93], 1.0
	v_fmac_f64_e32 v[92:93], v[92:93], v[96:97]
	v_mul_f64 v[96:97], v[94:95], v[92:93]
	v_fma_f64 v[90:91], -v[90:91], v[96:97], v[94:95]
	v_div_fmas_f64 v[90:91], v[90:91], v[92:93], v[96:97]
	v_div_fixup_f64 v[80:81], v[90:91], v[80:81], 1.0
; %bb.172:
	s_or_b64 exec, exec, s[0:1]
	v_cmp_ne_u32_e32 vcc, v85, v82
	s_and_saveexec_b64 s[0:1], vcc
	s_xor_b64 s[0:1], exec, s[0:1]
	s_cbranch_execz .LBB74_178
; %bb.173:
	v_cmp_eq_u32_e32 vcc, 10, v85
	s_and_saveexec_b64 s[2:3], vcc
	s_cbranch_execz .LBB74_177
; %bb.174:
	v_cmp_ne_u32_e32 vcc, 10, v82
	s_xor_b64 s[14:15], s[6:7], -1
	s_and_b64 s[16:17], s[14:15], vcc
	s_and_saveexec_b64 s[14:15], s[16:17]
	s_cbranch_execz .LBB74_176
; %bb.175:
	v_ashrrev_i32_e32 v83, 31, v82
	v_lshlrev_b64 v[90:91], 2, v[82:83]
	v_add_co_u32_e32 v90, vcc, v4, v90
	v_addc_co_u32_e32 v91, vcc, v5, v91, vcc
	flat_load_dword v83, v[90:91]
	flat_load_dword v85, v[4:5] offset:40
	s_waitcnt vmcnt(0) lgkmcnt(0)
	flat_store_dword v[4:5], v83 offset:40
	flat_store_dword v[90:91], v85
.LBB74_176:
	s_or_b64 exec, exec, s[14:15]
	v_mov_b32_e32 v83, v82
	v_mov_b32_e32 v85, v82
.LBB74_177:
	s_or_b64 exec, exec, s[2:3]
.LBB74_178:
	s_andn2_saveexec_b64 s[0:1], s[0:1]
	s_cbranch_execz .LBB74_180
; %bb.179:
	v_mov_b32_e32 v85, 10
	ds_write2_b64 v84, v[54:55], v[52:53] offset0:11 offset1:12
	ds_write2_b64 v84, v[50:51], v[46:47] offset0:13 offset1:14
	;; [unrolled: 1-line block ×13, first 2 shown]
	ds_write_b64 v84, v[78:79] offset:296
.LBB74_180:
	s_or_b64 exec, exec, s[0:1]
	v_cmp_lt_i32_e32 vcc, 10, v85
	s_waitcnt lgkmcnt(0)
	s_barrier
	s_and_saveexec_b64 s[0:1], vcc
	s_cbranch_execz .LBB74_182
; %bb.181:
	ds_read2_b64 v[90:93], v84 offset0:11 offset1:12
	ds_read2_b64 v[94:97], v84 offset0:13 offset1:14
	v_mul_f64 v[56:57], v[80:81], v[56:57]
	ds_read2_b64 v[98:101], v84 offset0:15 offset1:16
	ds_read_b64 v[80:81], v84 offset:296
	s_waitcnt lgkmcnt(0)
	v_fma_f64 v[54:55], -v[56:57], v[90:91], v[54:55]
	v_fma_f64 v[52:53], -v[56:57], v[92:93], v[52:53]
	ds_read2_b64 v[90:93], v84 offset0:17 offset1:18
	v_fma_f64 v[50:51], -v[56:57], v[94:95], v[50:51]
	v_fma_f64 v[46:47], -v[56:57], v[96:97], v[46:47]
	;; [unrolled: 1-line block ×3, first 2 shown]
	ds_read2_b64 v[94:97], v84 offset0:19 offset1:20
	v_fma_f64 v[44:45], -v[56:57], v[100:101], v[44:45]
	ds_read2_b64 v[98:101], v84 offset0:21 offset1:22
	s_waitcnt lgkmcnt(0)
	v_fma_f64 v[42:43], -v[56:57], v[90:91], v[42:43]
	v_fma_f64 v[40:41], -v[56:57], v[92:93], v[40:41]
	ds_read2_b64 v[90:93], v84 offset0:23 offset1:24
	v_fma_f64 v[38:39], -v[56:57], v[94:95], v[38:39]
	v_fma_f64 v[36:37], -v[56:57], v[96:97], v[36:37]
	ds_read2_b64 v[94:97], v84 offset0:25 offset1:26
	v_fma_f64 v[34:35], -v[56:57], v[98:99], v[34:35]
	v_fma_f64 v[32:33], -v[56:57], v[100:101], v[32:33]
	s_waitcnt lgkmcnt(0)
	v_fma_f64 v[30:31], -v[56:57], v[90:91], v[30:31]
	ds_read2_b64 v[98:101], v84 offset0:27 offset1:28
	v_fma_f64 v[28:29], -v[56:57], v[92:93], v[28:29]
	ds_read2_b64 v[90:93], v84 offset0:29 offset1:30
	v_fma_f64 v[26:27], -v[56:57], v[94:95], v[26:27]
	v_fma_f64 v[24:25], -v[56:57], v[96:97], v[24:25]
	s_waitcnt lgkmcnt(0)
	v_fma_f64 v[22:23], -v[56:57], v[98:99], v[22:23]
	ds_read2_b64 v[94:97], v84 offset0:31 offset1:32
	v_fma_f64 v[20:21], -v[56:57], v[100:101], v[20:21]
	v_fma_f64 v[16:17], -v[56:57], v[90:91], v[16:17]
	;; [unrolled: 1-line block ×3, first 2 shown]
	ds_read2_b64 v[90:93], v84 offset0:33 offset1:34
	ds_read2_b64 v[98:101], v84 offset0:35 offset1:36
	s_waitcnt lgkmcnt(0)
	v_fma_f64 v[14:15], -v[56:57], v[94:95], v[14:15]
	v_fma_f64 v[12:13], -v[56:57], v[96:97], v[12:13]
	;; [unrolled: 1-line block ×7, first 2 shown]
.LBB74_182:
	s_or_b64 exec, exec, s[0:1]
	v_lshl_add_u32 v80, v85, 3, v84
	s_barrier
	ds_write_b64 v80, v[54:55]
	s_waitcnt lgkmcnt(0)
	s_barrier
	ds_read_b64 v[80:81], v84 offset:88
	s_cmp_lt_i32 s18, 13
	v_mov_b32_e32 v82, 11
	s_cbranch_scc1 .LBB74_185
; %bb.183:
	v_add_u32_e32 v89, 0x60, v84
	s_mov_b32 s0, 12
	v_mov_b32_e32 v82, 11
.LBB74_184:                             ; =>This Inner Loop Header: Depth=1
	ds_read_b64 v[90:91], v89
	v_mov_b32_e32 v92, s0
	s_add_i32 s0, s0, 1
	v_add_u32_e32 v89, 8, v89
	s_cmp_lg_u32 s18, s0
	s_waitcnt lgkmcnt(0)
	v_cmp_lt_f64_e64 vcc, |v[80:81]|, |v[90:91]|
	v_cndmask_b32_e32 v81, v81, v91, vcc
	v_cndmask_b32_e32 v80, v80, v90, vcc
	;; [unrolled: 1-line block ×3, first 2 shown]
	s_cbranch_scc1 .LBB74_184
.LBB74_185:
	s_waitcnt lgkmcnt(0)
	v_cmp_eq_f64_e32 vcc, 0, v[80:81]
	s_and_saveexec_b64 s[0:1], vcc
	s_xor_b64 s[0:1], exec, s[0:1]
; %bb.186:
	v_cmp_ne_u32_e32 vcc, 0, v88
	v_cndmask_b32_e32 v88, 12, v88, vcc
; %bb.187:
	s_andn2_saveexec_b64 s[0:1], s[0:1]
; %bb.188:
	v_div_scale_f64 v[90:91], s[2:3], v[80:81], v[80:81], 1.0
	v_rcp_f64_e32 v[92:93], v[90:91]
	v_div_scale_f64 v[94:95], vcc, 1.0, v[80:81], 1.0
	v_fma_f64 v[96:97], -v[90:91], v[92:93], 1.0
	v_fmac_f64_e32 v[92:93], v[92:93], v[96:97]
	v_fma_f64 v[96:97], -v[90:91], v[92:93], 1.0
	v_fmac_f64_e32 v[92:93], v[92:93], v[96:97]
	v_mul_f64 v[96:97], v[94:95], v[92:93]
	v_fma_f64 v[90:91], -v[90:91], v[96:97], v[94:95]
	v_div_fmas_f64 v[90:91], v[90:91], v[92:93], v[96:97]
	v_div_fixup_f64 v[80:81], v[90:91], v[80:81], 1.0
; %bb.189:
	s_or_b64 exec, exec, s[0:1]
	v_cmp_ne_u32_e32 vcc, v85, v82
	s_and_saveexec_b64 s[0:1], vcc
	s_xor_b64 s[0:1], exec, s[0:1]
	s_cbranch_execz .LBB74_195
; %bb.190:
	v_cmp_eq_u32_e32 vcc, 11, v85
	s_and_saveexec_b64 s[2:3], vcc
	s_cbranch_execz .LBB74_194
; %bb.191:
	v_cmp_ne_u32_e32 vcc, 11, v82
	s_xor_b64 s[14:15], s[6:7], -1
	s_and_b64 s[16:17], s[14:15], vcc
	s_and_saveexec_b64 s[14:15], s[16:17]
	s_cbranch_execz .LBB74_193
; %bb.192:
	v_ashrrev_i32_e32 v83, 31, v82
	v_lshlrev_b64 v[90:91], 2, v[82:83]
	v_add_co_u32_e32 v90, vcc, v4, v90
	v_addc_co_u32_e32 v91, vcc, v5, v91, vcc
	flat_load_dword v83, v[90:91]
	flat_load_dword v85, v[4:5] offset:44
	s_waitcnt vmcnt(0) lgkmcnt(0)
	flat_store_dword v[4:5], v83 offset:44
	flat_store_dword v[90:91], v85
.LBB74_193:
	s_or_b64 exec, exec, s[14:15]
	v_mov_b32_e32 v83, v82
	v_mov_b32_e32 v85, v82
.LBB74_194:
	s_or_b64 exec, exec, s[2:3]
.LBB74_195:
	s_andn2_saveexec_b64 s[0:1], s[0:1]
	s_cbranch_execz .LBB74_197
; %bb.196:
	v_mov_b32_e32 v90, v52
	v_mov_b32_e32 v91, v53
	v_mov_b32_e32 v92, v50
	v_mov_b32_e32 v93, v51
	ds_write2_b64 v84, v[90:91], v[92:93] offset0:12 offset1:13
	v_mov_b32_e32 v90, v46
	v_mov_b32_e32 v91, v47
	v_mov_b32_e32 v92, v48
	v_mov_b32_e32 v93, v49
	ds_write2_b64 v84, v[90:91], v[92:93] offset0:14 offset1:15
	;; [unrolled: 5-line block ×12, first 2 shown]
	v_mov_b32_e32 v90, v0
	v_mov_b32_e32 v91, v1
	;; [unrolled: 1-line block ×3, first 2 shown]
	ds_write2_b64 v84, v[90:91], v[78:79] offset0:36 offset1:37
.LBB74_197:
	s_or_b64 exec, exec, s[0:1]
	v_cmp_lt_i32_e32 vcc, 11, v85
	s_waitcnt lgkmcnt(0)
	s_barrier
	s_and_saveexec_b64 s[0:1], vcc
	s_cbranch_execz .LBB74_199
; %bb.198:
	ds_read2_b64 v[90:93], v84 offset0:12 offset1:13
	ds_read2_b64 v[94:97], v84 offset0:14 offset1:15
	v_mul_f64 v[54:55], v[80:81], v[54:55]
	ds_read2_b64 v[98:101], v84 offset0:16 offset1:17
	s_waitcnt lgkmcnt(0)
	v_fma_f64 v[52:53], -v[54:55], v[90:91], v[52:53]
	v_fma_f64 v[50:51], -v[54:55], v[92:93], v[50:51]
	ds_read2_b64 v[90:93], v84 offset0:18 offset1:19
	v_fma_f64 v[46:47], -v[54:55], v[94:95], v[46:47]
	v_fma_f64 v[48:49], -v[54:55], v[96:97], v[48:49]
	;; [unrolled: 1-line block ×3, first 2 shown]
	ds_read2_b64 v[94:97], v84 offset0:20 offset1:21
	v_fma_f64 v[42:43], -v[54:55], v[100:101], v[42:43]
	ds_read2_b64 v[98:101], v84 offset0:22 offset1:23
	s_waitcnt lgkmcnt(0)
	v_fma_f64 v[40:41], -v[54:55], v[90:91], v[40:41]
	v_fma_f64 v[38:39], -v[54:55], v[92:93], v[38:39]
	ds_read2_b64 v[90:93], v84 offset0:24 offset1:25
	v_fma_f64 v[36:37], -v[54:55], v[94:95], v[36:37]
	v_fma_f64 v[34:35], -v[54:55], v[96:97], v[34:35]
	ds_read2_b64 v[94:97], v84 offset0:26 offset1:27
	v_fma_f64 v[32:33], -v[54:55], v[98:99], v[32:33]
	v_fma_f64 v[30:31], -v[54:55], v[100:101], v[30:31]
	s_waitcnt lgkmcnt(0)
	v_fma_f64 v[28:29], -v[54:55], v[90:91], v[28:29]
	ds_read2_b64 v[98:101], v84 offset0:28 offset1:29
	v_fma_f64 v[26:27], -v[54:55], v[92:93], v[26:27]
	ds_read2_b64 v[90:93], v84 offset0:30 offset1:31
	v_fma_f64 v[24:25], -v[54:55], v[94:95], v[24:25]
	v_fma_f64 v[22:23], -v[54:55], v[96:97], v[22:23]
	s_waitcnt lgkmcnt(0)
	v_fma_f64 v[20:21], -v[54:55], v[98:99], v[20:21]
	v_fma_f64 v[16:17], -v[54:55], v[100:101], v[16:17]
	ds_read2_b64 v[94:97], v84 offset0:32 offset1:33
	ds_read2_b64 v[98:101], v84 offset0:34 offset1:35
	v_fma_f64 v[18:19], -v[54:55], v[90:91], v[18:19]
	v_fma_f64 v[14:15], -v[54:55], v[92:93], v[14:15]
	ds_read2_b64 v[90:93], v84 offset0:36 offset1:37
	s_waitcnt lgkmcnt(0)
	v_fma_f64 v[12:13], -v[54:55], v[94:95], v[12:13]
	v_fma_f64 v[10:11], -v[54:55], v[96:97], v[10:11]
	;; [unrolled: 1-line block ×6, first 2 shown]
.LBB74_199:
	s_or_b64 exec, exec, s[0:1]
	v_lshl_add_u32 v80, v85, 3, v84
	s_barrier
	ds_write_b64 v80, v[52:53]
	s_waitcnt lgkmcnt(0)
	s_barrier
	ds_read_b64 v[80:81], v84 offset:96
	s_cmp_lt_i32 s18, 14
	v_mov_b32_e32 v82, 12
	s_cbranch_scc1 .LBB74_202
; %bb.200:
	v_add_u32_e32 v89, 0x68, v84
	s_mov_b32 s0, 13
	v_mov_b32_e32 v82, 12
.LBB74_201:                             ; =>This Inner Loop Header: Depth=1
	ds_read_b64 v[90:91], v89
	v_mov_b32_e32 v92, s0
	s_add_i32 s0, s0, 1
	v_add_u32_e32 v89, 8, v89
	s_cmp_lg_u32 s18, s0
	s_waitcnt lgkmcnt(0)
	v_cmp_lt_f64_e64 vcc, |v[80:81]|, |v[90:91]|
	v_cndmask_b32_e32 v81, v81, v91, vcc
	v_cndmask_b32_e32 v80, v80, v90, vcc
	;; [unrolled: 1-line block ×3, first 2 shown]
	s_cbranch_scc1 .LBB74_201
.LBB74_202:
	s_waitcnt lgkmcnt(0)
	v_cmp_eq_f64_e32 vcc, 0, v[80:81]
	s_and_saveexec_b64 s[0:1], vcc
	s_xor_b64 s[0:1], exec, s[0:1]
; %bb.203:
	v_cmp_ne_u32_e32 vcc, 0, v88
	v_cndmask_b32_e32 v88, 13, v88, vcc
; %bb.204:
	s_andn2_saveexec_b64 s[0:1], s[0:1]
; %bb.205:
	v_div_scale_f64 v[90:91], s[2:3], v[80:81], v[80:81], 1.0
	v_rcp_f64_e32 v[92:93], v[90:91]
	v_div_scale_f64 v[94:95], vcc, 1.0, v[80:81], 1.0
	v_fma_f64 v[96:97], -v[90:91], v[92:93], 1.0
	v_fmac_f64_e32 v[92:93], v[92:93], v[96:97]
	v_fma_f64 v[96:97], -v[90:91], v[92:93], 1.0
	v_fmac_f64_e32 v[92:93], v[92:93], v[96:97]
	v_mul_f64 v[96:97], v[94:95], v[92:93]
	v_fma_f64 v[90:91], -v[90:91], v[96:97], v[94:95]
	v_div_fmas_f64 v[90:91], v[90:91], v[92:93], v[96:97]
	v_div_fixup_f64 v[80:81], v[90:91], v[80:81], 1.0
; %bb.206:
	s_or_b64 exec, exec, s[0:1]
	v_cmp_ne_u32_e32 vcc, v85, v82
	s_and_saveexec_b64 s[0:1], vcc
	s_xor_b64 s[0:1], exec, s[0:1]
	s_cbranch_execz .LBB74_212
; %bb.207:
	v_cmp_eq_u32_e32 vcc, 12, v85
	s_and_saveexec_b64 s[2:3], vcc
	s_cbranch_execz .LBB74_211
; %bb.208:
	v_cmp_ne_u32_e32 vcc, 12, v82
	s_xor_b64 s[14:15], s[6:7], -1
	s_and_b64 s[16:17], s[14:15], vcc
	s_and_saveexec_b64 s[14:15], s[16:17]
	s_cbranch_execz .LBB74_210
; %bb.209:
	v_ashrrev_i32_e32 v83, 31, v82
	v_lshlrev_b64 v[90:91], 2, v[82:83]
	v_add_co_u32_e32 v90, vcc, v4, v90
	v_addc_co_u32_e32 v91, vcc, v5, v91, vcc
	flat_load_dword v83, v[90:91]
	flat_load_dword v85, v[4:5] offset:48
	s_waitcnt vmcnt(0) lgkmcnt(0)
	flat_store_dword v[4:5], v83 offset:48
	flat_store_dword v[90:91], v85
.LBB74_210:
	s_or_b64 exec, exec, s[14:15]
	v_mov_b32_e32 v83, v82
	v_mov_b32_e32 v85, v82
.LBB74_211:
	s_or_b64 exec, exec, s[2:3]
.LBB74_212:
	s_andn2_saveexec_b64 s[0:1], s[0:1]
	s_cbranch_execz .LBB74_214
; %bb.213:
	v_mov_b32_e32 v85, 12
	ds_write2_b64 v84, v[50:51], v[46:47] offset0:13 offset1:14
	ds_write2_b64 v84, v[48:49], v[44:45] offset0:15 offset1:16
	;; [unrolled: 1-line block ×12, first 2 shown]
	ds_write_b64 v84, v[78:79] offset:296
.LBB74_214:
	s_or_b64 exec, exec, s[0:1]
	v_cmp_lt_i32_e32 vcc, 12, v85
	s_waitcnt lgkmcnt(0)
	s_barrier
	s_and_saveexec_b64 s[0:1], vcc
	s_cbranch_execz .LBB74_216
; %bb.215:
	ds_read2_b64 v[90:93], v84 offset0:13 offset1:14
	ds_read2_b64 v[94:97], v84 offset0:15 offset1:16
	;; [unrolled: 1-line block ×3, first 2 shown]
	v_mul_f64 v[52:53], v[80:81], v[52:53]
	ds_read_b64 v[80:81], v84 offset:296
	s_waitcnt lgkmcnt(0)
	v_fma_f64 v[50:51], -v[52:53], v[90:91], v[50:51]
	v_fma_f64 v[46:47], -v[52:53], v[92:93], v[46:47]
	ds_read2_b64 v[90:93], v84 offset0:19 offset1:20
	v_fma_f64 v[48:49], -v[52:53], v[94:95], v[48:49]
	v_fma_f64 v[44:45], -v[52:53], v[96:97], v[44:45]
	;; [unrolled: 1-line block ×3, first 2 shown]
	ds_read2_b64 v[94:97], v84 offset0:21 offset1:22
	v_fma_f64 v[40:41], -v[52:53], v[100:101], v[40:41]
	ds_read2_b64 v[98:101], v84 offset0:23 offset1:24
	s_waitcnt lgkmcnt(0)
	v_fma_f64 v[38:39], -v[52:53], v[90:91], v[38:39]
	v_fma_f64 v[36:37], -v[52:53], v[92:93], v[36:37]
	;; [unrolled: 1-line block ×3, first 2 shown]
	ds_read2_b64 v[90:93], v84 offset0:25 offset1:26
	v_fma_f64 v[32:33], -v[52:53], v[96:97], v[32:33]
	ds_read2_b64 v[94:97], v84 offset0:27 offset1:28
	v_fma_f64 v[30:31], -v[52:53], v[98:99], v[30:31]
	v_fma_f64 v[28:29], -v[52:53], v[100:101], v[28:29]
	ds_read2_b64 v[98:101], v84 offset0:29 offset1:30
	s_waitcnt lgkmcnt(0)
	v_fma_f64 v[26:27], -v[52:53], v[90:91], v[26:27]
	v_fma_f64 v[24:25], -v[52:53], v[92:93], v[24:25]
	ds_read2_b64 v[90:93], v84 offset0:31 offset1:32
	v_fma_f64 v[22:23], -v[52:53], v[94:95], v[22:23]
	v_fma_f64 v[20:21], -v[52:53], v[96:97], v[20:21]
	;; [unrolled: 1-line block ×4, first 2 shown]
	ds_read2_b64 v[94:97], v84 offset0:33 offset1:34
	ds_read2_b64 v[98:101], v84 offset0:35 offset1:36
	s_waitcnt lgkmcnt(0)
	v_fma_f64 v[14:15], -v[52:53], v[90:91], v[14:15]
	v_fma_f64 v[12:13], -v[52:53], v[92:93], v[12:13]
	;; [unrolled: 1-line block ×7, first 2 shown]
.LBB74_216:
	s_or_b64 exec, exec, s[0:1]
	v_lshl_add_u32 v80, v85, 3, v84
	s_barrier
	ds_write_b64 v80, v[50:51]
	s_waitcnt lgkmcnt(0)
	s_barrier
	ds_read_b64 v[80:81], v84 offset:104
	s_cmp_lt_i32 s18, 15
	v_mov_b32_e32 v82, 13
	s_cbranch_scc1 .LBB74_219
; %bb.217:
	v_add_u32_e32 v89, 0x70, v84
	s_mov_b32 s0, 14
	v_mov_b32_e32 v82, 13
.LBB74_218:                             ; =>This Inner Loop Header: Depth=1
	ds_read_b64 v[90:91], v89
	v_mov_b32_e32 v92, s0
	s_add_i32 s0, s0, 1
	v_add_u32_e32 v89, 8, v89
	s_cmp_lg_u32 s18, s0
	s_waitcnt lgkmcnt(0)
	v_cmp_lt_f64_e64 vcc, |v[80:81]|, |v[90:91]|
	v_cndmask_b32_e32 v81, v81, v91, vcc
	v_cndmask_b32_e32 v80, v80, v90, vcc
	;; [unrolled: 1-line block ×3, first 2 shown]
	s_cbranch_scc1 .LBB74_218
.LBB74_219:
	s_waitcnt lgkmcnt(0)
	v_cmp_eq_f64_e32 vcc, 0, v[80:81]
	s_and_saveexec_b64 s[0:1], vcc
	s_xor_b64 s[0:1], exec, s[0:1]
; %bb.220:
	v_cmp_ne_u32_e32 vcc, 0, v88
	v_cndmask_b32_e32 v88, 14, v88, vcc
; %bb.221:
	s_andn2_saveexec_b64 s[0:1], s[0:1]
; %bb.222:
	v_div_scale_f64 v[90:91], s[2:3], v[80:81], v[80:81], 1.0
	v_rcp_f64_e32 v[92:93], v[90:91]
	v_div_scale_f64 v[94:95], vcc, 1.0, v[80:81], 1.0
	v_fma_f64 v[96:97], -v[90:91], v[92:93], 1.0
	v_fmac_f64_e32 v[92:93], v[92:93], v[96:97]
	v_fma_f64 v[96:97], -v[90:91], v[92:93], 1.0
	v_fmac_f64_e32 v[92:93], v[92:93], v[96:97]
	v_mul_f64 v[96:97], v[94:95], v[92:93]
	v_fma_f64 v[90:91], -v[90:91], v[96:97], v[94:95]
	v_div_fmas_f64 v[90:91], v[90:91], v[92:93], v[96:97]
	v_div_fixup_f64 v[80:81], v[90:91], v[80:81], 1.0
; %bb.223:
	s_or_b64 exec, exec, s[0:1]
	v_cmp_ne_u32_e32 vcc, v85, v82
	s_and_saveexec_b64 s[0:1], vcc
	s_xor_b64 s[0:1], exec, s[0:1]
	s_cbranch_execz .LBB74_229
; %bb.224:
	v_cmp_eq_u32_e32 vcc, 13, v85
	s_and_saveexec_b64 s[2:3], vcc
	s_cbranch_execz .LBB74_228
; %bb.225:
	v_cmp_ne_u32_e32 vcc, 13, v82
	s_xor_b64 s[14:15], s[6:7], -1
	s_and_b64 s[16:17], s[14:15], vcc
	s_and_saveexec_b64 s[14:15], s[16:17]
	s_cbranch_execz .LBB74_227
; %bb.226:
	v_ashrrev_i32_e32 v83, 31, v82
	v_lshlrev_b64 v[90:91], 2, v[82:83]
	v_add_co_u32_e32 v90, vcc, v4, v90
	v_addc_co_u32_e32 v91, vcc, v5, v91, vcc
	flat_load_dword v83, v[90:91]
	flat_load_dword v85, v[4:5] offset:52
	s_waitcnt vmcnt(0) lgkmcnt(0)
	flat_store_dword v[4:5], v83 offset:52
	flat_store_dword v[90:91], v85
.LBB74_227:
	s_or_b64 exec, exec, s[14:15]
	v_mov_b32_e32 v83, v82
	v_mov_b32_e32 v85, v82
.LBB74_228:
	s_or_b64 exec, exec, s[2:3]
.LBB74_229:
	s_andn2_saveexec_b64 s[0:1], s[0:1]
	s_cbranch_execz .LBB74_231
; %bb.230:
	v_mov_b32_e32 v90, v46
	v_mov_b32_e32 v91, v47
	v_mov_b32_e32 v92, v48
	v_mov_b32_e32 v93, v49
	ds_write2_b64 v84, v[90:91], v[92:93] offset0:14 offset1:15
	v_mov_b32_e32 v90, v44
	v_mov_b32_e32 v91, v45
	v_mov_b32_e32 v92, v42
	v_mov_b32_e32 v93, v43
	ds_write2_b64 v84, v[90:91], v[92:93] offset0:16 offset1:17
	v_mov_b32_e32 v90, v40
	v_mov_b32_e32 v91, v41
	v_mov_b32_e32 v92, v38
	v_mov_b32_e32 v93, v39
	ds_write2_b64 v84, v[90:91], v[92:93] offset0:18 offset1:19
	v_mov_b32_e32 v90, v36
	v_mov_b32_e32 v91, v37
	v_mov_b32_e32 v92, v34
	v_mov_b32_e32 v93, v35
	ds_write2_b64 v84, v[90:91], v[92:93] offset0:20 offset1:21
	v_mov_b32_e32 v90, v32
	v_mov_b32_e32 v91, v33
	v_mov_b32_e32 v92, v30
	v_mov_b32_e32 v93, v31
	ds_write2_b64 v84, v[90:91], v[92:93] offset0:22 offset1:23
	v_mov_b32_e32 v90, v28
	v_mov_b32_e32 v91, v29
	v_mov_b32_e32 v92, v26
	v_mov_b32_e32 v93, v27
	ds_write2_b64 v84, v[90:91], v[92:93] offset0:24 offset1:25
	v_mov_b32_e32 v90, v24
	v_mov_b32_e32 v91, v25
	v_mov_b32_e32 v92, v22
	v_mov_b32_e32 v93, v23
	ds_write2_b64 v84, v[90:91], v[92:93] offset0:26 offset1:27
	v_mov_b32_e32 v90, v20
	v_mov_b32_e32 v91, v21
	v_mov_b32_e32 v92, v16
	v_mov_b32_e32 v93, v17
	ds_write2_b64 v84, v[90:91], v[92:93] offset0:28 offset1:29
	v_mov_b32_e32 v90, v18
	v_mov_b32_e32 v91, v19
	v_mov_b32_e32 v92, v14
	v_mov_b32_e32 v93, v15
	ds_write2_b64 v84, v[90:91], v[92:93] offset0:30 offset1:31
	v_mov_b32_e32 v90, v12
	v_mov_b32_e32 v91, v13
	v_mov_b32_e32 v92, v10
	v_mov_b32_e32 v93, v11
	ds_write2_b64 v84, v[90:91], v[92:93] offset0:32 offset1:33
	v_mov_b32_e32 v90, v8
	v_mov_b32_e32 v91, v9
	v_mov_b32_e32 v92, v6
	v_mov_b32_e32 v93, v7
	ds_write2_b64 v84, v[90:91], v[92:93] offset0:34 offset1:35
	v_mov_b32_e32 v90, v0
	v_mov_b32_e32 v91, v1
	;; [unrolled: 1-line block ×3, first 2 shown]
	ds_write2_b64 v84, v[90:91], v[78:79] offset0:36 offset1:37
.LBB74_231:
	s_or_b64 exec, exec, s[0:1]
	v_cmp_lt_i32_e32 vcc, 13, v85
	s_waitcnt lgkmcnt(0)
	s_barrier
	s_and_saveexec_b64 s[0:1], vcc
	s_cbranch_execz .LBB74_233
; %bb.232:
	ds_read2_b64 v[90:93], v84 offset0:14 offset1:15
	ds_read2_b64 v[94:97], v84 offset0:16 offset1:17
	;; [unrolled: 1-line block ×3, first 2 shown]
	v_mul_f64 v[50:51], v[80:81], v[50:51]
	s_waitcnt lgkmcnt(0)
	v_fma_f64 v[46:47], -v[50:51], v[90:91], v[46:47]
	v_fma_f64 v[48:49], -v[50:51], v[92:93], v[48:49]
	ds_read2_b64 v[90:93], v84 offset0:20 offset1:21
	v_fma_f64 v[44:45], -v[50:51], v[94:95], v[44:45]
	v_fma_f64 v[42:43], -v[50:51], v[96:97], v[42:43]
	;; [unrolled: 1-line block ×3, first 2 shown]
	ds_read2_b64 v[94:97], v84 offset0:22 offset1:23
	v_fma_f64 v[38:39], -v[50:51], v[100:101], v[38:39]
	ds_read2_b64 v[98:101], v84 offset0:24 offset1:25
	s_waitcnt lgkmcnt(0)
	v_fma_f64 v[36:37], -v[50:51], v[90:91], v[36:37]
	v_fma_f64 v[34:35], -v[50:51], v[92:93], v[34:35]
	;; [unrolled: 1-line block ×3, first 2 shown]
	ds_read2_b64 v[90:93], v84 offset0:26 offset1:27
	v_fma_f64 v[30:31], -v[50:51], v[96:97], v[30:31]
	ds_read2_b64 v[94:97], v84 offset0:28 offset1:29
	v_fma_f64 v[28:29], -v[50:51], v[98:99], v[28:29]
	v_fma_f64 v[26:27], -v[50:51], v[100:101], v[26:27]
	ds_read2_b64 v[98:101], v84 offset0:30 offset1:31
	s_waitcnt lgkmcnt(0)
	v_fma_f64 v[24:25], -v[50:51], v[90:91], v[24:25]
	v_fma_f64 v[22:23], -v[50:51], v[92:93], v[22:23]
	ds_read2_b64 v[90:93], v84 offset0:32 offset1:33
	v_fma_f64 v[20:21], -v[50:51], v[94:95], v[20:21]
	v_fma_f64 v[16:17], -v[50:51], v[96:97], v[16:17]
	;; [unrolled: 1-line block ×3, first 2 shown]
	ds_read2_b64 v[94:97], v84 offset0:34 offset1:35
	v_fma_f64 v[14:15], -v[50:51], v[100:101], v[14:15]
	ds_read2_b64 v[98:101], v84 offset0:36 offset1:37
	s_waitcnt lgkmcnt(0)
	v_fma_f64 v[12:13], -v[50:51], v[90:91], v[12:13]
	v_fma_f64 v[10:11], -v[50:51], v[92:93], v[10:11]
	v_fma_f64 v[8:9], -v[50:51], v[94:95], v[8:9]
	v_fma_f64 v[6:7], -v[50:51], v[96:97], v[6:7]
	v_fma_f64 v[0:1], -v[50:51], v[98:99], v[0:1]
	v_fma_f64 v[78:79], -v[50:51], v[100:101], v[78:79]
.LBB74_233:
	s_or_b64 exec, exec, s[0:1]
	v_lshl_add_u32 v80, v85, 3, v84
	s_barrier
	ds_write_b64 v80, v[46:47]
	s_waitcnt lgkmcnt(0)
	s_barrier
	ds_read_b64 v[80:81], v84 offset:112
	s_cmp_lt_i32 s18, 16
	v_mov_b32_e32 v82, 14
	s_cbranch_scc1 .LBB74_236
; %bb.234:
	v_add_u32_e32 v89, 0x78, v84
	s_mov_b32 s0, 15
	v_mov_b32_e32 v82, 14
.LBB74_235:                             ; =>This Inner Loop Header: Depth=1
	ds_read_b64 v[90:91], v89
	v_mov_b32_e32 v92, s0
	s_add_i32 s0, s0, 1
	v_add_u32_e32 v89, 8, v89
	s_cmp_lg_u32 s18, s0
	s_waitcnt lgkmcnt(0)
	v_cmp_lt_f64_e64 vcc, |v[80:81]|, |v[90:91]|
	v_cndmask_b32_e32 v81, v81, v91, vcc
	v_cndmask_b32_e32 v80, v80, v90, vcc
	;; [unrolled: 1-line block ×3, first 2 shown]
	s_cbranch_scc1 .LBB74_235
.LBB74_236:
	s_waitcnt lgkmcnt(0)
	v_cmp_eq_f64_e32 vcc, 0, v[80:81]
	s_and_saveexec_b64 s[0:1], vcc
	s_xor_b64 s[0:1], exec, s[0:1]
; %bb.237:
	v_cmp_ne_u32_e32 vcc, 0, v88
	v_cndmask_b32_e32 v88, 15, v88, vcc
; %bb.238:
	s_andn2_saveexec_b64 s[0:1], s[0:1]
; %bb.239:
	v_div_scale_f64 v[90:91], s[2:3], v[80:81], v[80:81], 1.0
	v_rcp_f64_e32 v[92:93], v[90:91]
	v_div_scale_f64 v[94:95], vcc, 1.0, v[80:81], 1.0
	v_fma_f64 v[96:97], -v[90:91], v[92:93], 1.0
	v_fmac_f64_e32 v[92:93], v[92:93], v[96:97]
	v_fma_f64 v[96:97], -v[90:91], v[92:93], 1.0
	v_fmac_f64_e32 v[92:93], v[92:93], v[96:97]
	v_mul_f64 v[96:97], v[94:95], v[92:93]
	v_fma_f64 v[90:91], -v[90:91], v[96:97], v[94:95]
	v_div_fmas_f64 v[90:91], v[90:91], v[92:93], v[96:97]
	v_div_fixup_f64 v[80:81], v[90:91], v[80:81], 1.0
; %bb.240:
	s_or_b64 exec, exec, s[0:1]
	v_cmp_ne_u32_e32 vcc, v85, v82
	s_and_saveexec_b64 s[0:1], vcc
	s_xor_b64 s[0:1], exec, s[0:1]
	s_cbranch_execz .LBB74_246
; %bb.241:
	v_cmp_eq_u32_e32 vcc, 14, v85
	s_and_saveexec_b64 s[2:3], vcc
	s_cbranch_execz .LBB74_245
; %bb.242:
	v_cmp_ne_u32_e32 vcc, 14, v82
	s_xor_b64 s[14:15], s[6:7], -1
	s_and_b64 s[16:17], s[14:15], vcc
	s_and_saveexec_b64 s[14:15], s[16:17]
	s_cbranch_execz .LBB74_244
; %bb.243:
	v_ashrrev_i32_e32 v83, 31, v82
	v_lshlrev_b64 v[90:91], 2, v[82:83]
	v_add_co_u32_e32 v90, vcc, v4, v90
	v_addc_co_u32_e32 v91, vcc, v5, v91, vcc
	flat_load_dword v83, v[90:91]
	flat_load_dword v85, v[4:5] offset:56
	s_waitcnt vmcnt(0) lgkmcnt(0)
	flat_store_dword v[4:5], v83 offset:56
	flat_store_dword v[90:91], v85
.LBB74_244:
	s_or_b64 exec, exec, s[14:15]
	v_mov_b32_e32 v83, v82
	v_mov_b32_e32 v85, v82
.LBB74_245:
	s_or_b64 exec, exec, s[2:3]
.LBB74_246:
	s_andn2_saveexec_b64 s[0:1], s[0:1]
	s_cbranch_execz .LBB74_248
; %bb.247:
	v_mov_b32_e32 v85, 14
	ds_write2_b64 v84, v[48:49], v[44:45] offset0:15 offset1:16
	ds_write2_b64 v84, v[42:43], v[40:41] offset0:17 offset1:18
	;; [unrolled: 1-line block ×11, first 2 shown]
	ds_write_b64 v84, v[78:79] offset:296
.LBB74_248:
	s_or_b64 exec, exec, s[0:1]
	v_cmp_lt_i32_e32 vcc, 14, v85
	s_waitcnt lgkmcnt(0)
	s_barrier
	s_and_saveexec_b64 s[0:1], vcc
	s_cbranch_execz .LBB74_250
; %bb.249:
	ds_read2_b64 v[90:93], v84 offset0:15 offset1:16
	ds_read2_b64 v[94:97], v84 offset0:17 offset1:18
	v_mul_f64 v[46:47], v[80:81], v[46:47]
	ds_read2_b64 v[98:101], v84 offset0:19 offset1:20
	ds_read_b64 v[80:81], v84 offset:296
	s_waitcnt lgkmcnt(0)
	v_fma_f64 v[48:49], -v[46:47], v[90:91], v[48:49]
	v_fma_f64 v[44:45], -v[46:47], v[92:93], v[44:45]
	ds_read2_b64 v[90:93], v84 offset0:21 offset1:22
	v_fma_f64 v[42:43], -v[46:47], v[94:95], v[42:43]
	v_fma_f64 v[40:41], -v[46:47], v[96:97], v[40:41]
	ds_read2_b64 v[94:97], v84 offset0:23 offset1:24
	;; [unrolled: 3-line block ×3, first 2 shown]
	s_waitcnt lgkmcnt(0)
	v_fma_f64 v[34:35], -v[46:47], v[90:91], v[34:35]
	v_fma_f64 v[32:33], -v[46:47], v[92:93], v[32:33]
	;; [unrolled: 1-line block ×3, first 2 shown]
	ds_read2_b64 v[90:93], v84 offset0:27 offset1:28
	v_fma_f64 v[28:29], -v[46:47], v[96:97], v[28:29]
	ds_read2_b64 v[94:97], v84 offset0:29 offset1:30
	v_fma_f64 v[26:27], -v[46:47], v[98:99], v[26:27]
	v_fma_f64 v[24:25], -v[46:47], v[100:101], v[24:25]
	s_waitcnt lgkmcnt(0)
	v_fma_f64 v[22:23], -v[46:47], v[90:91], v[22:23]
	ds_read2_b64 v[98:101], v84 offset0:31 offset1:32
	v_fma_f64 v[20:21], -v[46:47], v[92:93], v[20:21]
	ds_read2_b64 v[90:93], v84 offset0:33 offset1:34
	v_fma_f64 v[16:17], -v[46:47], v[94:95], v[16:17]
	v_fma_f64 v[18:19], -v[46:47], v[96:97], v[18:19]
	ds_read2_b64 v[94:97], v84 offset0:35 offset1:36
	s_waitcnt lgkmcnt(0)
	v_fma_f64 v[14:15], -v[46:47], v[98:99], v[14:15]
	v_fma_f64 v[12:13], -v[46:47], v[100:101], v[12:13]
	;; [unrolled: 1-line block ×7, first 2 shown]
.LBB74_250:
	s_or_b64 exec, exec, s[0:1]
	v_lshl_add_u32 v80, v85, 3, v84
	s_barrier
	ds_write_b64 v80, v[48:49]
	s_waitcnt lgkmcnt(0)
	s_barrier
	ds_read_b64 v[80:81], v84 offset:120
	s_cmp_lt_i32 s18, 17
	v_mov_b32_e32 v82, 15
	s_cbranch_scc1 .LBB74_253
; %bb.251:
	v_add_u32_e32 v89, 0x80, v84
	s_mov_b32 s0, 16
	v_mov_b32_e32 v82, 15
.LBB74_252:                             ; =>This Inner Loop Header: Depth=1
	ds_read_b64 v[90:91], v89
	v_mov_b32_e32 v92, s0
	s_add_i32 s0, s0, 1
	v_add_u32_e32 v89, 8, v89
	s_cmp_lg_u32 s18, s0
	s_waitcnt lgkmcnt(0)
	v_cmp_lt_f64_e64 vcc, |v[80:81]|, |v[90:91]|
	v_cndmask_b32_e32 v81, v81, v91, vcc
	v_cndmask_b32_e32 v80, v80, v90, vcc
	;; [unrolled: 1-line block ×3, first 2 shown]
	s_cbranch_scc1 .LBB74_252
.LBB74_253:
	s_waitcnt lgkmcnt(0)
	v_cmp_eq_f64_e32 vcc, 0, v[80:81]
	s_and_saveexec_b64 s[0:1], vcc
	s_xor_b64 s[0:1], exec, s[0:1]
; %bb.254:
	v_cmp_ne_u32_e32 vcc, 0, v88
	v_cndmask_b32_e32 v88, 16, v88, vcc
; %bb.255:
	s_andn2_saveexec_b64 s[0:1], s[0:1]
; %bb.256:
	v_div_scale_f64 v[90:91], s[2:3], v[80:81], v[80:81], 1.0
	v_rcp_f64_e32 v[92:93], v[90:91]
	v_div_scale_f64 v[94:95], vcc, 1.0, v[80:81], 1.0
	v_fma_f64 v[96:97], -v[90:91], v[92:93], 1.0
	v_fmac_f64_e32 v[92:93], v[92:93], v[96:97]
	v_fma_f64 v[96:97], -v[90:91], v[92:93], 1.0
	v_fmac_f64_e32 v[92:93], v[92:93], v[96:97]
	v_mul_f64 v[96:97], v[94:95], v[92:93]
	v_fma_f64 v[90:91], -v[90:91], v[96:97], v[94:95]
	v_div_fmas_f64 v[90:91], v[90:91], v[92:93], v[96:97]
	v_div_fixup_f64 v[80:81], v[90:91], v[80:81], 1.0
; %bb.257:
	s_or_b64 exec, exec, s[0:1]
	v_cmp_ne_u32_e32 vcc, v85, v82
	s_and_saveexec_b64 s[0:1], vcc
	s_xor_b64 s[0:1], exec, s[0:1]
	s_cbranch_execz .LBB74_263
; %bb.258:
	v_cmp_eq_u32_e32 vcc, 15, v85
	s_and_saveexec_b64 s[2:3], vcc
	s_cbranch_execz .LBB74_262
; %bb.259:
	v_cmp_ne_u32_e32 vcc, 15, v82
	s_xor_b64 s[14:15], s[6:7], -1
	s_and_b64 s[16:17], s[14:15], vcc
	s_and_saveexec_b64 s[14:15], s[16:17]
	s_cbranch_execz .LBB74_261
; %bb.260:
	v_ashrrev_i32_e32 v83, 31, v82
	v_lshlrev_b64 v[90:91], 2, v[82:83]
	v_add_co_u32_e32 v90, vcc, v4, v90
	v_addc_co_u32_e32 v91, vcc, v5, v91, vcc
	flat_load_dword v83, v[90:91]
	flat_load_dword v85, v[4:5] offset:60
	s_waitcnt vmcnt(0) lgkmcnt(0)
	flat_store_dword v[4:5], v83 offset:60
	flat_store_dword v[90:91], v85
.LBB74_261:
	s_or_b64 exec, exec, s[14:15]
	v_mov_b32_e32 v83, v82
	v_mov_b32_e32 v85, v82
.LBB74_262:
	s_or_b64 exec, exec, s[2:3]
.LBB74_263:
	s_andn2_saveexec_b64 s[0:1], s[0:1]
	s_cbranch_execz .LBB74_265
; %bb.264:
	v_mov_b32_e32 v90, v44
	v_mov_b32_e32 v91, v45
	v_mov_b32_e32 v92, v42
	v_mov_b32_e32 v93, v43
	ds_write2_b64 v84, v[90:91], v[92:93] offset0:16 offset1:17
	v_mov_b32_e32 v90, v40
	v_mov_b32_e32 v91, v41
	v_mov_b32_e32 v92, v38
	v_mov_b32_e32 v93, v39
	ds_write2_b64 v84, v[90:91], v[92:93] offset0:18 offset1:19
	;; [unrolled: 5-line block ×10, first 2 shown]
	v_mov_b32_e32 v90, v0
	v_mov_b32_e32 v91, v1
	;; [unrolled: 1-line block ×3, first 2 shown]
	ds_write2_b64 v84, v[90:91], v[78:79] offset0:36 offset1:37
.LBB74_265:
	s_or_b64 exec, exec, s[0:1]
	v_cmp_lt_i32_e32 vcc, 15, v85
	s_waitcnt lgkmcnt(0)
	s_barrier
	s_and_saveexec_b64 s[0:1], vcc
	s_cbranch_execz .LBB74_267
; %bb.266:
	ds_read2_b64 v[90:93], v84 offset0:16 offset1:17
	ds_read2_b64 v[94:97], v84 offset0:18 offset1:19
	v_mul_f64 v[48:49], v[80:81], v[48:49]
	ds_read2_b64 v[98:101], v84 offset0:20 offset1:21
	s_waitcnt lgkmcnt(0)
	v_fma_f64 v[44:45], -v[48:49], v[90:91], v[44:45]
	v_fma_f64 v[42:43], -v[48:49], v[92:93], v[42:43]
	ds_read2_b64 v[90:93], v84 offset0:22 offset1:23
	v_fma_f64 v[40:41], -v[48:49], v[94:95], v[40:41]
	v_fma_f64 v[38:39], -v[48:49], v[96:97], v[38:39]
	ds_read2_b64 v[94:97], v84 offset0:24 offset1:25
	;; [unrolled: 3-line block ×3, first 2 shown]
	s_waitcnt lgkmcnt(0)
	v_fma_f64 v[32:33], -v[48:49], v[90:91], v[32:33]
	v_fma_f64 v[30:31], -v[48:49], v[92:93], v[30:31]
	;; [unrolled: 1-line block ×3, first 2 shown]
	ds_read2_b64 v[90:93], v84 offset0:28 offset1:29
	v_fma_f64 v[26:27], -v[48:49], v[96:97], v[26:27]
	ds_read2_b64 v[94:97], v84 offset0:30 offset1:31
	v_fma_f64 v[24:25], -v[48:49], v[98:99], v[24:25]
	v_fma_f64 v[22:23], -v[48:49], v[100:101], v[22:23]
	s_waitcnt lgkmcnt(0)
	v_fma_f64 v[20:21], -v[48:49], v[90:91], v[20:21]
	v_fma_f64 v[16:17], -v[48:49], v[92:93], v[16:17]
	ds_read2_b64 v[90:93], v84 offset0:32 offset1:33
	ds_read2_b64 v[98:101], v84 offset0:34 offset1:35
	v_fma_f64 v[18:19], -v[48:49], v[94:95], v[18:19]
	v_fma_f64 v[14:15], -v[48:49], v[96:97], v[14:15]
	ds_read2_b64 v[94:97], v84 offset0:36 offset1:37
	s_waitcnt lgkmcnt(0)
	v_fma_f64 v[12:13], -v[48:49], v[90:91], v[12:13]
	v_fma_f64 v[10:11], -v[48:49], v[92:93], v[10:11]
	v_fma_f64 v[8:9], -v[48:49], v[98:99], v[8:9]
	v_fma_f64 v[6:7], -v[48:49], v[100:101], v[6:7]
	v_fma_f64 v[0:1], -v[48:49], v[94:95], v[0:1]
	v_fma_f64 v[78:79], -v[48:49], v[96:97], v[78:79]
.LBB74_267:
	s_or_b64 exec, exec, s[0:1]
	v_lshl_add_u32 v80, v85, 3, v84
	s_barrier
	ds_write_b64 v80, v[44:45]
	s_waitcnt lgkmcnt(0)
	s_barrier
	ds_read_b64 v[80:81], v84 offset:128
	s_cmp_lt_i32 s18, 18
	v_mov_b32_e32 v82, 16
	s_cbranch_scc1 .LBB74_270
; %bb.268:
	v_add_u32_e32 v89, 0x88, v84
	s_mov_b32 s0, 17
	v_mov_b32_e32 v82, 16
.LBB74_269:                             ; =>This Inner Loop Header: Depth=1
	ds_read_b64 v[90:91], v89
	v_mov_b32_e32 v92, s0
	s_add_i32 s0, s0, 1
	v_add_u32_e32 v89, 8, v89
	s_cmp_lg_u32 s18, s0
	s_waitcnt lgkmcnt(0)
	v_cmp_lt_f64_e64 vcc, |v[80:81]|, |v[90:91]|
	v_cndmask_b32_e32 v81, v81, v91, vcc
	v_cndmask_b32_e32 v80, v80, v90, vcc
	;; [unrolled: 1-line block ×3, first 2 shown]
	s_cbranch_scc1 .LBB74_269
.LBB74_270:
	s_waitcnt lgkmcnt(0)
	v_cmp_eq_f64_e32 vcc, 0, v[80:81]
	s_and_saveexec_b64 s[0:1], vcc
	s_xor_b64 s[0:1], exec, s[0:1]
; %bb.271:
	v_cmp_ne_u32_e32 vcc, 0, v88
	v_cndmask_b32_e32 v88, 17, v88, vcc
; %bb.272:
	s_andn2_saveexec_b64 s[0:1], s[0:1]
; %bb.273:
	v_div_scale_f64 v[90:91], s[2:3], v[80:81], v[80:81], 1.0
	v_rcp_f64_e32 v[92:93], v[90:91]
	v_div_scale_f64 v[94:95], vcc, 1.0, v[80:81], 1.0
	v_fma_f64 v[96:97], -v[90:91], v[92:93], 1.0
	v_fmac_f64_e32 v[92:93], v[92:93], v[96:97]
	v_fma_f64 v[96:97], -v[90:91], v[92:93], 1.0
	v_fmac_f64_e32 v[92:93], v[92:93], v[96:97]
	v_mul_f64 v[96:97], v[94:95], v[92:93]
	v_fma_f64 v[90:91], -v[90:91], v[96:97], v[94:95]
	v_div_fmas_f64 v[90:91], v[90:91], v[92:93], v[96:97]
	v_div_fixup_f64 v[80:81], v[90:91], v[80:81], 1.0
; %bb.274:
	s_or_b64 exec, exec, s[0:1]
	v_cmp_ne_u32_e32 vcc, v85, v82
	s_and_saveexec_b64 s[0:1], vcc
	s_xor_b64 s[0:1], exec, s[0:1]
	s_cbranch_execz .LBB74_280
; %bb.275:
	v_cmp_eq_u32_e32 vcc, 16, v85
	s_and_saveexec_b64 s[2:3], vcc
	s_cbranch_execz .LBB74_279
; %bb.276:
	v_cmp_ne_u32_e32 vcc, 16, v82
	s_xor_b64 s[14:15], s[6:7], -1
	s_and_b64 s[16:17], s[14:15], vcc
	s_and_saveexec_b64 s[14:15], s[16:17]
	s_cbranch_execz .LBB74_278
; %bb.277:
	v_ashrrev_i32_e32 v83, 31, v82
	v_lshlrev_b64 v[90:91], 2, v[82:83]
	v_add_co_u32_e32 v90, vcc, v4, v90
	v_addc_co_u32_e32 v91, vcc, v5, v91, vcc
	flat_load_dword v83, v[90:91]
	flat_load_dword v85, v[4:5] offset:64
	s_waitcnt vmcnt(0) lgkmcnt(0)
	flat_store_dword v[4:5], v83 offset:64
	flat_store_dword v[90:91], v85
.LBB74_278:
	s_or_b64 exec, exec, s[14:15]
	v_mov_b32_e32 v83, v82
	v_mov_b32_e32 v85, v82
.LBB74_279:
	s_or_b64 exec, exec, s[2:3]
.LBB74_280:
	s_andn2_saveexec_b64 s[0:1], s[0:1]
	s_cbranch_execz .LBB74_282
; %bb.281:
	v_mov_b32_e32 v85, 16
	ds_write2_b64 v84, v[42:43], v[40:41] offset0:17 offset1:18
	ds_write2_b64 v84, v[38:39], v[36:37] offset0:19 offset1:20
	;; [unrolled: 1-line block ×10, first 2 shown]
	ds_write_b64 v84, v[78:79] offset:296
.LBB74_282:
	s_or_b64 exec, exec, s[0:1]
	v_cmp_lt_i32_e32 vcc, 16, v85
	s_waitcnt lgkmcnt(0)
	s_barrier
	s_and_saveexec_b64 s[0:1], vcc
	s_cbranch_execz .LBB74_284
; %bb.283:
	ds_read2_b64 v[90:93], v84 offset0:17 offset1:18
	ds_read2_b64 v[94:97], v84 offset0:19 offset1:20
	v_mul_f64 v[44:45], v[80:81], v[44:45]
	ds_read2_b64 v[98:101], v84 offset0:21 offset1:22
	ds_read_b64 v[80:81], v84 offset:296
	s_waitcnt lgkmcnt(0)
	v_fma_f64 v[42:43], -v[44:45], v[90:91], v[42:43]
	v_fma_f64 v[40:41], -v[44:45], v[92:93], v[40:41]
	ds_read2_b64 v[90:93], v84 offset0:23 offset1:24
	v_fma_f64 v[38:39], -v[44:45], v[94:95], v[38:39]
	v_fma_f64 v[36:37], -v[44:45], v[96:97], v[36:37]
	;; [unrolled: 1-line block ×3, first 2 shown]
	ds_read2_b64 v[94:97], v84 offset0:25 offset1:26
	v_fma_f64 v[32:33], -v[44:45], v[100:101], v[32:33]
	ds_read2_b64 v[98:101], v84 offset0:27 offset1:28
	s_waitcnt lgkmcnt(0)
	v_fma_f64 v[30:31], -v[44:45], v[90:91], v[30:31]
	v_fma_f64 v[28:29], -v[44:45], v[92:93], v[28:29]
	ds_read2_b64 v[90:93], v84 offset0:29 offset1:30
	v_fma_f64 v[26:27], -v[44:45], v[94:95], v[26:27]
	v_fma_f64 v[24:25], -v[44:45], v[96:97], v[24:25]
	ds_read2_b64 v[94:97], v84 offset0:31 offset1:32
	v_fma_f64 v[22:23], -v[44:45], v[98:99], v[22:23]
	v_fma_f64 v[20:21], -v[44:45], v[100:101], v[20:21]
	s_waitcnt lgkmcnt(0)
	v_fma_f64 v[16:17], -v[44:45], v[90:91], v[16:17]
	v_fma_f64 v[18:19], -v[44:45], v[92:93], v[18:19]
	ds_read2_b64 v[90:93], v84 offset0:33 offset1:34
	ds_read2_b64 v[98:101], v84 offset0:35 offset1:36
	v_fma_f64 v[14:15], -v[44:45], v[94:95], v[14:15]
	v_fma_f64 v[12:13], -v[44:45], v[96:97], v[12:13]
	;; [unrolled: 1-line block ×3, first 2 shown]
	s_waitcnt lgkmcnt(0)
	v_fma_f64 v[10:11], -v[44:45], v[90:91], v[10:11]
	v_fma_f64 v[8:9], -v[44:45], v[92:93], v[8:9]
	;; [unrolled: 1-line block ×4, first 2 shown]
.LBB74_284:
	s_or_b64 exec, exec, s[0:1]
	v_lshl_add_u32 v80, v85, 3, v84
	s_barrier
	ds_write_b64 v80, v[42:43]
	s_waitcnt lgkmcnt(0)
	s_barrier
	ds_read_b64 v[80:81], v84 offset:136
	s_cmp_lt_i32 s18, 19
	v_mov_b32_e32 v82, 17
	s_cbranch_scc1 .LBB74_287
; %bb.285:
	v_add_u32_e32 v89, 0x90, v84
	s_mov_b32 s0, 18
	v_mov_b32_e32 v82, 17
.LBB74_286:                             ; =>This Inner Loop Header: Depth=1
	ds_read_b64 v[90:91], v89
	v_mov_b32_e32 v92, s0
	s_add_i32 s0, s0, 1
	v_add_u32_e32 v89, 8, v89
	s_cmp_lg_u32 s18, s0
	s_waitcnt lgkmcnt(0)
	v_cmp_lt_f64_e64 vcc, |v[80:81]|, |v[90:91]|
	v_cndmask_b32_e32 v81, v81, v91, vcc
	v_cndmask_b32_e32 v80, v80, v90, vcc
	;; [unrolled: 1-line block ×3, first 2 shown]
	s_cbranch_scc1 .LBB74_286
.LBB74_287:
	s_waitcnt lgkmcnt(0)
	v_cmp_eq_f64_e32 vcc, 0, v[80:81]
	s_and_saveexec_b64 s[0:1], vcc
	s_xor_b64 s[0:1], exec, s[0:1]
; %bb.288:
	v_cmp_ne_u32_e32 vcc, 0, v88
	v_cndmask_b32_e32 v88, 18, v88, vcc
; %bb.289:
	s_andn2_saveexec_b64 s[0:1], s[0:1]
; %bb.290:
	v_div_scale_f64 v[90:91], s[2:3], v[80:81], v[80:81], 1.0
	v_rcp_f64_e32 v[92:93], v[90:91]
	v_div_scale_f64 v[94:95], vcc, 1.0, v[80:81], 1.0
	v_fma_f64 v[96:97], -v[90:91], v[92:93], 1.0
	v_fmac_f64_e32 v[92:93], v[92:93], v[96:97]
	v_fma_f64 v[96:97], -v[90:91], v[92:93], 1.0
	v_fmac_f64_e32 v[92:93], v[92:93], v[96:97]
	v_mul_f64 v[96:97], v[94:95], v[92:93]
	v_fma_f64 v[90:91], -v[90:91], v[96:97], v[94:95]
	v_div_fmas_f64 v[90:91], v[90:91], v[92:93], v[96:97]
	v_div_fixup_f64 v[80:81], v[90:91], v[80:81], 1.0
; %bb.291:
	s_or_b64 exec, exec, s[0:1]
	v_cmp_ne_u32_e32 vcc, v85, v82
	s_and_saveexec_b64 s[0:1], vcc
	s_xor_b64 s[0:1], exec, s[0:1]
	s_cbranch_execz .LBB74_297
; %bb.292:
	v_cmp_eq_u32_e32 vcc, 17, v85
	s_and_saveexec_b64 s[2:3], vcc
	s_cbranch_execz .LBB74_296
; %bb.293:
	v_cmp_ne_u32_e32 vcc, 17, v82
	s_xor_b64 s[14:15], s[6:7], -1
	s_and_b64 s[16:17], s[14:15], vcc
	s_and_saveexec_b64 s[14:15], s[16:17]
	s_cbranch_execz .LBB74_295
; %bb.294:
	v_ashrrev_i32_e32 v83, 31, v82
	v_lshlrev_b64 v[90:91], 2, v[82:83]
	v_add_co_u32_e32 v90, vcc, v4, v90
	v_addc_co_u32_e32 v91, vcc, v5, v91, vcc
	flat_load_dword v83, v[90:91]
	flat_load_dword v85, v[4:5] offset:68
	s_waitcnt vmcnt(0) lgkmcnt(0)
	flat_store_dword v[4:5], v83 offset:68
	flat_store_dword v[90:91], v85
.LBB74_295:
	s_or_b64 exec, exec, s[14:15]
	v_mov_b32_e32 v83, v82
	v_mov_b32_e32 v85, v82
.LBB74_296:
	s_or_b64 exec, exec, s[2:3]
.LBB74_297:
	s_andn2_saveexec_b64 s[0:1], s[0:1]
	s_cbranch_execz .LBB74_299
; %bb.298:
	v_mov_b32_e32 v90, v40
	v_mov_b32_e32 v91, v41
	v_mov_b32_e32 v92, v38
	v_mov_b32_e32 v93, v39
	ds_write2_b64 v84, v[90:91], v[92:93] offset0:18 offset1:19
	v_mov_b32_e32 v90, v36
	v_mov_b32_e32 v91, v37
	v_mov_b32_e32 v92, v34
	v_mov_b32_e32 v93, v35
	ds_write2_b64 v84, v[90:91], v[92:93] offset0:20 offset1:21
	;; [unrolled: 5-line block ×9, first 2 shown]
	v_mov_b32_e32 v90, v0
	v_mov_b32_e32 v91, v1
	;; [unrolled: 1-line block ×3, first 2 shown]
	ds_write2_b64 v84, v[90:91], v[78:79] offset0:36 offset1:37
.LBB74_299:
	s_or_b64 exec, exec, s[0:1]
	v_cmp_lt_i32_e32 vcc, 17, v85
	s_waitcnt lgkmcnt(0)
	s_barrier
	s_and_saveexec_b64 s[0:1], vcc
	s_cbranch_execz .LBB74_301
; %bb.300:
	ds_read2_b64 v[90:93], v84 offset0:18 offset1:19
	ds_read2_b64 v[94:97], v84 offset0:20 offset1:21
	v_mul_f64 v[42:43], v[80:81], v[42:43]
	ds_read2_b64 v[98:101], v84 offset0:22 offset1:23
	s_waitcnt lgkmcnt(0)
	v_fma_f64 v[40:41], -v[42:43], v[90:91], v[40:41]
	v_fma_f64 v[38:39], -v[42:43], v[92:93], v[38:39]
	ds_read2_b64 v[90:93], v84 offset0:24 offset1:25
	v_fma_f64 v[36:37], -v[42:43], v[94:95], v[36:37]
	v_fma_f64 v[34:35], -v[42:43], v[96:97], v[34:35]
	v_fma_f64 v[32:33], -v[42:43], v[98:99], v[32:33]
	ds_read2_b64 v[94:97], v84 offset0:26 offset1:27
	v_fma_f64 v[30:31], -v[42:43], v[100:101], v[30:31]
	ds_read2_b64 v[98:101], v84 offset0:28 offset1:29
	s_waitcnt lgkmcnt(0)
	v_fma_f64 v[28:29], -v[42:43], v[90:91], v[28:29]
	v_fma_f64 v[26:27], -v[42:43], v[92:93], v[26:27]
	ds_read2_b64 v[90:93], v84 offset0:30 offset1:31
	v_fma_f64 v[24:25], -v[42:43], v[94:95], v[24:25]
	v_fma_f64 v[22:23], -v[42:43], v[96:97], v[22:23]
	ds_read2_b64 v[94:97], v84 offset0:32 offset1:33
	v_fma_f64 v[20:21], -v[42:43], v[98:99], v[20:21]
	v_fma_f64 v[16:17], -v[42:43], v[100:101], v[16:17]
	s_waitcnt lgkmcnt(0)
	v_fma_f64 v[18:19], -v[42:43], v[90:91], v[18:19]
	ds_read2_b64 v[98:101], v84 offset0:34 offset1:35
	v_fma_f64 v[14:15], -v[42:43], v[92:93], v[14:15]
	ds_read2_b64 v[90:93], v84 offset0:36 offset1:37
	v_fma_f64 v[12:13], -v[42:43], v[94:95], v[12:13]
	v_fma_f64 v[10:11], -v[42:43], v[96:97], v[10:11]
	s_waitcnt lgkmcnt(0)
	v_fma_f64 v[8:9], -v[42:43], v[98:99], v[8:9]
	v_fma_f64 v[6:7], -v[42:43], v[100:101], v[6:7]
	;; [unrolled: 1-line block ×4, first 2 shown]
.LBB74_301:
	s_or_b64 exec, exec, s[0:1]
	v_lshl_add_u32 v80, v85, 3, v84
	s_barrier
	ds_write_b64 v80, v[40:41]
	s_waitcnt lgkmcnt(0)
	s_barrier
	ds_read_b64 v[80:81], v84 offset:144
	s_cmp_lt_i32 s18, 20
	v_mov_b32_e32 v82, 18
	s_cbranch_scc1 .LBB74_304
; %bb.302:
	v_add_u32_e32 v89, 0x98, v84
	s_mov_b32 s0, 19
	v_mov_b32_e32 v82, 18
.LBB74_303:                             ; =>This Inner Loop Header: Depth=1
	ds_read_b64 v[90:91], v89
	v_mov_b32_e32 v92, s0
	s_add_i32 s0, s0, 1
	v_add_u32_e32 v89, 8, v89
	s_cmp_lg_u32 s18, s0
	s_waitcnt lgkmcnt(0)
	v_cmp_lt_f64_e64 vcc, |v[80:81]|, |v[90:91]|
	v_cndmask_b32_e32 v81, v81, v91, vcc
	v_cndmask_b32_e32 v80, v80, v90, vcc
	;; [unrolled: 1-line block ×3, first 2 shown]
	s_cbranch_scc1 .LBB74_303
.LBB74_304:
	s_waitcnt lgkmcnt(0)
	v_cmp_eq_f64_e32 vcc, 0, v[80:81]
	s_and_saveexec_b64 s[0:1], vcc
	s_xor_b64 s[0:1], exec, s[0:1]
; %bb.305:
	v_cmp_ne_u32_e32 vcc, 0, v88
	v_cndmask_b32_e32 v88, 19, v88, vcc
; %bb.306:
	s_andn2_saveexec_b64 s[0:1], s[0:1]
; %bb.307:
	v_div_scale_f64 v[90:91], s[2:3], v[80:81], v[80:81], 1.0
	v_rcp_f64_e32 v[92:93], v[90:91]
	v_div_scale_f64 v[94:95], vcc, 1.0, v[80:81], 1.0
	v_fma_f64 v[96:97], -v[90:91], v[92:93], 1.0
	v_fmac_f64_e32 v[92:93], v[92:93], v[96:97]
	v_fma_f64 v[96:97], -v[90:91], v[92:93], 1.0
	v_fmac_f64_e32 v[92:93], v[92:93], v[96:97]
	v_mul_f64 v[96:97], v[94:95], v[92:93]
	v_fma_f64 v[90:91], -v[90:91], v[96:97], v[94:95]
	v_div_fmas_f64 v[90:91], v[90:91], v[92:93], v[96:97]
	v_div_fixup_f64 v[80:81], v[90:91], v[80:81], 1.0
; %bb.308:
	s_or_b64 exec, exec, s[0:1]
	v_cmp_ne_u32_e32 vcc, v85, v82
	s_and_saveexec_b64 s[0:1], vcc
	s_xor_b64 s[0:1], exec, s[0:1]
	s_cbranch_execz .LBB74_314
; %bb.309:
	v_cmp_eq_u32_e32 vcc, 18, v85
	s_and_saveexec_b64 s[2:3], vcc
	s_cbranch_execz .LBB74_313
; %bb.310:
	v_cmp_ne_u32_e32 vcc, 18, v82
	s_xor_b64 s[14:15], s[6:7], -1
	s_and_b64 s[16:17], s[14:15], vcc
	s_and_saveexec_b64 s[14:15], s[16:17]
	s_cbranch_execz .LBB74_312
; %bb.311:
	v_ashrrev_i32_e32 v83, 31, v82
	v_lshlrev_b64 v[90:91], 2, v[82:83]
	v_add_co_u32_e32 v90, vcc, v4, v90
	v_addc_co_u32_e32 v91, vcc, v5, v91, vcc
	flat_load_dword v83, v[90:91]
	flat_load_dword v85, v[4:5] offset:72
	s_waitcnt vmcnt(0) lgkmcnt(0)
	flat_store_dword v[4:5], v83 offset:72
	flat_store_dword v[90:91], v85
.LBB74_312:
	s_or_b64 exec, exec, s[14:15]
	v_mov_b32_e32 v83, v82
	v_mov_b32_e32 v85, v82
.LBB74_313:
	s_or_b64 exec, exec, s[2:3]
.LBB74_314:
	s_andn2_saveexec_b64 s[0:1], s[0:1]
	s_cbranch_execz .LBB74_316
; %bb.315:
	v_mov_b32_e32 v85, 18
	ds_write2_b64 v84, v[38:39], v[36:37] offset0:19 offset1:20
	ds_write2_b64 v84, v[34:35], v[32:33] offset0:21 offset1:22
	;; [unrolled: 1-line block ×9, first 2 shown]
	ds_write_b64 v84, v[78:79] offset:296
.LBB74_316:
	s_or_b64 exec, exec, s[0:1]
	v_cmp_lt_i32_e32 vcc, 18, v85
	s_waitcnt lgkmcnt(0)
	s_barrier
	s_and_saveexec_b64 s[0:1], vcc
	s_cbranch_execz .LBB74_318
; %bb.317:
	ds_read2_b64 v[90:93], v84 offset0:19 offset1:20
	ds_read2_b64 v[94:97], v84 offset0:21 offset1:22
	;; [unrolled: 1-line block ×3, first 2 shown]
	v_mul_f64 v[40:41], v[80:81], v[40:41]
	ds_read_b64 v[80:81], v84 offset:296
	s_waitcnt lgkmcnt(0)
	v_fma_f64 v[38:39], -v[40:41], v[90:91], v[38:39]
	v_fma_f64 v[36:37], -v[40:41], v[92:93], v[36:37]
	ds_read2_b64 v[90:93], v84 offset0:25 offset1:26
	v_fma_f64 v[34:35], -v[40:41], v[94:95], v[34:35]
	v_fma_f64 v[32:33], -v[40:41], v[96:97], v[32:33]
	;; [unrolled: 1-line block ×3, first 2 shown]
	ds_read2_b64 v[94:97], v84 offset0:27 offset1:28
	v_fma_f64 v[28:29], -v[40:41], v[100:101], v[28:29]
	ds_read2_b64 v[98:101], v84 offset0:29 offset1:30
	s_waitcnt lgkmcnt(0)
	v_fma_f64 v[26:27], -v[40:41], v[90:91], v[26:27]
	v_fma_f64 v[24:25], -v[40:41], v[92:93], v[24:25]
	;; [unrolled: 1-line block ×3, first 2 shown]
	ds_read2_b64 v[90:93], v84 offset0:31 offset1:32
	v_fma_f64 v[20:21], -v[40:41], v[96:97], v[20:21]
	ds_read2_b64 v[94:97], v84 offset0:33 offset1:34
	v_fma_f64 v[16:17], -v[40:41], v[98:99], v[16:17]
	v_fma_f64 v[18:19], -v[40:41], v[100:101], v[18:19]
	ds_read2_b64 v[98:101], v84 offset0:35 offset1:36
	s_waitcnt lgkmcnt(0)
	v_fma_f64 v[14:15], -v[40:41], v[90:91], v[14:15]
	v_fma_f64 v[12:13], -v[40:41], v[92:93], v[12:13]
	;; [unrolled: 1-line block ×7, first 2 shown]
.LBB74_318:
	s_or_b64 exec, exec, s[0:1]
	v_lshl_add_u32 v80, v85, 3, v84
	s_barrier
	ds_write_b64 v80, v[38:39]
	s_waitcnt lgkmcnt(0)
	s_barrier
	ds_read_b64 v[80:81], v84 offset:152
	s_cmp_lt_i32 s18, 21
	v_mov_b32_e32 v82, 19
	s_cbranch_scc1 .LBB74_321
; %bb.319:
	v_add_u32_e32 v89, 0xa0, v84
	s_mov_b32 s0, 20
	v_mov_b32_e32 v82, 19
.LBB74_320:                             ; =>This Inner Loop Header: Depth=1
	ds_read_b64 v[90:91], v89
	v_mov_b32_e32 v92, s0
	s_add_i32 s0, s0, 1
	v_add_u32_e32 v89, 8, v89
	s_cmp_lg_u32 s18, s0
	s_waitcnt lgkmcnt(0)
	v_cmp_lt_f64_e64 vcc, |v[80:81]|, |v[90:91]|
	v_cndmask_b32_e32 v81, v81, v91, vcc
	v_cndmask_b32_e32 v80, v80, v90, vcc
	;; [unrolled: 1-line block ×3, first 2 shown]
	s_cbranch_scc1 .LBB74_320
.LBB74_321:
	s_waitcnt lgkmcnt(0)
	v_cmp_eq_f64_e32 vcc, 0, v[80:81]
	s_and_saveexec_b64 s[0:1], vcc
	s_xor_b64 s[0:1], exec, s[0:1]
; %bb.322:
	v_cmp_ne_u32_e32 vcc, 0, v88
	v_cndmask_b32_e32 v88, 20, v88, vcc
; %bb.323:
	s_andn2_saveexec_b64 s[0:1], s[0:1]
; %bb.324:
	v_div_scale_f64 v[90:91], s[2:3], v[80:81], v[80:81], 1.0
	v_rcp_f64_e32 v[92:93], v[90:91]
	v_div_scale_f64 v[94:95], vcc, 1.0, v[80:81], 1.0
	v_fma_f64 v[96:97], -v[90:91], v[92:93], 1.0
	v_fmac_f64_e32 v[92:93], v[92:93], v[96:97]
	v_fma_f64 v[96:97], -v[90:91], v[92:93], 1.0
	v_fmac_f64_e32 v[92:93], v[92:93], v[96:97]
	v_mul_f64 v[96:97], v[94:95], v[92:93]
	v_fma_f64 v[90:91], -v[90:91], v[96:97], v[94:95]
	v_div_fmas_f64 v[90:91], v[90:91], v[92:93], v[96:97]
	v_div_fixup_f64 v[80:81], v[90:91], v[80:81], 1.0
; %bb.325:
	s_or_b64 exec, exec, s[0:1]
	v_cmp_ne_u32_e32 vcc, v85, v82
	s_and_saveexec_b64 s[0:1], vcc
	s_xor_b64 s[0:1], exec, s[0:1]
	s_cbranch_execz .LBB74_331
; %bb.326:
	v_cmp_eq_u32_e32 vcc, 19, v85
	s_and_saveexec_b64 s[2:3], vcc
	s_cbranch_execz .LBB74_330
; %bb.327:
	v_cmp_ne_u32_e32 vcc, 19, v82
	s_xor_b64 s[14:15], s[6:7], -1
	s_and_b64 s[16:17], s[14:15], vcc
	s_and_saveexec_b64 s[14:15], s[16:17]
	s_cbranch_execz .LBB74_329
; %bb.328:
	v_ashrrev_i32_e32 v83, 31, v82
	v_lshlrev_b64 v[90:91], 2, v[82:83]
	v_add_co_u32_e32 v90, vcc, v4, v90
	v_addc_co_u32_e32 v91, vcc, v5, v91, vcc
	flat_load_dword v83, v[90:91]
	flat_load_dword v85, v[4:5] offset:76
	s_waitcnt vmcnt(0) lgkmcnt(0)
	flat_store_dword v[4:5], v83 offset:76
	flat_store_dword v[90:91], v85
.LBB74_329:
	s_or_b64 exec, exec, s[14:15]
	v_mov_b32_e32 v83, v82
	v_mov_b32_e32 v85, v82
.LBB74_330:
	s_or_b64 exec, exec, s[2:3]
.LBB74_331:
	s_andn2_saveexec_b64 s[0:1], s[0:1]
	s_cbranch_execz .LBB74_333
; %bb.332:
	v_mov_b32_e32 v90, v36
	v_mov_b32_e32 v91, v37
	v_mov_b32_e32 v92, v34
	v_mov_b32_e32 v93, v35
	ds_write2_b64 v84, v[90:91], v[92:93] offset0:20 offset1:21
	v_mov_b32_e32 v90, v32
	v_mov_b32_e32 v91, v33
	v_mov_b32_e32 v92, v30
	v_mov_b32_e32 v93, v31
	ds_write2_b64 v84, v[90:91], v[92:93] offset0:22 offset1:23
	;; [unrolled: 5-line block ×8, first 2 shown]
	v_mov_b32_e32 v90, v0
	v_mov_b32_e32 v91, v1
	;; [unrolled: 1-line block ×3, first 2 shown]
	ds_write2_b64 v84, v[90:91], v[78:79] offset0:36 offset1:37
.LBB74_333:
	s_or_b64 exec, exec, s[0:1]
	v_cmp_lt_i32_e32 vcc, 19, v85
	s_waitcnt lgkmcnt(0)
	s_barrier
	s_and_saveexec_b64 s[0:1], vcc
	s_cbranch_execz .LBB74_335
; %bb.334:
	ds_read2_b64 v[90:93], v84 offset0:20 offset1:21
	ds_read2_b64 v[94:97], v84 offset0:22 offset1:23
	;; [unrolled: 1-line block ×3, first 2 shown]
	v_mul_f64 v[38:39], v[80:81], v[38:39]
	s_waitcnt lgkmcnt(0)
	v_fma_f64 v[36:37], -v[38:39], v[90:91], v[36:37]
	v_fma_f64 v[34:35], -v[38:39], v[92:93], v[34:35]
	ds_read2_b64 v[90:93], v84 offset0:26 offset1:27
	v_fma_f64 v[32:33], -v[38:39], v[94:95], v[32:33]
	v_fma_f64 v[30:31], -v[38:39], v[96:97], v[30:31]
	;; [unrolled: 1-line block ×3, first 2 shown]
	ds_read2_b64 v[94:97], v84 offset0:28 offset1:29
	v_fma_f64 v[26:27], -v[38:39], v[100:101], v[26:27]
	ds_read2_b64 v[98:101], v84 offset0:30 offset1:31
	s_waitcnt lgkmcnt(0)
	v_fma_f64 v[24:25], -v[38:39], v[90:91], v[24:25]
	v_fma_f64 v[22:23], -v[38:39], v[92:93], v[22:23]
	;; [unrolled: 1-line block ×4, first 2 shown]
	ds_read2_b64 v[90:93], v84 offset0:32 offset1:33
	ds_read2_b64 v[94:97], v84 offset0:34 offset1:35
	v_fma_f64 v[18:19], -v[38:39], v[98:99], v[18:19]
	v_fma_f64 v[14:15], -v[38:39], v[100:101], v[14:15]
	ds_read2_b64 v[98:101], v84 offset0:36 offset1:37
	s_waitcnt lgkmcnt(0)
	v_fma_f64 v[12:13], -v[38:39], v[90:91], v[12:13]
	v_fma_f64 v[10:11], -v[38:39], v[92:93], v[10:11]
	;; [unrolled: 1-line block ×6, first 2 shown]
.LBB74_335:
	s_or_b64 exec, exec, s[0:1]
	v_lshl_add_u32 v80, v85, 3, v84
	s_barrier
	ds_write_b64 v80, v[36:37]
	s_waitcnt lgkmcnt(0)
	s_barrier
	ds_read_b64 v[80:81], v84 offset:160
	s_cmp_lt_i32 s18, 22
	v_mov_b32_e32 v82, 20
	s_cbranch_scc1 .LBB74_338
; %bb.336:
	v_add_u32_e32 v89, 0xa8, v84
	s_mov_b32 s0, 21
	v_mov_b32_e32 v82, 20
.LBB74_337:                             ; =>This Inner Loop Header: Depth=1
	ds_read_b64 v[90:91], v89
	v_mov_b32_e32 v92, s0
	s_add_i32 s0, s0, 1
	v_add_u32_e32 v89, 8, v89
	s_cmp_lg_u32 s18, s0
	s_waitcnt lgkmcnt(0)
	v_cmp_lt_f64_e64 vcc, |v[80:81]|, |v[90:91]|
	v_cndmask_b32_e32 v81, v81, v91, vcc
	v_cndmask_b32_e32 v80, v80, v90, vcc
	;; [unrolled: 1-line block ×3, first 2 shown]
	s_cbranch_scc1 .LBB74_337
.LBB74_338:
	s_waitcnt lgkmcnt(0)
	v_cmp_eq_f64_e32 vcc, 0, v[80:81]
	s_and_saveexec_b64 s[0:1], vcc
	s_xor_b64 s[0:1], exec, s[0:1]
; %bb.339:
	v_cmp_ne_u32_e32 vcc, 0, v88
	v_cndmask_b32_e32 v88, 21, v88, vcc
; %bb.340:
	s_andn2_saveexec_b64 s[0:1], s[0:1]
; %bb.341:
	v_div_scale_f64 v[90:91], s[2:3], v[80:81], v[80:81], 1.0
	v_rcp_f64_e32 v[92:93], v[90:91]
	v_div_scale_f64 v[94:95], vcc, 1.0, v[80:81], 1.0
	v_fma_f64 v[96:97], -v[90:91], v[92:93], 1.0
	v_fmac_f64_e32 v[92:93], v[92:93], v[96:97]
	v_fma_f64 v[96:97], -v[90:91], v[92:93], 1.0
	v_fmac_f64_e32 v[92:93], v[92:93], v[96:97]
	v_mul_f64 v[96:97], v[94:95], v[92:93]
	v_fma_f64 v[90:91], -v[90:91], v[96:97], v[94:95]
	v_div_fmas_f64 v[90:91], v[90:91], v[92:93], v[96:97]
	v_div_fixup_f64 v[80:81], v[90:91], v[80:81], 1.0
; %bb.342:
	s_or_b64 exec, exec, s[0:1]
	v_cmp_ne_u32_e32 vcc, v85, v82
	s_and_saveexec_b64 s[0:1], vcc
	s_xor_b64 s[0:1], exec, s[0:1]
	s_cbranch_execz .LBB74_348
; %bb.343:
	v_cmp_eq_u32_e32 vcc, 20, v85
	s_and_saveexec_b64 s[2:3], vcc
	s_cbranch_execz .LBB74_347
; %bb.344:
	v_cmp_ne_u32_e32 vcc, 20, v82
	s_xor_b64 s[14:15], s[6:7], -1
	s_and_b64 s[16:17], s[14:15], vcc
	s_and_saveexec_b64 s[14:15], s[16:17]
	s_cbranch_execz .LBB74_346
; %bb.345:
	v_ashrrev_i32_e32 v83, 31, v82
	v_lshlrev_b64 v[90:91], 2, v[82:83]
	v_add_co_u32_e32 v90, vcc, v4, v90
	v_addc_co_u32_e32 v91, vcc, v5, v91, vcc
	flat_load_dword v83, v[90:91]
	flat_load_dword v85, v[4:5] offset:80
	s_waitcnt vmcnt(0) lgkmcnt(0)
	flat_store_dword v[4:5], v83 offset:80
	flat_store_dword v[90:91], v85
.LBB74_346:
	s_or_b64 exec, exec, s[14:15]
	v_mov_b32_e32 v83, v82
	v_mov_b32_e32 v85, v82
.LBB74_347:
	s_or_b64 exec, exec, s[2:3]
.LBB74_348:
	s_andn2_saveexec_b64 s[0:1], s[0:1]
	s_cbranch_execz .LBB74_350
; %bb.349:
	v_mov_b32_e32 v85, 20
	ds_write2_b64 v84, v[34:35], v[32:33] offset0:21 offset1:22
	ds_write2_b64 v84, v[30:31], v[28:29] offset0:23 offset1:24
	;; [unrolled: 1-line block ×8, first 2 shown]
	ds_write_b64 v84, v[78:79] offset:296
.LBB74_350:
	s_or_b64 exec, exec, s[0:1]
	v_cmp_lt_i32_e32 vcc, 20, v85
	s_waitcnt lgkmcnt(0)
	s_barrier
	s_and_saveexec_b64 s[0:1], vcc
	s_cbranch_execz .LBB74_352
; %bb.351:
	ds_read2_b64 v[90:93], v84 offset0:21 offset1:22
	ds_read2_b64 v[94:97], v84 offset0:23 offset1:24
	v_mul_f64 v[36:37], v[80:81], v[36:37]
	ds_read2_b64 v[98:101], v84 offset0:25 offset1:26
	ds_read_b64 v[80:81], v84 offset:296
	s_waitcnt lgkmcnt(0)
	v_fma_f64 v[34:35], -v[36:37], v[90:91], v[34:35]
	v_fma_f64 v[32:33], -v[36:37], v[92:93], v[32:33]
	ds_read2_b64 v[90:93], v84 offset0:27 offset1:28
	v_fma_f64 v[30:31], -v[36:37], v[94:95], v[30:31]
	v_fma_f64 v[28:29], -v[36:37], v[96:97], v[28:29]
	ds_read2_b64 v[94:97], v84 offset0:29 offset1:30
	;; [unrolled: 3-line block ×3, first 2 shown]
	s_waitcnt lgkmcnt(0)
	v_fma_f64 v[22:23], -v[36:37], v[90:91], v[22:23]
	v_fma_f64 v[20:21], -v[36:37], v[92:93], v[20:21]
	;; [unrolled: 1-line block ×4, first 2 shown]
	ds_read2_b64 v[90:93], v84 offset0:33 offset1:34
	ds_read2_b64 v[94:97], v84 offset0:35 offset1:36
	v_fma_f64 v[14:15], -v[36:37], v[98:99], v[14:15]
	v_fma_f64 v[12:13], -v[36:37], v[100:101], v[12:13]
	;; [unrolled: 1-line block ×3, first 2 shown]
	s_waitcnt lgkmcnt(0)
	v_fma_f64 v[10:11], -v[36:37], v[90:91], v[10:11]
	v_fma_f64 v[8:9], -v[36:37], v[92:93], v[8:9]
	;; [unrolled: 1-line block ×4, first 2 shown]
.LBB74_352:
	s_or_b64 exec, exec, s[0:1]
	v_lshl_add_u32 v80, v85, 3, v84
	s_barrier
	ds_write_b64 v80, v[34:35]
	s_waitcnt lgkmcnt(0)
	s_barrier
	ds_read_b64 v[80:81], v84 offset:168
	s_cmp_lt_i32 s18, 23
	v_mov_b32_e32 v82, 21
	s_cbranch_scc1 .LBB74_355
; %bb.353:
	v_add_u32_e32 v89, 0xb0, v84
	s_mov_b32 s0, 22
	v_mov_b32_e32 v82, 21
.LBB74_354:                             ; =>This Inner Loop Header: Depth=1
	ds_read_b64 v[90:91], v89
	v_mov_b32_e32 v92, s0
	s_add_i32 s0, s0, 1
	v_add_u32_e32 v89, 8, v89
	s_cmp_lg_u32 s18, s0
	s_waitcnt lgkmcnt(0)
	v_cmp_lt_f64_e64 vcc, |v[80:81]|, |v[90:91]|
	v_cndmask_b32_e32 v81, v81, v91, vcc
	v_cndmask_b32_e32 v80, v80, v90, vcc
	;; [unrolled: 1-line block ×3, first 2 shown]
	s_cbranch_scc1 .LBB74_354
.LBB74_355:
	s_waitcnt lgkmcnt(0)
	v_cmp_eq_f64_e32 vcc, 0, v[80:81]
	s_and_saveexec_b64 s[0:1], vcc
	s_xor_b64 s[0:1], exec, s[0:1]
; %bb.356:
	v_cmp_ne_u32_e32 vcc, 0, v88
	v_cndmask_b32_e32 v88, 22, v88, vcc
; %bb.357:
	s_andn2_saveexec_b64 s[0:1], s[0:1]
; %bb.358:
	v_div_scale_f64 v[90:91], s[2:3], v[80:81], v[80:81], 1.0
	v_rcp_f64_e32 v[92:93], v[90:91]
	v_div_scale_f64 v[94:95], vcc, 1.0, v[80:81], 1.0
	v_fma_f64 v[96:97], -v[90:91], v[92:93], 1.0
	v_fmac_f64_e32 v[92:93], v[92:93], v[96:97]
	v_fma_f64 v[96:97], -v[90:91], v[92:93], 1.0
	v_fmac_f64_e32 v[92:93], v[92:93], v[96:97]
	v_mul_f64 v[96:97], v[94:95], v[92:93]
	v_fma_f64 v[90:91], -v[90:91], v[96:97], v[94:95]
	v_div_fmas_f64 v[90:91], v[90:91], v[92:93], v[96:97]
	v_div_fixup_f64 v[80:81], v[90:91], v[80:81], 1.0
; %bb.359:
	s_or_b64 exec, exec, s[0:1]
	v_cmp_ne_u32_e32 vcc, v85, v82
	s_and_saveexec_b64 s[0:1], vcc
	s_xor_b64 s[0:1], exec, s[0:1]
	s_cbranch_execz .LBB74_365
; %bb.360:
	v_cmp_eq_u32_e32 vcc, 21, v85
	s_and_saveexec_b64 s[2:3], vcc
	s_cbranch_execz .LBB74_364
; %bb.361:
	v_cmp_ne_u32_e32 vcc, 21, v82
	s_xor_b64 s[14:15], s[6:7], -1
	s_and_b64 s[16:17], s[14:15], vcc
	s_and_saveexec_b64 s[14:15], s[16:17]
	s_cbranch_execz .LBB74_363
; %bb.362:
	v_ashrrev_i32_e32 v83, 31, v82
	v_lshlrev_b64 v[90:91], 2, v[82:83]
	v_add_co_u32_e32 v90, vcc, v4, v90
	v_addc_co_u32_e32 v91, vcc, v5, v91, vcc
	flat_load_dword v83, v[90:91]
	flat_load_dword v85, v[4:5] offset:84
	s_waitcnt vmcnt(0) lgkmcnt(0)
	flat_store_dword v[4:5], v83 offset:84
	flat_store_dword v[90:91], v85
.LBB74_363:
	s_or_b64 exec, exec, s[14:15]
	v_mov_b32_e32 v83, v82
	v_mov_b32_e32 v85, v82
.LBB74_364:
	s_or_b64 exec, exec, s[2:3]
.LBB74_365:
	s_andn2_saveexec_b64 s[0:1], s[0:1]
	s_cbranch_execz .LBB74_367
; %bb.366:
	v_mov_b32_e32 v90, v32
	v_mov_b32_e32 v91, v33
	v_mov_b32_e32 v92, v30
	v_mov_b32_e32 v93, v31
	ds_write2_b64 v84, v[90:91], v[92:93] offset0:22 offset1:23
	v_mov_b32_e32 v90, v28
	v_mov_b32_e32 v91, v29
	v_mov_b32_e32 v92, v26
	v_mov_b32_e32 v93, v27
	ds_write2_b64 v84, v[90:91], v[92:93] offset0:24 offset1:25
	;; [unrolled: 5-line block ×7, first 2 shown]
	v_mov_b32_e32 v90, v0
	v_mov_b32_e32 v91, v1
	;; [unrolled: 1-line block ×3, first 2 shown]
	ds_write2_b64 v84, v[90:91], v[78:79] offset0:36 offset1:37
.LBB74_367:
	s_or_b64 exec, exec, s[0:1]
	v_cmp_lt_i32_e32 vcc, 21, v85
	s_waitcnt lgkmcnt(0)
	s_barrier
	s_and_saveexec_b64 s[0:1], vcc
	s_cbranch_execz .LBB74_369
; %bb.368:
	ds_read2_b64 v[90:93], v84 offset0:22 offset1:23
	ds_read2_b64 v[94:97], v84 offset0:24 offset1:25
	v_mul_f64 v[34:35], v[80:81], v[34:35]
	ds_read2_b64 v[98:101], v84 offset0:26 offset1:27
	s_waitcnt lgkmcnt(0)
	v_fma_f64 v[32:33], -v[34:35], v[90:91], v[32:33]
	v_fma_f64 v[30:31], -v[34:35], v[92:93], v[30:31]
	ds_read2_b64 v[90:93], v84 offset0:28 offset1:29
	v_fma_f64 v[28:29], -v[34:35], v[94:95], v[28:29]
	v_fma_f64 v[26:27], -v[34:35], v[96:97], v[26:27]
	ds_read2_b64 v[94:97], v84 offset0:30 offset1:31
	v_fma_f64 v[24:25], -v[34:35], v[98:99], v[24:25]
	v_fma_f64 v[22:23], -v[34:35], v[100:101], v[22:23]
	s_waitcnt lgkmcnt(0)
	v_fma_f64 v[20:21], -v[34:35], v[90:91], v[20:21]
	v_fma_f64 v[16:17], -v[34:35], v[92:93], v[16:17]
	ds_read2_b64 v[90:93], v84 offset0:32 offset1:33
	v_fma_f64 v[18:19], -v[34:35], v[94:95], v[18:19]
	ds_read2_b64 v[98:101], v84 offset0:34 offset1:35
	;; [unrolled: 2-line block ×3, first 2 shown]
	s_waitcnt lgkmcnt(0)
	v_fma_f64 v[12:13], -v[34:35], v[90:91], v[12:13]
	v_fma_f64 v[10:11], -v[34:35], v[92:93], v[10:11]
	;; [unrolled: 1-line block ×6, first 2 shown]
.LBB74_369:
	s_or_b64 exec, exec, s[0:1]
	v_lshl_add_u32 v80, v85, 3, v84
	s_barrier
	ds_write_b64 v80, v[32:33]
	s_waitcnt lgkmcnt(0)
	s_barrier
	ds_read_b64 v[80:81], v84 offset:176
	s_cmp_lt_i32 s18, 24
	v_mov_b32_e32 v82, 22
	s_cbranch_scc1 .LBB74_372
; %bb.370:
	v_add_u32_e32 v89, 0xb8, v84
	s_mov_b32 s0, 23
	v_mov_b32_e32 v82, 22
.LBB74_371:                             ; =>This Inner Loop Header: Depth=1
	ds_read_b64 v[90:91], v89
	v_mov_b32_e32 v92, s0
	s_add_i32 s0, s0, 1
	v_add_u32_e32 v89, 8, v89
	s_cmp_lg_u32 s18, s0
	s_waitcnt lgkmcnt(0)
	v_cmp_lt_f64_e64 vcc, |v[80:81]|, |v[90:91]|
	v_cndmask_b32_e32 v81, v81, v91, vcc
	v_cndmask_b32_e32 v80, v80, v90, vcc
	;; [unrolled: 1-line block ×3, first 2 shown]
	s_cbranch_scc1 .LBB74_371
.LBB74_372:
	s_waitcnt lgkmcnt(0)
	v_cmp_eq_f64_e32 vcc, 0, v[80:81]
	s_and_saveexec_b64 s[0:1], vcc
	s_xor_b64 s[0:1], exec, s[0:1]
; %bb.373:
	v_cmp_ne_u32_e32 vcc, 0, v88
	v_cndmask_b32_e32 v88, 23, v88, vcc
; %bb.374:
	s_andn2_saveexec_b64 s[0:1], s[0:1]
; %bb.375:
	v_div_scale_f64 v[90:91], s[2:3], v[80:81], v[80:81], 1.0
	v_rcp_f64_e32 v[92:93], v[90:91]
	v_div_scale_f64 v[94:95], vcc, 1.0, v[80:81], 1.0
	v_fma_f64 v[96:97], -v[90:91], v[92:93], 1.0
	v_fmac_f64_e32 v[92:93], v[92:93], v[96:97]
	v_fma_f64 v[96:97], -v[90:91], v[92:93], 1.0
	v_fmac_f64_e32 v[92:93], v[92:93], v[96:97]
	v_mul_f64 v[96:97], v[94:95], v[92:93]
	v_fma_f64 v[90:91], -v[90:91], v[96:97], v[94:95]
	v_div_fmas_f64 v[90:91], v[90:91], v[92:93], v[96:97]
	v_div_fixup_f64 v[80:81], v[90:91], v[80:81], 1.0
; %bb.376:
	s_or_b64 exec, exec, s[0:1]
	v_cmp_ne_u32_e32 vcc, v85, v82
	s_and_saveexec_b64 s[0:1], vcc
	s_xor_b64 s[0:1], exec, s[0:1]
	s_cbranch_execz .LBB74_382
; %bb.377:
	v_cmp_eq_u32_e32 vcc, 22, v85
	s_and_saveexec_b64 s[2:3], vcc
	s_cbranch_execz .LBB74_381
; %bb.378:
	v_cmp_ne_u32_e32 vcc, 22, v82
	s_xor_b64 s[14:15], s[6:7], -1
	s_and_b64 s[16:17], s[14:15], vcc
	s_and_saveexec_b64 s[14:15], s[16:17]
	s_cbranch_execz .LBB74_380
; %bb.379:
	v_ashrrev_i32_e32 v83, 31, v82
	v_lshlrev_b64 v[90:91], 2, v[82:83]
	v_add_co_u32_e32 v90, vcc, v4, v90
	v_addc_co_u32_e32 v91, vcc, v5, v91, vcc
	flat_load_dword v83, v[90:91]
	flat_load_dword v85, v[4:5] offset:88
	s_waitcnt vmcnt(0) lgkmcnt(0)
	flat_store_dword v[4:5], v83 offset:88
	flat_store_dword v[90:91], v85
.LBB74_380:
	s_or_b64 exec, exec, s[14:15]
	v_mov_b32_e32 v83, v82
	v_mov_b32_e32 v85, v82
.LBB74_381:
	s_or_b64 exec, exec, s[2:3]
.LBB74_382:
	s_andn2_saveexec_b64 s[0:1], s[0:1]
	s_cbranch_execz .LBB74_384
; %bb.383:
	v_mov_b32_e32 v85, 22
	ds_write2_b64 v84, v[30:31], v[28:29] offset0:23 offset1:24
	ds_write2_b64 v84, v[26:27], v[24:25] offset0:25 offset1:26
	;; [unrolled: 1-line block ×7, first 2 shown]
	ds_write_b64 v84, v[78:79] offset:296
.LBB74_384:
	s_or_b64 exec, exec, s[0:1]
	v_cmp_lt_i32_e32 vcc, 22, v85
	s_waitcnt lgkmcnt(0)
	s_barrier
	s_and_saveexec_b64 s[0:1], vcc
	s_cbranch_execz .LBB74_386
; %bb.385:
	ds_read2_b64 v[90:93], v84 offset0:23 offset1:24
	ds_read2_b64 v[94:97], v84 offset0:25 offset1:26
	v_mul_f64 v[32:33], v[80:81], v[32:33]
	ds_read2_b64 v[98:101], v84 offset0:27 offset1:28
	ds_read_b64 v[80:81], v84 offset:296
	s_waitcnt lgkmcnt(0)
	v_fma_f64 v[30:31], -v[32:33], v[90:91], v[30:31]
	v_fma_f64 v[28:29], -v[32:33], v[92:93], v[28:29]
	ds_read2_b64 v[90:93], v84 offset0:29 offset1:30
	v_fma_f64 v[26:27], -v[32:33], v[94:95], v[26:27]
	v_fma_f64 v[24:25], -v[32:33], v[96:97], v[24:25]
	;; [unrolled: 1-line block ×3, first 2 shown]
	ds_read2_b64 v[94:97], v84 offset0:31 offset1:32
	v_fma_f64 v[20:21], -v[32:33], v[100:101], v[20:21]
	s_waitcnt lgkmcnt(0)
	v_fma_f64 v[16:17], -v[32:33], v[90:91], v[16:17]
	v_fma_f64 v[18:19], -v[32:33], v[92:93], v[18:19]
	ds_read2_b64 v[90:93], v84 offset0:33 offset1:34
	ds_read2_b64 v[98:101], v84 offset0:35 offset1:36
	v_fma_f64 v[14:15], -v[32:33], v[94:95], v[14:15]
	v_fma_f64 v[12:13], -v[32:33], v[96:97], v[12:13]
	;; [unrolled: 1-line block ×3, first 2 shown]
	s_waitcnt lgkmcnt(0)
	v_fma_f64 v[10:11], -v[32:33], v[90:91], v[10:11]
	v_fma_f64 v[8:9], -v[32:33], v[92:93], v[8:9]
	;; [unrolled: 1-line block ×4, first 2 shown]
.LBB74_386:
	s_or_b64 exec, exec, s[0:1]
	v_lshl_add_u32 v80, v85, 3, v84
	s_barrier
	ds_write_b64 v80, v[30:31]
	s_waitcnt lgkmcnt(0)
	s_barrier
	ds_read_b64 v[80:81], v84 offset:184
	s_cmp_lt_i32 s18, 25
	v_mov_b32_e32 v82, 23
	s_cbranch_scc1 .LBB74_389
; %bb.387:
	v_add_u32_e32 v89, 0xc0, v84
	s_mov_b32 s0, 24
	v_mov_b32_e32 v82, 23
.LBB74_388:                             ; =>This Inner Loop Header: Depth=1
	ds_read_b64 v[90:91], v89
	v_mov_b32_e32 v92, s0
	s_add_i32 s0, s0, 1
	v_add_u32_e32 v89, 8, v89
	s_cmp_lg_u32 s18, s0
	s_waitcnt lgkmcnt(0)
	v_cmp_lt_f64_e64 vcc, |v[80:81]|, |v[90:91]|
	v_cndmask_b32_e32 v81, v81, v91, vcc
	v_cndmask_b32_e32 v80, v80, v90, vcc
	;; [unrolled: 1-line block ×3, first 2 shown]
	s_cbranch_scc1 .LBB74_388
.LBB74_389:
	s_waitcnt lgkmcnt(0)
	v_cmp_eq_f64_e32 vcc, 0, v[80:81]
	s_and_saveexec_b64 s[0:1], vcc
	s_xor_b64 s[0:1], exec, s[0:1]
; %bb.390:
	v_cmp_ne_u32_e32 vcc, 0, v88
	v_cndmask_b32_e32 v88, 24, v88, vcc
; %bb.391:
	s_andn2_saveexec_b64 s[0:1], s[0:1]
; %bb.392:
	v_div_scale_f64 v[90:91], s[2:3], v[80:81], v[80:81], 1.0
	v_rcp_f64_e32 v[92:93], v[90:91]
	v_div_scale_f64 v[94:95], vcc, 1.0, v[80:81], 1.0
	v_fma_f64 v[96:97], -v[90:91], v[92:93], 1.0
	v_fmac_f64_e32 v[92:93], v[92:93], v[96:97]
	v_fma_f64 v[96:97], -v[90:91], v[92:93], 1.0
	v_fmac_f64_e32 v[92:93], v[92:93], v[96:97]
	v_mul_f64 v[96:97], v[94:95], v[92:93]
	v_fma_f64 v[90:91], -v[90:91], v[96:97], v[94:95]
	v_div_fmas_f64 v[90:91], v[90:91], v[92:93], v[96:97]
	v_div_fixup_f64 v[80:81], v[90:91], v[80:81], 1.0
; %bb.393:
	s_or_b64 exec, exec, s[0:1]
	v_cmp_ne_u32_e32 vcc, v85, v82
	s_and_saveexec_b64 s[0:1], vcc
	s_xor_b64 s[0:1], exec, s[0:1]
	s_cbranch_execz .LBB74_399
; %bb.394:
	v_cmp_eq_u32_e32 vcc, 23, v85
	s_and_saveexec_b64 s[2:3], vcc
	s_cbranch_execz .LBB74_398
; %bb.395:
	v_cmp_ne_u32_e32 vcc, 23, v82
	s_xor_b64 s[14:15], s[6:7], -1
	s_and_b64 s[16:17], s[14:15], vcc
	s_and_saveexec_b64 s[14:15], s[16:17]
	s_cbranch_execz .LBB74_397
; %bb.396:
	v_ashrrev_i32_e32 v83, 31, v82
	v_lshlrev_b64 v[90:91], 2, v[82:83]
	v_add_co_u32_e32 v90, vcc, v4, v90
	v_addc_co_u32_e32 v91, vcc, v5, v91, vcc
	flat_load_dword v83, v[90:91]
	flat_load_dword v85, v[4:5] offset:92
	s_waitcnt vmcnt(0) lgkmcnt(0)
	flat_store_dword v[4:5], v83 offset:92
	flat_store_dword v[90:91], v85
.LBB74_397:
	s_or_b64 exec, exec, s[14:15]
	v_mov_b32_e32 v83, v82
	v_mov_b32_e32 v85, v82
.LBB74_398:
	s_or_b64 exec, exec, s[2:3]
.LBB74_399:
	s_andn2_saveexec_b64 s[0:1], s[0:1]
	s_cbranch_execz .LBB74_401
; %bb.400:
	v_mov_b32_e32 v90, v28
	v_mov_b32_e32 v91, v29
	v_mov_b32_e32 v92, v26
	v_mov_b32_e32 v93, v27
	ds_write2_b64 v84, v[90:91], v[92:93] offset0:24 offset1:25
	v_mov_b32_e32 v90, v24
	v_mov_b32_e32 v91, v25
	v_mov_b32_e32 v92, v22
	v_mov_b32_e32 v93, v23
	ds_write2_b64 v84, v[90:91], v[92:93] offset0:26 offset1:27
	v_mov_b32_e32 v90, v20
	v_mov_b32_e32 v91, v21
	v_mov_b32_e32 v92, v16
	v_mov_b32_e32 v93, v17
	ds_write2_b64 v84, v[90:91], v[92:93] offset0:28 offset1:29
	v_mov_b32_e32 v90, v18
	v_mov_b32_e32 v91, v19
	v_mov_b32_e32 v92, v14
	v_mov_b32_e32 v93, v15
	ds_write2_b64 v84, v[90:91], v[92:93] offset0:30 offset1:31
	v_mov_b32_e32 v90, v12
	v_mov_b32_e32 v91, v13
	v_mov_b32_e32 v92, v10
	v_mov_b32_e32 v93, v11
	ds_write2_b64 v84, v[90:91], v[92:93] offset0:32 offset1:33
	v_mov_b32_e32 v90, v8
	v_mov_b32_e32 v91, v9
	v_mov_b32_e32 v92, v6
	v_mov_b32_e32 v93, v7
	ds_write2_b64 v84, v[90:91], v[92:93] offset0:34 offset1:35
	v_mov_b32_e32 v90, v0
	v_mov_b32_e32 v91, v1
	;; [unrolled: 1-line block ×3, first 2 shown]
	ds_write2_b64 v84, v[90:91], v[78:79] offset0:36 offset1:37
.LBB74_401:
	s_or_b64 exec, exec, s[0:1]
	v_cmp_lt_i32_e32 vcc, 23, v85
	s_waitcnt lgkmcnt(0)
	s_barrier
	s_and_saveexec_b64 s[0:1], vcc
	s_cbranch_execz .LBB74_403
; %bb.402:
	ds_read2_b64 v[90:93], v84 offset0:24 offset1:25
	ds_read2_b64 v[94:97], v84 offset0:26 offset1:27
	v_mul_f64 v[30:31], v[80:81], v[30:31]
	ds_read2_b64 v[98:101], v84 offset0:28 offset1:29
	s_waitcnt lgkmcnt(0)
	v_fma_f64 v[28:29], -v[30:31], v[90:91], v[28:29]
	v_fma_f64 v[26:27], -v[30:31], v[92:93], v[26:27]
	ds_read2_b64 v[90:93], v84 offset0:30 offset1:31
	v_fma_f64 v[24:25], -v[30:31], v[94:95], v[24:25]
	v_fma_f64 v[22:23], -v[30:31], v[96:97], v[22:23]
	;; [unrolled: 1-line block ×4, first 2 shown]
	ds_read2_b64 v[94:97], v84 offset0:32 offset1:33
	ds_read2_b64 v[98:101], v84 offset0:34 offset1:35
	s_waitcnt lgkmcnt(0)
	v_fma_f64 v[18:19], -v[30:31], v[90:91], v[18:19]
	v_fma_f64 v[14:15], -v[30:31], v[92:93], v[14:15]
	ds_read2_b64 v[90:93], v84 offset0:36 offset1:37
	v_fma_f64 v[12:13], -v[30:31], v[94:95], v[12:13]
	v_fma_f64 v[10:11], -v[30:31], v[96:97], v[10:11]
	;; [unrolled: 1-line block ×4, first 2 shown]
	s_waitcnt lgkmcnt(0)
	v_fma_f64 v[0:1], -v[30:31], v[90:91], v[0:1]
	v_fma_f64 v[78:79], -v[30:31], v[92:93], v[78:79]
.LBB74_403:
	s_or_b64 exec, exec, s[0:1]
	v_lshl_add_u32 v80, v85, 3, v84
	s_barrier
	ds_write_b64 v80, v[28:29]
	s_waitcnt lgkmcnt(0)
	s_barrier
	ds_read_b64 v[80:81], v84 offset:192
	s_cmp_lt_i32 s18, 26
	v_mov_b32_e32 v82, 24
	s_cbranch_scc1 .LBB74_406
; %bb.404:
	v_add_u32_e32 v89, 0xc8, v84
	s_mov_b32 s0, 25
	v_mov_b32_e32 v82, 24
.LBB74_405:                             ; =>This Inner Loop Header: Depth=1
	ds_read_b64 v[90:91], v89
	v_mov_b32_e32 v92, s0
	s_add_i32 s0, s0, 1
	v_add_u32_e32 v89, 8, v89
	s_cmp_lg_u32 s18, s0
	s_waitcnt lgkmcnt(0)
	v_cmp_lt_f64_e64 vcc, |v[80:81]|, |v[90:91]|
	v_cndmask_b32_e32 v81, v81, v91, vcc
	v_cndmask_b32_e32 v80, v80, v90, vcc
	;; [unrolled: 1-line block ×3, first 2 shown]
	s_cbranch_scc1 .LBB74_405
.LBB74_406:
	s_waitcnt lgkmcnt(0)
	v_cmp_eq_f64_e32 vcc, 0, v[80:81]
	s_and_saveexec_b64 s[0:1], vcc
	s_xor_b64 s[0:1], exec, s[0:1]
; %bb.407:
	v_cmp_ne_u32_e32 vcc, 0, v88
	v_cndmask_b32_e32 v88, 25, v88, vcc
; %bb.408:
	s_andn2_saveexec_b64 s[0:1], s[0:1]
; %bb.409:
	v_div_scale_f64 v[90:91], s[2:3], v[80:81], v[80:81], 1.0
	v_rcp_f64_e32 v[92:93], v[90:91]
	v_div_scale_f64 v[94:95], vcc, 1.0, v[80:81], 1.0
	v_fma_f64 v[96:97], -v[90:91], v[92:93], 1.0
	v_fmac_f64_e32 v[92:93], v[92:93], v[96:97]
	v_fma_f64 v[96:97], -v[90:91], v[92:93], 1.0
	v_fmac_f64_e32 v[92:93], v[92:93], v[96:97]
	v_mul_f64 v[96:97], v[94:95], v[92:93]
	v_fma_f64 v[90:91], -v[90:91], v[96:97], v[94:95]
	v_div_fmas_f64 v[90:91], v[90:91], v[92:93], v[96:97]
	v_div_fixup_f64 v[80:81], v[90:91], v[80:81], 1.0
; %bb.410:
	s_or_b64 exec, exec, s[0:1]
	v_cmp_ne_u32_e32 vcc, v85, v82
	s_and_saveexec_b64 s[0:1], vcc
	s_xor_b64 s[0:1], exec, s[0:1]
	s_cbranch_execz .LBB74_416
; %bb.411:
	v_cmp_eq_u32_e32 vcc, 24, v85
	s_and_saveexec_b64 s[2:3], vcc
	s_cbranch_execz .LBB74_415
; %bb.412:
	v_cmp_ne_u32_e32 vcc, 24, v82
	s_xor_b64 s[14:15], s[6:7], -1
	s_and_b64 s[16:17], s[14:15], vcc
	s_and_saveexec_b64 s[14:15], s[16:17]
	s_cbranch_execz .LBB74_414
; %bb.413:
	v_ashrrev_i32_e32 v83, 31, v82
	v_lshlrev_b64 v[90:91], 2, v[82:83]
	v_add_co_u32_e32 v90, vcc, v4, v90
	v_addc_co_u32_e32 v91, vcc, v5, v91, vcc
	flat_load_dword v83, v[90:91]
	flat_load_dword v85, v[4:5] offset:96
	s_waitcnt vmcnt(0) lgkmcnt(0)
	flat_store_dword v[4:5], v83 offset:96
	flat_store_dword v[90:91], v85
.LBB74_414:
	s_or_b64 exec, exec, s[14:15]
	v_mov_b32_e32 v83, v82
	v_mov_b32_e32 v85, v82
.LBB74_415:
	s_or_b64 exec, exec, s[2:3]
.LBB74_416:
	s_andn2_saveexec_b64 s[0:1], s[0:1]
	s_cbranch_execz .LBB74_418
; %bb.417:
	v_mov_b32_e32 v85, 24
	ds_write2_b64 v84, v[26:27], v[24:25] offset0:25 offset1:26
	ds_write2_b64 v84, v[22:23], v[20:21] offset0:27 offset1:28
	;; [unrolled: 1-line block ×6, first 2 shown]
	ds_write_b64 v84, v[78:79] offset:296
.LBB74_418:
	s_or_b64 exec, exec, s[0:1]
	v_cmp_lt_i32_e32 vcc, 24, v85
	s_waitcnt lgkmcnt(0)
	s_barrier
	s_and_saveexec_b64 s[0:1], vcc
	s_cbranch_execz .LBB74_420
; %bb.419:
	ds_read2_b64 v[90:93], v84 offset0:25 offset1:26
	ds_read2_b64 v[94:97], v84 offset0:27 offset1:28
	;; [unrolled: 1-line block ×3, first 2 shown]
	v_mul_f64 v[28:29], v[80:81], v[28:29]
	ds_read_b64 v[80:81], v84 offset:296
	s_waitcnt lgkmcnt(0)
	v_fma_f64 v[26:27], -v[28:29], v[90:91], v[26:27]
	v_fma_f64 v[24:25], -v[28:29], v[92:93], v[24:25]
	ds_read2_b64 v[90:93], v84 offset0:31 offset1:32
	v_fma_f64 v[22:23], -v[28:29], v[94:95], v[22:23]
	v_fma_f64 v[20:21], -v[28:29], v[96:97], v[20:21]
	;; [unrolled: 1-line block ×4, first 2 shown]
	ds_read2_b64 v[94:97], v84 offset0:33 offset1:34
	ds_read2_b64 v[98:101], v84 offset0:35 offset1:36
	s_waitcnt lgkmcnt(0)
	v_fma_f64 v[14:15], -v[28:29], v[90:91], v[14:15]
	v_fma_f64 v[12:13], -v[28:29], v[92:93], v[12:13]
	;; [unrolled: 1-line block ×7, first 2 shown]
.LBB74_420:
	s_or_b64 exec, exec, s[0:1]
	v_lshl_add_u32 v80, v85, 3, v84
	s_barrier
	ds_write_b64 v80, v[26:27]
	s_waitcnt lgkmcnt(0)
	s_barrier
	ds_read_b64 v[80:81], v84 offset:200
	s_cmp_lt_i32 s18, 27
	v_mov_b32_e32 v82, 25
	s_cbranch_scc1 .LBB74_423
; %bb.421:
	v_add_u32_e32 v89, 0xd0, v84
	s_mov_b32 s0, 26
	v_mov_b32_e32 v82, 25
.LBB74_422:                             ; =>This Inner Loop Header: Depth=1
	ds_read_b64 v[90:91], v89
	v_mov_b32_e32 v92, s0
	s_add_i32 s0, s0, 1
	v_add_u32_e32 v89, 8, v89
	s_cmp_lg_u32 s18, s0
	s_waitcnt lgkmcnt(0)
	v_cmp_lt_f64_e64 vcc, |v[80:81]|, |v[90:91]|
	v_cndmask_b32_e32 v81, v81, v91, vcc
	v_cndmask_b32_e32 v80, v80, v90, vcc
	;; [unrolled: 1-line block ×3, first 2 shown]
	s_cbranch_scc1 .LBB74_422
.LBB74_423:
	s_waitcnt lgkmcnt(0)
	v_cmp_eq_f64_e32 vcc, 0, v[80:81]
	s_and_saveexec_b64 s[0:1], vcc
	s_xor_b64 s[0:1], exec, s[0:1]
; %bb.424:
	v_cmp_ne_u32_e32 vcc, 0, v88
	v_cndmask_b32_e32 v88, 26, v88, vcc
; %bb.425:
	s_andn2_saveexec_b64 s[0:1], s[0:1]
; %bb.426:
	v_div_scale_f64 v[90:91], s[2:3], v[80:81], v[80:81], 1.0
	v_rcp_f64_e32 v[92:93], v[90:91]
	v_div_scale_f64 v[94:95], vcc, 1.0, v[80:81], 1.0
	v_fma_f64 v[96:97], -v[90:91], v[92:93], 1.0
	v_fmac_f64_e32 v[92:93], v[92:93], v[96:97]
	v_fma_f64 v[96:97], -v[90:91], v[92:93], 1.0
	v_fmac_f64_e32 v[92:93], v[92:93], v[96:97]
	v_mul_f64 v[96:97], v[94:95], v[92:93]
	v_fma_f64 v[90:91], -v[90:91], v[96:97], v[94:95]
	v_div_fmas_f64 v[90:91], v[90:91], v[92:93], v[96:97]
	v_div_fixup_f64 v[80:81], v[90:91], v[80:81], 1.0
; %bb.427:
	s_or_b64 exec, exec, s[0:1]
	v_cmp_ne_u32_e32 vcc, v85, v82
	s_and_saveexec_b64 s[0:1], vcc
	s_xor_b64 s[0:1], exec, s[0:1]
	s_cbranch_execz .LBB74_433
; %bb.428:
	v_cmp_eq_u32_e32 vcc, 25, v85
	s_and_saveexec_b64 s[2:3], vcc
	s_cbranch_execz .LBB74_432
; %bb.429:
	v_cmp_ne_u32_e32 vcc, 25, v82
	s_xor_b64 s[14:15], s[6:7], -1
	s_and_b64 s[16:17], s[14:15], vcc
	s_and_saveexec_b64 s[14:15], s[16:17]
	s_cbranch_execz .LBB74_431
; %bb.430:
	v_ashrrev_i32_e32 v83, 31, v82
	v_lshlrev_b64 v[90:91], 2, v[82:83]
	v_add_co_u32_e32 v90, vcc, v4, v90
	v_addc_co_u32_e32 v91, vcc, v5, v91, vcc
	flat_load_dword v83, v[90:91]
	flat_load_dword v85, v[4:5] offset:100
	s_waitcnt vmcnt(0) lgkmcnt(0)
	flat_store_dword v[4:5], v83 offset:100
	flat_store_dword v[90:91], v85
.LBB74_431:
	s_or_b64 exec, exec, s[14:15]
	v_mov_b32_e32 v83, v82
	v_mov_b32_e32 v85, v82
.LBB74_432:
	s_or_b64 exec, exec, s[2:3]
.LBB74_433:
	s_andn2_saveexec_b64 s[0:1], s[0:1]
	s_cbranch_execz .LBB74_435
; %bb.434:
	v_mov_b32_e32 v90, v24
	v_mov_b32_e32 v91, v25
	v_mov_b32_e32 v92, v22
	v_mov_b32_e32 v93, v23
	ds_write2_b64 v84, v[90:91], v[92:93] offset0:26 offset1:27
	v_mov_b32_e32 v90, v20
	v_mov_b32_e32 v91, v21
	v_mov_b32_e32 v92, v16
	v_mov_b32_e32 v93, v17
	ds_write2_b64 v84, v[90:91], v[92:93] offset0:28 offset1:29
	;; [unrolled: 5-line block ×5, first 2 shown]
	v_mov_b32_e32 v90, v0
	v_mov_b32_e32 v91, v1
	;; [unrolled: 1-line block ×3, first 2 shown]
	ds_write2_b64 v84, v[90:91], v[78:79] offset0:36 offset1:37
.LBB74_435:
	s_or_b64 exec, exec, s[0:1]
	v_cmp_lt_i32_e32 vcc, 25, v85
	s_waitcnt lgkmcnt(0)
	s_barrier
	s_and_saveexec_b64 s[0:1], vcc
	s_cbranch_execz .LBB74_437
; %bb.436:
	ds_read2_b64 v[90:93], v84 offset0:26 offset1:27
	ds_read2_b64 v[94:97], v84 offset0:28 offset1:29
	;; [unrolled: 1-line block ×3, first 2 shown]
	v_mul_f64 v[26:27], v[80:81], v[26:27]
	s_waitcnt lgkmcnt(0)
	v_fma_f64 v[24:25], -v[26:27], v[90:91], v[24:25]
	v_fma_f64 v[22:23], -v[26:27], v[92:93], v[22:23]
	ds_read2_b64 v[90:93], v84 offset0:32 offset1:33
	v_fma_f64 v[20:21], -v[26:27], v[94:95], v[20:21]
	v_fma_f64 v[16:17], -v[26:27], v[96:97], v[16:17]
	;; [unrolled: 1-line block ×3, first 2 shown]
	ds_read2_b64 v[94:97], v84 offset0:34 offset1:35
	v_fma_f64 v[14:15], -v[26:27], v[100:101], v[14:15]
	ds_read2_b64 v[98:101], v84 offset0:36 offset1:37
	s_waitcnt lgkmcnt(0)
	v_fma_f64 v[12:13], -v[26:27], v[90:91], v[12:13]
	v_fma_f64 v[10:11], -v[26:27], v[92:93], v[10:11]
	;; [unrolled: 1-line block ×6, first 2 shown]
.LBB74_437:
	s_or_b64 exec, exec, s[0:1]
	v_lshl_add_u32 v80, v85, 3, v84
	s_barrier
	ds_write_b64 v80, v[24:25]
	s_waitcnt lgkmcnt(0)
	s_barrier
	ds_read_b64 v[80:81], v84 offset:208
	s_cmp_lt_i32 s18, 28
	v_mov_b32_e32 v82, 26
	s_cbranch_scc1 .LBB74_440
; %bb.438:
	v_add_u32_e32 v89, 0xd8, v84
	s_mov_b32 s0, 27
	v_mov_b32_e32 v82, 26
.LBB74_439:                             ; =>This Inner Loop Header: Depth=1
	ds_read_b64 v[90:91], v89
	v_mov_b32_e32 v92, s0
	s_add_i32 s0, s0, 1
	v_add_u32_e32 v89, 8, v89
	s_cmp_lg_u32 s18, s0
	s_waitcnt lgkmcnt(0)
	v_cmp_lt_f64_e64 vcc, |v[80:81]|, |v[90:91]|
	v_cndmask_b32_e32 v81, v81, v91, vcc
	v_cndmask_b32_e32 v80, v80, v90, vcc
	;; [unrolled: 1-line block ×3, first 2 shown]
	s_cbranch_scc1 .LBB74_439
.LBB74_440:
	s_waitcnt lgkmcnt(0)
	v_cmp_eq_f64_e32 vcc, 0, v[80:81]
	s_and_saveexec_b64 s[0:1], vcc
	s_xor_b64 s[0:1], exec, s[0:1]
; %bb.441:
	v_cmp_ne_u32_e32 vcc, 0, v88
	v_cndmask_b32_e32 v88, 27, v88, vcc
; %bb.442:
	s_andn2_saveexec_b64 s[0:1], s[0:1]
; %bb.443:
	v_div_scale_f64 v[90:91], s[2:3], v[80:81], v[80:81], 1.0
	v_rcp_f64_e32 v[92:93], v[90:91]
	v_div_scale_f64 v[94:95], vcc, 1.0, v[80:81], 1.0
	v_fma_f64 v[96:97], -v[90:91], v[92:93], 1.0
	v_fmac_f64_e32 v[92:93], v[92:93], v[96:97]
	v_fma_f64 v[96:97], -v[90:91], v[92:93], 1.0
	v_fmac_f64_e32 v[92:93], v[92:93], v[96:97]
	v_mul_f64 v[96:97], v[94:95], v[92:93]
	v_fma_f64 v[90:91], -v[90:91], v[96:97], v[94:95]
	v_div_fmas_f64 v[90:91], v[90:91], v[92:93], v[96:97]
	v_div_fixup_f64 v[80:81], v[90:91], v[80:81], 1.0
; %bb.444:
	s_or_b64 exec, exec, s[0:1]
	v_cmp_ne_u32_e32 vcc, v85, v82
	s_and_saveexec_b64 s[0:1], vcc
	s_xor_b64 s[0:1], exec, s[0:1]
	s_cbranch_execz .LBB74_450
; %bb.445:
	v_cmp_eq_u32_e32 vcc, 26, v85
	s_and_saveexec_b64 s[2:3], vcc
	s_cbranch_execz .LBB74_449
; %bb.446:
	v_cmp_ne_u32_e32 vcc, 26, v82
	s_xor_b64 s[14:15], s[6:7], -1
	s_and_b64 s[16:17], s[14:15], vcc
	s_and_saveexec_b64 s[14:15], s[16:17]
	s_cbranch_execz .LBB74_448
; %bb.447:
	v_ashrrev_i32_e32 v83, 31, v82
	v_lshlrev_b64 v[90:91], 2, v[82:83]
	v_add_co_u32_e32 v90, vcc, v4, v90
	v_addc_co_u32_e32 v91, vcc, v5, v91, vcc
	flat_load_dword v83, v[90:91]
	flat_load_dword v85, v[4:5] offset:104
	s_waitcnt vmcnt(0) lgkmcnt(0)
	flat_store_dword v[4:5], v83 offset:104
	flat_store_dword v[90:91], v85
.LBB74_448:
	s_or_b64 exec, exec, s[14:15]
	v_mov_b32_e32 v83, v82
	v_mov_b32_e32 v85, v82
.LBB74_449:
	s_or_b64 exec, exec, s[2:3]
.LBB74_450:
	s_andn2_saveexec_b64 s[0:1], s[0:1]
	s_cbranch_execz .LBB74_452
; %bb.451:
	v_mov_b32_e32 v85, 26
	ds_write2_b64 v84, v[22:23], v[20:21] offset0:27 offset1:28
	ds_write2_b64 v84, v[16:17], v[18:19] offset0:29 offset1:30
	ds_write2_b64 v84, v[14:15], v[12:13] offset0:31 offset1:32
	ds_write2_b64 v84, v[10:11], v[8:9] offset0:33 offset1:34
	ds_write2_b64 v84, v[6:7], v[0:1] offset0:35 offset1:36
	ds_write_b64 v84, v[78:79] offset:296
.LBB74_452:
	s_or_b64 exec, exec, s[0:1]
	v_cmp_lt_i32_e32 vcc, 26, v85
	s_waitcnt lgkmcnt(0)
	s_barrier
	s_and_saveexec_b64 s[0:1], vcc
	s_cbranch_execz .LBB74_454
; %bb.453:
	ds_read2_b64 v[90:93], v84 offset0:27 offset1:28
	ds_read2_b64 v[94:97], v84 offset0:29 offset1:30
	v_mul_f64 v[24:25], v[80:81], v[24:25]
	ds_read2_b64 v[98:101], v84 offset0:31 offset1:32
	ds_read_b64 v[80:81], v84 offset:296
	s_waitcnt lgkmcnt(0)
	v_fma_f64 v[22:23], -v[24:25], v[90:91], v[22:23]
	v_fma_f64 v[20:21], -v[24:25], v[92:93], v[20:21]
	ds_read2_b64 v[90:93], v84 offset0:33 offset1:34
	v_fma_f64 v[16:17], -v[24:25], v[94:95], v[16:17]
	v_fma_f64 v[18:19], -v[24:25], v[96:97], v[18:19]
	ds_read2_b64 v[94:97], v84 offset0:35 offset1:36
	v_fma_f64 v[14:15], -v[24:25], v[98:99], v[14:15]
	v_fma_f64 v[12:13], -v[24:25], v[100:101], v[12:13]
	s_waitcnt lgkmcnt(0)
	v_fma_f64 v[10:11], -v[24:25], v[90:91], v[10:11]
	v_fma_f64 v[8:9], -v[24:25], v[92:93], v[8:9]
	;; [unrolled: 1-line block ×5, first 2 shown]
.LBB74_454:
	s_or_b64 exec, exec, s[0:1]
	v_lshl_add_u32 v80, v85, 3, v84
	s_barrier
	ds_write_b64 v80, v[22:23]
	s_waitcnt lgkmcnt(0)
	s_barrier
	ds_read_b64 v[80:81], v84 offset:216
	s_cmp_lt_i32 s18, 29
	v_mov_b32_e32 v82, 27
	s_cbranch_scc1 .LBB74_457
; %bb.455:
	v_add_u32_e32 v89, 0xe0, v84
	s_mov_b32 s0, 28
	v_mov_b32_e32 v82, 27
.LBB74_456:                             ; =>This Inner Loop Header: Depth=1
	ds_read_b64 v[90:91], v89
	v_mov_b32_e32 v92, s0
	s_add_i32 s0, s0, 1
	v_add_u32_e32 v89, 8, v89
	s_cmp_lg_u32 s18, s0
	s_waitcnt lgkmcnt(0)
	v_cmp_lt_f64_e64 vcc, |v[80:81]|, |v[90:91]|
	v_cndmask_b32_e32 v81, v81, v91, vcc
	v_cndmask_b32_e32 v80, v80, v90, vcc
	;; [unrolled: 1-line block ×3, first 2 shown]
	s_cbranch_scc1 .LBB74_456
.LBB74_457:
	s_waitcnt lgkmcnt(0)
	v_cmp_eq_f64_e32 vcc, 0, v[80:81]
	s_and_saveexec_b64 s[0:1], vcc
	s_xor_b64 s[0:1], exec, s[0:1]
; %bb.458:
	v_cmp_ne_u32_e32 vcc, 0, v88
	v_cndmask_b32_e32 v88, 28, v88, vcc
; %bb.459:
	s_andn2_saveexec_b64 s[0:1], s[0:1]
; %bb.460:
	v_div_scale_f64 v[90:91], s[2:3], v[80:81], v[80:81], 1.0
	v_rcp_f64_e32 v[92:93], v[90:91]
	v_div_scale_f64 v[94:95], vcc, 1.0, v[80:81], 1.0
	v_fma_f64 v[96:97], -v[90:91], v[92:93], 1.0
	v_fmac_f64_e32 v[92:93], v[92:93], v[96:97]
	v_fma_f64 v[96:97], -v[90:91], v[92:93], 1.0
	v_fmac_f64_e32 v[92:93], v[92:93], v[96:97]
	v_mul_f64 v[96:97], v[94:95], v[92:93]
	v_fma_f64 v[90:91], -v[90:91], v[96:97], v[94:95]
	v_div_fmas_f64 v[90:91], v[90:91], v[92:93], v[96:97]
	v_div_fixup_f64 v[80:81], v[90:91], v[80:81], 1.0
; %bb.461:
	s_or_b64 exec, exec, s[0:1]
	v_cmp_ne_u32_e32 vcc, v85, v82
	s_and_saveexec_b64 s[0:1], vcc
	s_xor_b64 s[0:1], exec, s[0:1]
	s_cbranch_execz .LBB74_467
; %bb.462:
	v_cmp_eq_u32_e32 vcc, 27, v85
	s_and_saveexec_b64 s[2:3], vcc
	s_cbranch_execz .LBB74_466
; %bb.463:
	v_cmp_ne_u32_e32 vcc, 27, v82
	s_xor_b64 s[14:15], s[6:7], -1
	s_and_b64 s[16:17], s[14:15], vcc
	s_and_saveexec_b64 s[14:15], s[16:17]
	s_cbranch_execz .LBB74_465
; %bb.464:
	v_ashrrev_i32_e32 v83, 31, v82
	v_lshlrev_b64 v[90:91], 2, v[82:83]
	v_add_co_u32_e32 v90, vcc, v4, v90
	v_addc_co_u32_e32 v91, vcc, v5, v91, vcc
	flat_load_dword v83, v[90:91]
	flat_load_dword v85, v[4:5] offset:108
	s_waitcnt vmcnt(0) lgkmcnt(0)
	flat_store_dword v[4:5], v83 offset:108
	flat_store_dword v[90:91], v85
.LBB74_465:
	s_or_b64 exec, exec, s[14:15]
	v_mov_b32_e32 v83, v82
	v_mov_b32_e32 v85, v82
.LBB74_466:
	s_or_b64 exec, exec, s[2:3]
.LBB74_467:
	s_andn2_saveexec_b64 s[0:1], s[0:1]
	s_cbranch_execz .LBB74_469
; %bb.468:
	v_mov_b32_e32 v90, v20
	v_mov_b32_e32 v91, v21
	v_mov_b32_e32 v92, v16
	v_mov_b32_e32 v93, v17
	ds_write2_b64 v84, v[90:91], v[92:93] offset0:28 offset1:29
	v_mov_b32_e32 v90, v18
	v_mov_b32_e32 v91, v19
	v_mov_b32_e32 v92, v14
	v_mov_b32_e32 v93, v15
	ds_write2_b64 v84, v[90:91], v[92:93] offset0:30 offset1:31
	;; [unrolled: 5-line block ×4, first 2 shown]
	v_mov_b32_e32 v90, v0
	v_mov_b32_e32 v91, v1
	;; [unrolled: 1-line block ×3, first 2 shown]
	ds_write2_b64 v84, v[90:91], v[78:79] offset0:36 offset1:37
.LBB74_469:
	s_or_b64 exec, exec, s[0:1]
	v_cmp_lt_i32_e32 vcc, 27, v85
	s_waitcnt lgkmcnt(0)
	s_barrier
	s_and_saveexec_b64 s[0:1], vcc
	s_cbranch_execz .LBB74_471
; %bb.470:
	ds_read2_b64 v[90:93], v84 offset0:28 offset1:29
	ds_read2_b64 v[94:97], v84 offset0:30 offset1:31
	v_mul_f64 v[22:23], v[80:81], v[22:23]
	ds_read2_b64 v[98:101], v84 offset0:34 offset1:35
	s_waitcnt lgkmcnt(0)
	v_fma_f64 v[20:21], -v[22:23], v[90:91], v[20:21]
	v_fma_f64 v[16:17], -v[22:23], v[92:93], v[16:17]
	ds_read2_b64 v[90:93], v84 offset0:32 offset1:33
	v_fma_f64 v[18:19], -v[22:23], v[94:95], v[18:19]
	v_fma_f64 v[14:15], -v[22:23], v[96:97], v[14:15]
	ds_read2_b64 v[94:97], v84 offset0:36 offset1:37
	v_fma_f64 v[8:9], -v[22:23], v[98:99], v[8:9]
	s_waitcnt lgkmcnt(0)
	v_fma_f64 v[12:13], -v[22:23], v[90:91], v[12:13]
	v_fma_f64 v[10:11], -v[22:23], v[92:93], v[10:11]
	;; [unrolled: 1-line block ×5, first 2 shown]
.LBB74_471:
	s_or_b64 exec, exec, s[0:1]
	v_lshl_add_u32 v80, v85, 3, v84
	s_barrier
	ds_write_b64 v80, v[20:21]
	s_waitcnt lgkmcnt(0)
	s_barrier
	ds_read_b64 v[80:81], v84 offset:224
	s_cmp_lt_i32 s18, 30
	v_mov_b32_e32 v82, 28
	s_cbranch_scc1 .LBB74_474
; %bb.472:
	v_add_u32_e32 v89, 0xe8, v84
	s_mov_b32 s0, 29
	v_mov_b32_e32 v82, 28
.LBB74_473:                             ; =>This Inner Loop Header: Depth=1
	ds_read_b64 v[90:91], v89
	v_mov_b32_e32 v92, s0
	s_add_i32 s0, s0, 1
	v_add_u32_e32 v89, 8, v89
	s_cmp_lg_u32 s18, s0
	s_waitcnt lgkmcnt(0)
	v_cmp_lt_f64_e64 vcc, |v[80:81]|, |v[90:91]|
	v_cndmask_b32_e32 v81, v81, v91, vcc
	v_cndmask_b32_e32 v80, v80, v90, vcc
	;; [unrolled: 1-line block ×3, first 2 shown]
	s_cbranch_scc1 .LBB74_473
.LBB74_474:
	s_waitcnt lgkmcnt(0)
	v_cmp_eq_f64_e32 vcc, 0, v[80:81]
	s_and_saveexec_b64 s[0:1], vcc
	s_xor_b64 s[0:1], exec, s[0:1]
; %bb.475:
	v_cmp_ne_u32_e32 vcc, 0, v88
	v_cndmask_b32_e32 v88, 29, v88, vcc
; %bb.476:
	s_andn2_saveexec_b64 s[0:1], s[0:1]
; %bb.477:
	v_div_scale_f64 v[90:91], s[2:3], v[80:81], v[80:81], 1.0
	v_rcp_f64_e32 v[92:93], v[90:91]
	v_div_scale_f64 v[94:95], vcc, 1.0, v[80:81], 1.0
	v_fma_f64 v[96:97], -v[90:91], v[92:93], 1.0
	v_fmac_f64_e32 v[92:93], v[92:93], v[96:97]
	v_fma_f64 v[96:97], -v[90:91], v[92:93], 1.0
	v_fmac_f64_e32 v[92:93], v[92:93], v[96:97]
	v_mul_f64 v[96:97], v[94:95], v[92:93]
	v_fma_f64 v[90:91], -v[90:91], v[96:97], v[94:95]
	v_div_fmas_f64 v[90:91], v[90:91], v[92:93], v[96:97]
	v_div_fixup_f64 v[80:81], v[90:91], v[80:81], 1.0
; %bb.478:
	s_or_b64 exec, exec, s[0:1]
	v_cmp_ne_u32_e32 vcc, v85, v82
	s_and_saveexec_b64 s[0:1], vcc
	s_xor_b64 s[0:1], exec, s[0:1]
	s_cbranch_execz .LBB74_484
; %bb.479:
	v_cmp_eq_u32_e32 vcc, 28, v85
	s_and_saveexec_b64 s[2:3], vcc
	s_cbranch_execz .LBB74_483
; %bb.480:
	v_cmp_ne_u32_e32 vcc, 28, v82
	s_xor_b64 s[14:15], s[6:7], -1
	s_and_b64 s[16:17], s[14:15], vcc
	s_and_saveexec_b64 s[14:15], s[16:17]
	s_cbranch_execz .LBB74_482
; %bb.481:
	v_ashrrev_i32_e32 v83, 31, v82
	v_lshlrev_b64 v[90:91], 2, v[82:83]
	v_add_co_u32_e32 v90, vcc, v4, v90
	v_addc_co_u32_e32 v91, vcc, v5, v91, vcc
	flat_load_dword v83, v[90:91]
	flat_load_dword v85, v[4:5] offset:112
	s_waitcnt vmcnt(0) lgkmcnt(0)
	flat_store_dword v[4:5], v83 offset:112
	flat_store_dword v[90:91], v85
.LBB74_482:
	s_or_b64 exec, exec, s[14:15]
	v_mov_b32_e32 v83, v82
	v_mov_b32_e32 v85, v82
.LBB74_483:
	s_or_b64 exec, exec, s[2:3]
.LBB74_484:
	s_andn2_saveexec_b64 s[0:1], s[0:1]
	s_cbranch_execz .LBB74_486
; %bb.485:
	v_mov_b32_e32 v85, 28
	ds_write2_b64 v84, v[16:17], v[18:19] offset0:29 offset1:30
	ds_write2_b64 v84, v[14:15], v[12:13] offset0:31 offset1:32
	;; [unrolled: 1-line block ×4, first 2 shown]
	ds_write_b64 v84, v[78:79] offset:296
.LBB74_486:
	s_or_b64 exec, exec, s[0:1]
	v_cmp_lt_i32_e32 vcc, 28, v85
	s_waitcnt lgkmcnt(0)
	s_barrier
	s_and_saveexec_b64 s[0:1], vcc
	s_cbranch_execz .LBB74_488
; %bb.487:
	ds_read2_b64 v[90:93], v84 offset0:29 offset1:30
	ds_read2_b64 v[94:97], v84 offset0:31 offset1:32
	v_mul_f64 v[20:21], v[80:81], v[20:21]
	ds_read_b64 v[80:81], v84 offset:296
	ds_read2_b64 v[98:101], v84 offset0:35 offset1:36
	s_waitcnt lgkmcnt(0)
	v_fma_f64 v[16:17], -v[20:21], v[90:91], v[16:17]
	v_fma_f64 v[18:19], -v[20:21], v[92:93], v[18:19]
	ds_read2_b64 v[90:93], v84 offset0:33 offset1:34
	v_fma_f64 v[14:15], -v[20:21], v[94:95], v[14:15]
	v_fma_f64 v[12:13], -v[20:21], v[96:97], v[12:13]
	;; [unrolled: 1-line block ×4, first 2 shown]
	s_waitcnt lgkmcnt(0)
	v_fma_f64 v[10:11], -v[20:21], v[90:91], v[10:11]
	v_fma_f64 v[8:9], -v[20:21], v[92:93], v[8:9]
	v_fma_f64 v[78:79], -v[20:21], v[80:81], v[78:79]
.LBB74_488:
	s_or_b64 exec, exec, s[0:1]
	v_lshl_add_u32 v80, v85, 3, v84
	s_barrier
	ds_write_b64 v80, v[16:17]
	s_waitcnt lgkmcnt(0)
	s_barrier
	ds_read_b64 v[80:81], v84 offset:232
	s_cmp_lt_i32 s18, 31
	v_mov_b32_e32 v82, 29
	s_cbranch_scc1 .LBB74_491
; %bb.489:
	v_add_u32_e32 v89, 0xf0, v84
	s_mov_b32 s0, 30
	v_mov_b32_e32 v82, 29
.LBB74_490:                             ; =>This Inner Loop Header: Depth=1
	ds_read_b64 v[90:91], v89
	v_mov_b32_e32 v92, s0
	s_add_i32 s0, s0, 1
	v_add_u32_e32 v89, 8, v89
	s_cmp_lg_u32 s18, s0
	s_waitcnt lgkmcnt(0)
	v_cmp_lt_f64_e64 vcc, |v[80:81]|, |v[90:91]|
	v_cndmask_b32_e32 v81, v81, v91, vcc
	v_cndmask_b32_e32 v80, v80, v90, vcc
	v_cndmask_b32_e32 v82, v82, v92, vcc
	s_cbranch_scc1 .LBB74_490
.LBB74_491:
	s_waitcnt lgkmcnt(0)
	v_cmp_eq_f64_e32 vcc, 0, v[80:81]
	s_and_saveexec_b64 s[0:1], vcc
	s_xor_b64 s[0:1], exec, s[0:1]
; %bb.492:
	v_cmp_ne_u32_e32 vcc, 0, v88
	v_cndmask_b32_e32 v88, 30, v88, vcc
; %bb.493:
	s_andn2_saveexec_b64 s[0:1], s[0:1]
; %bb.494:
	v_div_scale_f64 v[90:91], s[2:3], v[80:81], v[80:81], 1.0
	v_rcp_f64_e32 v[92:93], v[90:91]
	v_div_scale_f64 v[94:95], vcc, 1.0, v[80:81], 1.0
	v_fma_f64 v[96:97], -v[90:91], v[92:93], 1.0
	v_fmac_f64_e32 v[92:93], v[92:93], v[96:97]
	v_fma_f64 v[96:97], -v[90:91], v[92:93], 1.0
	v_fmac_f64_e32 v[92:93], v[92:93], v[96:97]
	v_mul_f64 v[96:97], v[94:95], v[92:93]
	v_fma_f64 v[90:91], -v[90:91], v[96:97], v[94:95]
	v_div_fmas_f64 v[90:91], v[90:91], v[92:93], v[96:97]
	v_div_fixup_f64 v[80:81], v[90:91], v[80:81], 1.0
; %bb.495:
	s_or_b64 exec, exec, s[0:1]
	v_cmp_ne_u32_e32 vcc, v85, v82
	s_and_saveexec_b64 s[0:1], vcc
	s_xor_b64 s[0:1], exec, s[0:1]
	s_cbranch_execz .LBB74_501
; %bb.496:
	v_cmp_eq_u32_e32 vcc, 29, v85
	s_and_saveexec_b64 s[2:3], vcc
	s_cbranch_execz .LBB74_500
; %bb.497:
	v_cmp_ne_u32_e32 vcc, 29, v82
	s_xor_b64 s[14:15], s[6:7], -1
	s_and_b64 s[16:17], s[14:15], vcc
	s_and_saveexec_b64 s[14:15], s[16:17]
	s_cbranch_execz .LBB74_499
; %bb.498:
	v_ashrrev_i32_e32 v83, 31, v82
	v_lshlrev_b64 v[90:91], 2, v[82:83]
	v_add_co_u32_e32 v90, vcc, v4, v90
	v_addc_co_u32_e32 v91, vcc, v5, v91, vcc
	flat_load_dword v83, v[90:91]
	flat_load_dword v85, v[4:5] offset:116
	s_waitcnt vmcnt(0) lgkmcnt(0)
	flat_store_dword v[4:5], v83 offset:116
	flat_store_dword v[90:91], v85
.LBB74_499:
	s_or_b64 exec, exec, s[14:15]
	v_mov_b32_e32 v83, v82
	v_mov_b32_e32 v85, v82
.LBB74_500:
	s_or_b64 exec, exec, s[2:3]
.LBB74_501:
	s_andn2_saveexec_b64 s[0:1], s[0:1]
	s_cbranch_execz .LBB74_503
; %bb.502:
	v_mov_b32_e32 v90, v18
	v_mov_b32_e32 v91, v19
	v_mov_b32_e32 v92, v14
	v_mov_b32_e32 v93, v15
	ds_write2_b64 v84, v[90:91], v[92:93] offset0:30 offset1:31
	v_mov_b32_e32 v90, v12
	v_mov_b32_e32 v91, v13
	v_mov_b32_e32 v92, v10
	v_mov_b32_e32 v93, v11
	ds_write2_b64 v84, v[90:91], v[92:93] offset0:32 offset1:33
	;; [unrolled: 5-line block ×3, first 2 shown]
	v_mov_b32_e32 v90, v0
	v_mov_b32_e32 v91, v1
	;; [unrolled: 1-line block ×3, first 2 shown]
	ds_write2_b64 v84, v[90:91], v[78:79] offset0:36 offset1:37
.LBB74_503:
	s_or_b64 exec, exec, s[0:1]
	v_cmp_lt_i32_e32 vcc, 29, v85
	s_waitcnt lgkmcnt(0)
	s_barrier
	s_and_saveexec_b64 s[0:1], vcc
	s_cbranch_execz .LBB74_505
; %bb.504:
	ds_read2_b64 v[90:93], v84 offset0:30 offset1:31
	ds_read2_b64 v[94:97], v84 offset0:32 offset1:33
	v_mul_f64 v[16:17], v[80:81], v[16:17]
	ds_read2_b64 v[98:101], v84 offset0:34 offset1:35
	s_waitcnt lgkmcnt(0)
	v_fma_f64 v[18:19], -v[16:17], v[90:91], v[18:19]
	v_fma_f64 v[14:15], -v[16:17], v[92:93], v[14:15]
	ds_read2_b64 v[90:93], v84 offset0:36 offset1:37
	v_fma_f64 v[12:13], -v[16:17], v[94:95], v[12:13]
	v_fma_f64 v[10:11], -v[16:17], v[96:97], v[10:11]
	;; [unrolled: 1-line block ×4, first 2 shown]
	s_waitcnt lgkmcnt(0)
	v_fma_f64 v[0:1], -v[16:17], v[90:91], v[0:1]
	v_fma_f64 v[78:79], -v[16:17], v[92:93], v[78:79]
.LBB74_505:
	s_or_b64 exec, exec, s[0:1]
	v_lshl_add_u32 v80, v85, 3, v84
	s_barrier
	ds_write_b64 v80, v[18:19]
	s_waitcnt lgkmcnt(0)
	s_barrier
	ds_read_b64 v[80:81], v84 offset:240
	s_cmp_lt_i32 s18, 32
	v_mov_b32_e32 v82, 30
	s_cbranch_scc1 .LBB74_508
; %bb.506:
	v_add_u32_e32 v89, 0xf8, v84
	s_mov_b32 s0, 31
	v_mov_b32_e32 v82, 30
.LBB74_507:                             ; =>This Inner Loop Header: Depth=1
	ds_read_b64 v[90:91], v89
	v_mov_b32_e32 v92, s0
	s_add_i32 s0, s0, 1
	v_add_u32_e32 v89, 8, v89
	s_cmp_lg_u32 s18, s0
	s_waitcnt lgkmcnt(0)
	v_cmp_lt_f64_e64 vcc, |v[80:81]|, |v[90:91]|
	v_cndmask_b32_e32 v81, v81, v91, vcc
	v_cndmask_b32_e32 v80, v80, v90, vcc
	;; [unrolled: 1-line block ×3, first 2 shown]
	s_cbranch_scc1 .LBB74_507
.LBB74_508:
	s_waitcnt lgkmcnt(0)
	v_cmp_eq_f64_e32 vcc, 0, v[80:81]
	s_and_saveexec_b64 s[0:1], vcc
	s_xor_b64 s[0:1], exec, s[0:1]
; %bb.509:
	v_cmp_ne_u32_e32 vcc, 0, v88
	v_cndmask_b32_e32 v88, 31, v88, vcc
; %bb.510:
	s_andn2_saveexec_b64 s[0:1], s[0:1]
; %bb.511:
	v_div_scale_f64 v[90:91], s[2:3], v[80:81], v[80:81], 1.0
	v_rcp_f64_e32 v[92:93], v[90:91]
	v_div_scale_f64 v[94:95], vcc, 1.0, v[80:81], 1.0
	v_fma_f64 v[96:97], -v[90:91], v[92:93], 1.0
	v_fmac_f64_e32 v[92:93], v[92:93], v[96:97]
	v_fma_f64 v[96:97], -v[90:91], v[92:93], 1.0
	v_fmac_f64_e32 v[92:93], v[92:93], v[96:97]
	v_mul_f64 v[96:97], v[94:95], v[92:93]
	v_fma_f64 v[90:91], -v[90:91], v[96:97], v[94:95]
	v_div_fmas_f64 v[90:91], v[90:91], v[92:93], v[96:97]
	v_div_fixup_f64 v[80:81], v[90:91], v[80:81], 1.0
; %bb.512:
	s_or_b64 exec, exec, s[0:1]
	v_cmp_ne_u32_e32 vcc, v85, v82
	s_and_saveexec_b64 s[0:1], vcc
	s_xor_b64 s[0:1], exec, s[0:1]
	s_cbranch_execz .LBB74_518
; %bb.513:
	v_cmp_eq_u32_e32 vcc, 30, v85
	s_and_saveexec_b64 s[2:3], vcc
	s_cbranch_execz .LBB74_517
; %bb.514:
	v_cmp_ne_u32_e32 vcc, 30, v82
	s_xor_b64 s[14:15], s[6:7], -1
	s_and_b64 s[16:17], s[14:15], vcc
	s_and_saveexec_b64 s[14:15], s[16:17]
	s_cbranch_execz .LBB74_516
; %bb.515:
	v_ashrrev_i32_e32 v83, 31, v82
	v_lshlrev_b64 v[90:91], 2, v[82:83]
	v_add_co_u32_e32 v90, vcc, v4, v90
	v_addc_co_u32_e32 v91, vcc, v5, v91, vcc
	flat_load_dword v83, v[90:91]
	flat_load_dword v85, v[4:5] offset:120
	s_waitcnt vmcnt(0) lgkmcnt(0)
	flat_store_dword v[4:5], v83 offset:120
	flat_store_dword v[90:91], v85
.LBB74_516:
	s_or_b64 exec, exec, s[14:15]
	v_mov_b32_e32 v83, v82
	v_mov_b32_e32 v85, v82
.LBB74_517:
	s_or_b64 exec, exec, s[2:3]
.LBB74_518:
	s_andn2_saveexec_b64 s[0:1], s[0:1]
	s_cbranch_execz .LBB74_520
; %bb.519:
	v_mov_b32_e32 v85, 30
	ds_write2_b64 v84, v[14:15], v[12:13] offset0:31 offset1:32
	ds_write2_b64 v84, v[10:11], v[8:9] offset0:33 offset1:34
	;; [unrolled: 1-line block ×3, first 2 shown]
	ds_write_b64 v84, v[78:79] offset:296
.LBB74_520:
	s_or_b64 exec, exec, s[0:1]
	v_cmp_lt_i32_e32 vcc, 30, v85
	s_waitcnt lgkmcnt(0)
	s_barrier
	s_and_saveexec_b64 s[0:1], vcc
	s_cbranch_execz .LBB74_522
; %bb.521:
	ds_read2_b64 v[90:93], v84 offset0:31 offset1:32
	ds_read2_b64 v[94:97], v84 offset0:33 offset1:34
	v_mul_f64 v[18:19], v[80:81], v[18:19]
	ds_read2_b64 v[98:101], v84 offset0:35 offset1:36
	ds_read_b64 v[80:81], v84 offset:296
	s_waitcnt lgkmcnt(0)
	v_fma_f64 v[14:15], -v[18:19], v[90:91], v[14:15]
	v_fma_f64 v[12:13], -v[18:19], v[92:93], v[12:13]
	;; [unrolled: 1-line block ×7, first 2 shown]
.LBB74_522:
	s_or_b64 exec, exec, s[0:1]
	v_lshl_add_u32 v80, v85, 3, v84
	s_barrier
	ds_write_b64 v80, v[14:15]
	s_waitcnt lgkmcnt(0)
	s_barrier
	ds_read_b64 v[80:81], v84 offset:248
	s_cmp_lt_i32 s18, 33
	v_mov_b32_e32 v82, 31
	s_cbranch_scc1 .LBB74_525
; %bb.523:
	v_add_u32_e32 v89, 0x100, v84
	s_mov_b32 s0, 32
	v_mov_b32_e32 v82, 31
.LBB74_524:                             ; =>This Inner Loop Header: Depth=1
	ds_read_b64 v[90:91], v89
	v_mov_b32_e32 v92, s0
	s_add_i32 s0, s0, 1
	v_add_u32_e32 v89, 8, v89
	s_cmp_lg_u32 s18, s0
	s_waitcnt lgkmcnt(0)
	v_cmp_lt_f64_e64 vcc, |v[80:81]|, |v[90:91]|
	v_cndmask_b32_e32 v81, v81, v91, vcc
	v_cndmask_b32_e32 v80, v80, v90, vcc
	;; [unrolled: 1-line block ×3, first 2 shown]
	s_cbranch_scc1 .LBB74_524
.LBB74_525:
	s_waitcnt lgkmcnt(0)
	v_cmp_eq_f64_e32 vcc, 0, v[80:81]
	s_and_saveexec_b64 s[0:1], vcc
	s_xor_b64 s[0:1], exec, s[0:1]
; %bb.526:
	v_cmp_ne_u32_e32 vcc, 0, v88
	v_cndmask_b32_e32 v88, 32, v88, vcc
; %bb.527:
	s_andn2_saveexec_b64 s[0:1], s[0:1]
; %bb.528:
	v_div_scale_f64 v[90:91], s[2:3], v[80:81], v[80:81], 1.0
	v_rcp_f64_e32 v[92:93], v[90:91]
	v_div_scale_f64 v[94:95], vcc, 1.0, v[80:81], 1.0
	v_fma_f64 v[96:97], -v[90:91], v[92:93], 1.0
	v_fmac_f64_e32 v[92:93], v[92:93], v[96:97]
	v_fma_f64 v[96:97], -v[90:91], v[92:93], 1.0
	v_fmac_f64_e32 v[92:93], v[92:93], v[96:97]
	v_mul_f64 v[96:97], v[94:95], v[92:93]
	v_fma_f64 v[90:91], -v[90:91], v[96:97], v[94:95]
	v_div_fmas_f64 v[90:91], v[90:91], v[92:93], v[96:97]
	v_div_fixup_f64 v[80:81], v[90:91], v[80:81], 1.0
; %bb.529:
	s_or_b64 exec, exec, s[0:1]
	v_cmp_ne_u32_e32 vcc, v85, v82
	s_and_saveexec_b64 s[0:1], vcc
	s_xor_b64 s[0:1], exec, s[0:1]
	s_cbranch_execz .LBB74_535
; %bb.530:
	v_cmp_eq_u32_e32 vcc, 31, v85
	s_and_saveexec_b64 s[2:3], vcc
	s_cbranch_execz .LBB74_534
; %bb.531:
	v_cmp_ne_u32_e32 vcc, 31, v82
	s_xor_b64 s[14:15], s[6:7], -1
	s_and_b64 s[16:17], s[14:15], vcc
	s_and_saveexec_b64 s[14:15], s[16:17]
	s_cbranch_execz .LBB74_533
; %bb.532:
	v_ashrrev_i32_e32 v83, 31, v82
	v_lshlrev_b64 v[90:91], 2, v[82:83]
	v_add_co_u32_e32 v90, vcc, v4, v90
	v_addc_co_u32_e32 v91, vcc, v5, v91, vcc
	flat_load_dword v83, v[90:91]
	flat_load_dword v85, v[4:5] offset:124
	s_waitcnt vmcnt(0) lgkmcnt(0)
	flat_store_dword v[4:5], v83 offset:124
	flat_store_dword v[90:91], v85
.LBB74_533:
	s_or_b64 exec, exec, s[14:15]
	v_mov_b32_e32 v83, v82
	v_mov_b32_e32 v85, v82
.LBB74_534:
	s_or_b64 exec, exec, s[2:3]
.LBB74_535:
	s_andn2_saveexec_b64 s[0:1], s[0:1]
	s_cbranch_execz .LBB74_537
; %bb.536:
	v_mov_b32_e32 v90, v12
	v_mov_b32_e32 v91, v13
	;; [unrolled: 1-line block ×4, first 2 shown]
	ds_write2_b64 v84, v[90:91], v[92:93] offset0:32 offset1:33
	v_mov_b32_e32 v90, v8
	v_mov_b32_e32 v91, v9
	;; [unrolled: 1-line block ×4, first 2 shown]
	ds_write2_b64 v84, v[90:91], v[92:93] offset0:34 offset1:35
	v_mov_b32_e32 v90, v0
	v_mov_b32_e32 v91, v1
	;; [unrolled: 1-line block ×3, first 2 shown]
	ds_write2_b64 v84, v[90:91], v[78:79] offset0:36 offset1:37
.LBB74_537:
	s_or_b64 exec, exec, s[0:1]
	v_cmp_lt_i32_e32 vcc, 31, v85
	s_waitcnt lgkmcnt(0)
	s_barrier
	s_and_saveexec_b64 s[0:1], vcc
	s_cbranch_execz .LBB74_539
; %bb.538:
	ds_read2_b64 v[90:93], v84 offset0:32 offset1:33
	ds_read2_b64 v[94:97], v84 offset0:34 offset1:35
	;; [unrolled: 1-line block ×3, first 2 shown]
	v_mul_f64 v[14:15], v[80:81], v[14:15]
	s_waitcnt lgkmcnt(0)
	v_fma_f64 v[12:13], -v[14:15], v[90:91], v[12:13]
	v_fma_f64 v[10:11], -v[14:15], v[92:93], v[10:11]
	;; [unrolled: 1-line block ×6, first 2 shown]
.LBB74_539:
	s_or_b64 exec, exec, s[0:1]
	v_lshl_add_u32 v80, v85, 3, v84
	s_barrier
	ds_write_b64 v80, v[12:13]
	s_waitcnt lgkmcnt(0)
	s_barrier
	ds_read_b64 v[80:81], v84 offset:256
	s_cmp_lt_i32 s18, 34
	v_mov_b32_e32 v82, 32
	s_cbranch_scc1 .LBB74_542
; %bb.540:
	v_add_u32_e32 v89, 0x108, v84
	s_mov_b32 s0, 33
	v_mov_b32_e32 v82, 32
.LBB74_541:                             ; =>This Inner Loop Header: Depth=1
	ds_read_b64 v[90:91], v89
	v_mov_b32_e32 v92, s0
	s_add_i32 s0, s0, 1
	v_add_u32_e32 v89, 8, v89
	s_cmp_lg_u32 s18, s0
	s_waitcnt lgkmcnt(0)
	v_cmp_lt_f64_e64 vcc, |v[80:81]|, |v[90:91]|
	v_cndmask_b32_e32 v81, v81, v91, vcc
	v_cndmask_b32_e32 v80, v80, v90, vcc
	;; [unrolled: 1-line block ×3, first 2 shown]
	s_cbranch_scc1 .LBB74_541
.LBB74_542:
	s_waitcnt lgkmcnt(0)
	v_cmp_eq_f64_e32 vcc, 0, v[80:81]
	s_and_saveexec_b64 s[0:1], vcc
	s_xor_b64 s[0:1], exec, s[0:1]
; %bb.543:
	v_cmp_ne_u32_e32 vcc, 0, v88
	v_cndmask_b32_e32 v88, 33, v88, vcc
; %bb.544:
	s_andn2_saveexec_b64 s[0:1], s[0:1]
; %bb.545:
	v_div_scale_f64 v[90:91], s[2:3], v[80:81], v[80:81], 1.0
	v_rcp_f64_e32 v[92:93], v[90:91]
	v_div_scale_f64 v[94:95], vcc, 1.0, v[80:81], 1.0
	v_fma_f64 v[96:97], -v[90:91], v[92:93], 1.0
	v_fmac_f64_e32 v[92:93], v[92:93], v[96:97]
	v_fma_f64 v[96:97], -v[90:91], v[92:93], 1.0
	v_fmac_f64_e32 v[92:93], v[92:93], v[96:97]
	v_mul_f64 v[96:97], v[94:95], v[92:93]
	v_fma_f64 v[90:91], -v[90:91], v[96:97], v[94:95]
	v_div_fmas_f64 v[90:91], v[90:91], v[92:93], v[96:97]
	v_div_fixup_f64 v[80:81], v[90:91], v[80:81], 1.0
; %bb.546:
	s_or_b64 exec, exec, s[0:1]
	v_cmp_ne_u32_e32 vcc, v85, v82
	s_and_saveexec_b64 s[0:1], vcc
	s_xor_b64 s[0:1], exec, s[0:1]
	s_cbranch_execz .LBB74_552
; %bb.547:
	v_cmp_eq_u32_e32 vcc, 32, v85
	s_and_saveexec_b64 s[2:3], vcc
	s_cbranch_execz .LBB74_551
; %bb.548:
	v_cmp_ne_u32_e32 vcc, 32, v82
	s_xor_b64 s[14:15], s[6:7], -1
	s_and_b64 s[16:17], s[14:15], vcc
	s_and_saveexec_b64 s[14:15], s[16:17]
	s_cbranch_execz .LBB74_550
; %bb.549:
	v_ashrrev_i32_e32 v83, 31, v82
	v_lshlrev_b64 v[90:91], 2, v[82:83]
	v_add_co_u32_e32 v90, vcc, v4, v90
	v_addc_co_u32_e32 v91, vcc, v5, v91, vcc
	flat_load_dword v83, v[90:91]
	flat_load_dword v85, v[4:5] offset:128
	s_waitcnt vmcnt(0) lgkmcnt(0)
	flat_store_dword v[4:5], v83 offset:128
	flat_store_dword v[90:91], v85
.LBB74_550:
	s_or_b64 exec, exec, s[14:15]
	v_mov_b32_e32 v83, v82
	v_mov_b32_e32 v85, v82
.LBB74_551:
	s_or_b64 exec, exec, s[2:3]
.LBB74_552:
	s_andn2_saveexec_b64 s[0:1], s[0:1]
	s_cbranch_execz .LBB74_554
; %bb.553:
	v_mov_b32_e32 v85, 32
	ds_write2_b64 v84, v[10:11], v[8:9] offset0:33 offset1:34
	ds_write2_b64 v84, v[6:7], v[0:1] offset0:35 offset1:36
	ds_write_b64 v84, v[78:79] offset:296
.LBB74_554:
	s_or_b64 exec, exec, s[0:1]
	v_cmp_lt_i32_e32 vcc, 32, v85
	s_waitcnt lgkmcnt(0)
	s_barrier
	s_and_saveexec_b64 s[0:1], vcc
	s_cbranch_execz .LBB74_556
; %bb.555:
	ds_read2_b64 v[90:93], v84 offset0:33 offset1:34
	ds_read2_b64 v[94:97], v84 offset0:35 offset1:36
	v_mul_f64 v[12:13], v[80:81], v[12:13]
	ds_read_b64 v[80:81], v84 offset:296
	s_waitcnt lgkmcnt(0)
	v_fma_f64 v[10:11], -v[12:13], v[90:91], v[10:11]
	v_fma_f64 v[8:9], -v[12:13], v[92:93], v[8:9]
	;; [unrolled: 1-line block ×5, first 2 shown]
.LBB74_556:
	s_or_b64 exec, exec, s[0:1]
	v_lshl_add_u32 v80, v85, 3, v84
	s_barrier
	ds_write_b64 v80, v[10:11]
	s_waitcnt lgkmcnt(0)
	s_barrier
	ds_read_b64 v[80:81], v84 offset:264
	s_cmp_lt_i32 s18, 35
	v_mov_b32_e32 v82, 33
	s_cbranch_scc1 .LBB74_559
; %bb.557:
	v_add_u32_e32 v89, 0x110, v84
	s_mov_b32 s0, 34
	v_mov_b32_e32 v82, 33
.LBB74_558:                             ; =>This Inner Loop Header: Depth=1
	ds_read_b64 v[90:91], v89
	v_mov_b32_e32 v92, s0
	s_add_i32 s0, s0, 1
	v_add_u32_e32 v89, 8, v89
	s_cmp_lg_u32 s18, s0
	s_waitcnt lgkmcnt(0)
	v_cmp_lt_f64_e64 vcc, |v[80:81]|, |v[90:91]|
	v_cndmask_b32_e32 v81, v81, v91, vcc
	v_cndmask_b32_e32 v80, v80, v90, vcc
	;; [unrolled: 1-line block ×3, first 2 shown]
	s_cbranch_scc1 .LBB74_558
.LBB74_559:
	s_waitcnt lgkmcnt(0)
	v_cmp_eq_f64_e32 vcc, 0, v[80:81]
	s_and_saveexec_b64 s[0:1], vcc
	s_xor_b64 s[0:1], exec, s[0:1]
; %bb.560:
	v_cmp_ne_u32_e32 vcc, 0, v88
	v_cndmask_b32_e32 v88, 34, v88, vcc
; %bb.561:
	s_andn2_saveexec_b64 s[0:1], s[0:1]
; %bb.562:
	v_div_scale_f64 v[90:91], s[2:3], v[80:81], v[80:81], 1.0
	v_rcp_f64_e32 v[92:93], v[90:91]
	v_div_scale_f64 v[94:95], vcc, 1.0, v[80:81], 1.0
	v_fma_f64 v[96:97], -v[90:91], v[92:93], 1.0
	v_fmac_f64_e32 v[92:93], v[92:93], v[96:97]
	v_fma_f64 v[96:97], -v[90:91], v[92:93], 1.0
	v_fmac_f64_e32 v[92:93], v[92:93], v[96:97]
	v_mul_f64 v[96:97], v[94:95], v[92:93]
	v_fma_f64 v[90:91], -v[90:91], v[96:97], v[94:95]
	v_div_fmas_f64 v[90:91], v[90:91], v[92:93], v[96:97]
	v_div_fixup_f64 v[80:81], v[90:91], v[80:81], 1.0
; %bb.563:
	s_or_b64 exec, exec, s[0:1]
	v_cmp_ne_u32_e32 vcc, v85, v82
	s_and_saveexec_b64 s[0:1], vcc
	s_xor_b64 s[0:1], exec, s[0:1]
	s_cbranch_execz .LBB74_569
; %bb.564:
	v_cmp_eq_u32_e32 vcc, 33, v85
	s_and_saveexec_b64 s[2:3], vcc
	s_cbranch_execz .LBB74_568
; %bb.565:
	v_cmp_ne_u32_e32 vcc, 33, v82
	s_xor_b64 s[14:15], s[6:7], -1
	s_and_b64 s[16:17], s[14:15], vcc
	s_and_saveexec_b64 s[14:15], s[16:17]
	s_cbranch_execz .LBB74_567
; %bb.566:
	v_ashrrev_i32_e32 v83, 31, v82
	v_lshlrev_b64 v[90:91], 2, v[82:83]
	v_add_co_u32_e32 v90, vcc, v4, v90
	v_addc_co_u32_e32 v91, vcc, v5, v91, vcc
	flat_load_dword v83, v[90:91]
	flat_load_dword v85, v[4:5] offset:132
	s_waitcnt vmcnt(0) lgkmcnt(0)
	flat_store_dword v[4:5], v83 offset:132
	flat_store_dword v[90:91], v85
.LBB74_567:
	s_or_b64 exec, exec, s[14:15]
	v_mov_b32_e32 v83, v82
	v_mov_b32_e32 v85, v82
.LBB74_568:
	s_or_b64 exec, exec, s[2:3]
.LBB74_569:
	s_andn2_saveexec_b64 s[0:1], s[0:1]
	s_cbranch_execz .LBB74_571
; %bb.570:
	v_mov_b32_e32 v90, v8
	v_mov_b32_e32 v91, v9
	;; [unrolled: 1-line block ×4, first 2 shown]
	ds_write2_b64 v84, v[90:91], v[92:93] offset0:34 offset1:35
	v_mov_b32_e32 v90, v0
	v_mov_b32_e32 v91, v1
	;; [unrolled: 1-line block ×3, first 2 shown]
	ds_write2_b64 v84, v[90:91], v[78:79] offset0:36 offset1:37
.LBB74_571:
	s_or_b64 exec, exec, s[0:1]
	v_cmp_lt_i32_e32 vcc, 33, v85
	s_waitcnt lgkmcnt(0)
	s_barrier
	s_and_saveexec_b64 s[0:1], vcc
	s_cbranch_execz .LBB74_573
; %bb.572:
	ds_read2_b64 v[90:93], v84 offset0:34 offset1:35
	ds_read2_b64 v[94:97], v84 offset0:36 offset1:37
	v_mul_f64 v[10:11], v[80:81], v[10:11]
	s_waitcnt lgkmcnt(0)
	v_fma_f64 v[8:9], -v[10:11], v[90:91], v[8:9]
	v_fma_f64 v[6:7], -v[10:11], v[92:93], v[6:7]
	;; [unrolled: 1-line block ×4, first 2 shown]
.LBB74_573:
	s_or_b64 exec, exec, s[0:1]
	v_lshl_add_u32 v80, v85, 3, v84
	s_barrier
	ds_write_b64 v80, v[8:9]
	s_waitcnt lgkmcnt(0)
	s_barrier
	ds_read_b64 v[80:81], v84 offset:272
	s_cmp_lt_i32 s18, 36
	v_mov_b32_e32 v82, 34
	s_cbranch_scc1 .LBB74_576
; %bb.574:
	v_add_u32_e32 v89, 0x118, v84
	s_mov_b32 s0, 35
	v_mov_b32_e32 v82, 34
.LBB74_575:                             ; =>This Inner Loop Header: Depth=1
	ds_read_b64 v[90:91], v89
	v_mov_b32_e32 v92, s0
	s_add_i32 s0, s0, 1
	v_add_u32_e32 v89, 8, v89
	s_cmp_lg_u32 s18, s0
	s_waitcnt lgkmcnt(0)
	v_cmp_lt_f64_e64 vcc, |v[80:81]|, |v[90:91]|
	v_cndmask_b32_e32 v81, v81, v91, vcc
	v_cndmask_b32_e32 v80, v80, v90, vcc
	;; [unrolled: 1-line block ×3, first 2 shown]
	s_cbranch_scc1 .LBB74_575
.LBB74_576:
	s_waitcnt lgkmcnt(0)
	v_cmp_eq_f64_e32 vcc, 0, v[80:81]
	s_and_saveexec_b64 s[0:1], vcc
	s_xor_b64 s[0:1], exec, s[0:1]
; %bb.577:
	v_cmp_ne_u32_e32 vcc, 0, v88
	v_cndmask_b32_e32 v88, 35, v88, vcc
; %bb.578:
	s_andn2_saveexec_b64 s[0:1], s[0:1]
; %bb.579:
	v_div_scale_f64 v[90:91], s[2:3], v[80:81], v[80:81], 1.0
	v_rcp_f64_e32 v[92:93], v[90:91]
	v_div_scale_f64 v[94:95], vcc, 1.0, v[80:81], 1.0
	v_fma_f64 v[96:97], -v[90:91], v[92:93], 1.0
	v_fmac_f64_e32 v[92:93], v[92:93], v[96:97]
	v_fma_f64 v[96:97], -v[90:91], v[92:93], 1.0
	v_fmac_f64_e32 v[92:93], v[92:93], v[96:97]
	v_mul_f64 v[96:97], v[94:95], v[92:93]
	v_fma_f64 v[90:91], -v[90:91], v[96:97], v[94:95]
	v_div_fmas_f64 v[90:91], v[90:91], v[92:93], v[96:97]
	v_div_fixup_f64 v[80:81], v[90:91], v[80:81], 1.0
; %bb.580:
	s_or_b64 exec, exec, s[0:1]
	v_cmp_ne_u32_e32 vcc, v85, v82
	s_and_saveexec_b64 s[0:1], vcc
	s_xor_b64 s[0:1], exec, s[0:1]
	s_cbranch_execz .LBB74_586
; %bb.581:
	v_cmp_eq_u32_e32 vcc, 34, v85
	s_and_saveexec_b64 s[2:3], vcc
	s_cbranch_execz .LBB74_585
; %bb.582:
	v_cmp_ne_u32_e32 vcc, 34, v82
	s_xor_b64 s[14:15], s[6:7], -1
	s_and_b64 s[16:17], s[14:15], vcc
	s_and_saveexec_b64 s[14:15], s[16:17]
	s_cbranch_execz .LBB74_584
; %bb.583:
	v_ashrrev_i32_e32 v83, 31, v82
	v_lshlrev_b64 v[90:91], 2, v[82:83]
	v_add_co_u32_e32 v90, vcc, v4, v90
	v_addc_co_u32_e32 v91, vcc, v5, v91, vcc
	flat_load_dword v83, v[90:91]
	flat_load_dword v85, v[4:5] offset:136
	s_waitcnt vmcnt(0) lgkmcnt(0)
	flat_store_dword v[4:5], v83 offset:136
	flat_store_dword v[90:91], v85
.LBB74_584:
	s_or_b64 exec, exec, s[14:15]
	v_mov_b32_e32 v83, v82
	v_mov_b32_e32 v85, v82
.LBB74_585:
	s_or_b64 exec, exec, s[2:3]
.LBB74_586:
	s_andn2_saveexec_b64 s[0:1], s[0:1]
	s_cbranch_execz .LBB74_588
; %bb.587:
	v_mov_b32_e32 v85, 34
	ds_write2_b64 v84, v[6:7], v[0:1] offset0:35 offset1:36
	ds_write_b64 v84, v[78:79] offset:296
.LBB74_588:
	s_or_b64 exec, exec, s[0:1]
	v_cmp_lt_i32_e32 vcc, 34, v85
	s_waitcnt lgkmcnt(0)
	s_barrier
	s_and_saveexec_b64 s[0:1], vcc
	s_cbranch_execz .LBB74_590
; %bb.589:
	ds_read2_b64 v[90:93], v84 offset0:35 offset1:36
	ds_read_b64 v[94:95], v84 offset:296
	v_mul_f64 v[8:9], v[80:81], v[8:9]
	s_waitcnt lgkmcnt(0)
	v_fma_f64 v[6:7], -v[8:9], v[90:91], v[6:7]
	v_fma_f64 v[0:1], -v[8:9], v[92:93], v[0:1]
	;; [unrolled: 1-line block ×3, first 2 shown]
.LBB74_590:
	s_or_b64 exec, exec, s[0:1]
	v_lshl_add_u32 v80, v85, 3, v84
	s_barrier
	ds_write_b64 v80, v[6:7]
	s_waitcnt lgkmcnt(0)
	s_barrier
	ds_read_b64 v[80:81], v84 offset:280
	s_cmp_lt_i32 s18, 37
	v_mov_b32_e32 v82, 35
	s_cbranch_scc1 .LBB74_593
; %bb.591:
	v_add_u32_e32 v89, 0x120, v84
	s_mov_b32 s0, 36
	v_mov_b32_e32 v82, 35
.LBB74_592:                             ; =>This Inner Loop Header: Depth=1
	ds_read_b64 v[90:91], v89
	v_mov_b32_e32 v92, s0
	s_add_i32 s0, s0, 1
	v_add_u32_e32 v89, 8, v89
	s_cmp_lg_u32 s18, s0
	s_waitcnt lgkmcnt(0)
	v_cmp_lt_f64_e64 vcc, |v[80:81]|, |v[90:91]|
	v_cndmask_b32_e32 v81, v81, v91, vcc
	v_cndmask_b32_e32 v80, v80, v90, vcc
	;; [unrolled: 1-line block ×3, first 2 shown]
	s_cbranch_scc1 .LBB74_592
.LBB74_593:
	s_waitcnt lgkmcnt(0)
	v_cmp_eq_f64_e32 vcc, 0, v[80:81]
	s_and_saveexec_b64 s[0:1], vcc
	s_xor_b64 s[0:1], exec, s[0:1]
; %bb.594:
	v_cmp_ne_u32_e32 vcc, 0, v88
	v_cndmask_b32_e32 v88, 36, v88, vcc
; %bb.595:
	s_andn2_saveexec_b64 s[0:1], s[0:1]
; %bb.596:
	v_div_scale_f64 v[90:91], s[2:3], v[80:81], v[80:81], 1.0
	v_rcp_f64_e32 v[92:93], v[90:91]
	v_div_scale_f64 v[94:95], vcc, 1.0, v[80:81], 1.0
	v_fma_f64 v[96:97], -v[90:91], v[92:93], 1.0
	v_fmac_f64_e32 v[92:93], v[92:93], v[96:97]
	v_fma_f64 v[96:97], -v[90:91], v[92:93], 1.0
	v_fmac_f64_e32 v[92:93], v[92:93], v[96:97]
	v_mul_f64 v[96:97], v[94:95], v[92:93]
	v_fma_f64 v[90:91], -v[90:91], v[96:97], v[94:95]
	v_div_fmas_f64 v[90:91], v[90:91], v[92:93], v[96:97]
	v_div_fixup_f64 v[80:81], v[90:91], v[80:81], 1.0
; %bb.597:
	s_or_b64 exec, exec, s[0:1]
	v_cmp_ne_u32_e32 vcc, v85, v82
	s_and_saveexec_b64 s[0:1], vcc
	s_xor_b64 s[0:1], exec, s[0:1]
	s_cbranch_execz .LBB74_603
; %bb.598:
	v_cmp_eq_u32_e32 vcc, 35, v85
	s_and_saveexec_b64 s[2:3], vcc
	s_cbranch_execz .LBB74_602
; %bb.599:
	v_cmp_ne_u32_e32 vcc, 35, v82
	s_xor_b64 s[14:15], s[6:7], -1
	s_and_b64 s[16:17], s[14:15], vcc
	s_and_saveexec_b64 s[14:15], s[16:17]
	s_cbranch_execz .LBB74_601
; %bb.600:
	v_ashrrev_i32_e32 v83, 31, v82
	v_lshlrev_b64 v[90:91], 2, v[82:83]
	v_add_co_u32_e32 v90, vcc, v4, v90
	v_addc_co_u32_e32 v91, vcc, v5, v91, vcc
	flat_load_dword v83, v[90:91]
	flat_load_dword v85, v[4:5] offset:140
	s_waitcnt vmcnt(0) lgkmcnt(0)
	flat_store_dword v[4:5], v83 offset:140
	flat_store_dword v[90:91], v85
.LBB74_601:
	s_or_b64 exec, exec, s[14:15]
	v_mov_b32_e32 v83, v82
	v_mov_b32_e32 v85, v82
.LBB74_602:
	s_or_b64 exec, exec, s[2:3]
.LBB74_603:
	s_andn2_saveexec_b64 s[0:1], s[0:1]
	s_cbranch_execz .LBB74_605
; %bb.604:
	v_mov_b32_e32 v90, v0
	v_mov_b32_e32 v91, v1
	;; [unrolled: 1-line block ×3, first 2 shown]
	ds_write2_b64 v84, v[90:91], v[78:79] offset0:36 offset1:37
.LBB74_605:
	s_or_b64 exec, exec, s[0:1]
	v_cmp_lt_i32_e32 vcc, 35, v85
	s_waitcnt lgkmcnt(0)
	s_barrier
	s_and_saveexec_b64 s[0:1], vcc
	s_cbranch_execz .LBB74_607
; %bb.606:
	ds_read2_b64 v[90:93], v84 offset0:36 offset1:37
	v_mul_f64 v[6:7], v[80:81], v[6:7]
	s_waitcnt lgkmcnt(0)
	v_fma_f64 v[0:1], -v[6:7], v[90:91], v[0:1]
	v_fma_f64 v[78:79], -v[6:7], v[92:93], v[78:79]
.LBB74_607:
	s_or_b64 exec, exec, s[0:1]
	v_lshl_add_u32 v80, v85, 3, v84
	s_barrier
	ds_write_b64 v80, v[0:1]
	s_waitcnt lgkmcnt(0)
	s_barrier
	ds_read_b64 v[80:81], v84 offset:288
	s_cmp_lt_i32 s18, 38
	v_mov_b32_e32 v82, 36
	s_cbranch_scc1 .LBB74_610
; %bb.608:
	v_add_u32_e32 v89, 0x128, v84
	s_mov_b32 s0, 37
	v_mov_b32_e32 v82, 36
.LBB74_609:                             ; =>This Inner Loop Header: Depth=1
	ds_read_b64 v[90:91], v89
	v_mov_b32_e32 v92, s0
	s_add_i32 s0, s0, 1
	v_add_u32_e32 v89, 8, v89
	s_cmp_lg_u32 s18, s0
	s_waitcnt lgkmcnt(0)
	v_cmp_lt_f64_e64 vcc, |v[80:81]|, |v[90:91]|
	v_cndmask_b32_e32 v81, v81, v91, vcc
	v_cndmask_b32_e32 v80, v80, v90, vcc
	;; [unrolled: 1-line block ×3, first 2 shown]
	s_cbranch_scc1 .LBB74_609
.LBB74_610:
	s_waitcnt lgkmcnt(0)
	v_cmp_eq_f64_e32 vcc, 0, v[80:81]
	s_and_saveexec_b64 s[0:1], vcc
	s_xor_b64 s[0:1], exec, s[0:1]
; %bb.611:
	v_cmp_ne_u32_e32 vcc, 0, v88
	v_cndmask_b32_e32 v88, 37, v88, vcc
; %bb.612:
	s_andn2_saveexec_b64 s[0:1], s[0:1]
; %bb.613:
	v_div_scale_f64 v[90:91], s[2:3], v[80:81], v[80:81], 1.0
	v_rcp_f64_e32 v[92:93], v[90:91]
	v_div_scale_f64 v[94:95], vcc, 1.0, v[80:81], 1.0
	v_fma_f64 v[96:97], -v[90:91], v[92:93], 1.0
	v_fmac_f64_e32 v[92:93], v[92:93], v[96:97]
	v_fma_f64 v[96:97], -v[90:91], v[92:93], 1.0
	v_fmac_f64_e32 v[92:93], v[92:93], v[96:97]
	v_mul_f64 v[96:97], v[94:95], v[92:93]
	v_fma_f64 v[90:91], -v[90:91], v[96:97], v[94:95]
	v_div_fmas_f64 v[90:91], v[90:91], v[92:93], v[96:97]
	v_div_fixup_f64 v[80:81], v[90:91], v[80:81], 1.0
; %bb.614:
	s_or_b64 exec, exec, s[0:1]
	v_cmp_ne_u32_e32 vcc, v85, v82
	s_and_saveexec_b64 s[0:1], vcc
	s_xor_b64 s[0:1], exec, s[0:1]
	s_cbranch_execz .LBB74_620
; %bb.615:
	v_cmp_eq_u32_e32 vcc, 36, v85
	s_and_saveexec_b64 s[2:3], vcc
	s_cbranch_execz .LBB74_619
; %bb.616:
	v_cmp_ne_u32_e32 vcc, 36, v82
	s_xor_b64 s[14:15], s[6:7], -1
	s_and_b64 s[16:17], s[14:15], vcc
	s_and_saveexec_b64 s[14:15], s[16:17]
	s_cbranch_execz .LBB74_618
; %bb.617:
	v_ashrrev_i32_e32 v83, 31, v82
	v_lshlrev_b64 v[90:91], 2, v[82:83]
	v_add_co_u32_e32 v90, vcc, v4, v90
	v_addc_co_u32_e32 v91, vcc, v5, v91, vcc
	flat_load_dword v83, v[90:91]
	flat_load_dword v85, v[4:5] offset:144
	s_waitcnt vmcnt(0) lgkmcnt(0)
	flat_store_dword v[4:5], v83 offset:144
	flat_store_dword v[90:91], v85
.LBB74_618:
	s_or_b64 exec, exec, s[14:15]
	v_mov_b32_e32 v83, v82
	v_mov_b32_e32 v85, v82
.LBB74_619:
	s_or_b64 exec, exec, s[2:3]
.LBB74_620:
	s_andn2_saveexec_b64 s[0:1], s[0:1]
	s_cbranch_execz .LBB74_622
; %bb.621:
	v_mov_b32_e32 v85, 36
	ds_write_b64 v84, v[78:79] offset:296
.LBB74_622:
	s_or_b64 exec, exec, s[0:1]
	v_cmp_lt_i32_e32 vcc, 36, v85
	s_waitcnt lgkmcnt(0)
	s_barrier
	s_and_saveexec_b64 s[0:1], vcc
	s_cbranch_execz .LBB74_624
; %bb.623:
	ds_read_b64 v[90:91], v84 offset:296
	v_mul_f64 v[0:1], v[80:81], v[0:1]
	s_waitcnt lgkmcnt(0)
	v_fma_f64 v[78:79], -v[0:1], v[90:91], v[78:79]
.LBB74_624:
	s_or_b64 exec, exec, s[0:1]
	v_lshl_add_u32 v80, v85, 3, v84
	s_barrier
	ds_write_b64 v80, v[78:79]
	s_waitcnt lgkmcnt(0)
	s_barrier
	ds_read_b64 v[80:81], v84 offset:296
	s_cmp_lt_i32 s18, 39
	v_mov_b32_e32 v82, 37
	s_cbranch_scc1 .LBB74_627
; %bb.625:
	v_add_u32_e32 v84, 0x130, v84
	s_mov_b32 s0, 38
	v_mov_b32_e32 v82, 37
.LBB74_626:                             ; =>This Inner Loop Header: Depth=1
	ds_read_b64 v[90:91], v84
	v_mov_b32_e32 v89, s0
	s_add_i32 s0, s0, 1
	v_add_u32_e32 v84, 8, v84
	s_cmp_lg_u32 s18, s0
	s_waitcnt lgkmcnt(0)
	v_cmp_lt_f64_e64 vcc, |v[80:81]|, |v[90:91]|
	v_cndmask_b32_e32 v81, v81, v91, vcc
	v_cndmask_b32_e32 v80, v80, v90, vcc
	;; [unrolled: 1-line block ×3, first 2 shown]
	s_cbranch_scc1 .LBB74_626
.LBB74_627:
	s_waitcnt lgkmcnt(0)
	v_cmp_eq_f64_e32 vcc, 0, v[80:81]
	s_and_saveexec_b64 s[0:1], vcc
	s_xor_b64 s[0:1], exec, s[0:1]
; %bb.628:
	v_cmp_ne_u32_e32 vcc, 0, v88
	v_cndmask_b32_e32 v88, 38, v88, vcc
; %bb.629:
	s_andn2_saveexec_b64 s[0:1], s[0:1]
; %bb.630:
	v_div_scale_f64 v[90:91], s[2:3], v[80:81], v[80:81], 1.0
	v_rcp_f64_e32 v[92:93], v[90:91]
	v_div_scale_f64 v[94:95], vcc, 1.0, v[80:81], 1.0
	v_fma_f64 v[96:97], -v[90:91], v[92:93], 1.0
	v_fmac_f64_e32 v[92:93], v[92:93], v[96:97]
	v_fma_f64 v[96:97], -v[90:91], v[92:93], 1.0
	v_fmac_f64_e32 v[92:93], v[92:93], v[96:97]
	v_mul_f64 v[96:97], v[94:95], v[92:93]
	v_fma_f64 v[90:91], -v[90:91], v[96:97], v[94:95]
	v_div_fmas_f64 v[90:91], v[90:91], v[92:93], v[96:97]
	v_div_fixup_f64 v[80:81], v[90:91], v[80:81], 1.0
; %bb.631:
	s_or_b64 exec, exec, s[0:1]
	v_cmp_ne_u32_e32 vcc, v85, v82
	v_mov_b32_e32 v84, 37
	s_and_saveexec_b64 s[0:1], vcc
	s_cbranch_execz .LBB74_637
; %bb.632:
	v_cmp_eq_u32_e32 vcc, 37, v85
	s_and_saveexec_b64 s[2:3], vcc
	s_cbranch_execz .LBB74_636
; %bb.633:
	v_cmp_ne_u32_e32 vcc, 37, v82
	s_xor_b64 s[6:7], s[6:7], -1
	s_and_b64 s[14:15], s[6:7], vcc
	s_and_saveexec_b64 s[6:7], s[14:15]
	s_cbranch_execz .LBB74_635
; %bb.634:
	v_ashrrev_i32_e32 v83, 31, v82
	v_lshlrev_b64 v[84:85], 2, v[82:83]
	v_add_co_u32_e32 v84, vcc, v4, v84
	v_addc_co_u32_e32 v85, vcc, v5, v85, vcc
	flat_load_dword v83, v[84:85]
	flat_load_dword v89, v[4:5] offset:148
	s_waitcnt vmcnt(0) lgkmcnt(0)
	flat_store_dword v[4:5], v83 offset:148
	flat_store_dword v[84:85], v89
.LBB74_635:
	s_or_b64 exec, exec, s[6:7]
	v_mov_b32_e32 v83, v82
	v_mov_b32_e32 v85, v82
.LBB74_636:
	s_or_b64 exec, exec, s[2:3]
	v_mov_b32_e32 v84, v85
.LBB74_637:
	s_or_b64 exec, exec, s[0:1]
	s_load_dwordx8 s[0:7], s[4:5], 0x28
	v_cmp_gt_i32_e32 vcc, 38, v84
	v_ashrrev_i32_e32 v85, 31, v84
	s_waitcnt lgkmcnt(0)
	s_barrier
	s_barrier
	s_and_saveexec_b64 s[14:15], vcc
	s_cbranch_execz .LBB74_639
; %bb.638:
	v_mul_lo_u32 v82, v3, s4
	v_mul_lo_u32 v89, v2, s5
	v_mad_u64_u32 v[4:5], s[4:5], v2, s4, 0
	s_lshl_b64 s[2:3], s[2:3], 2
	v_add3_u32 v5, v5, v89, v82
	s_add_u32 s0, s2, s0
	v_lshlrev_b64 v[4:5], 2, v[4:5]
	s_addc_u32 s1, s3, s1
	v_mov_b32_e32 v82, s1
	v_add_co_u32_e32 v89, vcc, s0, v4
	v_addc_co_u32_e32 v82, vcc, v82, v5, vcc
	v_lshlrev_b64 v[4:5], 2, v[84:85]
	v_add_co_u32_e32 v4, vcc, v89, v4
	v_addc_co_u32_e32 v5, vcc, v82, v5, vcc
	v_add3_u32 v82, v83, s13, 1
	global_store_dword v[4:5], v82, off
.LBB74_639:
	s_or_b64 exec, exec, s[14:15]
	v_cmp_eq_u32_e32 vcc, 0, v84
	s_and_saveexec_b64 s[2:3], vcc
	s_cbranch_execz .LBB74_642
; %bb.640:
	v_lshlrev_b64 v[2:3], 2, v[2:3]
	v_mov_b32_e32 v4, s7
	v_add_co_u32_e32 v2, vcc, s6, v2
	v_addc_co_u32_e32 v3, vcc, v4, v3, vcc
	global_load_dword v4, v[2:3], off
	v_cmp_lt_i32_e64 s[0:1], 0, v88
	s_waitcnt vmcnt(0)
	v_cmp_eq_u32_e32 vcc, 0, v4
	s_and_b64 s[0:1], vcc, s[0:1]
	s_and_b64 exec, exec, s[0:1]
	s_cbranch_execz .LBB74_642
; %bb.641:
	v_add_u32_e32 v4, s13, v88
	global_store_dword v[2:3], v4, off
.LBB74_642:
	s_or_b64 exec, exec, s[2:3]
	v_mul_f64 v[2:3], v[80:81], v[78:79]
	v_cmp_lt_i32_e32 vcc, 37, v84
	v_lshlrev_b64 v[4:5], 3, v[84:85]
	v_cndmask_b32_e32 v3, v79, v3, vcc
	v_cndmask_b32_e32 v2, v78, v2, vcc
	v_add_co_u32_e32 v4, vcc, v86, v4
	v_addc_co_u32_e32 v5, vcc, v87, v5, vcc
	global_store_dwordx2 v[4:5], v[76:77], off
	v_mov_b32_e32 v76, s11
	v_add_co_u32_e32 v4, vcc, s10, v4
	v_addc_co_u32_e32 v5, vcc, v5, v76, vcc
	global_store_dwordx2 v[4:5], v[74:75], off
	v_add_u32_e32 v4, s12, v84
	v_ashrrev_i32_e32 v5, 31, v4
	v_lshlrev_b64 v[74:75], 3, v[4:5]
	v_add_co_u32_e32 v74, vcc, v86, v74
	v_add_u32_e32 v4, s8, v4
	v_addc_co_u32_e32 v75, vcc, v87, v75, vcc
	v_ashrrev_i32_e32 v5, 31, v4
	global_store_dwordx2 v[74:75], v[72:73], off
	v_lshlrev_b64 v[72:73], 3, v[4:5]
	v_add_co_u32_e32 v72, vcc, v86, v72
	v_add_u32_e32 v4, s8, v4
	v_addc_co_u32_e32 v73, vcc, v87, v73, vcc
	v_ashrrev_i32_e32 v5, 31, v4
	global_store_dwordx2 v[72:73], v[70:71], off
	;; [unrolled: 6-line block ×34, first 2 shown]
	v_lshlrev_b64 v[6:7], 3, v[4:5]
	v_add_co_u32_e32 v6, vcc, v86, v6
	v_addc_co_u32_e32 v7, vcc, v87, v7, vcc
	global_store_dwordx2 v[6:7], v[0:1], off
	v_add_u32_e32 v0, s8, v4
	v_ashrrev_i32_e32 v1, 31, v0
	v_lshlrev_b64 v[0:1], 3, v[0:1]
	v_add_co_u32_e32 v0, vcc, v86, v0
	v_addc_co_u32_e32 v1, vcc, v87, v1, vcc
	global_store_dwordx2 v[0:1], v[2:3], off
.LBB74_643:
	s_endpgm
	.section	.rodata,"a",@progbits
	.p2align	6, 0x0
	.amdhsa_kernel _ZN9rocsolver6v33100L18getf2_small_kernelILi38EdiiPKPdEEvT1_T3_lS5_lPS5_llPT2_S5_S5_S7_l
		.amdhsa_group_segment_fixed_size 0
		.amdhsa_private_segment_fixed_size 0
		.amdhsa_kernarg_size 352
		.amdhsa_user_sgpr_count 6
		.amdhsa_user_sgpr_private_segment_buffer 1
		.amdhsa_user_sgpr_dispatch_ptr 0
		.amdhsa_user_sgpr_queue_ptr 0
		.amdhsa_user_sgpr_kernarg_segment_ptr 1
		.amdhsa_user_sgpr_dispatch_id 0
		.amdhsa_user_sgpr_flat_scratch_init 0
		.amdhsa_user_sgpr_kernarg_preload_length 0
		.amdhsa_user_sgpr_kernarg_preload_offset 0
		.amdhsa_user_sgpr_private_segment_size 0
		.amdhsa_uses_dynamic_stack 0
		.amdhsa_system_sgpr_private_segment_wavefront_offset 0
		.amdhsa_system_sgpr_workgroup_id_x 1
		.amdhsa_system_sgpr_workgroup_id_y 1
		.amdhsa_system_sgpr_workgroup_id_z 0
		.amdhsa_system_sgpr_workgroup_info 0
		.amdhsa_system_vgpr_workitem_id 1
		.amdhsa_next_free_vgpr 130
		.amdhsa_next_free_sgpr 22
		.amdhsa_accum_offset 132
		.amdhsa_reserve_vcc 1
		.amdhsa_reserve_flat_scratch 0
		.amdhsa_float_round_mode_32 0
		.amdhsa_float_round_mode_16_64 0
		.amdhsa_float_denorm_mode_32 3
		.amdhsa_float_denorm_mode_16_64 3
		.amdhsa_dx10_clamp 1
		.amdhsa_ieee_mode 1
		.amdhsa_fp16_overflow 0
		.amdhsa_tg_split 0
		.amdhsa_exception_fp_ieee_invalid_op 0
		.amdhsa_exception_fp_denorm_src 0
		.amdhsa_exception_fp_ieee_div_zero 0
		.amdhsa_exception_fp_ieee_overflow 0
		.amdhsa_exception_fp_ieee_underflow 0
		.amdhsa_exception_fp_ieee_inexact 0
		.amdhsa_exception_int_div_zero 0
	.end_amdhsa_kernel
	.section	.text._ZN9rocsolver6v33100L18getf2_small_kernelILi38EdiiPKPdEEvT1_T3_lS5_lPS5_llPT2_S5_S5_S7_l,"axG",@progbits,_ZN9rocsolver6v33100L18getf2_small_kernelILi38EdiiPKPdEEvT1_T3_lS5_lPS5_llPT2_S5_S5_S7_l,comdat
.Lfunc_end74:
	.size	_ZN9rocsolver6v33100L18getf2_small_kernelILi38EdiiPKPdEEvT1_T3_lS5_lPS5_llPT2_S5_S5_S7_l, .Lfunc_end74-_ZN9rocsolver6v33100L18getf2_small_kernelILi38EdiiPKPdEEvT1_T3_lS5_lPS5_llPT2_S5_S5_S7_l
                                        ; -- End function
	.section	.AMDGPU.csdata,"",@progbits
; Kernel info:
; codeLenInByte = 32320
; NumSgprs: 26
; NumVgprs: 130
; NumAgprs: 0
; TotalNumVgprs: 130
; ScratchSize: 0
; MemoryBound: 0
; FloatMode: 240
; IeeeMode: 1
; LDSByteSize: 0 bytes/workgroup (compile time only)
; SGPRBlocks: 3
; VGPRBlocks: 16
; NumSGPRsForWavesPerEU: 26
; NumVGPRsForWavesPerEU: 130
; AccumOffset: 132
; Occupancy: 3
; WaveLimiterHint : 1
; COMPUTE_PGM_RSRC2:SCRATCH_EN: 0
; COMPUTE_PGM_RSRC2:USER_SGPR: 6
; COMPUTE_PGM_RSRC2:TRAP_HANDLER: 0
; COMPUTE_PGM_RSRC2:TGID_X_EN: 1
; COMPUTE_PGM_RSRC2:TGID_Y_EN: 1
; COMPUTE_PGM_RSRC2:TGID_Z_EN: 0
; COMPUTE_PGM_RSRC2:TIDIG_COMP_CNT: 1
; COMPUTE_PGM_RSRC3_GFX90A:ACCUM_OFFSET: 32
; COMPUTE_PGM_RSRC3_GFX90A:TG_SPLIT: 0
	.section	.text._ZN9rocsolver6v33100L23getf2_npvt_small_kernelILi38EdiiPKPdEEvT1_T3_lS5_lPT2_S5_S5_,"axG",@progbits,_ZN9rocsolver6v33100L23getf2_npvt_small_kernelILi38EdiiPKPdEEvT1_T3_lS5_lPT2_S5_S5_,comdat
	.globl	_ZN9rocsolver6v33100L23getf2_npvt_small_kernelILi38EdiiPKPdEEvT1_T3_lS5_lPT2_S5_S5_ ; -- Begin function _ZN9rocsolver6v33100L23getf2_npvt_small_kernelILi38EdiiPKPdEEvT1_T3_lS5_lPT2_S5_S5_
	.p2align	8
	.type	_ZN9rocsolver6v33100L23getf2_npvt_small_kernelILi38EdiiPKPdEEvT1_T3_lS5_lPT2_S5_S5_,@function
_ZN9rocsolver6v33100L23getf2_npvt_small_kernelILi38EdiiPKPdEEvT1_T3_lS5_lPT2_S5_S5_: ; @_ZN9rocsolver6v33100L23getf2_npvt_small_kernelILi38EdiiPKPdEEvT1_T3_lS5_lPT2_S5_S5_
; %bb.0:
	s_load_dword s0, s[4:5], 0x44
	s_load_dwordx2 s[8:9], s[4:5], 0x30
	v_bfe_u32 v154, v0, 10, 10
	s_waitcnt lgkmcnt(0)
	s_lshr_b32 s6, s0, 16
	s_mul_i32 s7, s7, s6
	v_add_u32_e32 v2, s7, v154
	v_cmp_gt_i32_e32 vcc, s8, v2
	s_and_saveexec_b64 s[0:1], vcc
	s_cbranch_execz .LBB75_193
; %bb.1:
	s_load_dwordx4 s[12:15], s[4:5], 0x8
	s_load_dword s0, s[4:5], 0x18
	v_ashrrev_i32_e32 v3, 31, v2
	v_lshlrev_b64 v[4:5], 3, v[2:3]
	v_and_b32_e32 v230, 0x3ff, v0
	s_waitcnt lgkmcnt(0)
	v_mov_b32_e32 v1, s13
	v_add_co_u32_e32 v4, vcc, s12, v4
	v_addc_co_u32_e32 v5, vcc, v1, v5, vcc
	global_load_dwordx2 v[4:5], v[4:5], off
	s_add_i32 s1, s0, s0
	s_lshl_b64 s[2:3], s[14:15], 3
	v_add_u32_e32 v0, s1, v230
	v_mov_b32_e32 v25, s3
	v_ashrrev_i32_e32 v1, 31, v0
	v_add_u32_e32 v6, s0, v0
	v_lshlrev_b64 v[0:1], 3, v[0:1]
	v_ashrrev_i32_e32 v7, 31, v6
	v_add_u32_e32 v8, s0, v6
	v_lshlrev_b64 v[6:7], 3, v[6:7]
	;; [unrolled: 3-line block ×10, first 2 shown]
	v_add_u32_e32 v26, s0, v24
	v_ashrrev_i32_e32 v27, 31, v26
	v_add_u32_e32 v28, s0, v26
	v_ashrrev_i32_e32 v29, 31, v28
	;; [unrolled: 2-line block ×22, first 2 shown]
	v_add_u32_e32 v70, s0, v68
	s_waitcnt vmcnt(0)
	v_add_co_u32_e32 v74, vcc, s2, v4
	v_addc_co_u32_e32 v75, vcc, v5, v25, vcc
	v_add_co_u32_e32 v0, vcc, v74, v0
	v_addc_co_u32_e32 v1, vcc, v75, v1, vcc
	;; [unrolled: 2-line block ×10, first 2 shown]
	v_add_co_u32_e32 v20, vcc, v74, v22
	v_ashrrev_i32_e32 v25, 31, v24
	v_addc_co_u32_e32 v21, vcc, v75, v23, vcc
	v_lshlrev_b64 v[22:23], 3, v[24:25]
	v_add_co_u32_e32 v22, vcc, v74, v22
	v_addc_co_u32_e32 v23, vcc, v75, v23, vcc
	v_lshlrev_b64 v[24:25], 3, v[26:27]
	v_add_co_u32_e32 v24, vcc, v74, v24
	;; [unrolled: 3-line block ×23, first 2 shown]
	v_ashrrev_i32_e32 v71, 31, v70
	v_addc_co_u32_e32 v67, vcc, v75, v67, vcc
	v_lshlrev_b64 v[68:69], 3, v[70:71]
	v_add_u32_e32 v72, s0, v70
	v_add_co_u32_e32 v68, vcc, v74, v68
	v_ashrrev_i32_e32 v73, 31, v72
	v_addc_co_u32_e32 v69, vcc, v75, v69, vcc
	v_lshlrev_b64 v[70:71], 3, v[72:73]
	v_add_u32_e32 v72, s0, v72
	v_add_co_u32_e32 v70, vcc, v74, v70
	v_ashrrev_i32_e32 v73, 31, v72
	v_addc_co_u32_e32 v71, vcc, v75, v71, vcc
	v_lshlrev_b64 v[72:73], 3, v[72:73]
	v_add_co_u32_e32 v72, vcc, v74, v72
	v_addc_co_u32_e32 v73, vcc, v75, v73, vcc
	v_lshlrev_b32_e32 v76, 3, v230
	v_add_co_u32_e32 v74, vcc, v74, v76
	s_ashr_i32 s1, s0, 31
	v_addc_co_u32_e32 v75, vcc, 0, v75, vcc
	s_lshl_b64 s[0:1], s[0:1], 3
	v_mov_b32_e32 v77, s1
	v_add_co_u32_e32 v76, vcc, s0, v74
	v_addc_co_u32_e32 v77, vcc, v75, v77, vcc
	global_load_dwordx2 v[78:79], v[74:75], off
	global_load_dwordx2 v[114:115], v[76:77], off
	;; [unrolled: 1-line block ×38, first 2 shown]
	s_mulk_i32 s6, 0x130
	s_movk_i32 s0, 0x130
	s_add_i32 s1, s6, 0
	v_mad_u32_u24 v229, v154, s0, 0
	v_lshl_add_u32 v228, v154, 3, s1
	v_cmp_ne_u32_e64 s[2:3], 0, v230
	v_cmp_eq_u32_e64 s[0:1], 0, v230
	s_and_saveexec_b64 s[6:7], s[0:1]
	s_cbranch_execz .LBB75_4
; %bb.2:
	s_waitcnt vmcnt(37)
	ds_write_b64 v228, v[78:79]
	s_waitcnt vmcnt(35)
	ds_write2_b64 v229, v[114:115], v[150:151] offset0:1 offset1:2
	s_waitcnt vmcnt(33)
	ds_write2_b64 v229, v[112:113], v[148:149] offset0:3 offset1:4
	;; [unrolled: 2-line block ×18, first 2 shown]
	s_waitcnt vmcnt(0)
	ds_write_b64 v229, v[152:153] offset:296
	ds_read_b64 v[154:155], v228
	s_waitcnt lgkmcnt(0)
	v_cmp_neq_f64_e32 vcc, 0, v[154:155]
	s_and_b64 exec, exec, vcc
	s_cbranch_execz .LBB75_4
; %bb.3:
	v_div_scale_f64 v[156:157], s[10:11], v[154:155], v[154:155], 1.0
	v_rcp_f64_e32 v[158:159], v[156:157]
	v_div_scale_f64 v[160:161], vcc, 1.0, v[154:155], 1.0
	v_fma_f64 v[162:163], -v[156:157], v[158:159], 1.0
	v_fmac_f64_e32 v[158:159], v[158:159], v[162:163]
	v_fma_f64 v[162:163], -v[156:157], v[158:159], 1.0
	v_fmac_f64_e32 v[158:159], v[158:159], v[162:163]
	v_mul_f64 v[162:163], v[160:161], v[158:159]
	v_fma_f64 v[156:157], -v[156:157], v[162:163], v[160:161]
	v_div_fmas_f64 v[156:157], v[156:157], v[158:159], v[162:163]
	v_div_fixup_f64 v[154:155], v[156:157], v[154:155], 1.0
	ds_write_b64 v228, v[154:155]
.LBB75_4:
	s_or_b64 exec, exec, s[6:7]
	s_waitcnt lgkmcnt(0)
	s_barrier
	ds_read_b64 v[154:155], v228
	s_and_saveexec_b64 s[6:7], s[2:3]
	s_cbranch_execz .LBB75_6
; %bb.5:
	ds_read2_b64 v[156:159], v229 offset0:1 offset1:2
	ds_read2_b64 v[160:163], v229 offset0:3 offset1:4
	s_waitcnt vmcnt(37) lgkmcnt(2)
	v_mul_f64 v[78:79], v[154:155], v[78:79]
	ds_read2_b64 v[164:167], v229 offset0:5 offset1:6
	s_waitcnt vmcnt(36) lgkmcnt(2)
	v_fma_f64 v[114:115], -v[78:79], v[156:157], v[114:115]
	s_waitcnt vmcnt(35)
	v_fma_f64 v[150:151], -v[78:79], v[158:159], v[150:151]
	ds_read2_b64 v[156:159], v229 offset0:7 offset1:8
	s_waitcnt vmcnt(34) lgkmcnt(2)
	v_fma_f64 v[112:113], -v[78:79], v[160:161], v[112:113]
	s_waitcnt vmcnt(33)
	v_fma_f64 v[148:149], -v[78:79], v[162:163], v[148:149]
	s_waitcnt vmcnt(32) lgkmcnt(1)
	v_fma_f64 v[110:111], -v[78:79], v[164:165], v[110:111]
	ds_read2_b64 v[160:163], v229 offset0:9 offset1:10
	s_waitcnt vmcnt(31)
	v_fma_f64 v[146:147], -v[78:79], v[166:167], v[146:147]
	ds_read2_b64 v[164:167], v229 offset0:11 offset1:12
	s_waitcnt vmcnt(30) lgkmcnt(2)
	v_fma_f64 v[108:109], -v[78:79], v[156:157], v[108:109]
	s_waitcnt vmcnt(29)
	v_fma_f64 v[144:145], -v[78:79], v[158:159], v[144:145]
	ds_read2_b64 v[156:159], v229 offset0:13 offset1:14
	s_waitcnt vmcnt(28) lgkmcnt(2)
	v_fma_f64 v[106:107], -v[78:79], v[160:161], v[106:107]
	;; [unrolled: 5-line block ×3, first 2 shown]
	s_waitcnt vmcnt(25)
	v_fma_f64 v[140:141], -v[78:79], v[166:167], v[140:141]
	s_waitcnt vmcnt(24) lgkmcnt(1)
	v_fma_f64 v[102:103], -v[78:79], v[156:157], v[102:103]
	ds_read2_b64 v[164:167], v229 offset0:17 offset1:18
	s_waitcnt vmcnt(23)
	v_fma_f64 v[138:139], -v[78:79], v[158:159], v[138:139]
	ds_read2_b64 v[156:159], v229 offset0:19 offset1:20
	s_waitcnt vmcnt(22) lgkmcnt(2)
	v_fma_f64 v[100:101], -v[78:79], v[160:161], v[100:101]
	s_waitcnt vmcnt(21)
	v_fma_f64 v[136:137], -v[78:79], v[162:163], v[136:137]
	s_waitcnt vmcnt(20) lgkmcnt(1)
	v_fma_f64 v[98:99], -v[78:79], v[164:165], v[98:99]
	ds_read2_b64 v[160:163], v229 offset0:21 offset1:22
	s_waitcnt vmcnt(19)
	v_fma_f64 v[134:135], -v[78:79], v[166:167], v[134:135]
	ds_read2_b64 v[164:167], v229 offset0:23 offset1:24
	s_waitcnt vmcnt(18) lgkmcnt(2)
	v_fma_f64 v[96:97], -v[78:79], v[156:157], v[96:97]
	s_waitcnt vmcnt(17)
	v_fma_f64 v[132:133], -v[78:79], v[158:159], v[132:133]
	ds_read2_b64 v[156:159], v229 offset0:25 offset1:26
	s_waitcnt vmcnt(16) lgkmcnt(2)
	v_fma_f64 v[94:95], -v[78:79], v[160:161], v[94:95]
	;; [unrolled: 5-line block ×3, first 2 shown]
	s_waitcnt vmcnt(13)
	v_fma_f64 v[128:129], -v[78:79], v[166:167], v[128:129]
	s_waitcnt vmcnt(12) lgkmcnt(1)
	v_fma_f64 v[90:91], -v[78:79], v[156:157], v[90:91]
	ds_read2_b64 v[164:167], v229 offset0:29 offset1:30
	s_waitcnt vmcnt(11)
	v_fma_f64 v[126:127], -v[78:79], v[158:159], v[126:127]
	ds_read2_b64 v[156:159], v229 offset0:31 offset1:32
	s_waitcnt vmcnt(10) lgkmcnt(2)
	v_fma_f64 v[88:89], -v[78:79], v[160:161], v[88:89]
	s_waitcnt vmcnt(9)
	v_fma_f64 v[124:125], -v[78:79], v[162:163], v[124:125]
	s_waitcnt vmcnt(8) lgkmcnt(1)
	v_fma_f64 v[86:87], -v[78:79], v[164:165], v[86:87]
	s_waitcnt vmcnt(7)
	v_fma_f64 v[122:123], -v[78:79], v[166:167], v[122:123]
	ds_read2_b64 v[160:163], v229 offset0:33 offset1:34
	ds_read2_b64 v[164:167], v229 offset0:35 offset1:36
	s_waitcnt vmcnt(6) lgkmcnt(2)
	v_fma_f64 v[84:85], -v[78:79], v[156:157], v[84:85]
	ds_read_b64 v[156:157], v229 offset:296
	s_waitcnt vmcnt(5)
	v_fma_f64 v[120:121], -v[78:79], v[158:159], v[120:121]
	s_waitcnt vmcnt(4) lgkmcnt(2)
	v_fma_f64 v[82:83], -v[78:79], v[160:161], v[82:83]
	s_waitcnt vmcnt(3)
	v_fma_f64 v[118:119], -v[78:79], v[162:163], v[118:119]
	s_waitcnt vmcnt(2) lgkmcnt(1)
	v_fma_f64 v[80:81], -v[78:79], v[164:165], v[80:81]
	;; [unrolled: 4-line block ×3, first 2 shown]
.LBB75_6:
	s_or_b64 exec, exec, s[6:7]
	v_cmp_eq_u32_e32 vcc, 1, v230
	s_waitcnt lgkmcnt(0)
	s_barrier
	s_and_saveexec_b64 s[2:3], vcc
	s_cbranch_execz .LBB75_9
; %bb.7:
	s_waitcnt vmcnt(35)
	v_mov_b32_e32 v156, v150
	v_mov_b32_e32 v157, v151
	s_waitcnt vmcnt(34)
	v_mov_b32_e32 v158, v112
	v_mov_b32_e32 v159, v113
	ds_write_b64 v228, v[114:115]
	ds_write2_b64 v229, v[156:157], v[158:159] offset0:2 offset1:3
	s_waitcnt vmcnt(33)
	v_mov_b32_e32 v156, v148
	v_mov_b32_e32 v157, v149
	s_waitcnt vmcnt(32)
	v_mov_b32_e32 v158, v110
	v_mov_b32_e32 v159, v111
	ds_write2_b64 v229, v[156:157], v[158:159] offset0:4 offset1:5
	s_waitcnt vmcnt(31)
	v_mov_b32_e32 v156, v146
	v_mov_b32_e32 v157, v147
	s_waitcnt vmcnt(30)
	v_mov_b32_e32 v158, v108
	v_mov_b32_e32 v159, v109
	;; [unrolled: 7-line block ×16, first 2 shown]
	ds_write2_b64 v229, v[156:157], v[158:159] offset0:34 offset1:35
	s_waitcnt vmcnt(1)
	v_mov_b32_e32 v156, v116
	v_mov_b32_e32 v157, v117
	s_waitcnt vmcnt(0)
	ds_write2_b64 v229, v[156:157], v[152:153] offset0:36 offset1:37
	ds_read_b64 v[156:157], v228
	s_waitcnt lgkmcnt(0)
	v_cmp_neq_f64_e32 vcc, 0, v[156:157]
	s_and_b64 exec, exec, vcc
	s_cbranch_execz .LBB75_9
; %bb.8:
	v_div_scale_f64 v[158:159], s[6:7], v[156:157], v[156:157], 1.0
	v_rcp_f64_e32 v[160:161], v[158:159]
	v_div_scale_f64 v[162:163], vcc, 1.0, v[156:157], 1.0
	v_fma_f64 v[164:165], -v[158:159], v[160:161], 1.0
	v_fmac_f64_e32 v[160:161], v[160:161], v[164:165]
	v_fma_f64 v[164:165], -v[158:159], v[160:161], 1.0
	v_fmac_f64_e32 v[160:161], v[160:161], v[164:165]
	v_mul_f64 v[164:165], v[162:163], v[160:161]
	v_fma_f64 v[158:159], -v[158:159], v[164:165], v[162:163]
	v_div_fmas_f64 v[158:159], v[158:159], v[160:161], v[164:165]
	v_div_fixup_f64 v[156:157], v[158:159], v[156:157], 1.0
	ds_write_b64 v228, v[156:157]
.LBB75_9:
	s_or_b64 exec, exec, s[2:3]
	s_waitcnt lgkmcnt(0)
	s_barrier
	ds_read_b64 v[156:157], v228
	v_cmp_lt_u32_e32 vcc, 1, v230
	s_and_saveexec_b64 s[2:3], vcc
	s_cbranch_execz .LBB75_11
; %bb.10:
	ds_read2_b64 v[158:161], v229 offset0:2 offset1:3
	ds_read2_b64 v[162:165], v229 offset0:4 offset1:5
	;; [unrolled: 1-line block ×3, first 2 shown]
	s_waitcnt vmcnt(36) lgkmcnt(3)
	v_mul_f64 v[114:115], v[156:157], v[114:115]
	s_waitcnt vmcnt(35) lgkmcnt(2)
	v_fma_f64 v[150:151], -v[114:115], v[158:159], v[150:151]
	s_waitcnt vmcnt(34)
	v_fma_f64 v[112:113], -v[114:115], v[160:161], v[112:113]
	ds_read2_b64 v[158:161], v229 offset0:8 offset1:9
	s_waitcnt vmcnt(33) lgkmcnt(2)
	v_fma_f64 v[148:149], -v[114:115], v[162:163], v[148:149]
	s_waitcnt vmcnt(32)
	v_fma_f64 v[110:111], -v[114:115], v[164:165], v[110:111]
	s_waitcnt vmcnt(31) lgkmcnt(1)
	v_fma_f64 v[146:147], -v[114:115], v[166:167], v[146:147]
	ds_read2_b64 v[162:165], v229 offset0:10 offset1:11
	s_waitcnt vmcnt(30)
	v_fma_f64 v[108:109], -v[114:115], v[168:169], v[108:109]
	ds_read2_b64 v[166:169], v229 offset0:12 offset1:13
	s_waitcnt vmcnt(29) lgkmcnt(2)
	v_fma_f64 v[144:145], -v[114:115], v[158:159], v[144:145]
	s_waitcnt vmcnt(28)
	v_fma_f64 v[106:107], -v[114:115], v[160:161], v[106:107]
	s_waitcnt vmcnt(27) lgkmcnt(1)
	v_fma_f64 v[142:143], -v[114:115], v[162:163], v[142:143]
	ds_read2_b64 v[158:161], v229 offset0:14 offset1:15
	s_waitcnt vmcnt(26)
	v_fma_f64 v[104:105], -v[114:115], v[164:165], v[104:105]
	ds_read2_b64 v[162:165], v229 offset0:16 offset1:17
	s_waitcnt vmcnt(25) lgkmcnt(2)
	v_fma_f64 v[140:141], -v[114:115], v[166:167], v[140:141]
	s_waitcnt vmcnt(24)
	v_fma_f64 v[102:103], -v[114:115], v[168:169], v[102:103]
	ds_read2_b64 v[166:169], v229 offset0:18 offset1:19
	s_waitcnt vmcnt(23) lgkmcnt(2)
	v_fma_f64 v[138:139], -v[114:115], v[158:159], v[138:139]
	;; [unrolled: 5-line block ×3, first 2 shown]
	s_waitcnt vmcnt(20)
	v_fma_f64 v[98:99], -v[114:115], v[164:165], v[98:99]
	s_waitcnt vmcnt(19) lgkmcnt(1)
	v_fma_f64 v[134:135], -v[114:115], v[166:167], v[134:135]
	ds_read2_b64 v[162:165], v229 offset0:22 offset1:23
	s_waitcnt vmcnt(18)
	v_fma_f64 v[96:97], -v[114:115], v[168:169], v[96:97]
	ds_read2_b64 v[166:169], v229 offset0:24 offset1:25
	s_waitcnt vmcnt(17) lgkmcnt(2)
	v_fma_f64 v[132:133], -v[114:115], v[158:159], v[132:133]
	s_waitcnt vmcnt(16)
	v_fma_f64 v[94:95], -v[114:115], v[160:161], v[94:95]
	s_waitcnt vmcnt(15) lgkmcnt(1)
	v_fma_f64 v[130:131], -v[114:115], v[162:163], v[130:131]
	ds_read2_b64 v[158:161], v229 offset0:26 offset1:27
	s_waitcnt vmcnt(14)
	v_fma_f64 v[92:93], -v[114:115], v[164:165], v[92:93]
	ds_read2_b64 v[162:165], v229 offset0:28 offset1:29
	s_waitcnt vmcnt(13) lgkmcnt(2)
	v_fma_f64 v[128:129], -v[114:115], v[166:167], v[128:129]
	s_waitcnt vmcnt(12)
	v_fma_f64 v[90:91], -v[114:115], v[168:169], v[90:91]
	ds_read2_b64 v[166:169], v229 offset0:30 offset1:31
	s_waitcnt vmcnt(11) lgkmcnt(2)
	v_fma_f64 v[126:127], -v[114:115], v[158:159], v[126:127]
	s_waitcnt vmcnt(10)
	v_fma_f64 v[88:89], -v[114:115], v[160:161], v[88:89]
	ds_read2_b64 v[158:161], v229 offset0:32 offset1:33
	s_waitcnt vmcnt(9) lgkmcnt(2)
	v_fma_f64 v[124:125], -v[114:115], v[162:163], v[124:125]
	s_waitcnt vmcnt(8)
	v_fma_f64 v[86:87], -v[114:115], v[164:165], v[86:87]
	s_waitcnt vmcnt(7) lgkmcnt(1)
	v_fma_f64 v[122:123], -v[114:115], v[166:167], v[122:123]
	ds_read2_b64 v[162:165], v229 offset0:34 offset1:35
	s_waitcnt vmcnt(6)
	v_fma_f64 v[84:85], -v[114:115], v[168:169], v[84:85]
	ds_read2_b64 v[166:169], v229 offset0:36 offset1:37
	s_waitcnt vmcnt(5) lgkmcnt(2)
	v_fma_f64 v[120:121], -v[114:115], v[158:159], v[120:121]
	s_waitcnt vmcnt(4)
	v_fma_f64 v[82:83], -v[114:115], v[160:161], v[82:83]
	s_waitcnt vmcnt(3) lgkmcnt(1)
	v_fma_f64 v[118:119], -v[114:115], v[162:163], v[118:119]
	s_waitcnt vmcnt(2)
	v_fma_f64 v[80:81], -v[114:115], v[164:165], v[80:81]
	;; [unrolled: 4-line block ×3, first 2 shown]
.LBB75_11:
	s_or_b64 exec, exec, s[2:3]
	v_cmp_eq_u32_e32 vcc, 2, v230
	s_waitcnt lgkmcnt(0)
	s_barrier
	s_and_saveexec_b64 s[2:3], vcc
	s_cbranch_execz .LBB75_14
; %bb.12:
	s_waitcnt vmcnt(35)
	ds_write_b64 v228, v[150:151]
	s_waitcnt vmcnt(33)
	ds_write2_b64 v229, v[112:113], v[148:149] offset0:3 offset1:4
	s_waitcnt vmcnt(31)
	ds_write2_b64 v229, v[110:111], v[146:147] offset0:5 offset1:6
	;; [unrolled: 2-line block ×17, first 2 shown]
	s_waitcnt vmcnt(0)
	ds_write_b64 v229, v[152:153] offset:296
	ds_read_b64 v[158:159], v228
	s_waitcnt lgkmcnt(0)
	v_cmp_neq_f64_e32 vcc, 0, v[158:159]
	s_and_b64 exec, exec, vcc
	s_cbranch_execz .LBB75_14
; %bb.13:
	v_div_scale_f64 v[160:161], s[6:7], v[158:159], v[158:159], 1.0
	v_rcp_f64_e32 v[162:163], v[160:161]
	v_div_scale_f64 v[164:165], vcc, 1.0, v[158:159], 1.0
	v_fma_f64 v[166:167], -v[160:161], v[162:163], 1.0
	v_fmac_f64_e32 v[162:163], v[162:163], v[166:167]
	v_fma_f64 v[166:167], -v[160:161], v[162:163], 1.0
	v_fmac_f64_e32 v[162:163], v[162:163], v[166:167]
	v_mul_f64 v[166:167], v[164:165], v[162:163]
	v_fma_f64 v[160:161], -v[160:161], v[166:167], v[164:165]
	v_div_fmas_f64 v[160:161], v[160:161], v[162:163], v[166:167]
	v_div_fixup_f64 v[158:159], v[160:161], v[158:159], 1.0
	ds_write_b64 v228, v[158:159]
.LBB75_14:
	s_or_b64 exec, exec, s[2:3]
	s_waitcnt lgkmcnt(0)
	s_barrier
	ds_read_b64 v[158:159], v228
	v_cmp_lt_u32_e32 vcc, 2, v230
	s_and_saveexec_b64 s[2:3], vcc
	s_cbranch_execz .LBB75_16
; %bb.15:
	ds_read2_b64 v[160:163], v229 offset0:3 offset1:4
	ds_read2_b64 v[164:167], v229 offset0:5 offset1:6
	;; [unrolled: 1-line block ×3, first 2 shown]
	s_waitcnt vmcnt(35) lgkmcnt(3)
	v_mul_f64 v[150:151], v[158:159], v[150:151]
	s_waitcnt vmcnt(34) lgkmcnt(2)
	v_fma_f64 v[112:113], -v[150:151], v[160:161], v[112:113]
	s_waitcnt vmcnt(33)
	v_fma_f64 v[148:149], -v[150:151], v[162:163], v[148:149]
	ds_read2_b64 v[160:163], v229 offset0:9 offset1:10
	s_waitcnt vmcnt(32) lgkmcnt(2)
	v_fma_f64 v[110:111], -v[150:151], v[164:165], v[110:111]
	s_waitcnt vmcnt(31)
	v_fma_f64 v[146:147], -v[150:151], v[166:167], v[146:147]
	s_waitcnt vmcnt(30) lgkmcnt(1)
	v_fma_f64 v[108:109], -v[150:151], v[168:169], v[108:109]
	ds_read2_b64 v[164:167], v229 offset0:11 offset1:12
	s_waitcnt vmcnt(29)
	v_fma_f64 v[144:145], -v[150:151], v[170:171], v[144:145]
	ds_read2_b64 v[168:171], v229 offset0:13 offset1:14
	s_waitcnt vmcnt(28) lgkmcnt(2)
	v_fma_f64 v[106:107], -v[150:151], v[160:161], v[106:107]
	s_waitcnt vmcnt(27)
	v_fma_f64 v[142:143], -v[150:151], v[162:163], v[142:143]
	s_waitcnt vmcnt(26) lgkmcnt(1)
	v_fma_f64 v[104:105], -v[150:151], v[164:165], v[104:105]
	ds_read2_b64 v[160:163], v229 offset0:15 offset1:16
	s_waitcnt vmcnt(25)
	v_fma_f64 v[140:141], -v[150:151], v[166:167], v[140:141]
	ds_read2_b64 v[164:167], v229 offset0:17 offset1:18
	s_waitcnt vmcnt(24) lgkmcnt(2)
	v_fma_f64 v[102:103], -v[150:151], v[168:169], v[102:103]
	s_waitcnt vmcnt(23)
	v_fma_f64 v[138:139], -v[150:151], v[170:171], v[138:139]
	ds_read2_b64 v[168:171], v229 offset0:19 offset1:20
	s_waitcnt vmcnt(22) lgkmcnt(2)
	v_fma_f64 v[100:101], -v[150:151], v[160:161], v[100:101]
	;; [unrolled: 5-line block ×3, first 2 shown]
	s_waitcnt vmcnt(19)
	v_fma_f64 v[134:135], -v[150:151], v[166:167], v[134:135]
	s_waitcnt vmcnt(18) lgkmcnt(1)
	v_fma_f64 v[96:97], -v[150:151], v[168:169], v[96:97]
	ds_read2_b64 v[164:167], v229 offset0:23 offset1:24
	s_waitcnt vmcnt(17)
	v_fma_f64 v[132:133], -v[150:151], v[170:171], v[132:133]
	ds_read2_b64 v[168:171], v229 offset0:25 offset1:26
	s_waitcnt vmcnt(16) lgkmcnt(2)
	v_fma_f64 v[94:95], -v[150:151], v[160:161], v[94:95]
	s_waitcnt vmcnt(15)
	v_fma_f64 v[130:131], -v[150:151], v[162:163], v[130:131]
	s_waitcnt vmcnt(14) lgkmcnt(1)
	v_fma_f64 v[92:93], -v[150:151], v[164:165], v[92:93]
	ds_read2_b64 v[160:163], v229 offset0:27 offset1:28
	s_waitcnt vmcnt(13)
	v_fma_f64 v[128:129], -v[150:151], v[166:167], v[128:129]
	ds_read2_b64 v[164:167], v229 offset0:29 offset1:30
	s_waitcnt vmcnt(12) lgkmcnt(2)
	v_fma_f64 v[90:91], -v[150:151], v[168:169], v[90:91]
	s_waitcnt vmcnt(11)
	v_fma_f64 v[126:127], -v[150:151], v[170:171], v[126:127]
	ds_read2_b64 v[168:171], v229 offset0:31 offset1:32
	s_waitcnt vmcnt(10) lgkmcnt(2)
	v_fma_f64 v[88:89], -v[150:151], v[160:161], v[88:89]
	;; [unrolled: 5-line block ×3, first 2 shown]
	s_waitcnt vmcnt(7)
	v_fma_f64 v[122:123], -v[150:151], v[166:167], v[122:123]
	s_waitcnt vmcnt(6) lgkmcnt(1)
	v_fma_f64 v[84:85], -v[150:151], v[168:169], v[84:85]
	ds_read2_b64 v[164:167], v229 offset0:35 offset1:36
	ds_read_b64 v[168:169], v229 offset:296
	s_waitcnt vmcnt(5)
	v_fma_f64 v[120:121], -v[150:151], v[170:171], v[120:121]
	s_waitcnt vmcnt(4) lgkmcnt(2)
	v_fma_f64 v[82:83], -v[150:151], v[160:161], v[82:83]
	s_waitcnt vmcnt(3)
	v_fma_f64 v[118:119], -v[150:151], v[162:163], v[118:119]
	s_waitcnt vmcnt(2) lgkmcnt(1)
	v_fma_f64 v[80:81], -v[150:151], v[164:165], v[80:81]
	s_waitcnt vmcnt(1)
	v_fma_f64 v[116:117], -v[150:151], v[166:167], v[116:117]
	s_waitcnt vmcnt(0) lgkmcnt(0)
	v_fma_f64 v[152:153], -v[150:151], v[168:169], v[152:153]
.LBB75_16:
	s_or_b64 exec, exec, s[2:3]
	v_cmp_eq_u32_e32 vcc, 3, v230
	s_waitcnt lgkmcnt(0)
	s_barrier
	s_and_saveexec_b64 s[2:3], vcc
	s_cbranch_execz .LBB75_19
; %bb.17:
	s_waitcnt vmcnt(33)
	v_mov_b32_e32 v160, v148
	v_mov_b32_e32 v161, v149
	s_waitcnt vmcnt(32)
	v_mov_b32_e32 v162, v110
	v_mov_b32_e32 v163, v111
	ds_write_b64 v228, v[112:113]
	ds_write2_b64 v229, v[160:161], v[162:163] offset0:4 offset1:5
	s_waitcnt vmcnt(31)
	v_mov_b32_e32 v160, v146
	v_mov_b32_e32 v161, v147
	s_waitcnt vmcnt(30)
	v_mov_b32_e32 v162, v108
	v_mov_b32_e32 v163, v109
	ds_write2_b64 v229, v[160:161], v[162:163] offset0:6 offset1:7
	s_waitcnt vmcnt(29)
	v_mov_b32_e32 v160, v144
	v_mov_b32_e32 v161, v145
	s_waitcnt vmcnt(28)
	v_mov_b32_e32 v162, v106
	v_mov_b32_e32 v163, v107
	;; [unrolled: 7-line block ×15, first 2 shown]
	ds_write2_b64 v229, v[160:161], v[162:163] offset0:34 offset1:35
	s_waitcnt vmcnt(1)
	v_mov_b32_e32 v160, v116
	v_mov_b32_e32 v161, v117
	s_waitcnt vmcnt(0)
	ds_write2_b64 v229, v[160:161], v[152:153] offset0:36 offset1:37
	ds_read_b64 v[160:161], v228
	s_waitcnt lgkmcnt(0)
	v_cmp_neq_f64_e32 vcc, 0, v[160:161]
	s_and_b64 exec, exec, vcc
	s_cbranch_execz .LBB75_19
; %bb.18:
	v_div_scale_f64 v[162:163], s[6:7], v[160:161], v[160:161], 1.0
	v_rcp_f64_e32 v[164:165], v[162:163]
	v_div_scale_f64 v[166:167], vcc, 1.0, v[160:161], 1.0
	v_fma_f64 v[168:169], -v[162:163], v[164:165], 1.0
	v_fmac_f64_e32 v[164:165], v[164:165], v[168:169]
	v_fma_f64 v[168:169], -v[162:163], v[164:165], 1.0
	v_fmac_f64_e32 v[164:165], v[164:165], v[168:169]
	v_mul_f64 v[168:169], v[166:167], v[164:165]
	v_fma_f64 v[162:163], -v[162:163], v[168:169], v[166:167]
	v_div_fmas_f64 v[162:163], v[162:163], v[164:165], v[168:169]
	v_div_fixup_f64 v[160:161], v[162:163], v[160:161], 1.0
	ds_write_b64 v228, v[160:161]
.LBB75_19:
	s_or_b64 exec, exec, s[2:3]
	s_waitcnt lgkmcnt(0)
	s_barrier
	ds_read_b64 v[160:161], v228
	v_cmp_lt_u32_e32 vcc, 3, v230
	s_and_saveexec_b64 s[2:3], vcc
	s_cbranch_execz .LBB75_21
; %bb.20:
	ds_read2_b64 v[162:165], v229 offset0:4 offset1:5
	ds_read2_b64 v[166:169], v229 offset0:6 offset1:7
	s_waitcnt vmcnt(34) lgkmcnt(2)
	v_mul_f64 v[112:113], v[160:161], v[112:113]
	ds_read2_b64 v[170:173], v229 offset0:8 offset1:9
	s_waitcnt vmcnt(33) lgkmcnt(2)
	v_fma_f64 v[148:149], -v[112:113], v[162:163], v[148:149]
	s_waitcnt vmcnt(32)
	v_fma_f64 v[110:111], -v[112:113], v[164:165], v[110:111]
	ds_read2_b64 v[162:165], v229 offset0:10 offset1:11
	s_waitcnt vmcnt(31) lgkmcnt(2)
	v_fma_f64 v[146:147], -v[112:113], v[166:167], v[146:147]
	s_waitcnt vmcnt(30)
	v_fma_f64 v[108:109], -v[112:113], v[168:169], v[108:109]
	;; [unrolled: 5-line block ×4, first 2 shown]
	s_waitcnt vmcnt(25) lgkmcnt(1)
	v_fma_f64 v[140:141], -v[112:113], v[166:167], v[140:141]
	ds_read2_b64 v[162:165], v229 offset0:16 offset1:17
	s_waitcnt vmcnt(24)
	v_fma_f64 v[102:103], -v[112:113], v[168:169], v[102:103]
	ds_read2_b64 v[166:169], v229 offset0:18 offset1:19
	s_waitcnt vmcnt(23) lgkmcnt(2)
	v_fma_f64 v[138:139], -v[112:113], v[170:171], v[138:139]
	s_waitcnt vmcnt(22)
	v_fma_f64 v[100:101], -v[112:113], v[172:173], v[100:101]
	s_waitcnt vmcnt(21) lgkmcnt(1)
	v_fma_f64 v[136:137], -v[112:113], v[162:163], v[136:137]
	ds_read2_b64 v[170:173], v229 offset0:20 offset1:21
	s_waitcnt vmcnt(20)
	v_fma_f64 v[98:99], -v[112:113], v[164:165], v[98:99]
	ds_read2_b64 v[162:165], v229 offset0:22 offset1:23
	s_waitcnt vmcnt(19) lgkmcnt(2)
	v_fma_f64 v[134:135], -v[112:113], v[166:167], v[134:135]
	s_waitcnt vmcnt(18)
	v_fma_f64 v[96:97], -v[112:113], v[168:169], v[96:97]
	ds_read2_b64 v[166:169], v229 offset0:24 offset1:25
	s_waitcnt vmcnt(17) lgkmcnt(2)
	v_fma_f64 v[132:133], -v[112:113], v[170:171], v[132:133]
	;; [unrolled: 5-line block ×3, first 2 shown]
	s_waitcnt vmcnt(14)
	v_fma_f64 v[92:93], -v[112:113], v[164:165], v[92:93]
	s_waitcnt vmcnt(13) lgkmcnt(1)
	v_fma_f64 v[128:129], -v[112:113], v[166:167], v[128:129]
	ds_read2_b64 v[162:165], v229 offset0:28 offset1:29
	s_waitcnt vmcnt(12)
	v_fma_f64 v[90:91], -v[112:113], v[168:169], v[90:91]
	ds_read2_b64 v[166:169], v229 offset0:30 offset1:31
	s_waitcnt vmcnt(11) lgkmcnt(2)
	v_fma_f64 v[126:127], -v[112:113], v[170:171], v[126:127]
	s_waitcnt vmcnt(10)
	v_fma_f64 v[88:89], -v[112:113], v[172:173], v[88:89]
	s_waitcnt vmcnt(9) lgkmcnt(1)
	v_fma_f64 v[124:125], -v[112:113], v[162:163], v[124:125]
	s_waitcnt vmcnt(8)
	v_fma_f64 v[86:87], -v[112:113], v[164:165], v[86:87]
	ds_read2_b64 v[162:165], v229 offset0:32 offset1:33
	ds_read2_b64 v[170:173], v229 offset0:34 offset1:35
	s_waitcnt vmcnt(7) lgkmcnt(2)
	v_fma_f64 v[122:123], -v[112:113], v[166:167], v[122:123]
	s_waitcnt vmcnt(6)
	v_fma_f64 v[84:85], -v[112:113], v[168:169], v[84:85]
	ds_read2_b64 v[166:169], v229 offset0:36 offset1:37
	s_waitcnt vmcnt(5) lgkmcnt(2)
	v_fma_f64 v[120:121], -v[112:113], v[162:163], v[120:121]
	s_waitcnt vmcnt(4)
	v_fma_f64 v[82:83], -v[112:113], v[164:165], v[82:83]
	s_waitcnt vmcnt(3) lgkmcnt(1)
	v_fma_f64 v[118:119], -v[112:113], v[170:171], v[118:119]
	s_waitcnt vmcnt(2)
	v_fma_f64 v[80:81], -v[112:113], v[172:173], v[80:81]
	;; [unrolled: 4-line block ×3, first 2 shown]
.LBB75_21:
	s_or_b64 exec, exec, s[2:3]
	v_cmp_eq_u32_e32 vcc, 4, v230
	s_waitcnt lgkmcnt(0)
	s_barrier
	s_and_saveexec_b64 s[2:3], vcc
	s_cbranch_execz .LBB75_24
; %bb.22:
	s_waitcnt vmcnt(33)
	ds_write_b64 v228, v[148:149]
	s_waitcnt vmcnt(31)
	ds_write2_b64 v229, v[110:111], v[146:147] offset0:5 offset1:6
	s_waitcnt vmcnt(29)
	ds_write2_b64 v229, v[108:109], v[144:145] offset0:7 offset1:8
	;; [unrolled: 2-line block ×16, first 2 shown]
	s_waitcnt vmcnt(0)
	ds_write_b64 v229, v[152:153] offset:296
	ds_read_b64 v[162:163], v228
	s_waitcnt lgkmcnt(0)
	v_cmp_neq_f64_e32 vcc, 0, v[162:163]
	s_and_b64 exec, exec, vcc
	s_cbranch_execz .LBB75_24
; %bb.23:
	v_div_scale_f64 v[164:165], s[6:7], v[162:163], v[162:163], 1.0
	v_rcp_f64_e32 v[166:167], v[164:165]
	v_div_scale_f64 v[168:169], vcc, 1.0, v[162:163], 1.0
	v_fma_f64 v[170:171], -v[164:165], v[166:167], 1.0
	v_fmac_f64_e32 v[166:167], v[166:167], v[170:171]
	v_fma_f64 v[170:171], -v[164:165], v[166:167], 1.0
	v_fmac_f64_e32 v[166:167], v[166:167], v[170:171]
	v_mul_f64 v[170:171], v[168:169], v[166:167]
	v_fma_f64 v[164:165], -v[164:165], v[170:171], v[168:169]
	v_div_fmas_f64 v[164:165], v[164:165], v[166:167], v[170:171]
	v_div_fixup_f64 v[162:163], v[164:165], v[162:163], 1.0
	ds_write_b64 v228, v[162:163]
.LBB75_24:
	s_or_b64 exec, exec, s[2:3]
	s_waitcnt lgkmcnt(0)
	s_barrier
	ds_read_b64 v[162:163], v228
	v_cmp_lt_u32_e32 vcc, 4, v230
	s_and_saveexec_b64 s[2:3], vcc
	s_cbranch_execz .LBB75_26
; %bb.25:
	ds_read2_b64 v[164:167], v229 offset0:5 offset1:6
	ds_read2_b64 v[168:171], v229 offset0:7 offset1:8
	s_waitcnt vmcnt(33) lgkmcnt(2)
	v_mul_f64 v[148:149], v[162:163], v[148:149]
	ds_read2_b64 v[172:175], v229 offset0:9 offset1:10
	s_waitcnt vmcnt(32) lgkmcnt(2)
	v_fma_f64 v[110:111], -v[148:149], v[164:165], v[110:111]
	s_waitcnt vmcnt(31)
	v_fma_f64 v[146:147], -v[148:149], v[166:167], v[146:147]
	ds_read2_b64 v[164:167], v229 offset0:11 offset1:12
	s_waitcnt vmcnt(30) lgkmcnt(2)
	v_fma_f64 v[108:109], -v[148:149], v[168:169], v[108:109]
	s_waitcnt vmcnt(29)
	v_fma_f64 v[144:145], -v[148:149], v[170:171], v[144:145]
	;; [unrolled: 5-line block ×4, first 2 shown]
	s_waitcnt vmcnt(24) lgkmcnt(1)
	v_fma_f64 v[102:103], -v[148:149], v[168:169], v[102:103]
	ds_read2_b64 v[164:167], v229 offset0:17 offset1:18
	s_waitcnt vmcnt(23)
	v_fma_f64 v[138:139], -v[148:149], v[170:171], v[138:139]
	ds_read2_b64 v[168:171], v229 offset0:19 offset1:20
	s_waitcnt vmcnt(22) lgkmcnt(2)
	v_fma_f64 v[100:101], -v[148:149], v[172:173], v[100:101]
	s_waitcnt vmcnt(21)
	v_fma_f64 v[136:137], -v[148:149], v[174:175], v[136:137]
	s_waitcnt vmcnt(20) lgkmcnt(1)
	v_fma_f64 v[98:99], -v[148:149], v[164:165], v[98:99]
	ds_read2_b64 v[172:175], v229 offset0:21 offset1:22
	s_waitcnt vmcnt(19)
	v_fma_f64 v[134:135], -v[148:149], v[166:167], v[134:135]
	ds_read2_b64 v[164:167], v229 offset0:23 offset1:24
	s_waitcnt vmcnt(18) lgkmcnt(2)
	v_fma_f64 v[96:97], -v[148:149], v[168:169], v[96:97]
	s_waitcnt vmcnt(17)
	v_fma_f64 v[132:133], -v[148:149], v[170:171], v[132:133]
	ds_read2_b64 v[168:171], v229 offset0:25 offset1:26
	s_waitcnt vmcnt(16) lgkmcnt(2)
	v_fma_f64 v[94:95], -v[148:149], v[172:173], v[94:95]
	;; [unrolled: 5-line block ×3, first 2 shown]
	s_waitcnt vmcnt(13)
	v_fma_f64 v[128:129], -v[148:149], v[166:167], v[128:129]
	s_waitcnt vmcnt(12) lgkmcnt(1)
	v_fma_f64 v[90:91], -v[148:149], v[168:169], v[90:91]
	ds_read2_b64 v[164:167], v229 offset0:29 offset1:30
	s_waitcnt vmcnt(11)
	v_fma_f64 v[126:127], -v[148:149], v[170:171], v[126:127]
	ds_read2_b64 v[168:171], v229 offset0:31 offset1:32
	s_waitcnt vmcnt(10) lgkmcnt(2)
	v_fma_f64 v[88:89], -v[148:149], v[172:173], v[88:89]
	s_waitcnt vmcnt(9)
	v_fma_f64 v[124:125], -v[148:149], v[174:175], v[124:125]
	s_waitcnt vmcnt(8) lgkmcnt(1)
	v_fma_f64 v[86:87], -v[148:149], v[164:165], v[86:87]
	s_waitcnt vmcnt(7)
	v_fma_f64 v[122:123], -v[148:149], v[166:167], v[122:123]
	ds_read2_b64 v[164:167], v229 offset0:33 offset1:34
	ds_read2_b64 v[172:175], v229 offset0:35 offset1:36
	s_waitcnt vmcnt(6) lgkmcnt(2)
	v_fma_f64 v[84:85], -v[148:149], v[168:169], v[84:85]
	ds_read_b64 v[168:169], v229 offset:296
	s_waitcnt vmcnt(5)
	v_fma_f64 v[120:121], -v[148:149], v[170:171], v[120:121]
	s_waitcnt vmcnt(4) lgkmcnt(2)
	v_fma_f64 v[82:83], -v[148:149], v[164:165], v[82:83]
	s_waitcnt vmcnt(3)
	v_fma_f64 v[118:119], -v[148:149], v[166:167], v[118:119]
	s_waitcnt vmcnt(2) lgkmcnt(1)
	v_fma_f64 v[80:81], -v[148:149], v[172:173], v[80:81]
	;; [unrolled: 4-line block ×3, first 2 shown]
.LBB75_26:
	s_or_b64 exec, exec, s[2:3]
	v_cmp_eq_u32_e32 vcc, 5, v230
	s_waitcnt lgkmcnt(0)
	s_barrier
	s_and_saveexec_b64 s[2:3], vcc
	s_cbranch_execz .LBB75_29
; %bb.27:
	s_waitcnt vmcnt(31)
	v_mov_b32_e32 v164, v146
	v_mov_b32_e32 v165, v147
	s_waitcnt vmcnt(30)
	v_mov_b32_e32 v166, v108
	v_mov_b32_e32 v167, v109
	ds_write_b64 v228, v[110:111]
	ds_write2_b64 v229, v[164:165], v[166:167] offset0:6 offset1:7
	s_waitcnt vmcnt(29)
	v_mov_b32_e32 v164, v144
	v_mov_b32_e32 v165, v145
	s_waitcnt vmcnt(28)
	v_mov_b32_e32 v166, v106
	v_mov_b32_e32 v167, v107
	ds_write2_b64 v229, v[164:165], v[166:167] offset0:8 offset1:9
	s_waitcnt vmcnt(27)
	v_mov_b32_e32 v164, v142
	v_mov_b32_e32 v165, v143
	s_waitcnt vmcnt(26)
	v_mov_b32_e32 v166, v104
	v_mov_b32_e32 v167, v105
	;; [unrolled: 7-line block ×14, first 2 shown]
	ds_write2_b64 v229, v[164:165], v[166:167] offset0:34 offset1:35
	s_waitcnt vmcnt(1)
	v_mov_b32_e32 v164, v116
	v_mov_b32_e32 v165, v117
	s_waitcnt vmcnt(0)
	ds_write2_b64 v229, v[164:165], v[152:153] offset0:36 offset1:37
	ds_read_b64 v[164:165], v228
	s_waitcnt lgkmcnt(0)
	v_cmp_neq_f64_e32 vcc, 0, v[164:165]
	s_and_b64 exec, exec, vcc
	s_cbranch_execz .LBB75_29
; %bb.28:
	v_div_scale_f64 v[166:167], s[6:7], v[164:165], v[164:165], 1.0
	v_rcp_f64_e32 v[168:169], v[166:167]
	v_div_scale_f64 v[170:171], vcc, 1.0, v[164:165], 1.0
	v_fma_f64 v[172:173], -v[166:167], v[168:169], 1.0
	v_fmac_f64_e32 v[168:169], v[168:169], v[172:173]
	v_fma_f64 v[172:173], -v[166:167], v[168:169], 1.0
	v_fmac_f64_e32 v[168:169], v[168:169], v[172:173]
	v_mul_f64 v[172:173], v[170:171], v[168:169]
	v_fma_f64 v[166:167], -v[166:167], v[172:173], v[170:171]
	v_div_fmas_f64 v[166:167], v[166:167], v[168:169], v[172:173]
	v_div_fixup_f64 v[164:165], v[166:167], v[164:165], 1.0
	ds_write_b64 v228, v[164:165]
.LBB75_29:
	s_or_b64 exec, exec, s[2:3]
	s_waitcnt lgkmcnt(0)
	s_barrier
	ds_read_b64 v[164:165], v228
	v_cmp_lt_u32_e32 vcc, 5, v230
	s_and_saveexec_b64 s[2:3], vcc
	s_cbranch_execz .LBB75_31
; %bb.30:
	ds_read2_b64 v[166:169], v229 offset0:6 offset1:7
	ds_read2_b64 v[170:173], v229 offset0:8 offset1:9
	s_waitcnt vmcnt(32) lgkmcnt(2)
	v_mul_f64 v[110:111], v[164:165], v[110:111]
	ds_read2_b64 v[174:177], v229 offset0:10 offset1:11
	s_waitcnt vmcnt(31) lgkmcnt(2)
	v_fma_f64 v[146:147], -v[110:111], v[166:167], v[146:147]
	s_waitcnt vmcnt(30)
	v_fma_f64 v[108:109], -v[110:111], v[168:169], v[108:109]
	ds_read2_b64 v[166:169], v229 offset0:12 offset1:13
	s_waitcnt vmcnt(29) lgkmcnt(2)
	v_fma_f64 v[144:145], -v[110:111], v[170:171], v[144:145]
	s_waitcnt vmcnt(28)
	v_fma_f64 v[106:107], -v[110:111], v[172:173], v[106:107]
	s_waitcnt vmcnt(27) lgkmcnt(1)
	v_fma_f64 v[142:143], -v[110:111], v[174:175], v[142:143]
	ds_read2_b64 v[170:173], v229 offset0:14 offset1:15
	s_waitcnt vmcnt(26)
	v_fma_f64 v[104:105], -v[110:111], v[176:177], v[104:105]
	ds_read2_b64 v[174:177], v229 offset0:16 offset1:17
	s_waitcnt vmcnt(25) lgkmcnt(2)
	v_fma_f64 v[140:141], -v[110:111], v[166:167], v[140:141]
	s_waitcnt vmcnt(24)
	v_fma_f64 v[102:103], -v[110:111], v[168:169], v[102:103]
	ds_read2_b64 v[166:169], v229 offset0:18 offset1:19
	s_waitcnt vmcnt(23) lgkmcnt(2)
	v_fma_f64 v[138:139], -v[110:111], v[170:171], v[138:139]
	;; [unrolled: 5-line block ×3, first 2 shown]
	s_waitcnt vmcnt(20)
	v_fma_f64 v[98:99], -v[110:111], v[176:177], v[98:99]
	s_waitcnt vmcnt(19) lgkmcnt(1)
	v_fma_f64 v[134:135], -v[110:111], v[166:167], v[134:135]
	ds_read2_b64 v[174:177], v229 offset0:22 offset1:23
	s_waitcnt vmcnt(18)
	v_fma_f64 v[96:97], -v[110:111], v[168:169], v[96:97]
	ds_read2_b64 v[166:169], v229 offset0:24 offset1:25
	s_waitcnt vmcnt(17) lgkmcnt(2)
	v_fma_f64 v[132:133], -v[110:111], v[170:171], v[132:133]
	s_waitcnt vmcnt(16)
	v_fma_f64 v[94:95], -v[110:111], v[172:173], v[94:95]
	s_waitcnt vmcnt(15) lgkmcnt(1)
	v_fma_f64 v[130:131], -v[110:111], v[174:175], v[130:131]
	ds_read2_b64 v[170:173], v229 offset0:26 offset1:27
	s_waitcnt vmcnt(14)
	v_fma_f64 v[92:93], -v[110:111], v[176:177], v[92:93]
	ds_read2_b64 v[174:177], v229 offset0:28 offset1:29
	s_waitcnt vmcnt(13) lgkmcnt(2)
	v_fma_f64 v[128:129], -v[110:111], v[166:167], v[128:129]
	s_waitcnt vmcnt(12)
	v_fma_f64 v[90:91], -v[110:111], v[168:169], v[90:91]
	ds_read2_b64 v[166:169], v229 offset0:30 offset1:31
	s_waitcnt vmcnt(11) lgkmcnt(2)
	v_fma_f64 v[126:127], -v[110:111], v[170:171], v[126:127]
	;; [unrolled: 5-line block ×3, first 2 shown]
	s_waitcnt vmcnt(8)
	v_fma_f64 v[86:87], -v[110:111], v[176:177], v[86:87]
	s_waitcnt vmcnt(7) lgkmcnt(1)
	v_fma_f64 v[122:123], -v[110:111], v[166:167], v[122:123]
	ds_read2_b64 v[174:177], v229 offset0:34 offset1:35
	s_waitcnt vmcnt(6)
	v_fma_f64 v[84:85], -v[110:111], v[168:169], v[84:85]
	ds_read2_b64 v[166:169], v229 offset0:36 offset1:37
	s_waitcnt vmcnt(5) lgkmcnt(2)
	v_fma_f64 v[120:121], -v[110:111], v[170:171], v[120:121]
	s_waitcnt vmcnt(4)
	v_fma_f64 v[82:83], -v[110:111], v[172:173], v[82:83]
	s_waitcnt vmcnt(3) lgkmcnt(1)
	v_fma_f64 v[118:119], -v[110:111], v[174:175], v[118:119]
	s_waitcnt vmcnt(2)
	v_fma_f64 v[80:81], -v[110:111], v[176:177], v[80:81]
	;; [unrolled: 4-line block ×3, first 2 shown]
.LBB75_31:
	s_or_b64 exec, exec, s[2:3]
	v_cmp_eq_u32_e32 vcc, 6, v230
	s_waitcnt lgkmcnt(0)
	s_barrier
	s_and_saveexec_b64 s[2:3], vcc
	s_cbranch_execz .LBB75_34
; %bb.32:
	s_waitcnt vmcnt(31)
	ds_write_b64 v228, v[146:147]
	s_waitcnt vmcnt(29)
	ds_write2_b64 v229, v[108:109], v[144:145] offset0:7 offset1:8
	s_waitcnt vmcnt(27)
	ds_write2_b64 v229, v[106:107], v[142:143] offset0:9 offset1:10
	;; [unrolled: 2-line block ×15, first 2 shown]
	s_waitcnt vmcnt(0)
	ds_write_b64 v229, v[152:153] offset:296
	ds_read_b64 v[166:167], v228
	s_waitcnt lgkmcnt(0)
	v_cmp_neq_f64_e32 vcc, 0, v[166:167]
	s_and_b64 exec, exec, vcc
	s_cbranch_execz .LBB75_34
; %bb.33:
	v_div_scale_f64 v[168:169], s[6:7], v[166:167], v[166:167], 1.0
	v_rcp_f64_e32 v[170:171], v[168:169]
	v_div_scale_f64 v[172:173], vcc, 1.0, v[166:167], 1.0
	v_fma_f64 v[174:175], -v[168:169], v[170:171], 1.0
	v_fmac_f64_e32 v[170:171], v[170:171], v[174:175]
	v_fma_f64 v[174:175], -v[168:169], v[170:171], 1.0
	v_fmac_f64_e32 v[170:171], v[170:171], v[174:175]
	v_mul_f64 v[174:175], v[172:173], v[170:171]
	v_fma_f64 v[168:169], -v[168:169], v[174:175], v[172:173]
	v_div_fmas_f64 v[168:169], v[168:169], v[170:171], v[174:175]
	v_div_fixup_f64 v[166:167], v[168:169], v[166:167], 1.0
	ds_write_b64 v228, v[166:167]
.LBB75_34:
	s_or_b64 exec, exec, s[2:3]
	s_waitcnt lgkmcnt(0)
	s_barrier
	ds_read_b64 v[166:167], v228
	v_cmp_lt_u32_e32 vcc, 6, v230
	s_and_saveexec_b64 s[2:3], vcc
	s_cbranch_execz .LBB75_36
; %bb.35:
	ds_read2_b64 v[168:171], v229 offset0:7 offset1:8
	ds_read2_b64 v[172:175], v229 offset0:9 offset1:10
	s_waitcnt vmcnt(31) lgkmcnt(2)
	v_mul_f64 v[146:147], v[166:167], v[146:147]
	ds_read2_b64 v[176:179], v229 offset0:11 offset1:12
	s_waitcnt vmcnt(30) lgkmcnt(2)
	v_fma_f64 v[108:109], -v[146:147], v[168:169], v[108:109]
	s_waitcnt vmcnt(29)
	v_fma_f64 v[144:145], -v[146:147], v[170:171], v[144:145]
	ds_read2_b64 v[168:171], v229 offset0:13 offset1:14
	s_waitcnt vmcnt(28) lgkmcnt(2)
	v_fma_f64 v[106:107], -v[146:147], v[172:173], v[106:107]
	s_waitcnt vmcnt(27)
	v_fma_f64 v[142:143], -v[146:147], v[174:175], v[142:143]
	s_waitcnt vmcnt(26) lgkmcnt(1)
	v_fma_f64 v[104:105], -v[146:147], v[176:177], v[104:105]
	ds_read2_b64 v[172:175], v229 offset0:15 offset1:16
	s_waitcnt vmcnt(25)
	v_fma_f64 v[140:141], -v[146:147], v[178:179], v[140:141]
	ds_read2_b64 v[176:179], v229 offset0:17 offset1:18
	s_waitcnt vmcnt(24) lgkmcnt(2)
	v_fma_f64 v[102:103], -v[146:147], v[168:169], v[102:103]
	s_waitcnt vmcnt(23)
	v_fma_f64 v[138:139], -v[146:147], v[170:171], v[138:139]
	ds_read2_b64 v[168:171], v229 offset0:19 offset1:20
	s_waitcnt vmcnt(22) lgkmcnt(2)
	v_fma_f64 v[100:101], -v[146:147], v[172:173], v[100:101]
	;; [unrolled: 5-line block ×3, first 2 shown]
	s_waitcnt vmcnt(19)
	v_fma_f64 v[134:135], -v[146:147], v[178:179], v[134:135]
	s_waitcnt vmcnt(18) lgkmcnt(1)
	v_fma_f64 v[96:97], -v[146:147], v[168:169], v[96:97]
	ds_read2_b64 v[176:179], v229 offset0:23 offset1:24
	s_waitcnt vmcnt(17)
	v_fma_f64 v[132:133], -v[146:147], v[170:171], v[132:133]
	ds_read2_b64 v[168:171], v229 offset0:25 offset1:26
	s_waitcnt vmcnt(16) lgkmcnt(2)
	v_fma_f64 v[94:95], -v[146:147], v[172:173], v[94:95]
	s_waitcnt vmcnt(15)
	v_fma_f64 v[130:131], -v[146:147], v[174:175], v[130:131]
	s_waitcnt vmcnt(14) lgkmcnt(1)
	v_fma_f64 v[92:93], -v[146:147], v[176:177], v[92:93]
	ds_read2_b64 v[172:175], v229 offset0:27 offset1:28
	s_waitcnt vmcnt(13)
	v_fma_f64 v[128:129], -v[146:147], v[178:179], v[128:129]
	ds_read2_b64 v[176:179], v229 offset0:29 offset1:30
	s_waitcnt vmcnt(12) lgkmcnt(2)
	v_fma_f64 v[90:91], -v[146:147], v[168:169], v[90:91]
	s_waitcnt vmcnt(11)
	v_fma_f64 v[126:127], -v[146:147], v[170:171], v[126:127]
	ds_read2_b64 v[168:171], v229 offset0:31 offset1:32
	s_waitcnt vmcnt(10) lgkmcnt(2)
	v_fma_f64 v[88:89], -v[146:147], v[172:173], v[88:89]
	;; [unrolled: 5-line block ×3, first 2 shown]
	s_waitcnt vmcnt(7)
	v_fma_f64 v[122:123], -v[146:147], v[178:179], v[122:123]
	s_waitcnt vmcnt(6) lgkmcnt(1)
	v_fma_f64 v[84:85], -v[146:147], v[168:169], v[84:85]
	ds_read2_b64 v[176:179], v229 offset0:35 offset1:36
	ds_read_b64 v[168:169], v229 offset:296
	s_waitcnt vmcnt(5)
	v_fma_f64 v[120:121], -v[146:147], v[170:171], v[120:121]
	s_waitcnt vmcnt(4) lgkmcnt(2)
	v_fma_f64 v[82:83], -v[146:147], v[172:173], v[82:83]
	s_waitcnt vmcnt(3)
	v_fma_f64 v[118:119], -v[146:147], v[174:175], v[118:119]
	s_waitcnt vmcnt(2) lgkmcnt(1)
	v_fma_f64 v[80:81], -v[146:147], v[176:177], v[80:81]
	;; [unrolled: 4-line block ×3, first 2 shown]
.LBB75_36:
	s_or_b64 exec, exec, s[2:3]
	v_cmp_eq_u32_e32 vcc, 7, v230
	s_waitcnt lgkmcnt(0)
	s_barrier
	s_and_saveexec_b64 s[2:3], vcc
	s_cbranch_execz .LBB75_39
; %bb.37:
	s_waitcnt vmcnt(29)
	v_mov_b32_e32 v168, v144
	v_mov_b32_e32 v169, v145
	s_waitcnt vmcnt(28)
	v_mov_b32_e32 v170, v106
	v_mov_b32_e32 v171, v107
	ds_write_b64 v228, v[108:109]
	ds_write2_b64 v229, v[168:169], v[170:171] offset0:8 offset1:9
	s_waitcnt vmcnt(27)
	v_mov_b32_e32 v168, v142
	v_mov_b32_e32 v169, v143
	s_waitcnt vmcnt(26)
	v_mov_b32_e32 v170, v104
	v_mov_b32_e32 v171, v105
	ds_write2_b64 v229, v[168:169], v[170:171] offset0:10 offset1:11
	s_waitcnt vmcnt(25)
	v_mov_b32_e32 v168, v140
	v_mov_b32_e32 v169, v141
	s_waitcnt vmcnt(24)
	v_mov_b32_e32 v170, v102
	v_mov_b32_e32 v171, v103
	;; [unrolled: 7-line block ×13, first 2 shown]
	ds_write2_b64 v229, v[168:169], v[170:171] offset0:34 offset1:35
	s_waitcnt vmcnt(1)
	v_mov_b32_e32 v168, v116
	v_mov_b32_e32 v169, v117
	s_waitcnt vmcnt(0)
	ds_write2_b64 v229, v[168:169], v[152:153] offset0:36 offset1:37
	ds_read_b64 v[168:169], v228
	s_waitcnt lgkmcnt(0)
	v_cmp_neq_f64_e32 vcc, 0, v[168:169]
	s_and_b64 exec, exec, vcc
	s_cbranch_execz .LBB75_39
; %bb.38:
	v_div_scale_f64 v[170:171], s[6:7], v[168:169], v[168:169], 1.0
	v_rcp_f64_e32 v[172:173], v[170:171]
	v_div_scale_f64 v[174:175], vcc, 1.0, v[168:169], 1.0
	v_fma_f64 v[176:177], -v[170:171], v[172:173], 1.0
	v_fmac_f64_e32 v[172:173], v[172:173], v[176:177]
	v_fma_f64 v[176:177], -v[170:171], v[172:173], 1.0
	v_fmac_f64_e32 v[172:173], v[172:173], v[176:177]
	v_mul_f64 v[176:177], v[174:175], v[172:173]
	v_fma_f64 v[170:171], -v[170:171], v[176:177], v[174:175]
	v_div_fmas_f64 v[170:171], v[170:171], v[172:173], v[176:177]
	v_div_fixup_f64 v[168:169], v[170:171], v[168:169], 1.0
	ds_write_b64 v228, v[168:169]
.LBB75_39:
	s_or_b64 exec, exec, s[2:3]
	s_waitcnt lgkmcnt(0)
	s_barrier
	ds_read_b64 v[168:169], v228
	v_cmp_lt_u32_e32 vcc, 7, v230
	s_and_saveexec_b64 s[2:3], vcc
	s_cbranch_execz .LBB75_41
; %bb.40:
	ds_read2_b64 v[170:173], v229 offset0:8 offset1:9
	ds_read2_b64 v[174:177], v229 offset0:10 offset1:11
	;; [unrolled: 1-line block ×3, first 2 shown]
	s_waitcnt vmcnt(30) lgkmcnt(3)
	v_mul_f64 v[108:109], v[168:169], v[108:109]
	s_waitcnt vmcnt(29) lgkmcnt(2)
	v_fma_f64 v[144:145], -v[108:109], v[170:171], v[144:145]
	s_waitcnt vmcnt(28)
	v_fma_f64 v[106:107], -v[108:109], v[172:173], v[106:107]
	ds_read2_b64 v[170:173], v229 offset0:14 offset1:15
	s_waitcnt vmcnt(27) lgkmcnt(2)
	v_fma_f64 v[142:143], -v[108:109], v[174:175], v[142:143]
	s_waitcnt vmcnt(26)
	v_fma_f64 v[104:105], -v[108:109], v[176:177], v[104:105]
	s_waitcnt vmcnt(25) lgkmcnt(1)
	v_fma_f64 v[140:141], -v[108:109], v[178:179], v[140:141]
	ds_read2_b64 v[174:177], v229 offset0:16 offset1:17
	s_waitcnt vmcnt(24)
	v_fma_f64 v[102:103], -v[108:109], v[180:181], v[102:103]
	ds_read2_b64 v[178:181], v229 offset0:18 offset1:19
	s_waitcnt vmcnt(23) lgkmcnt(2)
	v_fma_f64 v[138:139], -v[108:109], v[170:171], v[138:139]
	s_waitcnt vmcnt(22)
	v_fma_f64 v[100:101], -v[108:109], v[172:173], v[100:101]
	s_waitcnt vmcnt(21) lgkmcnt(1)
	v_fma_f64 v[136:137], -v[108:109], v[174:175], v[136:137]
	ds_read2_b64 v[170:173], v229 offset0:20 offset1:21
	s_waitcnt vmcnt(20)
	v_fma_f64 v[98:99], -v[108:109], v[176:177], v[98:99]
	ds_read2_b64 v[174:177], v229 offset0:22 offset1:23
	s_waitcnt vmcnt(19) lgkmcnt(2)
	v_fma_f64 v[134:135], -v[108:109], v[178:179], v[134:135]
	s_waitcnt vmcnt(18)
	v_fma_f64 v[96:97], -v[108:109], v[180:181], v[96:97]
	ds_read2_b64 v[178:181], v229 offset0:24 offset1:25
	s_waitcnt vmcnt(17) lgkmcnt(2)
	v_fma_f64 v[132:133], -v[108:109], v[170:171], v[132:133]
	s_waitcnt vmcnt(16)
	v_fma_f64 v[94:95], -v[108:109], v[172:173], v[94:95]
	ds_read2_b64 v[170:173], v229 offset0:26 offset1:27
	s_waitcnt vmcnt(15) lgkmcnt(2)
	v_fma_f64 v[130:131], -v[108:109], v[174:175], v[130:131]
	s_waitcnt vmcnt(14)
	v_fma_f64 v[92:93], -v[108:109], v[176:177], v[92:93]
	s_waitcnt vmcnt(13) lgkmcnt(1)
	v_fma_f64 v[128:129], -v[108:109], v[178:179], v[128:129]
	ds_read2_b64 v[174:177], v229 offset0:28 offset1:29
	s_waitcnt vmcnt(12)
	v_fma_f64 v[90:91], -v[108:109], v[180:181], v[90:91]
	ds_read2_b64 v[178:181], v229 offset0:30 offset1:31
	s_waitcnt vmcnt(11) lgkmcnt(2)
	v_fma_f64 v[126:127], -v[108:109], v[170:171], v[126:127]
	s_waitcnt vmcnt(10)
	v_fma_f64 v[88:89], -v[108:109], v[172:173], v[88:89]
	s_waitcnt vmcnt(9) lgkmcnt(1)
	v_fma_f64 v[124:125], -v[108:109], v[174:175], v[124:125]
	s_waitcnt vmcnt(8)
	v_fma_f64 v[86:87], -v[108:109], v[176:177], v[86:87]
	ds_read2_b64 v[170:173], v229 offset0:32 offset1:33
	ds_read2_b64 v[174:177], v229 offset0:34 offset1:35
	s_waitcnt vmcnt(7) lgkmcnt(2)
	v_fma_f64 v[122:123], -v[108:109], v[178:179], v[122:123]
	s_waitcnt vmcnt(6)
	v_fma_f64 v[84:85], -v[108:109], v[180:181], v[84:85]
	ds_read2_b64 v[178:181], v229 offset0:36 offset1:37
	s_waitcnt vmcnt(5) lgkmcnt(2)
	v_fma_f64 v[120:121], -v[108:109], v[170:171], v[120:121]
	s_waitcnt vmcnt(4)
	v_fma_f64 v[82:83], -v[108:109], v[172:173], v[82:83]
	s_waitcnt vmcnt(3) lgkmcnt(1)
	v_fma_f64 v[118:119], -v[108:109], v[174:175], v[118:119]
	s_waitcnt vmcnt(2)
	v_fma_f64 v[80:81], -v[108:109], v[176:177], v[80:81]
	;; [unrolled: 4-line block ×3, first 2 shown]
.LBB75_41:
	s_or_b64 exec, exec, s[2:3]
	v_cmp_eq_u32_e32 vcc, 8, v230
	s_waitcnt lgkmcnt(0)
	s_barrier
	s_and_saveexec_b64 s[2:3], vcc
	s_cbranch_execz .LBB75_44
; %bb.42:
	s_waitcnt vmcnt(29)
	ds_write_b64 v228, v[144:145]
	s_waitcnt vmcnt(27)
	ds_write2_b64 v229, v[106:107], v[142:143] offset0:9 offset1:10
	s_waitcnt vmcnt(25)
	ds_write2_b64 v229, v[104:105], v[140:141] offset0:11 offset1:12
	;; [unrolled: 2-line block ×14, first 2 shown]
	s_waitcnt vmcnt(0)
	ds_write_b64 v229, v[152:153] offset:296
	ds_read_b64 v[170:171], v228
	s_waitcnt lgkmcnt(0)
	v_cmp_neq_f64_e32 vcc, 0, v[170:171]
	s_and_b64 exec, exec, vcc
	s_cbranch_execz .LBB75_44
; %bb.43:
	v_div_scale_f64 v[172:173], s[6:7], v[170:171], v[170:171], 1.0
	v_rcp_f64_e32 v[174:175], v[172:173]
	v_div_scale_f64 v[176:177], vcc, 1.0, v[170:171], 1.0
	v_fma_f64 v[178:179], -v[172:173], v[174:175], 1.0
	v_fmac_f64_e32 v[174:175], v[174:175], v[178:179]
	v_fma_f64 v[178:179], -v[172:173], v[174:175], 1.0
	v_fmac_f64_e32 v[174:175], v[174:175], v[178:179]
	v_mul_f64 v[178:179], v[176:177], v[174:175]
	v_fma_f64 v[172:173], -v[172:173], v[178:179], v[176:177]
	v_div_fmas_f64 v[172:173], v[172:173], v[174:175], v[178:179]
	v_div_fixup_f64 v[170:171], v[172:173], v[170:171], 1.0
	ds_write_b64 v228, v[170:171]
.LBB75_44:
	s_or_b64 exec, exec, s[2:3]
	s_waitcnt lgkmcnt(0)
	s_barrier
	ds_read_b64 v[170:171], v228
	v_cmp_lt_u32_e32 vcc, 8, v230
	s_and_saveexec_b64 s[2:3], vcc
	s_cbranch_execz .LBB75_46
; %bb.45:
	ds_read2_b64 v[172:175], v229 offset0:9 offset1:10
	ds_read2_b64 v[176:179], v229 offset0:11 offset1:12
	;; [unrolled: 1-line block ×3, first 2 shown]
	s_waitcnt vmcnt(29) lgkmcnt(3)
	v_mul_f64 v[144:145], v[170:171], v[144:145]
	s_waitcnt vmcnt(28) lgkmcnt(2)
	v_fma_f64 v[106:107], -v[144:145], v[172:173], v[106:107]
	s_waitcnt vmcnt(27)
	v_fma_f64 v[142:143], -v[144:145], v[174:175], v[142:143]
	ds_read2_b64 v[172:175], v229 offset0:15 offset1:16
	s_waitcnt vmcnt(26) lgkmcnt(2)
	v_fma_f64 v[104:105], -v[144:145], v[176:177], v[104:105]
	s_waitcnt vmcnt(25)
	v_fma_f64 v[140:141], -v[144:145], v[178:179], v[140:141]
	s_waitcnt vmcnt(24) lgkmcnt(1)
	v_fma_f64 v[102:103], -v[144:145], v[180:181], v[102:103]
	ds_read2_b64 v[176:179], v229 offset0:17 offset1:18
	s_waitcnt vmcnt(23)
	v_fma_f64 v[138:139], -v[144:145], v[182:183], v[138:139]
	ds_read2_b64 v[180:183], v229 offset0:19 offset1:20
	s_waitcnt vmcnt(22) lgkmcnt(2)
	v_fma_f64 v[100:101], -v[144:145], v[172:173], v[100:101]
	s_waitcnt vmcnt(21)
	v_fma_f64 v[136:137], -v[144:145], v[174:175], v[136:137]
	s_waitcnt vmcnt(20) lgkmcnt(1)
	v_fma_f64 v[98:99], -v[144:145], v[176:177], v[98:99]
	ds_read2_b64 v[172:175], v229 offset0:21 offset1:22
	s_waitcnt vmcnt(19)
	v_fma_f64 v[134:135], -v[144:145], v[178:179], v[134:135]
	ds_read2_b64 v[176:179], v229 offset0:23 offset1:24
	s_waitcnt vmcnt(18) lgkmcnt(2)
	v_fma_f64 v[96:97], -v[144:145], v[180:181], v[96:97]
	s_waitcnt vmcnt(17)
	v_fma_f64 v[132:133], -v[144:145], v[182:183], v[132:133]
	ds_read2_b64 v[180:183], v229 offset0:25 offset1:26
	s_waitcnt vmcnt(16) lgkmcnt(2)
	v_fma_f64 v[94:95], -v[144:145], v[172:173], v[94:95]
	s_waitcnt vmcnt(15)
	v_fma_f64 v[130:131], -v[144:145], v[174:175], v[130:131]
	ds_read2_b64 v[172:175], v229 offset0:27 offset1:28
	s_waitcnt vmcnt(14) lgkmcnt(2)
	v_fma_f64 v[92:93], -v[144:145], v[176:177], v[92:93]
	s_waitcnt vmcnt(13)
	v_fma_f64 v[128:129], -v[144:145], v[178:179], v[128:129]
	s_waitcnt vmcnt(12) lgkmcnt(1)
	v_fma_f64 v[90:91], -v[144:145], v[180:181], v[90:91]
	ds_read2_b64 v[176:179], v229 offset0:29 offset1:30
	s_waitcnt vmcnt(11)
	v_fma_f64 v[126:127], -v[144:145], v[182:183], v[126:127]
	ds_read2_b64 v[180:183], v229 offset0:31 offset1:32
	s_waitcnt vmcnt(10) lgkmcnt(2)
	v_fma_f64 v[88:89], -v[144:145], v[172:173], v[88:89]
	s_waitcnt vmcnt(9)
	v_fma_f64 v[124:125], -v[144:145], v[174:175], v[124:125]
	s_waitcnt vmcnt(8) lgkmcnt(1)
	v_fma_f64 v[86:87], -v[144:145], v[176:177], v[86:87]
	s_waitcnt vmcnt(7)
	v_fma_f64 v[122:123], -v[144:145], v[178:179], v[122:123]
	ds_read2_b64 v[172:175], v229 offset0:33 offset1:34
	ds_read2_b64 v[176:179], v229 offset0:35 offset1:36
	s_waitcnt vmcnt(6) lgkmcnt(2)
	v_fma_f64 v[84:85], -v[144:145], v[180:181], v[84:85]
	ds_read_b64 v[180:181], v229 offset:296
	s_waitcnt vmcnt(5)
	v_fma_f64 v[120:121], -v[144:145], v[182:183], v[120:121]
	s_waitcnt vmcnt(4) lgkmcnt(2)
	v_fma_f64 v[82:83], -v[144:145], v[172:173], v[82:83]
	s_waitcnt vmcnt(3)
	v_fma_f64 v[118:119], -v[144:145], v[174:175], v[118:119]
	s_waitcnt vmcnt(2) lgkmcnt(1)
	v_fma_f64 v[80:81], -v[144:145], v[176:177], v[80:81]
	;; [unrolled: 4-line block ×3, first 2 shown]
.LBB75_46:
	s_or_b64 exec, exec, s[2:3]
	v_cmp_eq_u32_e32 vcc, 9, v230
	s_waitcnt lgkmcnt(0)
	s_barrier
	s_and_saveexec_b64 s[2:3], vcc
	s_cbranch_execz .LBB75_49
; %bb.47:
	s_waitcnt vmcnt(27)
	v_mov_b32_e32 v172, v142
	v_mov_b32_e32 v173, v143
	s_waitcnt vmcnt(26)
	v_mov_b32_e32 v174, v104
	v_mov_b32_e32 v175, v105
	ds_write_b64 v228, v[106:107]
	ds_write2_b64 v229, v[172:173], v[174:175] offset0:10 offset1:11
	s_waitcnt vmcnt(25)
	v_mov_b32_e32 v172, v140
	v_mov_b32_e32 v173, v141
	s_waitcnt vmcnt(24)
	v_mov_b32_e32 v174, v102
	v_mov_b32_e32 v175, v103
	ds_write2_b64 v229, v[172:173], v[174:175] offset0:12 offset1:13
	s_waitcnt vmcnt(23)
	v_mov_b32_e32 v172, v138
	v_mov_b32_e32 v173, v139
	s_waitcnt vmcnt(22)
	v_mov_b32_e32 v174, v100
	v_mov_b32_e32 v175, v101
	;; [unrolled: 7-line block ×12, first 2 shown]
	ds_write2_b64 v229, v[172:173], v[174:175] offset0:34 offset1:35
	s_waitcnt vmcnt(1)
	v_mov_b32_e32 v172, v116
	v_mov_b32_e32 v173, v117
	s_waitcnt vmcnt(0)
	ds_write2_b64 v229, v[172:173], v[152:153] offset0:36 offset1:37
	ds_read_b64 v[172:173], v228
	s_waitcnt lgkmcnt(0)
	v_cmp_neq_f64_e32 vcc, 0, v[172:173]
	s_and_b64 exec, exec, vcc
	s_cbranch_execz .LBB75_49
; %bb.48:
	v_div_scale_f64 v[174:175], s[6:7], v[172:173], v[172:173], 1.0
	v_rcp_f64_e32 v[176:177], v[174:175]
	v_div_scale_f64 v[178:179], vcc, 1.0, v[172:173], 1.0
	v_fma_f64 v[180:181], -v[174:175], v[176:177], 1.0
	v_fmac_f64_e32 v[176:177], v[176:177], v[180:181]
	v_fma_f64 v[180:181], -v[174:175], v[176:177], 1.0
	v_fmac_f64_e32 v[176:177], v[176:177], v[180:181]
	v_mul_f64 v[180:181], v[178:179], v[176:177]
	v_fma_f64 v[174:175], -v[174:175], v[180:181], v[178:179]
	v_div_fmas_f64 v[174:175], v[174:175], v[176:177], v[180:181]
	v_div_fixup_f64 v[172:173], v[174:175], v[172:173], 1.0
	ds_write_b64 v228, v[172:173]
.LBB75_49:
	s_or_b64 exec, exec, s[2:3]
	s_waitcnt lgkmcnt(0)
	s_barrier
	ds_read_b64 v[172:173], v228
	v_cmp_lt_u32_e32 vcc, 9, v230
	s_and_saveexec_b64 s[2:3], vcc
	s_cbranch_execz .LBB75_51
; %bb.50:
	ds_read2_b64 v[174:177], v229 offset0:10 offset1:11
	ds_read2_b64 v[178:181], v229 offset0:12 offset1:13
	s_waitcnt vmcnt(28) lgkmcnt(2)
	v_mul_f64 v[106:107], v[172:173], v[106:107]
	ds_read2_b64 v[182:185], v229 offset0:14 offset1:15
	s_waitcnt vmcnt(27) lgkmcnt(2)
	v_fma_f64 v[142:143], -v[106:107], v[174:175], v[142:143]
	s_waitcnt vmcnt(26)
	v_fma_f64 v[104:105], -v[106:107], v[176:177], v[104:105]
	ds_read2_b64 v[174:177], v229 offset0:16 offset1:17
	s_waitcnt vmcnt(25) lgkmcnt(2)
	v_fma_f64 v[140:141], -v[106:107], v[178:179], v[140:141]
	s_waitcnt vmcnt(24)
	v_fma_f64 v[102:103], -v[106:107], v[180:181], v[102:103]
	;; [unrolled: 5-line block ×4, first 2 shown]
	s_waitcnt vmcnt(19) lgkmcnt(1)
	v_fma_f64 v[134:135], -v[106:107], v[178:179], v[134:135]
	ds_read2_b64 v[174:177], v229 offset0:22 offset1:23
	s_waitcnt vmcnt(18)
	v_fma_f64 v[96:97], -v[106:107], v[180:181], v[96:97]
	ds_read2_b64 v[178:181], v229 offset0:24 offset1:25
	s_waitcnt vmcnt(17) lgkmcnt(2)
	v_fma_f64 v[132:133], -v[106:107], v[182:183], v[132:133]
	s_waitcnt vmcnt(16)
	v_fma_f64 v[94:95], -v[106:107], v[184:185], v[94:95]
	s_waitcnt vmcnt(15) lgkmcnt(1)
	v_fma_f64 v[130:131], -v[106:107], v[174:175], v[130:131]
	ds_read2_b64 v[182:185], v229 offset0:26 offset1:27
	s_waitcnt vmcnt(14)
	v_fma_f64 v[92:93], -v[106:107], v[176:177], v[92:93]
	ds_read2_b64 v[174:177], v229 offset0:28 offset1:29
	s_waitcnt vmcnt(13) lgkmcnt(2)
	v_fma_f64 v[128:129], -v[106:107], v[178:179], v[128:129]
	s_waitcnt vmcnt(12)
	v_fma_f64 v[90:91], -v[106:107], v[180:181], v[90:91]
	ds_read2_b64 v[178:181], v229 offset0:30 offset1:31
	s_waitcnt vmcnt(11) lgkmcnt(2)
	v_fma_f64 v[126:127], -v[106:107], v[182:183], v[126:127]
	s_waitcnt vmcnt(10)
	v_fma_f64 v[88:89], -v[106:107], v[184:185], v[88:89]
	s_waitcnt vmcnt(9) lgkmcnt(1)
	v_fma_f64 v[124:125], -v[106:107], v[174:175], v[124:125]
	s_waitcnt vmcnt(8)
	v_fma_f64 v[86:87], -v[106:107], v[176:177], v[86:87]
	ds_read2_b64 v[174:177], v229 offset0:32 offset1:33
	s_waitcnt vmcnt(7) lgkmcnt(1)
	v_fma_f64 v[122:123], -v[106:107], v[178:179], v[122:123]
	ds_read2_b64 v[182:185], v229 offset0:34 offset1:35
	s_waitcnt vmcnt(6)
	v_fma_f64 v[84:85], -v[106:107], v[180:181], v[84:85]
	ds_read2_b64 v[178:181], v229 offset0:36 offset1:37
	s_waitcnt vmcnt(5) lgkmcnt(2)
	v_fma_f64 v[120:121], -v[106:107], v[174:175], v[120:121]
	s_waitcnt vmcnt(4)
	v_fma_f64 v[82:83], -v[106:107], v[176:177], v[82:83]
	s_waitcnt vmcnt(3) lgkmcnt(1)
	v_fma_f64 v[118:119], -v[106:107], v[182:183], v[118:119]
	s_waitcnt vmcnt(2)
	v_fma_f64 v[80:81], -v[106:107], v[184:185], v[80:81]
	;; [unrolled: 4-line block ×3, first 2 shown]
.LBB75_51:
	s_or_b64 exec, exec, s[2:3]
	v_cmp_eq_u32_e32 vcc, 10, v230
	s_waitcnt lgkmcnt(0)
	s_barrier
	s_and_saveexec_b64 s[2:3], vcc
	s_cbranch_execz .LBB75_54
; %bb.52:
	s_waitcnt vmcnt(27)
	ds_write_b64 v228, v[142:143]
	s_waitcnt vmcnt(25)
	ds_write2_b64 v229, v[104:105], v[140:141] offset0:11 offset1:12
	s_waitcnt vmcnt(23)
	ds_write2_b64 v229, v[102:103], v[138:139] offset0:13 offset1:14
	;; [unrolled: 2-line block ×13, first 2 shown]
	s_waitcnt vmcnt(0)
	ds_write_b64 v229, v[152:153] offset:296
	ds_read_b64 v[174:175], v228
	s_waitcnt lgkmcnt(0)
	v_cmp_neq_f64_e32 vcc, 0, v[174:175]
	s_and_b64 exec, exec, vcc
	s_cbranch_execz .LBB75_54
; %bb.53:
	v_div_scale_f64 v[176:177], s[6:7], v[174:175], v[174:175], 1.0
	v_rcp_f64_e32 v[178:179], v[176:177]
	v_div_scale_f64 v[180:181], vcc, 1.0, v[174:175], 1.0
	v_fma_f64 v[182:183], -v[176:177], v[178:179], 1.0
	v_fmac_f64_e32 v[178:179], v[178:179], v[182:183]
	v_fma_f64 v[182:183], -v[176:177], v[178:179], 1.0
	v_fmac_f64_e32 v[178:179], v[178:179], v[182:183]
	v_mul_f64 v[182:183], v[180:181], v[178:179]
	v_fma_f64 v[176:177], -v[176:177], v[182:183], v[180:181]
	v_div_fmas_f64 v[176:177], v[176:177], v[178:179], v[182:183]
	v_div_fixup_f64 v[174:175], v[176:177], v[174:175], 1.0
	ds_write_b64 v228, v[174:175]
.LBB75_54:
	s_or_b64 exec, exec, s[2:3]
	s_waitcnt lgkmcnt(0)
	s_barrier
	ds_read_b64 v[174:175], v228
	v_cmp_lt_u32_e32 vcc, 10, v230
	s_and_saveexec_b64 s[2:3], vcc
	s_cbranch_execz .LBB75_56
; %bb.55:
	ds_read2_b64 v[176:179], v229 offset0:11 offset1:12
	ds_read2_b64 v[180:183], v229 offset0:13 offset1:14
	s_waitcnt vmcnt(27) lgkmcnt(2)
	v_mul_f64 v[142:143], v[174:175], v[142:143]
	ds_read2_b64 v[184:187], v229 offset0:15 offset1:16
	s_waitcnt vmcnt(26) lgkmcnt(2)
	v_fma_f64 v[104:105], -v[142:143], v[176:177], v[104:105]
	s_waitcnt vmcnt(25)
	v_fma_f64 v[140:141], -v[142:143], v[178:179], v[140:141]
	ds_read2_b64 v[176:179], v229 offset0:17 offset1:18
	s_waitcnt vmcnt(24) lgkmcnt(2)
	v_fma_f64 v[102:103], -v[142:143], v[180:181], v[102:103]
	s_waitcnt vmcnt(23)
	v_fma_f64 v[138:139], -v[142:143], v[182:183], v[138:139]
	;; [unrolled: 5-line block ×4, first 2 shown]
	s_waitcnt vmcnt(18) lgkmcnt(1)
	v_fma_f64 v[96:97], -v[142:143], v[180:181], v[96:97]
	ds_read2_b64 v[176:179], v229 offset0:23 offset1:24
	s_waitcnt vmcnt(17)
	v_fma_f64 v[132:133], -v[142:143], v[182:183], v[132:133]
	ds_read2_b64 v[180:183], v229 offset0:25 offset1:26
	s_waitcnt vmcnt(16) lgkmcnt(2)
	v_fma_f64 v[94:95], -v[142:143], v[184:185], v[94:95]
	s_waitcnt vmcnt(15)
	v_fma_f64 v[130:131], -v[142:143], v[186:187], v[130:131]
	s_waitcnt vmcnt(14) lgkmcnt(1)
	v_fma_f64 v[92:93], -v[142:143], v[176:177], v[92:93]
	ds_read2_b64 v[184:187], v229 offset0:27 offset1:28
	s_waitcnt vmcnt(13)
	v_fma_f64 v[128:129], -v[142:143], v[178:179], v[128:129]
	ds_read2_b64 v[176:179], v229 offset0:29 offset1:30
	s_waitcnt vmcnt(12) lgkmcnt(2)
	v_fma_f64 v[90:91], -v[142:143], v[180:181], v[90:91]
	s_waitcnt vmcnt(11)
	v_fma_f64 v[126:127], -v[142:143], v[182:183], v[126:127]
	ds_read2_b64 v[180:183], v229 offset0:31 offset1:32
	s_waitcnt vmcnt(10) lgkmcnt(2)
	v_fma_f64 v[88:89], -v[142:143], v[184:185], v[88:89]
	s_waitcnt vmcnt(9)
	v_fma_f64 v[124:125], -v[142:143], v[186:187], v[124:125]
	s_waitcnt vmcnt(8) lgkmcnt(1)
	v_fma_f64 v[86:87], -v[142:143], v[176:177], v[86:87]
	s_waitcnt vmcnt(7)
	v_fma_f64 v[122:123], -v[142:143], v[178:179], v[122:123]
	ds_read2_b64 v[176:179], v229 offset0:33 offset1:34
	s_waitcnt vmcnt(6) lgkmcnt(1)
	v_fma_f64 v[84:85], -v[142:143], v[180:181], v[84:85]
	ds_read2_b64 v[184:187], v229 offset0:35 offset1:36
	ds_read_b64 v[180:181], v229 offset:296
	s_waitcnt vmcnt(5)
	v_fma_f64 v[120:121], -v[142:143], v[182:183], v[120:121]
	s_waitcnt vmcnt(4) lgkmcnt(2)
	v_fma_f64 v[82:83], -v[142:143], v[176:177], v[82:83]
	s_waitcnt vmcnt(3)
	v_fma_f64 v[118:119], -v[142:143], v[178:179], v[118:119]
	s_waitcnt vmcnt(2) lgkmcnt(1)
	v_fma_f64 v[80:81], -v[142:143], v[184:185], v[80:81]
	;; [unrolled: 4-line block ×3, first 2 shown]
.LBB75_56:
	s_or_b64 exec, exec, s[2:3]
	v_cmp_eq_u32_e32 vcc, 11, v230
	s_waitcnt lgkmcnt(0)
	s_barrier
	s_and_saveexec_b64 s[2:3], vcc
	s_cbranch_execz .LBB75_59
; %bb.57:
	s_waitcnt vmcnt(25)
	v_mov_b32_e32 v176, v140
	v_mov_b32_e32 v177, v141
	s_waitcnt vmcnt(24)
	v_mov_b32_e32 v178, v102
	v_mov_b32_e32 v179, v103
	ds_write_b64 v228, v[104:105]
	ds_write2_b64 v229, v[176:177], v[178:179] offset0:12 offset1:13
	s_waitcnt vmcnt(23)
	v_mov_b32_e32 v176, v138
	v_mov_b32_e32 v177, v139
	s_waitcnt vmcnt(22)
	v_mov_b32_e32 v178, v100
	v_mov_b32_e32 v179, v101
	ds_write2_b64 v229, v[176:177], v[178:179] offset0:14 offset1:15
	s_waitcnt vmcnt(21)
	v_mov_b32_e32 v176, v136
	v_mov_b32_e32 v177, v137
	s_waitcnt vmcnt(20)
	v_mov_b32_e32 v178, v98
	v_mov_b32_e32 v179, v99
	ds_write2_b64 v229, v[176:177], v[178:179] offset0:16 offset1:17
	s_waitcnt vmcnt(19)
	v_mov_b32_e32 v176, v134
	v_mov_b32_e32 v177, v135
	s_waitcnt vmcnt(18)
	v_mov_b32_e32 v178, v96
	v_mov_b32_e32 v179, v97
	ds_write2_b64 v229, v[176:177], v[178:179] offset0:18 offset1:19
	s_waitcnt vmcnt(17)
	v_mov_b32_e32 v176, v132
	v_mov_b32_e32 v177, v133
	s_waitcnt vmcnt(16)
	v_mov_b32_e32 v178, v94
	v_mov_b32_e32 v179, v95
	ds_write2_b64 v229, v[176:177], v[178:179] offset0:20 offset1:21
	s_waitcnt vmcnt(15)
	v_mov_b32_e32 v176, v130
	v_mov_b32_e32 v177, v131
	s_waitcnt vmcnt(14)
	v_mov_b32_e32 v178, v92
	v_mov_b32_e32 v179, v93
	ds_write2_b64 v229, v[176:177], v[178:179] offset0:22 offset1:23
	s_waitcnt vmcnt(13)
	v_mov_b32_e32 v176, v128
	v_mov_b32_e32 v177, v129
	s_waitcnt vmcnt(12)
	v_mov_b32_e32 v178, v90
	v_mov_b32_e32 v179, v91
	ds_write2_b64 v229, v[176:177], v[178:179] offset0:24 offset1:25
	s_waitcnt vmcnt(11)
	v_mov_b32_e32 v176, v126
	v_mov_b32_e32 v177, v127
	s_waitcnt vmcnt(10)
	v_mov_b32_e32 v178, v88
	v_mov_b32_e32 v179, v89
	ds_write2_b64 v229, v[176:177], v[178:179] offset0:26 offset1:27
	s_waitcnt vmcnt(9)
	v_mov_b32_e32 v176, v124
	v_mov_b32_e32 v177, v125
	s_waitcnt vmcnt(8)
	v_mov_b32_e32 v178, v86
	v_mov_b32_e32 v179, v87
	ds_write2_b64 v229, v[176:177], v[178:179] offset0:28 offset1:29
	s_waitcnt vmcnt(7)
	v_mov_b32_e32 v176, v122
	v_mov_b32_e32 v177, v123
	s_waitcnt vmcnt(6)
	v_mov_b32_e32 v178, v84
	v_mov_b32_e32 v179, v85
	ds_write2_b64 v229, v[176:177], v[178:179] offset0:30 offset1:31
	s_waitcnt vmcnt(5)
	v_mov_b32_e32 v176, v120
	v_mov_b32_e32 v177, v121
	s_waitcnt vmcnt(4)
	v_mov_b32_e32 v178, v82
	v_mov_b32_e32 v179, v83
	ds_write2_b64 v229, v[176:177], v[178:179] offset0:32 offset1:33
	s_waitcnt vmcnt(3)
	v_mov_b32_e32 v176, v118
	v_mov_b32_e32 v177, v119
	s_waitcnt vmcnt(2)
	v_mov_b32_e32 v178, v80
	v_mov_b32_e32 v179, v81
	ds_write2_b64 v229, v[176:177], v[178:179] offset0:34 offset1:35
	s_waitcnt vmcnt(1)
	v_mov_b32_e32 v176, v116
	v_mov_b32_e32 v177, v117
	s_waitcnt vmcnt(0)
	ds_write2_b64 v229, v[176:177], v[152:153] offset0:36 offset1:37
	ds_read_b64 v[176:177], v228
	s_waitcnt lgkmcnt(0)
	v_cmp_neq_f64_e32 vcc, 0, v[176:177]
	s_and_b64 exec, exec, vcc
	s_cbranch_execz .LBB75_59
; %bb.58:
	v_div_scale_f64 v[178:179], s[6:7], v[176:177], v[176:177], 1.0
	v_rcp_f64_e32 v[180:181], v[178:179]
	v_div_scale_f64 v[182:183], vcc, 1.0, v[176:177], 1.0
	v_fma_f64 v[184:185], -v[178:179], v[180:181], 1.0
	v_fmac_f64_e32 v[180:181], v[180:181], v[184:185]
	v_fma_f64 v[184:185], -v[178:179], v[180:181], 1.0
	v_fmac_f64_e32 v[180:181], v[180:181], v[184:185]
	v_mul_f64 v[184:185], v[182:183], v[180:181]
	v_fma_f64 v[178:179], -v[178:179], v[184:185], v[182:183]
	v_div_fmas_f64 v[178:179], v[178:179], v[180:181], v[184:185]
	v_div_fixup_f64 v[176:177], v[178:179], v[176:177], 1.0
	ds_write_b64 v228, v[176:177]
.LBB75_59:
	s_or_b64 exec, exec, s[2:3]
	s_waitcnt lgkmcnt(0)
	s_barrier
	ds_read_b64 v[176:177], v228
	v_cmp_lt_u32_e32 vcc, 11, v230
	s_and_saveexec_b64 s[2:3], vcc
	s_cbranch_execz .LBB75_61
; %bb.60:
	ds_read2_b64 v[178:181], v229 offset0:12 offset1:13
	ds_read2_b64 v[182:185], v229 offset0:14 offset1:15
	s_waitcnt vmcnt(26) lgkmcnt(2)
	v_mul_f64 v[104:105], v[176:177], v[104:105]
	ds_read2_b64 v[186:189], v229 offset0:16 offset1:17
	s_waitcnt vmcnt(25) lgkmcnt(2)
	v_fma_f64 v[140:141], -v[104:105], v[178:179], v[140:141]
	s_waitcnt vmcnt(24)
	v_fma_f64 v[102:103], -v[104:105], v[180:181], v[102:103]
	ds_read2_b64 v[178:181], v229 offset0:18 offset1:19
	s_waitcnt vmcnt(23) lgkmcnt(2)
	v_fma_f64 v[138:139], -v[104:105], v[182:183], v[138:139]
	s_waitcnt vmcnt(22)
	v_fma_f64 v[100:101], -v[104:105], v[184:185], v[100:101]
	s_waitcnt vmcnt(21) lgkmcnt(1)
	v_fma_f64 v[136:137], -v[104:105], v[186:187], v[136:137]
	ds_read2_b64 v[182:185], v229 offset0:20 offset1:21
	s_waitcnt vmcnt(20)
	v_fma_f64 v[98:99], -v[104:105], v[188:189], v[98:99]
	ds_read2_b64 v[186:189], v229 offset0:22 offset1:23
	s_waitcnt vmcnt(19) lgkmcnt(2)
	v_fma_f64 v[134:135], -v[104:105], v[178:179], v[134:135]
	s_waitcnt vmcnt(18)
	v_fma_f64 v[96:97], -v[104:105], v[180:181], v[96:97]
	ds_read2_b64 v[178:181], v229 offset0:24 offset1:25
	s_waitcnt vmcnt(17) lgkmcnt(2)
	v_fma_f64 v[132:133], -v[104:105], v[182:183], v[132:133]
	;; [unrolled: 5-line block ×3, first 2 shown]
	s_waitcnt vmcnt(14)
	v_fma_f64 v[92:93], -v[104:105], v[188:189], v[92:93]
	s_waitcnt vmcnt(13) lgkmcnt(1)
	v_fma_f64 v[128:129], -v[104:105], v[178:179], v[128:129]
	ds_read2_b64 v[186:189], v229 offset0:28 offset1:29
	s_waitcnt vmcnt(12)
	v_fma_f64 v[90:91], -v[104:105], v[180:181], v[90:91]
	ds_read2_b64 v[178:181], v229 offset0:30 offset1:31
	s_waitcnt vmcnt(11) lgkmcnt(2)
	v_fma_f64 v[126:127], -v[104:105], v[182:183], v[126:127]
	s_waitcnt vmcnt(10)
	v_fma_f64 v[88:89], -v[104:105], v[184:185], v[88:89]
	s_waitcnt vmcnt(9) lgkmcnt(1)
	v_fma_f64 v[124:125], -v[104:105], v[186:187], v[124:125]
	s_waitcnt vmcnt(8)
	v_fma_f64 v[86:87], -v[104:105], v[188:189], v[86:87]
	ds_read2_b64 v[182:185], v229 offset0:32 offset1:33
	ds_read2_b64 v[186:189], v229 offset0:34 offset1:35
	s_waitcnt vmcnt(7) lgkmcnt(2)
	v_fma_f64 v[122:123], -v[104:105], v[178:179], v[122:123]
	s_waitcnt vmcnt(6)
	v_fma_f64 v[84:85], -v[104:105], v[180:181], v[84:85]
	ds_read2_b64 v[178:181], v229 offset0:36 offset1:37
	s_waitcnt vmcnt(5) lgkmcnt(2)
	v_fma_f64 v[120:121], -v[104:105], v[182:183], v[120:121]
	s_waitcnt vmcnt(4)
	v_fma_f64 v[82:83], -v[104:105], v[184:185], v[82:83]
	s_waitcnt vmcnt(3) lgkmcnt(1)
	v_fma_f64 v[118:119], -v[104:105], v[186:187], v[118:119]
	s_waitcnt vmcnt(2)
	v_fma_f64 v[80:81], -v[104:105], v[188:189], v[80:81]
	;; [unrolled: 4-line block ×3, first 2 shown]
.LBB75_61:
	s_or_b64 exec, exec, s[2:3]
	v_cmp_eq_u32_e32 vcc, 12, v230
	s_waitcnt lgkmcnt(0)
	s_barrier
	s_and_saveexec_b64 s[2:3], vcc
	s_cbranch_execz .LBB75_64
; %bb.62:
	s_waitcnt vmcnt(25)
	ds_write_b64 v228, v[140:141]
	s_waitcnt vmcnt(23)
	ds_write2_b64 v229, v[102:103], v[138:139] offset0:13 offset1:14
	s_waitcnt vmcnt(21)
	ds_write2_b64 v229, v[100:101], v[136:137] offset0:15 offset1:16
	;; [unrolled: 2-line block ×12, first 2 shown]
	s_waitcnt vmcnt(0)
	ds_write_b64 v229, v[152:153] offset:296
	ds_read_b64 v[178:179], v228
	s_waitcnt lgkmcnt(0)
	v_cmp_neq_f64_e32 vcc, 0, v[178:179]
	s_and_b64 exec, exec, vcc
	s_cbranch_execz .LBB75_64
; %bb.63:
	v_div_scale_f64 v[180:181], s[6:7], v[178:179], v[178:179], 1.0
	v_rcp_f64_e32 v[182:183], v[180:181]
	v_div_scale_f64 v[184:185], vcc, 1.0, v[178:179], 1.0
	v_fma_f64 v[186:187], -v[180:181], v[182:183], 1.0
	v_fmac_f64_e32 v[182:183], v[182:183], v[186:187]
	v_fma_f64 v[186:187], -v[180:181], v[182:183], 1.0
	v_fmac_f64_e32 v[182:183], v[182:183], v[186:187]
	v_mul_f64 v[186:187], v[184:185], v[182:183]
	v_fma_f64 v[180:181], -v[180:181], v[186:187], v[184:185]
	v_div_fmas_f64 v[180:181], v[180:181], v[182:183], v[186:187]
	v_div_fixup_f64 v[178:179], v[180:181], v[178:179], 1.0
	ds_write_b64 v228, v[178:179]
.LBB75_64:
	s_or_b64 exec, exec, s[2:3]
	s_waitcnt lgkmcnt(0)
	s_barrier
	ds_read_b64 v[178:179], v228
	v_cmp_lt_u32_e32 vcc, 12, v230
	s_and_saveexec_b64 s[2:3], vcc
	s_cbranch_execz .LBB75_66
; %bb.65:
	ds_read2_b64 v[180:183], v229 offset0:13 offset1:14
	ds_read2_b64 v[184:187], v229 offset0:15 offset1:16
	s_waitcnt vmcnt(25) lgkmcnt(2)
	v_mul_f64 v[140:141], v[178:179], v[140:141]
	ds_read2_b64 v[188:191], v229 offset0:17 offset1:18
	s_waitcnt vmcnt(24) lgkmcnt(2)
	v_fma_f64 v[102:103], -v[140:141], v[180:181], v[102:103]
	s_waitcnt vmcnt(23)
	v_fma_f64 v[138:139], -v[140:141], v[182:183], v[138:139]
	ds_read2_b64 v[180:183], v229 offset0:19 offset1:20
	s_waitcnt vmcnt(22) lgkmcnt(2)
	v_fma_f64 v[100:101], -v[140:141], v[184:185], v[100:101]
	s_waitcnt vmcnt(21)
	v_fma_f64 v[136:137], -v[140:141], v[186:187], v[136:137]
	s_waitcnt vmcnt(20) lgkmcnt(1)
	v_fma_f64 v[98:99], -v[140:141], v[188:189], v[98:99]
	ds_read2_b64 v[184:187], v229 offset0:21 offset1:22
	s_waitcnt vmcnt(19)
	v_fma_f64 v[134:135], -v[140:141], v[190:191], v[134:135]
	ds_read2_b64 v[188:191], v229 offset0:23 offset1:24
	s_waitcnt vmcnt(18) lgkmcnt(2)
	v_fma_f64 v[96:97], -v[140:141], v[180:181], v[96:97]
	s_waitcnt vmcnt(17)
	v_fma_f64 v[132:133], -v[140:141], v[182:183], v[132:133]
	ds_read2_b64 v[180:183], v229 offset0:25 offset1:26
	s_waitcnt vmcnt(16) lgkmcnt(2)
	v_fma_f64 v[94:95], -v[140:141], v[184:185], v[94:95]
	s_waitcnt vmcnt(15)
	v_fma_f64 v[130:131], -v[140:141], v[186:187], v[130:131]
	ds_read2_b64 v[184:187], v229 offset0:27 offset1:28
	s_waitcnt vmcnt(14) lgkmcnt(2)
	v_fma_f64 v[92:93], -v[140:141], v[188:189], v[92:93]
	s_waitcnt vmcnt(13)
	v_fma_f64 v[128:129], -v[140:141], v[190:191], v[128:129]
	s_waitcnt vmcnt(12) lgkmcnt(1)
	v_fma_f64 v[90:91], -v[140:141], v[180:181], v[90:91]
	ds_read2_b64 v[188:191], v229 offset0:29 offset1:30
	s_waitcnt vmcnt(11)
	v_fma_f64 v[126:127], -v[140:141], v[182:183], v[126:127]
	ds_read2_b64 v[180:183], v229 offset0:31 offset1:32
	s_waitcnt vmcnt(10) lgkmcnt(2)
	v_fma_f64 v[88:89], -v[140:141], v[184:185], v[88:89]
	s_waitcnt vmcnt(9)
	v_fma_f64 v[124:125], -v[140:141], v[186:187], v[124:125]
	s_waitcnt vmcnt(8) lgkmcnt(1)
	v_fma_f64 v[86:87], -v[140:141], v[188:189], v[86:87]
	s_waitcnt vmcnt(7)
	v_fma_f64 v[122:123], -v[140:141], v[190:191], v[122:123]
	ds_read2_b64 v[184:187], v229 offset0:33 offset1:34
	ds_read2_b64 v[188:191], v229 offset0:35 offset1:36
	s_waitcnt vmcnt(6) lgkmcnt(2)
	v_fma_f64 v[84:85], -v[140:141], v[180:181], v[84:85]
	ds_read_b64 v[180:181], v229 offset:296
	s_waitcnt vmcnt(5)
	v_fma_f64 v[120:121], -v[140:141], v[182:183], v[120:121]
	s_waitcnt vmcnt(4) lgkmcnt(2)
	v_fma_f64 v[82:83], -v[140:141], v[184:185], v[82:83]
	s_waitcnt vmcnt(3)
	v_fma_f64 v[118:119], -v[140:141], v[186:187], v[118:119]
	s_waitcnt vmcnt(2) lgkmcnt(1)
	v_fma_f64 v[80:81], -v[140:141], v[188:189], v[80:81]
	s_waitcnt vmcnt(1)
	v_fma_f64 v[116:117], -v[140:141], v[190:191], v[116:117]
	s_waitcnt vmcnt(0) lgkmcnt(0)
	v_fma_f64 v[152:153], -v[140:141], v[180:181], v[152:153]
.LBB75_66:
	s_or_b64 exec, exec, s[2:3]
	v_cmp_eq_u32_e32 vcc, 13, v230
	s_waitcnt lgkmcnt(0)
	s_barrier
	s_and_saveexec_b64 s[2:3], vcc
	s_cbranch_execz .LBB75_69
; %bb.67:
	s_waitcnt vmcnt(23)
	v_mov_b32_e32 v180, v138
	v_mov_b32_e32 v181, v139
	s_waitcnt vmcnt(22)
	v_mov_b32_e32 v182, v100
	v_mov_b32_e32 v183, v101
	ds_write_b64 v228, v[102:103]
	ds_write2_b64 v229, v[180:181], v[182:183] offset0:14 offset1:15
	s_waitcnt vmcnt(21)
	v_mov_b32_e32 v180, v136
	v_mov_b32_e32 v181, v137
	s_waitcnt vmcnt(20)
	v_mov_b32_e32 v182, v98
	v_mov_b32_e32 v183, v99
	ds_write2_b64 v229, v[180:181], v[182:183] offset0:16 offset1:17
	s_waitcnt vmcnt(19)
	v_mov_b32_e32 v180, v134
	v_mov_b32_e32 v181, v135
	s_waitcnt vmcnt(18)
	v_mov_b32_e32 v182, v96
	v_mov_b32_e32 v183, v97
	;; [unrolled: 7-line block ×10, first 2 shown]
	ds_write2_b64 v229, v[180:181], v[182:183] offset0:34 offset1:35
	s_waitcnt vmcnt(1)
	v_mov_b32_e32 v180, v116
	v_mov_b32_e32 v181, v117
	s_waitcnt vmcnt(0)
	ds_write2_b64 v229, v[180:181], v[152:153] offset0:36 offset1:37
	ds_read_b64 v[180:181], v228
	s_waitcnt lgkmcnt(0)
	v_cmp_neq_f64_e32 vcc, 0, v[180:181]
	s_and_b64 exec, exec, vcc
	s_cbranch_execz .LBB75_69
; %bb.68:
	v_div_scale_f64 v[182:183], s[6:7], v[180:181], v[180:181], 1.0
	v_rcp_f64_e32 v[184:185], v[182:183]
	v_div_scale_f64 v[186:187], vcc, 1.0, v[180:181], 1.0
	v_fma_f64 v[188:189], -v[182:183], v[184:185], 1.0
	v_fmac_f64_e32 v[184:185], v[184:185], v[188:189]
	v_fma_f64 v[188:189], -v[182:183], v[184:185], 1.0
	v_fmac_f64_e32 v[184:185], v[184:185], v[188:189]
	v_mul_f64 v[188:189], v[186:187], v[184:185]
	v_fma_f64 v[182:183], -v[182:183], v[188:189], v[186:187]
	v_div_fmas_f64 v[182:183], v[182:183], v[184:185], v[188:189]
	v_div_fixup_f64 v[180:181], v[182:183], v[180:181], 1.0
	ds_write_b64 v228, v[180:181]
.LBB75_69:
	s_or_b64 exec, exec, s[2:3]
	s_waitcnt lgkmcnt(0)
	s_barrier
	ds_read_b64 v[180:181], v228
	v_cmp_lt_u32_e32 vcc, 13, v230
	s_and_saveexec_b64 s[2:3], vcc
	s_cbranch_execz .LBB75_71
; %bb.70:
	ds_read2_b64 v[182:185], v229 offset0:14 offset1:15
	ds_read2_b64 v[186:189], v229 offset0:16 offset1:17
	;; [unrolled: 1-line block ×3, first 2 shown]
	s_waitcnt vmcnt(24) lgkmcnt(3)
	v_mul_f64 v[102:103], v[180:181], v[102:103]
	s_waitcnt vmcnt(23) lgkmcnt(2)
	v_fma_f64 v[138:139], -v[102:103], v[182:183], v[138:139]
	s_waitcnt vmcnt(22)
	v_fma_f64 v[100:101], -v[102:103], v[184:185], v[100:101]
	ds_read2_b64 v[182:185], v229 offset0:20 offset1:21
	s_waitcnt vmcnt(21) lgkmcnt(2)
	v_fma_f64 v[136:137], -v[102:103], v[186:187], v[136:137]
	s_waitcnt vmcnt(20)
	v_fma_f64 v[98:99], -v[102:103], v[188:189], v[98:99]
	s_waitcnt vmcnt(19) lgkmcnt(1)
	v_fma_f64 v[134:135], -v[102:103], v[190:191], v[134:135]
	ds_read2_b64 v[186:189], v229 offset0:22 offset1:23
	s_waitcnt vmcnt(18)
	v_fma_f64 v[96:97], -v[102:103], v[192:193], v[96:97]
	ds_read2_b64 v[190:193], v229 offset0:24 offset1:25
	s_waitcnt vmcnt(17) lgkmcnt(2)
	v_fma_f64 v[132:133], -v[102:103], v[182:183], v[132:133]
	s_waitcnt vmcnt(16)
	v_fma_f64 v[94:95], -v[102:103], v[184:185], v[94:95]
	s_waitcnt vmcnt(15) lgkmcnt(1)
	v_fma_f64 v[130:131], -v[102:103], v[186:187], v[130:131]
	ds_read2_b64 v[182:185], v229 offset0:26 offset1:27
	s_waitcnt vmcnt(14)
	v_fma_f64 v[92:93], -v[102:103], v[188:189], v[92:93]
	ds_read2_b64 v[186:189], v229 offset0:28 offset1:29
	s_waitcnt vmcnt(13) lgkmcnt(2)
	v_fma_f64 v[128:129], -v[102:103], v[190:191], v[128:129]
	s_waitcnt vmcnt(12)
	v_fma_f64 v[90:91], -v[102:103], v[192:193], v[90:91]
	ds_read2_b64 v[190:193], v229 offset0:30 offset1:31
	s_waitcnt vmcnt(11) lgkmcnt(2)
	v_fma_f64 v[126:127], -v[102:103], v[182:183], v[126:127]
	;; [unrolled: 5-line block ×3, first 2 shown]
	s_waitcnt vmcnt(8)
	v_fma_f64 v[86:87], -v[102:103], v[188:189], v[86:87]
	s_waitcnt vmcnt(7) lgkmcnt(1)
	v_fma_f64 v[122:123], -v[102:103], v[190:191], v[122:123]
	ds_read2_b64 v[186:189], v229 offset0:34 offset1:35
	s_waitcnt vmcnt(6)
	v_fma_f64 v[84:85], -v[102:103], v[192:193], v[84:85]
	ds_read2_b64 v[190:193], v229 offset0:36 offset1:37
	s_waitcnt vmcnt(5) lgkmcnt(2)
	v_fma_f64 v[120:121], -v[102:103], v[182:183], v[120:121]
	s_waitcnt vmcnt(4)
	v_fma_f64 v[82:83], -v[102:103], v[184:185], v[82:83]
	s_waitcnt vmcnt(3) lgkmcnt(1)
	v_fma_f64 v[118:119], -v[102:103], v[186:187], v[118:119]
	s_waitcnt vmcnt(2)
	v_fma_f64 v[80:81], -v[102:103], v[188:189], v[80:81]
	s_waitcnt vmcnt(1) lgkmcnt(0)
	v_fma_f64 v[116:117], -v[102:103], v[190:191], v[116:117]
	s_waitcnt vmcnt(0)
	v_fma_f64 v[152:153], -v[102:103], v[192:193], v[152:153]
.LBB75_71:
	s_or_b64 exec, exec, s[2:3]
	v_cmp_eq_u32_e32 vcc, 14, v230
	s_waitcnt lgkmcnt(0)
	s_barrier
	s_and_saveexec_b64 s[2:3], vcc
	s_cbranch_execz .LBB75_74
; %bb.72:
	s_waitcnt vmcnt(23)
	ds_write_b64 v228, v[138:139]
	s_waitcnt vmcnt(21)
	ds_write2_b64 v229, v[100:101], v[136:137] offset0:15 offset1:16
	s_waitcnt vmcnt(19)
	ds_write2_b64 v229, v[98:99], v[134:135] offset0:17 offset1:18
	;; [unrolled: 2-line block ×11, first 2 shown]
	s_waitcnt vmcnt(0)
	ds_write_b64 v229, v[152:153] offset:296
	ds_read_b64 v[182:183], v228
	s_waitcnt lgkmcnt(0)
	v_cmp_neq_f64_e32 vcc, 0, v[182:183]
	s_and_b64 exec, exec, vcc
	s_cbranch_execz .LBB75_74
; %bb.73:
	v_div_scale_f64 v[184:185], s[6:7], v[182:183], v[182:183], 1.0
	v_rcp_f64_e32 v[186:187], v[184:185]
	v_div_scale_f64 v[188:189], vcc, 1.0, v[182:183], 1.0
	v_fma_f64 v[190:191], -v[184:185], v[186:187], 1.0
	v_fmac_f64_e32 v[186:187], v[186:187], v[190:191]
	v_fma_f64 v[190:191], -v[184:185], v[186:187], 1.0
	v_fmac_f64_e32 v[186:187], v[186:187], v[190:191]
	v_mul_f64 v[190:191], v[188:189], v[186:187]
	v_fma_f64 v[184:185], -v[184:185], v[190:191], v[188:189]
	v_div_fmas_f64 v[184:185], v[184:185], v[186:187], v[190:191]
	v_div_fixup_f64 v[182:183], v[184:185], v[182:183], 1.0
	ds_write_b64 v228, v[182:183]
.LBB75_74:
	s_or_b64 exec, exec, s[2:3]
	s_waitcnt lgkmcnt(0)
	s_barrier
	ds_read_b64 v[182:183], v228
	v_cmp_lt_u32_e32 vcc, 14, v230
	s_and_saveexec_b64 s[2:3], vcc
	s_cbranch_execz .LBB75_76
; %bb.75:
	ds_read2_b64 v[184:187], v229 offset0:15 offset1:16
	ds_read2_b64 v[188:191], v229 offset0:17 offset1:18
	;; [unrolled: 1-line block ×3, first 2 shown]
	s_waitcnt vmcnt(23) lgkmcnt(3)
	v_mul_f64 v[138:139], v[182:183], v[138:139]
	s_waitcnt vmcnt(22) lgkmcnt(2)
	v_fma_f64 v[100:101], -v[138:139], v[184:185], v[100:101]
	s_waitcnt vmcnt(21)
	v_fma_f64 v[136:137], -v[138:139], v[186:187], v[136:137]
	ds_read2_b64 v[184:187], v229 offset0:21 offset1:22
	s_waitcnt vmcnt(20) lgkmcnt(2)
	v_fma_f64 v[98:99], -v[138:139], v[188:189], v[98:99]
	s_waitcnt vmcnt(19)
	v_fma_f64 v[134:135], -v[138:139], v[190:191], v[134:135]
	s_waitcnt vmcnt(18) lgkmcnt(1)
	v_fma_f64 v[96:97], -v[138:139], v[192:193], v[96:97]
	ds_read2_b64 v[188:191], v229 offset0:23 offset1:24
	s_waitcnt vmcnt(17)
	v_fma_f64 v[132:133], -v[138:139], v[194:195], v[132:133]
	ds_read2_b64 v[192:195], v229 offset0:25 offset1:26
	s_waitcnt vmcnt(16) lgkmcnt(2)
	v_fma_f64 v[94:95], -v[138:139], v[184:185], v[94:95]
	s_waitcnt vmcnt(15)
	v_fma_f64 v[130:131], -v[138:139], v[186:187], v[130:131]
	s_waitcnt vmcnt(14) lgkmcnt(1)
	v_fma_f64 v[92:93], -v[138:139], v[188:189], v[92:93]
	ds_read2_b64 v[184:187], v229 offset0:27 offset1:28
	s_waitcnt vmcnt(13)
	v_fma_f64 v[128:129], -v[138:139], v[190:191], v[128:129]
	ds_read2_b64 v[188:191], v229 offset0:29 offset1:30
	s_waitcnt vmcnt(12) lgkmcnt(2)
	v_fma_f64 v[90:91], -v[138:139], v[192:193], v[90:91]
	s_waitcnt vmcnt(11)
	v_fma_f64 v[126:127], -v[138:139], v[194:195], v[126:127]
	ds_read2_b64 v[192:195], v229 offset0:31 offset1:32
	s_waitcnt vmcnt(10) lgkmcnt(2)
	v_fma_f64 v[88:89], -v[138:139], v[184:185], v[88:89]
	;; [unrolled: 5-line block ×3, first 2 shown]
	s_waitcnt vmcnt(7)
	v_fma_f64 v[122:123], -v[138:139], v[190:191], v[122:123]
	s_waitcnt vmcnt(6) lgkmcnt(1)
	v_fma_f64 v[84:85], -v[138:139], v[192:193], v[84:85]
	ds_read2_b64 v[188:191], v229 offset0:35 offset1:36
	ds_read_b64 v[192:193], v229 offset:296
	s_waitcnt vmcnt(5)
	v_fma_f64 v[120:121], -v[138:139], v[194:195], v[120:121]
	s_waitcnt vmcnt(4) lgkmcnt(2)
	v_fma_f64 v[82:83], -v[138:139], v[184:185], v[82:83]
	s_waitcnt vmcnt(3)
	v_fma_f64 v[118:119], -v[138:139], v[186:187], v[118:119]
	s_waitcnt vmcnt(2) lgkmcnt(1)
	v_fma_f64 v[80:81], -v[138:139], v[188:189], v[80:81]
	;; [unrolled: 4-line block ×3, first 2 shown]
.LBB75_76:
	s_or_b64 exec, exec, s[2:3]
	v_cmp_eq_u32_e32 vcc, 15, v230
	s_waitcnt lgkmcnt(0)
	s_barrier
	s_and_saveexec_b64 s[2:3], vcc
	s_cbranch_execz .LBB75_79
; %bb.77:
	s_waitcnt vmcnt(21)
	v_mov_b32_e32 v184, v136
	v_mov_b32_e32 v185, v137
	s_waitcnt vmcnt(20)
	v_mov_b32_e32 v186, v98
	v_mov_b32_e32 v187, v99
	ds_write_b64 v228, v[100:101]
	ds_write2_b64 v229, v[184:185], v[186:187] offset0:16 offset1:17
	s_waitcnt vmcnt(19)
	v_mov_b32_e32 v184, v134
	v_mov_b32_e32 v185, v135
	s_waitcnt vmcnt(18)
	v_mov_b32_e32 v186, v96
	v_mov_b32_e32 v187, v97
	ds_write2_b64 v229, v[184:185], v[186:187] offset0:18 offset1:19
	s_waitcnt vmcnt(17)
	v_mov_b32_e32 v184, v132
	v_mov_b32_e32 v185, v133
	s_waitcnt vmcnt(16)
	v_mov_b32_e32 v186, v94
	v_mov_b32_e32 v187, v95
	;; [unrolled: 7-line block ×9, first 2 shown]
	ds_write2_b64 v229, v[184:185], v[186:187] offset0:34 offset1:35
	s_waitcnt vmcnt(1)
	v_mov_b32_e32 v184, v116
	v_mov_b32_e32 v185, v117
	s_waitcnt vmcnt(0)
	ds_write2_b64 v229, v[184:185], v[152:153] offset0:36 offset1:37
	ds_read_b64 v[184:185], v228
	s_waitcnt lgkmcnt(0)
	v_cmp_neq_f64_e32 vcc, 0, v[184:185]
	s_and_b64 exec, exec, vcc
	s_cbranch_execz .LBB75_79
; %bb.78:
	v_div_scale_f64 v[186:187], s[6:7], v[184:185], v[184:185], 1.0
	v_rcp_f64_e32 v[188:189], v[186:187]
	v_div_scale_f64 v[190:191], vcc, 1.0, v[184:185], 1.0
	v_fma_f64 v[192:193], -v[186:187], v[188:189], 1.0
	v_fmac_f64_e32 v[188:189], v[188:189], v[192:193]
	v_fma_f64 v[192:193], -v[186:187], v[188:189], 1.0
	v_fmac_f64_e32 v[188:189], v[188:189], v[192:193]
	v_mul_f64 v[192:193], v[190:191], v[188:189]
	v_fma_f64 v[186:187], -v[186:187], v[192:193], v[190:191]
	v_div_fmas_f64 v[186:187], v[186:187], v[188:189], v[192:193]
	v_div_fixup_f64 v[184:185], v[186:187], v[184:185], 1.0
	ds_write_b64 v228, v[184:185]
.LBB75_79:
	s_or_b64 exec, exec, s[2:3]
	s_waitcnt lgkmcnt(0)
	s_barrier
	ds_read_b64 v[184:185], v228
	v_cmp_lt_u32_e32 vcc, 15, v230
	s_and_saveexec_b64 s[2:3], vcc
	s_cbranch_execz .LBB75_81
; %bb.80:
	ds_read2_b64 v[186:189], v229 offset0:16 offset1:17
	ds_read2_b64 v[190:193], v229 offset0:18 offset1:19
	s_waitcnt vmcnt(22) lgkmcnt(2)
	v_mul_f64 v[100:101], v[184:185], v[100:101]
	ds_read2_b64 v[194:197], v229 offset0:20 offset1:21
	s_waitcnt vmcnt(21) lgkmcnt(2)
	v_fma_f64 v[136:137], -v[100:101], v[186:187], v[136:137]
	s_waitcnt vmcnt(20)
	v_fma_f64 v[98:99], -v[100:101], v[188:189], v[98:99]
	ds_read2_b64 v[186:189], v229 offset0:22 offset1:23
	s_waitcnt vmcnt(19) lgkmcnt(2)
	v_fma_f64 v[134:135], -v[100:101], v[190:191], v[134:135]
	s_waitcnt vmcnt(18)
	v_fma_f64 v[96:97], -v[100:101], v[192:193], v[96:97]
	;; [unrolled: 5-line block ×4, first 2 shown]
	s_waitcnt vmcnt(13) lgkmcnt(1)
	v_fma_f64 v[128:129], -v[100:101], v[190:191], v[128:129]
	ds_read2_b64 v[186:189], v229 offset0:28 offset1:29
	s_waitcnt vmcnt(12)
	v_fma_f64 v[90:91], -v[100:101], v[192:193], v[90:91]
	ds_read2_b64 v[190:193], v229 offset0:30 offset1:31
	s_waitcnt vmcnt(11) lgkmcnt(2)
	v_fma_f64 v[126:127], -v[100:101], v[194:195], v[126:127]
	s_waitcnt vmcnt(10)
	v_fma_f64 v[88:89], -v[100:101], v[196:197], v[88:89]
	s_waitcnt vmcnt(9) lgkmcnt(1)
	v_fma_f64 v[124:125], -v[100:101], v[186:187], v[124:125]
	s_waitcnt vmcnt(8)
	v_fma_f64 v[86:87], -v[100:101], v[188:189], v[86:87]
	ds_read2_b64 v[186:189], v229 offset0:32 offset1:33
	ds_read2_b64 v[194:197], v229 offset0:34 offset1:35
	s_waitcnt vmcnt(7) lgkmcnt(2)
	v_fma_f64 v[122:123], -v[100:101], v[190:191], v[122:123]
	s_waitcnt vmcnt(6)
	v_fma_f64 v[84:85], -v[100:101], v[192:193], v[84:85]
	ds_read2_b64 v[190:193], v229 offset0:36 offset1:37
	s_waitcnt vmcnt(5) lgkmcnt(2)
	v_fma_f64 v[120:121], -v[100:101], v[186:187], v[120:121]
	s_waitcnt vmcnt(4)
	v_fma_f64 v[82:83], -v[100:101], v[188:189], v[82:83]
	s_waitcnt vmcnt(3) lgkmcnt(1)
	v_fma_f64 v[118:119], -v[100:101], v[194:195], v[118:119]
	s_waitcnt vmcnt(2)
	v_fma_f64 v[80:81], -v[100:101], v[196:197], v[80:81]
	s_waitcnt vmcnt(1) lgkmcnt(0)
	v_fma_f64 v[116:117], -v[100:101], v[190:191], v[116:117]
	s_waitcnt vmcnt(0)
	v_fma_f64 v[152:153], -v[100:101], v[192:193], v[152:153]
.LBB75_81:
	s_or_b64 exec, exec, s[2:3]
	v_cmp_eq_u32_e32 vcc, 16, v230
	s_waitcnt lgkmcnt(0)
	s_barrier
	s_and_saveexec_b64 s[2:3], vcc
	s_cbranch_execz .LBB75_84
; %bb.82:
	s_waitcnt vmcnt(21)
	ds_write_b64 v228, v[136:137]
	s_waitcnt vmcnt(19)
	ds_write2_b64 v229, v[98:99], v[134:135] offset0:17 offset1:18
	s_waitcnt vmcnt(17)
	ds_write2_b64 v229, v[96:97], v[132:133] offset0:19 offset1:20
	;; [unrolled: 2-line block ×10, first 2 shown]
	s_waitcnt vmcnt(0)
	ds_write_b64 v229, v[152:153] offset:296
	ds_read_b64 v[186:187], v228
	s_waitcnt lgkmcnt(0)
	v_cmp_neq_f64_e32 vcc, 0, v[186:187]
	s_and_b64 exec, exec, vcc
	s_cbranch_execz .LBB75_84
; %bb.83:
	v_div_scale_f64 v[188:189], s[6:7], v[186:187], v[186:187], 1.0
	v_rcp_f64_e32 v[190:191], v[188:189]
	v_div_scale_f64 v[192:193], vcc, 1.0, v[186:187], 1.0
	v_fma_f64 v[194:195], -v[188:189], v[190:191], 1.0
	v_fmac_f64_e32 v[190:191], v[190:191], v[194:195]
	v_fma_f64 v[194:195], -v[188:189], v[190:191], 1.0
	v_fmac_f64_e32 v[190:191], v[190:191], v[194:195]
	v_mul_f64 v[194:195], v[192:193], v[190:191]
	v_fma_f64 v[188:189], -v[188:189], v[194:195], v[192:193]
	v_div_fmas_f64 v[188:189], v[188:189], v[190:191], v[194:195]
	v_div_fixup_f64 v[186:187], v[188:189], v[186:187], 1.0
	ds_write_b64 v228, v[186:187]
.LBB75_84:
	s_or_b64 exec, exec, s[2:3]
	s_waitcnt lgkmcnt(0)
	s_barrier
	ds_read_b64 v[186:187], v228
	v_cmp_lt_u32_e32 vcc, 16, v230
	s_and_saveexec_b64 s[2:3], vcc
	s_cbranch_execz .LBB75_86
; %bb.85:
	ds_read2_b64 v[188:191], v229 offset0:17 offset1:18
	ds_read2_b64 v[192:195], v229 offset0:19 offset1:20
	s_waitcnt vmcnt(21) lgkmcnt(2)
	v_mul_f64 v[136:137], v[186:187], v[136:137]
	ds_read2_b64 v[196:199], v229 offset0:21 offset1:22
	s_waitcnt vmcnt(20) lgkmcnt(2)
	v_fma_f64 v[98:99], -v[136:137], v[188:189], v[98:99]
	s_waitcnt vmcnt(19)
	v_fma_f64 v[134:135], -v[136:137], v[190:191], v[134:135]
	ds_read2_b64 v[188:191], v229 offset0:23 offset1:24
	s_waitcnt vmcnt(18) lgkmcnt(2)
	v_fma_f64 v[96:97], -v[136:137], v[192:193], v[96:97]
	s_waitcnt vmcnt(17)
	v_fma_f64 v[132:133], -v[136:137], v[194:195], v[132:133]
	;; [unrolled: 5-line block ×4, first 2 shown]
	s_waitcnt vmcnt(12) lgkmcnt(1)
	v_fma_f64 v[90:91], -v[136:137], v[192:193], v[90:91]
	ds_read2_b64 v[188:191], v229 offset0:29 offset1:30
	s_waitcnt vmcnt(11)
	v_fma_f64 v[126:127], -v[136:137], v[194:195], v[126:127]
	ds_read2_b64 v[192:195], v229 offset0:31 offset1:32
	s_waitcnt vmcnt(10) lgkmcnt(2)
	v_fma_f64 v[88:89], -v[136:137], v[196:197], v[88:89]
	s_waitcnt vmcnt(9)
	v_fma_f64 v[124:125], -v[136:137], v[198:199], v[124:125]
	s_waitcnt vmcnt(8) lgkmcnt(1)
	v_fma_f64 v[86:87], -v[136:137], v[188:189], v[86:87]
	s_waitcnt vmcnt(7)
	v_fma_f64 v[122:123], -v[136:137], v[190:191], v[122:123]
	ds_read2_b64 v[188:191], v229 offset0:33 offset1:34
	ds_read2_b64 v[196:199], v229 offset0:35 offset1:36
	s_waitcnt vmcnt(6) lgkmcnt(2)
	v_fma_f64 v[84:85], -v[136:137], v[192:193], v[84:85]
	ds_read_b64 v[192:193], v229 offset:296
	s_waitcnt vmcnt(5)
	v_fma_f64 v[120:121], -v[136:137], v[194:195], v[120:121]
	s_waitcnt vmcnt(4) lgkmcnt(2)
	v_fma_f64 v[82:83], -v[136:137], v[188:189], v[82:83]
	s_waitcnt vmcnt(3)
	v_fma_f64 v[118:119], -v[136:137], v[190:191], v[118:119]
	s_waitcnt vmcnt(2) lgkmcnt(1)
	v_fma_f64 v[80:81], -v[136:137], v[196:197], v[80:81]
	;; [unrolled: 4-line block ×3, first 2 shown]
.LBB75_86:
	s_or_b64 exec, exec, s[2:3]
	v_cmp_eq_u32_e32 vcc, 17, v230
	s_waitcnt lgkmcnt(0)
	s_barrier
	s_and_saveexec_b64 s[2:3], vcc
	s_cbranch_execz .LBB75_89
; %bb.87:
	s_waitcnt vmcnt(19)
	v_mov_b32_e32 v188, v134
	v_mov_b32_e32 v189, v135
	s_waitcnt vmcnt(18)
	v_mov_b32_e32 v190, v96
	v_mov_b32_e32 v191, v97
	ds_write_b64 v228, v[98:99]
	ds_write2_b64 v229, v[188:189], v[190:191] offset0:18 offset1:19
	s_waitcnt vmcnt(17)
	v_mov_b32_e32 v188, v132
	v_mov_b32_e32 v189, v133
	s_waitcnt vmcnt(16)
	v_mov_b32_e32 v190, v94
	v_mov_b32_e32 v191, v95
	ds_write2_b64 v229, v[188:189], v[190:191] offset0:20 offset1:21
	s_waitcnt vmcnt(15)
	v_mov_b32_e32 v188, v130
	v_mov_b32_e32 v189, v131
	s_waitcnt vmcnt(14)
	v_mov_b32_e32 v190, v92
	v_mov_b32_e32 v191, v93
	ds_write2_b64 v229, v[188:189], v[190:191] offset0:22 offset1:23
	s_waitcnt vmcnt(13)
	v_mov_b32_e32 v188, v128
	v_mov_b32_e32 v189, v129
	s_waitcnt vmcnt(12)
	v_mov_b32_e32 v190, v90
	v_mov_b32_e32 v191, v91
	ds_write2_b64 v229, v[188:189], v[190:191] offset0:24 offset1:25
	s_waitcnt vmcnt(11)
	v_mov_b32_e32 v188, v126
	v_mov_b32_e32 v189, v127
	s_waitcnt vmcnt(10)
	v_mov_b32_e32 v190, v88
	v_mov_b32_e32 v191, v89
	ds_write2_b64 v229, v[188:189], v[190:191] offset0:26 offset1:27
	s_waitcnt vmcnt(9)
	v_mov_b32_e32 v188, v124
	v_mov_b32_e32 v189, v125
	s_waitcnt vmcnt(8)
	v_mov_b32_e32 v190, v86
	v_mov_b32_e32 v191, v87
	ds_write2_b64 v229, v[188:189], v[190:191] offset0:28 offset1:29
	s_waitcnt vmcnt(7)
	v_mov_b32_e32 v188, v122
	v_mov_b32_e32 v189, v123
	s_waitcnt vmcnt(6)
	v_mov_b32_e32 v190, v84
	v_mov_b32_e32 v191, v85
	ds_write2_b64 v229, v[188:189], v[190:191] offset0:30 offset1:31
	s_waitcnt vmcnt(5)
	v_mov_b32_e32 v188, v120
	v_mov_b32_e32 v189, v121
	s_waitcnt vmcnt(4)
	v_mov_b32_e32 v190, v82
	v_mov_b32_e32 v191, v83
	ds_write2_b64 v229, v[188:189], v[190:191] offset0:32 offset1:33
	s_waitcnt vmcnt(3)
	v_mov_b32_e32 v188, v118
	v_mov_b32_e32 v189, v119
	s_waitcnt vmcnt(2)
	v_mov_b32_e32 v190, v80
	v_mov_b32_e32 v191, v81
	ds_write2_b64 v229, v[188:189], v[190:191] offset0:34 offset1:35
	s_waitcnt vmcnt(1)
	v_mov_b32_e32 v188, v116
	v_mov_b32_e32 v189, v117
	s_waitcnt vmcnt(0)
	ds_write2_b64 v229, v[188:189], v[152:153] offset0:36 offset1:37
	ds_read_b64 v[188:189], v228
	s_waitcnt lgkmcnt(0)
	v_cmp_neq_f64_e32 vcc, 0, v[188:189]
	s_and_b64 exec, exec, vcc
	s_cbranch_execz .LBB75_89
; %bb.88:
	v_div_scale_f64 v[190:191], s[6:7], v[188:189], v[188:189], 1.0
	v_rcp_f64_e32 v[192:193], v[190:191]
	v_div_scale_f64 v[194:195], vcc, 1.0, v[188:189], 1.0
	v_fma_f64 v[196:197], -v[190:191], v[192:193], 1.0
	v_fmac_f64_e32 v[192:193], v[192:193], v[196:197]
	v_fma_f64 v[196:197], -v[190:191], v[192:193], 1.0
	v_fmac_f64_e32 v[192:193], v[192:193], v[196:197]
	v_mul_f64 v[196:197], v[194:195], v[192:193]
	v_fma_f64 v[190:191], -v[190:191], v[196:197], v[194:195]
	v_div_fmas_f64 v[190:191], v[190:191], v[192:193], v[196:197]
	v_div_fixup_f64 v[188:189], v[190:191], v[188:189], 1.0
	ds_write_b64 v228, v[188:189]
.LBB75_89:
	s_or_b64 exec, exec, s[2:3]
	s_waitcnt lgkmcnt(0)
	s_barrier
	ds_read_b64 v[188:189], v228
	v_cmp_lt_u32_e32 vcc, 17, v230
	s_and_saveexec_b64 s[2:3], vcc
	s_cbranch_execz .LBB75_91
; %bb.90:
	ds_read2_b64 v[190:193], v229 offset0:18 offset1:19
	ds_read2_b64 v[194:197], v229 offset0:20 offset1:21
	s_waitcnt vmcnt(20) lgkmcnt(2)
	v_mul_f64 v[98:99], v[188:189], v[98:99]
	ds_read2_b64 v[198:201], v229 offset0:22 offset1:23
	s_waitcnt vmcnt(19) lgkmcnt(2)
	v_fma_f64 v[134:135], -v[98:99], v[190:191], v[134:135]
	s_waitcnt vmcnt(18)
	v_fma_f64 v[96:97], -v[98:99], v[192:193], v[96:97]
	ds_read2_b64 v[190:193], v229 offset0:24 offset1:25
	s_waitcnt vmcnt(17) lgkmcnt(2)
	v_fma_f64 v[132:133], -v[98:99], v[194:195], v[132:133]
	s_waitcnt vmcnt(16)
	v_fma_f64 v[94:95], -v[98:99], v[196:197], v[94:95]
	s_waitcnt vmcnt(15) lgkmcnt(1)
	v_fma_f64 v[130:131], -v[98:99], v[198:199], v[130:131]
	ds_read2_b64 v[194:197], v229 offset0:26 offset1:27
	s_waitcnt vmcnt(14)
	v_fma_f64 v[92:93], -v[98:99], v[200:201], v[92:93]
	ds_read2_b64 v[198:201], v229 offset0:28 offset1:29
	s_waitcnt vmcnt(13) lgkmcnt(2)
	v_fma_f64 v[128:129], -v[98:99], v[190:191], v[128:129]
	s_waitcnt vmcnt(12)
	v_fma_f64 v[90:91], -v[98:99], v[192:193], v[90:91]
	ds_read2_b64 v[190:193], v229 offset0:30 offset1:31
	s_waitcnt vmcnt(11) lgkmcnt(2)
	v_fma_f64 v[126:127], -v[98:99], v[194:195], v[126:127]
	;; [unrolled: 5-line block ×3, first 2 shown]
	s_waitcnt vmcnt(8)
	v_fma_f64 v[86:87], -v[98:99], v[200:201], v[86:87]
	s_waitcnt vmcnt(7) lgkmcnt(1)
	v_fma_f64 v[122:123], -v[98:99], v[190:191], v[122:123]
	ds_read2_b64 v[198:201], v229 offset0:34 offset1:35
	s_waitcnt vmcnt(6)
	v_fma_f64 v[84:85], -v[98:99], v[192:193], v[84:85]
	ds_read2_b64 v[190:193], v229 offset0:36 offset1:37
	s_waitcnt vmcnt(5) lgkmcnt(2)
	v_fma_f64 v[120:121], -v[98:99], v[194:195], v[120:121]
	s_waitcnt vmcnt(4)
	v_fma_f64 v[82:83], -v[98:99], v[196:197], v[82:83]
	s_waitcnt vmcnt(3) lgkmcnt(1)
	v_fma_f64 v[118:119], -v[98:99], v[198:199], v[118:119]
	s_waitcnt vmcnt(2)
	v_fma_f64 v[80:81], -v[98:99], v[200:201], v[80:81]
	;; [unrolled: 4-line block ×3, first 2 shown]
.LBB75_91:
	s_or_b64 exec, exec, s[2:3]
	v_cmp_eq_u32_e32 vcc, 18, v230
	s_waitcnt lgkmcnt(0)
	s_barrier
	s_and_saveexec_b64 s[2:3], vcc
	s_cbranch_execz .LBB75_94
; %bb.92:
	s_waitcnt vmcnt(19)
	ds_write_b64 v228, v[134:135]
	s_waitcnt vmcnt(17)
	ds_write2_b64 v229, v[96:97], v[132:133] offset0:19 offset1:20
	s_waitcnt vmcnt(15)
	ds_write2_b64 v229, v[94:95], v[130:131] offset0:21 offset1:22
	;; [unrolled: 2-line block ×9, first 2 shown]
	s_waitcnt vmcnt(0)
	ds_write_b64 v229, v[152:153] offset:296
	ds_read_b64 v[190:191], v228
	s_waitcnt lgkmcnt(0)
	v_cmp_neq_f64_e32 vcc, 0, v[190:191]
	s_and_b64 exec, exec, vcc
	s_cbranch_execz .LBB75_94
; %bb.93:
	v_div_scale_f64 v[192:193], s[6:7], v[190:191], v[190:191], 1.0
	v_rcp_f64_e32 v[194:195], v[192:193]
	v_div_scale_f64 v[196:197], vcc, 1.0, v[190:191], 1.0
	v_fma_f64 v[198:199], -v[192:193], v[194:195], 1.0
	v_fmac_f64_e32 v[194:195], v[194:195], v[198:199]
	v_fma_f64 v[198:199], -v[192:193], v[194:195], 1.0
	v_fmac_f64_e32 v[194:195], v[194:195], v[198:199]
	v_mul_f64 v[198:199], v[196:197], v[194:195]
	v_fma_f64 v[192:193], -v[192:193], v[198:199], v[196:197]
	v_div_fmas_f64 v[192:193], v[192:193], v[194:195], v[198:199]
	v_div_fixup_f64 v[190:191], v[192:193], v[190:191], 1.0
	ds_write_b64 v228, v[190:191]
.LBB75_94:
	s_or_b64 exec, exec, s[2:3]
	s_waitcnt lgkmcnt(0)
	s_barrier
	ds_read_b64 v[190:191], v228
	v_cmp_lt_u32_e32 vcc, 18, v230
	s_and_saveexec_b64 s[2:3], vcc
	s_cbranch_execz .LBB75_96
; %bb.95:
	ds_read2_b64 v[192:195], v229 offset0:19 offset1:20
	ds_read2_b64 v[196:199], v229 offset0:21 offset1:22
	s_waitcnt vmcnt(19) lgkmcnt(2)
	v_mul_f64 v[134:135], v[190:191], v[134:135]
	ds_read2_b64 v[200:203], v229 offset0:23 offset1:24
	s_waitcnt vmcnt(18) lgkmcnt(2)
	v_fma_f64 v[96:97], -v[134:135], v[192:193], v[96:97]
	s_waitcnt vmcnt(17)
	v_fma_f64 v[132:133], -v[134:135], v[194:195], v[132:133]
	ds_read2_b64 v[192:195], v229 offset0:25 offset1:26
	s_waitcnt vmcnt(16) lgkmcnt(2)
	v_fma_f64 v[94:95], -v[134:135], v[196:197], v[94:95]
	s_waitcnt vmcnt(15)
	v_fma_f64 v[130:131], -v[134:135], v[198:199], v[130:131]
	s_waitcnt vmcnt(14) lgkmcnt(1)
	v_fma_f64 v[92:93], -v[134:135], v[200:201], v[92:93]
	ds_read2_b64 v[196:199], v229 offset0:27 offset1:28
	s_waitcnt vmcnt(13)
	v_fma_f64 v[128:129], -v[134:135], v[202:203], v[128:129]
	ds_read2_b64 v[200:203], v229 offset0:29 offset1:30
	s_waitcnt vmcnt(12) lgkmcnt(2)
	v_fma_f64 v[90:91], -v[134:135], v[192:193], v[90:91]
	s_waitcnt vmcnt(11)
	v_fma_f64 v[126:127], -v[134:135], v[194:195], v[126:127]
	ds_read2_b64 v[192:195], v229 offset0:31 offset1:32
	s_waitcnt vmcnt(10) lgkmcnt(2)
	v_fma_f64 v[88:89], -v[134:135], v[196:197], v[88:89]
	;; [unrolled: 5-line block ×3, first 2 shown]
	s_waitcnt vmcnt(7)
	v_fma_f64 v[122:123], -v[134:135], v[202:203], v[122:123]
	s_waitcnt vmcnt(6) lgkmcnt(1)
	v_fma_f64 v[84:85], -v[134:135], v[192:193], v[84:85]
	ds_read2_b64 v[200:203], v229 offset0:35 offset1:36
	ds_read_b64 v[192:193], v229 offset:296
	s_waitcnt vmcnt(5)
	v_fma_f64 v[120:121], -v[134:135], v[194:195], v[120:121]
	s_waitcnt vmcnt(4) lgkmcnt(2)
	v_fma_f64 v[82:83], -v[134:135], v[196:197], v[82:83]
	s_waitcnt vmcnt(3)
	v_fma_f64 v[118:119], -v[134:135], v[198:199], v[118:119]
	s_waitcnt vmcnt(2) lgkmcnt(1)
	v_fma_f64 v[80:81], -v[134:135], v[200:201], v[80:81]
	;; [unrolled: 4-line block ×3, first 2 shown]
.LBB75_96:
	s_or_b64 exec, exec, s[2:3]
	v_cmp_eq_u32_e32 vcc, 19, v230
	s_waitcnt lgkmcnt(0)
	s_barrier
	s_and_saveexec_b64 s[2:3], vcc
	s_cbranch_execz .LBB75_99
; %bb.97:
	s_waitcnt vmcnt(17)
	v_mov_b32_e32 v192, v132
	v_mov_b32_e32 v193, v133
	s_waitcnt vmcnt(16)
	v_mov_b32_e32 v194, v94
	v_mov_b32_e32 v195, v95
	ds_write_b64 v228, v[96:97]
	ds_write2_b64 v229, v[192:193], v[194:195] offset0:20 offset1:21
	s_waitcnt vmcnt(15)
	v_mov_b32_e32 v192, v130
	v_mov_b32_e32 v193, v131
	s_waitcnt vmcnt(14)
	v_mov_b32_e32 v194, v92
	v_mov_b32_e32 v195, v93
	ds_write2_b64 v229, v[192:193], v[194:195] offset0:22 offset1:23
	s_waitcnt vmcnt(13)
	v_mov_b32_e32 v192, v128
	v_mov_b32_e32 v193, v129
	s_waitcnt vmcnt(12)
	v_mov_b32_e32 v194, v90
	v_mov_b32_e32 v195, v91
	;; [unrolled: 7-line block ×7, first 2 shown]
	ds_write2_b64 v229, v[192:193], v[194:195] offset0:34 offset1:35
	s_waitcnt vmcnt(1)
	v_mov_b32_e32 v192, v116
	v_mov_b32_e32 v193, v117
	s_waitcnt vmcnt(0)
	ds_write2_b64 v229, v[192:193], v[152:153] offset0:36 offset1:37
	ds_read_b64 v[192:193], v228
	s_waitcnt lgkmcnt(0)
	v_cmp_neq_f64_e32 vcc, 0, v[192:193]
	s_and_b64 exec, exec, vcc
	s_cbranch_execz .LBB75_99
; %bb.98:
	v_div_scale_f64 v[194:195], s[6:7], v[192:193], v[192:193], 1.0
	v_rcp_f64_e32 v[196:197], v[194:195]
	v_div_scale_f64 v[198:199], vcc, 1.0, v[192:193], 1.0
	v_fma_f64 v[200:201], -v[194:195], v[196:197], 1.0
	v_fmac_f64_e32 v[196:197], v[196:197], v[200:201]
	v_fma_f64 v[200:201], -v[194:195], v[196:197], 1.0
	v_fmac_f64_e32 v[196:197], v[196:197], v[200:201]
	v_mul_f64 v[200:201], v[198:199], v[196:197]
	v_fma_f64 v[194:195], -v[194:195], v[200:201], v[198:199]
	v_div_fmas_f64 v[194:195], v[194:195], v[196:197], v[200:201]
	v_div_fixup_f64 v[192:193], v[194:195], v[192:193], 1.0
	ds_write_b64 v228, v[192:193]
.LBB75_99:
	s_or_b64 exec, exec, s[2:3]
	s_waitcnt lgkmcnt(0)
	s_barrier
	ds_read_b64 v[192:193], v228
	v_cmp_lt_u32_e32 vcc, 19, v230
	s_and_saveexec_b64 s[2:3], vcc
	s_cbranch_execz .LBB75_101
; %bb.100:
	ds_read2_b64 v[194:197], v229 offset0:20 offset1:21
	ds_read2_b64 v[198:201], v229 offset0:22 offset1:23
	;; [unrolled: 1-line block ×3, first 2 shown]
	s_waitcnt vmcnt(18) lgkmcnt(3)
	v_mul_f64 v[96:97], v[192:193], v[96:97]
	s_waitcnt vmcnt(17) lgkmcnt(2)
	v_fma_f64 v[132:133], -v[96:97], v[194:195], v[132:133]
	s_waitcnt vmcnt(16)
	v_fma_f64 v[94:95], -v[96:97], v[196:197], v[94:95]
	ds_read2_b64 v[194:197], v229 offset0:26 offset1:27
	s_waitcnt vmcnt(15) lgkmcnt(2)
	v_fma_f64 v[130:131], -v[96:97], v[198:199], v[130:131]
	s_waitcnt vmcnt(14)
	v_fma_f64 v[92:93], -v[96:97], v[200:201], v[92:93]
	s_waitcnt vmcnt(13) lgkmcnt(1)
	v_fma_f64 v[128:129], -v[96:97], v[202:203], v[128:129]
	ds_read2_b64 v[198:201], v229 offset0:28 offset1:29
	s_waitcnt vmcnt(12)
	v_fma_f64 v[90:91], -v[96:97], v[204:205], v[90:91]
	ds_read2_b64 v[202:205], v229 offset0:30 offset1:31
	s_waitcnt vmcnt(11) lgkmcnt(2)
	v_fma_f64 v[126:127], -v[96:97], v[194:195], v[126:127]
	s_waitcnt vmcnt(10)
	v_fma_f64 v[88:89], -v[96:97], v[196:197], v[88:89]
	s_waitcnt vmcnt(9) lgkmcnt(1)
	v_fma_f64 v[124:125], -v[96:97], v[198:199], v[124:125]
	s_waitcnt vmcnt(8)
	v_fma_f64 v[86:87], -v[96:97], v[200:201], v[86:87]
	ds_read2_b64 v[194:197], v229 offset0:32 offset1:33
	ds_read2_b64 v[198:201], v229 offset0:34 offset1:35
	s_waitcnt vmcnt(7) lgkmcnt(2)
	v_fma_f64 v[122:123], -v[96:97], v[202:203], v[122:123]
	s_waitcnt vmcnt(6)
	v_fma_f64 v[84:85], -v[96:97], v[204:205], v[84:85]
	ds_read2_b64 v[202:205], v229 offset0:36 offset1:37
	s_waitcnt vmcnt(5) lgkmcnt(2)
	v_fma_f64 v[120:121], -v[96:97], v[194:195], v[120:121]
	s_waitcnt vmcnt(4)
	v_fma_f64 v[82:83], -v[96:97], v[196:197], v[82:83]
	s_waitcnt vmcnt(3) lgkmcnt(1)
	v_fma_f64 v[118:119], -v[96:97], v[198:199], v[118:119]
	s_waitcnt vmcnt(2)
	v_fma_f64 v[80:81], -v[96:97], v[200:201], v[80:81]
	;; [unrolled: 4-line block ×3, first 2 shown]
.LBB75_101:
	s_or_b64 exec, exec, s[2:3]
	v_cmp_eq_u32_e32 vcc, 20, v230
	s_waitcnt lgkmcnt(0)
	s_barrier
	s_and_saveexec_b64 s[2:3], vcc
	s_cbranch_execz .LBB75_104
; %bb.102:
	s_waitcnt vmcnt(17)
	ds_write_b64 v228, v[132:133]
	s_waitcnt vmcnt(15)
	ds_write2_b64 v229, v[94:95], v[130:131] offset0:21 offset1:22
	s_waitcnt vmcnt(13)
	ds_write2_b64 v229, v[92:93], v[128:129] offset0:23 offset1:24
	;; [unrolled: 2-line block ×8, first 2 shown]
	s_waitcnt vmcnt(0)
	ds_write_b64 v229, v[152:153] offset:296
	ds_read_b64 v[194:195], v228
	s_waitcnt lgkmcnt(0)
	v_cmp_neq_f64_e32 vcc, 0, v[194:195]
	s_and_b64 exec, exec, vcc
	s_cbranch_execz .LBB75_104
; %bb.103:
	v_div_scale_f64 v[196:197], s[6:7], v[194:195], v[194:195], 1.0
	v_rcp_f64_e32 v[198:199], v[196:197]
	v_div_scale_f64 v[200:201], vcc, 1.0, v[194:195], 1.0
	v_fma_f64 v[202:203], -v[196:197], v[198:199], 1.0
	v_fmac_f64_e32 v[198:199], v[198:199], v[202:203]
	v_fma_f64 v[202:203], -v[196:197], v[198:199], 1.0
	v_fmac_f64_e32 v[198:199], v[198:199], v[202:203]
	v_mul_f64 v[202:203], v[200:201], v[198:199]
	v_fma_f64 v[196:197], -v[196:197], v[202:203], v[200:201]
	v_div_fmas_f64 v[196:197], v[196:197], v[198:199], v[202:203]
	v_div_fixup_f64 v[194:195], v[196:197], v[194:195], 1.0
	ds_write_b64 v228, v[194:195]
.LBB75_104:
	s_or_b64 exec, exec, s[2:3]
	s_waitcnt lgkmcnt(0)
	s_barrier
	ds_read_b64 v[194:195], v228
	v_cmp_lt_u32_e32 vcc, 20, v230
	s_and_saveexec_b64 s[2:3], vcc
	s_cbranch_execz .LBB75_106
; %bb.105:
	ds_read2_b64 v[196:199], v229 offset0:21 offset1:22
	ds_read2_b64 v[200:203], v229 offset0:23 offset1:24
	;; [unrolled: 1-line block ×3, first 2 shown]
	s_waitcnt vmcnt(17) lgkmcnt(3)
	v_mul_f64 v[132:133], v[194:195], v[132:133]
	s_waitcnt vmcnt(16) lgkmcnt(2)
	v_fma_f64 v[94:95], -v[132:133], v[196:197], v[94:95]
	s_waitcnt vmcnt(15)
	v_fma_f64 v[130:131], -v[132:133], v[198:199], v[130:131]
	ds_read2_b64 v[196:199], v229 offset0:27 offset1:28
	s_waitcnt vmcnt(14) lgkmcnt(2)
	v_fma_f64 v[92:93], -v[132:133], v[200:201], v[92:93]
	s_waitcnt vmcnt(13)
	v_fma_f64 v[128:129], -v[132:133], v[202:203], v[128:129]
	s_waitcnt vmcnt(12) lgkmcnt(1)
	v_fma_f64 v[90:91], -v[132:133], v[204:205], v[90:91]
	ds_read2_b64 v[200:203], v229 offset0:29 offset1:30
	s_waitcnt vmcnt(11)
	v_fma_f64 v[126:127], -v[132:133], v[206:207], v[126:127]
	ds_read2_b64 v[204:207], v229 offset0:31 offset1:32
	s_waitcnt vmcnt(10) lgkmcnt(2)
	v_fma_f64 v[88:89], -v[132:133], v[196:197], v[88:89]
	s_waitcnt vmcnt(9)
	v_fma_f64 v[124:125], -v[132:133], v[198:199], v[124:125]
	s_waitcnt vmcnt(8) lgkmcnt(1)
	v_fma_f64 v[86:87], -v[132:133], v[200:201], v[86:87]
	s_waitcnt vmcnt(7)
	v_fma_f64 v[122:123], -v[132:133], v[202:203], v[122:123]
	ds_read2_b64 v[196:199], v229 offset0:33 offset1:34
	ds_read2_b64 v[200:203], v229 offset0:35 offset1:36
	s_waitcnt vmcnt(6) lgkmcnt(2)
	v_fma_f64 v[84:85], -v[132:133], v[204:205], v[84:85]
	ds_read_b64 v[204:205], v229 offset:296
	s_waitcnt vmcnt(5)
	v_fma_f64 v[120:121], -v[132:133], v[206:207], v[120:121]
	s_waitcnt vmcnt(4) lgkmcnt(2)
	v_fma_f64 v[82:83], -v[132:133], v[196:197], v[82:83]
	s_waitcnt vmcnt(3)
	v_fma_f64 v[118:119], -v[132:133], v[198:199], v[118:119]
	s_waitcnt vmcnt(2) lgkmcnt(1)
	v_fma_f64 v[80:81], -v[132:133], v[200:201], v[80:81]
	;; [unrolled: 4-line block ×3, first 2 shown]
.LBB75_106:
	s_or_b64 exec, exec, s[2:3]
	v_cmp_eq_u32_e32 vcc, 21, v230
	s_waitcnt lgkmcnt(0)
	s_barrier
	s_and_saveexec_b64 s[2:3], vcc
	s_cbranch_execz .LBB75_109
; %bb.107:
	s_waitcnt vmcnt(15)
	v_mov_b32_e32 v196, v130
	v_mov_b32_e32 v197, v131
	s_waitcnt vmcnt(14)
	v_mov_b32_e32 v198, v92
	v_mov_b32_e32 v199, v93
	ds_write_b64 v228, v[94:95]
	ds_write2_b64 v229, v[196:197], v[198:199] offset0:22 offset1:23
	s_waitcnt vmcnt(13)
	v_mov_b32_e32 v196, v128
	v_mov_b32_e32 v197, v129
	s_waitcnt vmcnt(12)
	v_mov_b32_e32 v198, v90
	v_mov_b32_e32 v199, v91
	ds_write2_b64 v229, v[196:197], v[198:199] offset0:24 offset1:25
	s_waitcnt vmcnt(11)
	v_mov_b32_e32 v196, v126
	v_mov_b32_e32 v197, v127
	s_waitcnt vmcnt(10)
	v_mov_b32_e32 v198, v88
	v_mov_b32_e32 v199, v89
	;; [unrolled: 7-line block ×6, first 2 shown]
	ds_write2_b64 v229, v[196:197], v[198:199] offset0:34 offset1:35
	s_waitcnt vmcnt(1)
	v_mov_b32_e32 v196, v116
	v_mov_b32_e32 v197, v117
	s_waitcnt vmcnt(0)
	ds_write2_b64 v229, v[196:197], v[152:153] offset0:36 offset1:37
	ds_read_b64 v[196:197], v228
	s_waitcnt lgkmcnt(0)
	v_cmp_neq_f64_e32 vcc, 0, v[196:197]
	s_and_b64 exec, exec, vcc
	s_cbranch_execz .LBB75_109
; %bb.108:
	v_div_scale_f64 v[198:199], s[6:7], v[196:197], v[196:197], 1.0
	v_rcp_f64_e32 v[200:201], v[198:199]
	v_div_scale_f64 v[202:203], vcc, 1.0, v[196:197], 1.0
	v_fma_f64 v[204:205], -v[198:199], v[200:201], 1.0
	v_fmac_f64_e32 v[200:201], v[200:201], v[204:205]
	v_fma_f64 v[204:205], -v[198:199], v[200:201], 1.0
	v_fmac_f64_e32 v[200:201], v[200:201], v[204:205]
	v_mul_f64 v[204:205], v[202:203], v[200:201]
	v_fma_f64 v[198:199], -v[198:199], v[204:205], v[202:203]
	v_div_fmas_f64 v[198:199], v[198:199], v[200:201], v[204:205]
	v_div_fixup_f64 v[196:197], v[198:199], v[196:197], 1.0
	ds_write_b64 v228, v[196:197]
.LBB75_109:
	s_or_b64 exec, exec, s[2:3]
	s_waitcnt lgkmcnt(0)
	s_barrier
	ds_read_b64 v[196:197], v228
	v_cmp_lt_u32_e32 vcc, 21, v230
	s_and_saveexec_b64 s[2:3], vcc
	s_cbranch_execz .LBB75_111
; %bb.110:
	ds_read2_b64 v[198:201], v229 offset0:22 offset1:23
	ds_read2_b64 v[202:205], v229 offset0:24 offset1:25
	s_waitcnt vmcnt(16) lgkmcnt(2)
	v_mul_f64 v[94:95], v[196:197], v[94:95]
	ds_read2_b64 v[206:209], v229 offset0:26 offset1:27
	s_waitcnt vmcnt(15) lgkmcnt(2)
	v_fma_f64 v[130:131], -v[94:95], v[198:199], v[130:131]
	s_waitcnt vmcnt(14)
	v_fma_f64 v[92:93], -v[94:95], v[200:201], v[92:93]
	ds_read2_b64 v[198:201], v229 offset0:28 offset1:29
	s_waitcnt vmcnt(13) lgkmcnt(2)
	v_fma_f64 v[128:129], -v[94:95], v[202:203], v[128:129]
	s_waitcnt vmcnt(12)
	v_fma_f64 v[90:91], -v[94:95], v[204:205], v[90:91]
	;; [unrolled: 5-line block ×3, first 2 shown]
	s_waitcnt vmcnt(9) lgkmcnt(1)
	v_fma_f64 v[124:125], -v[94:95], v[198:199], v[124:125]
	s_waitcnt vmcnt(8)
	v_fma_f64 v[86:87], -v[94:95], v[200:201], v[86:87]
	ds_read2_b64 v[198:201], v229 offset0:32 offset1:33
	s_waitcnt vmcnt(7) lgkmcnt(1)
	v_fma_f64 v[122:123], -v[94:95], v[202:203], v[122:123]
	ds_read2_b64 v[206:209], v229 offset0:34 offset1:35
	s_waitcnt vmcnt(6)
	v_fma_f64 v[84:85], -v[94:95], v[204:205], v[84:85]
	ds_read2_b64 v[202:205], v229 offset0:36 offset1:37
	s_waitcnt vmcnt(5) lgkmcnt(2)
	v_fma_f64 v[120:121], -v[94:95], v[198:199], v[120:121]
	s_waitcnt vmcnt(4)
	v_fma_f64 v[82:83], -v[94:95], v[200:201], v[82:83]
	s_waitcnt vmcnt(3) lgkmcnt(1)
	v_fma_f64 v[118:119], -v[94:95], v[206:207], v[118:119]
	s_waitcnt vmcnt(2)
	v_fma_f64 v[80:81], -v[94:95], v[208:209], v[80:81]
	s_waitcnt vmcnt(1) lgkmcnt(0)
	v_fma_f64 v[116:117], -v[94:95], v[202:203], v[116:117]
	s_waitcnt vmcnt(0)
	v_fma_f64 v[152:153], -v[94:95], v[204:205], v[152:153]
.LBB75_111:
	s_or_b64 exec, exec, s[2:3]
	v_cmp_eq_u32_e32 vcc, 22, v230
	s_waitcnt lgkmcnt(0)
	s_barrier
	s_and_saveexec_b64 s[2:3], vcc
	s_cbranch_execz .LBB75_114
; %bb.112:
	s_waitcnt vmcnt(15)
	ds_write_b64 v228, v[130:131]
	s_waitcnt vmcnt(13)
	ds_write2_b64 v229, v[92:93], v[128:129] offset0:23 offset1:24
	s_waitcnt vmcnt(11)
	ds_write2_b64 v229, v[90:91], v[126:127] offset0:25 offset1:26
	;; [unrolled: 2-line block ×7, first 2 shown]
	s_waitcnt vmcnt(0)
	ds_write_b64 v229, v[152:153] offset:296
	ds_read_b64 v[198:199], v228
	s_waitcnt lgkmcnt(0)
	v_cmp_neq_f64_e32 vcc, 0, v[198:199]
	s_and_b64 exec, exec, vcc
	s_cbranch_execz .LBB75_114
; %bb.113:
	v_div_scale_f64 v[200:201], s[6:7], v[198:199], v[198:199], 1.0
	v_rcp_f64_e32 v[202:203], v[200:201]
	v_div_scale_f64 v[204:205], vcc, 1.0, v[198:199], 1.0
	v_fma_f64 v[206:207], -v[200:201], v[202:203], 1.0
	v_fmac_f64_e32 v[202:203], v[202:203], v[206:207]
	v_fma_f64 v[206:207], -v[200:201], v[202:203], 1.0
	v_fmac_f64_e32 v[202:203], v[202:203], v[206:207]
	v_mul_f64 v[206:207], v[204:205], v[202:203]
	v_fma_f64 v[200:201], -v[200:201], v[206:207], v[204:205]
	v_div_fmas_f64 v[200:201], v[200:201], v[202:203], v[206:207]
	v_div_fixup_f64 v[198:199], v[200:201], v[198:199], 1.0
	ds_write_b64 v228, v[198:199]
.LBB75_114:
	s_or_b64 exec, exec, s[2:3]
	s_waitcnt lgkmcnt(0)
	s_barrier
	ds_read_b64 v[198:199], v228
	v_cmp_lt_u32_e32 vcc, 22, v230
	s_and_saveexec_b64 s[2:3], vcc
	s_cbranch_execz .LBB75_116
; %bb.115:
	ds_read2_b64 v[200:203], v229 offset0:23 offset1:24
	ds_read2_b64 v[204:207], v229 offset0:25 offset1:26
	s_waitcnt vmcnt(15) lgkmcnt(2)
	v_mul_f64 v[130:131], v[198:199], v[130:131]
	ds_read2_b64 v[208:211], v229 offset0:27 offset1:28
	s_waitcnt vmcnt(14) lgkmcnt(2)
	v_fma_f64 v[92:93], -v[130:131], v[200:201], v[92:93]
	s_waitcnt vmcnt(13)
	v_fma_f64 v[128:129], -v[130:131], v[202:203], v[128:129]
	ds_read2_b64 v[200:203], v229 offset0:29 offset1:30
	s_waitcnt vmcnt(12) lgkmcnt(2)
	v_fma_f64 v[90:91], -v[130:131], v[204:205], v[90:91]
	s_waitcnt vmcnt(11)
	v_fma_f64 v[126:127], -v[130:131], v[206:207], v[126:127]
	;; [unrolled: 5-line block ×3, first 2 shown]
	s_waitcnt vmcnt(8) lgkmcnt(1)
	v_fma_f64 v[86:87], -v[130:131], v[200:201], v[86:87]
	s_waitcnt vmcnt(7)
	v_fma_f64 v[122:123], -v[130:131], v[202:203], v[122:123]
	ds_read2_b64 v[200:203], v229 offset0:33 offset1:34
	s_waitcnt vmcnt(6) lgkmcnt(1)
	v_fma_f64 v[84:85], -v[130:131], v[204:205], v[84:85]
	ds_read2_b64 v[208:211], v229 offset0:35 offset1:36
	ds_read_b64 v[204:205], v229 offset:296
	s_waitcnt vmcnt(5)
	v_fma_f64 v[120:121], -v[130:131], v[206:207], v[120:121]
	s_waitcnt vmcnt(4) lgkmcnt(2)
	v_fma_f64 v[82:83], -v[130:131], v[200:201], v[82:83]
	s_waitcnt vmcnt(3)
	v_fma_f64 v[118:119], -v[130:131], v[202:203], v[118:119]
	s_waitcnt vmcnt(2) lgkmcnt(1)
	v_fma_f64 v[80:81], -v[130:131], v[208:209], v[80:81]
	;; [unrolled: 4-line block ×3, first 2 shown]
.LBB75_116:
	s_or_b64 exec, exec, s[2:3]
	v_cmp_eq_u32_e32 vcc, 23, v230
	s_waitcnt lgkmcnt(0)
	s_barrier
	s_and_saveexec_b64 s[2:3], vcc
	s_cbranch_execz .LBB75_119
; %bb.117:
	s_waitcnt vmcnt(13)
	v_mov_b32_e32 v200, v128
	v_mov_b32_e32 v201, v129
	s_waitcnt vmcnt(12)
	v_mov_b32_e32 v202, v90
	v_mov_b32_e32 v203, v91
	ds_write_b64 v228, v[92:93]
	ds_write2_b64 v229, v[200:201], v[202:203] offset0:24 offset1:25
	s_waitcnt vmcnt(11)
	v_mov_b32_e32 v200, v126
	v_mov_b32_e32 v201, v127
	s_waitcnt vmcnt(10)
	v_mov_b32_e32 v202, v88
	v_mov_b32_e32 v203, v89
	ds_write2_b64 v229, v[200:201], v[202:203] offset0:26 offset1:27
	s_waitcnt vmcnt(9)
	v_mov_b32_e32 v200, v124
	v_mov_b32_e32 v201, v125
	s_waitcnt vmcnt(8)
	v_mov_b32_e32 v202, v86
	v_mov_b32_e32 v203, v87
	;; [unrolled: 7-line block ×5, first 2 shown]
	ds_write2_b64 v229, v[200:201], v[202:203] offset0:34 offset1:35
	s_waitcnt vmcnt(1)
	v_mov_b32_e32 v200, v116
	v_mov_b32_e32 v201, v117
	s_waitcnt vmcnt(0)
	ds_write2_b64 v229, v[200:201], v[152:153] offset0:36 offset1:37
	ds_read_b64 v[200:201], v228
	s_waitcnt lgkmcnt(0)
	v_cmp_neq_f64_e32 vcc, 0, v[200:201]
	s_and_b64 exec, exec, vcc
	s_cbranch_execz .LBB75_119
; %bb.118:
	v_div_scale_f64 v[202:203], s[6:7], v[200:201], v[200:201], 1.0
	v_rcp_f64_e32 v[204:205], v[202:203]
	v_div_scale_f64 v[206:207], vcc, 1.0, v[200:201], 1.0
	v_fma_f64 v[208:209], -v[202:203], v[204:205], 1.0
	v_fmac_f64_e32 v[204:205], v[204:205], v[208:209]
	v_fma_f64 v[208:209], -v[202:203], v[204:205], 1.0
	v_fmac_f64_e32 v[204:205], v[204:205], v[208:209]
	v_mul_f64 v[208:209], v[206:207], v[204:205]
	v_fma_f64 v[202:203], -v[202:203], v[208:209], v[206:207]
	v_div_fmas_f64 v[202:203], v[202:203], v[204:205], v[208:209]
	v_div_fixup_f64 v[200:201], v[202:203], v[200:201], 1.0
	ds_write_b64 v228, v[200:201]
.LBB75_119:
	s_or_b64 exec, exec, s[2:3]
	s_waitcnt lgkmcnt(0)
	s_barrier
	ds_read_b64 v[200:201], v228
	v_cmp_lt_u32_e32 vcc, 23, v230
	s_and_saveexec_b64 s[2:3], vcc
	s_cbranch_execz .LBB75_121
; %bb.120:
	ds_read2_b64 v[202:205], v229 offset0:24 offset1:25
	ds_read2_b64 v[206:209], v229 offset0:26 offset1:27
	s_waitcnt vmcnt(14) lgkmcnt(2)
	v_mul_f64 v[92:93], v[200:201], v[92:93]
	ds_read2_b64 v[210:213], v229 offset0:28 offset1:29
	s_waitcnt vmcnt(13) lgkmcnt(2)
	v_fma_f64 v[128:129], -v[92:93], v[202:203], v[128:129]
	s_waitcnt vmcnt(12)
	v_fma_f64 v[90:91], -v[92:93], v[204:205], v[90:91]
	ds_read2_b64 v[202:205], v229 offset0:30 offset1:31
	s_waitcnt vmcnt(11) lgkmcnt(2)
	v_fma_f64 v[126:127], -v[92:93], v[206:207], v[126:127]
	s_waitcnt vmcnt(10)
	v_fma_f64 v[88:89], -v[92:93], v[208:209], v[88:89]
	s_waitcnt vmcnt(9) lgkmcnt(1)
	v_fma_f64 v[124:125], -v[92:93], v[210:211], v[124:125]
	s_waitcnt vmcnt(8)
	v_fma_f64 v[86:87], -v[92:93], v[212:213], v[86:87]
	ds_read2_b64 v[206:209], v229 offset0:32 offset1:33
	ds_read2_b64 v[210:213], v229 offset0:34 offset1:35
	s_waitcnt vmcnt(7) lgkmcnt(2)
	v_fma_f64 v[122:123], -v[92:93], v[202:203], v[122:123]
	s_waitcnt vmcnt(6)
	v_fma_f64 v[84:85], -v[92:93], v[204:205], v[84:85]
	ds_read2_b64 v[202:205], v229 offset0:36 offset1:37
	s_waitcnt vmcnt(5) lgkmcnt(2)
	v_fma_f64 v[120:121], -v[92:93], v[206:207], v[120:121]
	s_waitcnt vmcnt(4)
	v_fma_f64 v[82:83], -v[92:93], v[208:209], v[82:83]
	s_waitcnt vmcnt(3) lgkmcnt(1)
	v_fma_f64 v[118:119], -v[92:93], v[210:211], v[118:119]
	s_waitcnt vmcnt(2)
	v_fma_f64 v[80:81], -v[92:93], v[212:213], v[80:81]
	;; [unrolled: 4-line block ×3, first 2 shown]
.LBB75_121:
	s_or_b64 exec, exec, s[2:3]
	v_cmp_eq_u32_e32 vcc, 24, v230
	s_waitcnt lgkmcnt(0)
	s_barrier
	s_and_saveexec_b64 s[2:3], vcc
	s_cbranch_execz .LBB75_124
; %bb.122:
	s_waitcnt vmcnt(13)
	ds_write_b64 v228, v[128:129]
	s_waitcnt vmcnt(11)
	ds_write2_b64 v229, v[90:91], v[126:127] offset0:25 offset1:26
	s_waitcnt vmcnt(9)
	ds_write2_b64 v229, v[88:89], v[124:125] offset0:27 offset1:28
	;; [unrolled: 2-line block ×6, first 2 shown]
	s_waitcnt vmcnt(0)
	ds_write_b64 v229, v[152:153] offset:296
	ds_read_b64 v[202:203], v228
	s_waitcnt lgkmcnt(0)
	v_cmp_neq_f64_e32 vcc, 0, v[202:203]
	s_and_b64 exec, exec, vcc
	s_cbranch_execz .LBB75_124
; %bb.123:
	v_div_scale_f64 v[204:205], s[6:7], v[202:203], v[202:203], 1.0
	v_rcp_f64_e32 v[206:207], v[204:205]
	v_div_scale_f64 v[208:209], vcc, 1.0, v[202:203], 1.0
	v_fma_f64 v[210:211], -v[204:205], v[206:207], 1.0
	v_fmac_f64_e32 v[206:207], v[206:207], v[210:211]
	v_fma_f64 v[210:211], -v[204:205], v[206:207], 1.0
	v_fmac_f64_e32 v[206:207], v[206:207], v[210:211]
	v_mul_f64 v[210:211], v[208:209], v[206:207]
	v_fma_f64 v[204:205], -v[204:205], v[210:211], v[208:209]
	v_div_fmas_f64 v[204:205], v[204:205], v[206:207], v[210:211]
	v_div_fixup_f64 v[202:203], v[204:205], v[202:203], 1.0
	ds_write_b64 v228, v[202:203]
.LBB75_124:
	s_or_b64 exec, exec, s[2:3]
	s_waitcnt lgkmcnt(0)
	s_barrier
	ds_read_b64 v[202:203], v228
	v_cmp_lt_u32_e32 vcc, 24, v230
	s_and_saveexec_b64 s[2:3], vcc
	s_cbranch_execz .LBB75_126
; %bb.125:
	ds_read2_b64 v[204:207], v229 offset0:25 offset1:26
	ds_read2_b64 v[208:211], v229 offset0:27 offset1:28
	s_waitcnt vmcnt(13) lgkmcnt(2)
	v_mul_f64 v[128:129], v[202:203], v[128:129]
	ds_read2_b64 v[212:215], v229 offset0:29 offset1:30
	s_waitcnt vmcnt(12) lgkmcnt(2)
	v_fma_f64 v[90:91], -v[128:129], v[204:205], v[90:91]
	s_waitcnt vmcnt(11)
	v_fma_f64 v[126:127], -v[128:129], v[206:207], v[126:127]
	ds_read2_b64 v[204:207], v229 offset0:31 offset1:32
	s_waitcnt vmcnt(10) lgkmcnt(2)
	v_fma_f64 v[88:89], -v[128:129], v[208:209], v[88:89]
	s_waitcnt vmcnt(9)
	v_fma_f64 v[124:125], -v[128:129], v[210:211], v[124:125]
	s_waitcnt vmcnt(8) lgkmcnt(1)
	v_fma_f64 v[86:87], -v[128:129], v[212:213], v[86:87]
	s_waitcnt vmcnt(7)
	v_fma_f64 v[122:123], -v[128:129], v[214:215], v[122:123]
	ds_read2_b64 v[208:211], v229 offset0:33 offset1:34
	ds_read2_b64 v[212:215], v229 offset0:35 offset1:36
	s_waitcnt vmcnt(6) lgkmcnt(2)
	v_fma_f64 v[84:85], -v[128:129], v[204:205], v[84:85]
	ds_read_b64 v[204:205], v229 offset:296
	s_waitcnt vmcnt(5)
	v_fma_f64 v[120:121], -v[128:129], v[206:207], v[120:121]
	s_waitcnt vmcnt(4) lgkmcnt(2)
	v_fma_f64 v[82:83], -v[128:129], v[208:209], v[82:83]
	s_waitcnt vmcnt(3)
	v_fma_f64 v[118:119], -v[128:129], v[210:211], v[118:119]
	s_waitcnt vmcnt(2) lgkmcnt(1)
	v_fma_f64 v[80:81], -v[128:129], v[212:213], v[80:81]
	;; [unrolled: 4-line block ×3, first 2 shown]
.LBB75_126:
	s_or_b64 exec, exec, s[2:3]
	v_cmp_eq_u32_e32 vcc, 25, v230
	s_waitcnt lgkmcnt(0)
	s_barrier
	s_and_saveexec_b64 s[2:3], vcc
	s_cbranch_execz .LBB75_129
; %bb.127:
	s_waitcnt vmcnt(11)
	v_mov_b32_e32 v204, v126
	v_mov_b32_e32 v205, v127
	s_waitcnt vmcnt(10)
	v_mov_b32_e32 v206, v88
	v_mov_b32_e32 v207, v89
	ds_write_b64 v228, v[90:91]
	ds_write2_b64 v229, v[204:205], v[206:207] offset0:26 offset1:27
	s_waitcnt vmcnt(9)
	v_mov_b32_e32 v204, v124
	v_mov_b32_e32 v205, v125
	s_waitcnt vmcnt(8)
	v_mov_b32_e32 v206, v86
	v_mov_b32_e32 v207, v87
	ds_write2_b64 v229, v[204:205], v[206:207] offset0:28 offset1:29
	s_waitcnt vmcnt(7)
	v_mov_b32_e32 v204, v122
	v_mov_b32_e32 v205, v123
	s_waitcnt vmcnt(6)
	v_mov_b32_e32 v206, v84
	v_mov_b32_e32 v207, v85
	;; [unrolled: 7-line block ×4, first 2 shown]
	ds_write2_b64 v229, v[204:205], v[206:207] offset0:34 offset1:35
	s_waitcnt vmcnt(1)
	v_mov_b32_e32 v204, v116
	v_mov_b32_e32 v205, v117
	s_waitcnt vmcnt(0)
	ds_write2_b64 v229, v[204:205], v[152:153] offset0:36 offset1:37
	ds_read_b64 v[204:205], v228
	s_waitcnt lgkmcnt(0)
	v_cmp_neq_f64_e32 vcc, 0, v[204:205]
	s_and_b64 exec, exec, vcc
	s_cbranch_execz .LBB75_129
; %bb.128:
	v_div_scale_f64 v[206:207], s[6:7], v[204:205], v[204:205], 1.0
	v_rcp_f64_e32 v[208:209], v[206:207]
	v_div_scale_f64 v[210:211], vcc, 1.0, v[204:205], 1.0
	v_fma_f64 v[212:213], -v[206:207], v[208:209], 1.0
	v_fmac_f64_e32 v[208:209], v[208:209], v[212:213]
	v_fma_f64 v[212:213], -v[206:207], v[208:209], 1.0
	v_fmac_f64_e32 v[208:209], v[208:209], v[212:213]
	v_mul_f64 v[212:213], v[210:211], v[208:209]
	v_fma_f64 v[206:207], -v[206:207], v[212:213], v[210:211]
	v_div_fmas_f64 v[206:207], v[206:207], v[208:209], v[212:213]
	v_div_fixup_f64 v[204:205], v[206:207], v[204:205], 1.0
	ds_write_b64 v228, v[204:205]
.LBB75_129:
	s_or_b64 exec, exec, s[2:3]
	s_waitcnt lgkmcnt(0)
	s_barrier
	ds_read_b64 v[204:205], v228
	v_cmp_lt_u32_e32 vcc, 25, v230
	s_and_saveexec_b64 s[2:3], vcc
	s_cbranch_execz .LBB75_131
; %bb.130:
	ds_read2_b64 v[206:209], v229 offset0:26 offset1:27
	ds_read2_b64 v[210:213], v229 offset0:28 offset1:29
	ds_read2_b64 v[214:217], v229 offset0:30 offset1:31
	s_waitcnt vmcnt(12) lgkmcnt(3)
	v_mul_f64 v[90:91], v[204:205], v[90:91]
	s_waitcnt vmcnt(11) lgkmcnt(2)
	v_fma_f64 v[126:127], -v[90:91], v[206:207], v[126:127]
	s_waitcnt vmcnt(10)
	v_fma_f64 v[88:89], -v[90:91], v[208:209], v[88:89]
	ds_read2_b64 v[206:209], v229 offset0:32 offset1:33
	s_waitcnt vmcnt(9) lgkmcnt(2)
	v_fma_f64 v[124:125], -v[90:91], v[210:211], v[124:125]
	s_waitcnt vmcnt(8)
	v_fma_f64 v[86:87], -v[90:91], v[212:213], v[86:87]
	s_waitcnt vmcnt(7) lgkmcnt(1)
	v_fma_f64 v[122:123], -v[90:91], v[214:215], v[122:123]
	ds_read2_b64 v[210:213], v229 offset0:34 offset1:35
	s_waitcnt vmcnt(6)
	v_fma_f64 v[84:85], -v[90:91], v[216:217], v[84:85]
	ds_read2_b64 v[214:217], v229 offset0:36 offset1:37
	s_waitcnt vmcnt(5) lgkmcnt(2)
	v_fma_f64 v[120:121], -v[90:91], v[206:207], v[120:121]
	s_waitcnt vmcnt(4)
	v_fma_f64 v[82:83], -v[90:91], v[208:209], v[82:83]
	s_waitcnt vmcnt(3) lgkmcnt(1)
	v_fma_f64 v[118:119], -v[90:91], v[210:211], v[118:119]
	s_waitcnt vmcnt(2)
	v_fma_f64 v[80:81], -v[90:91], v[212:213], v[80:81]
	;; [unrolled: 4-line block ×3, first 2 shown]
.LBB75_131:
	s_or_b64 exec, exec, s[2:3]
	v_cmp_eq_u32_e32 vcc, 26, v230
	s_waitcnt lgkmcnt(0)
	s_barrier
	s_and_saveexec_b64 s[2:3], vcc
	s_cbranch_execz .LBB75_134
; %bb.132:
	s_waitcnt vmcnt(11)
	ds_write_b64 v228, v[126:127]
	s_waitcnt vmcnt(9)
	ds_write2_b64 v229, v[88:89], v[124:125] offset0:27 offset1:28
	s_waitcnt vmcnt(7)
	ds_write2_b64 v229, v[86:87], v[122:123] offset0:29 offset1:30
	;; [unrolled: 2-line block ×5, first 2 shown]
	s_waitcnt vmcnt(0)
	ds_write_b64 v229, v[152:153] offset:296
	ds_read_b64 v[206:207], v228
	s_waitcnt lgkmcnt(0)
	v_cmp_neq_f64_e32 vcc, 0, v[206:207]
	s_and_b64 exec, exec, vcc
	s_cbranch_execz .LBB75_134
; %bb.133:
	v_div_scale_f64 v[208:209], s[6:7], v[206:207], v[206:207], 1.0
	v_rcp_f64_e32 v[210:211], v[208:209]
	v_div_scale_f64 v[212:213], vcc, 1.0, v[206:207], 1.0
	v_fma_f64 v[214:215], -v[208:209], v[210:211], 1.0
	v_fmac_f64_e32 v[210:211], v[210:211], v[214:215]
	v_fma_f64 v[214:215], -v[208:209], v[210:211], 1.0
	v_fmac_f64_e32 v[210:211], v[210:211], v[214:215]
	v_mul_f64 v[214:215], v[212:213], v[210:211]
	v_fma_f64 v[208:209], -v[208:209], v[214:215], v[212:213]
	v_div_fmas_f64 v[208:209], v[208:209], v[210:211], v[214:215]
	v_div_fixup_f64 v[206:207], v[208:209], v[206:207], 1.0
	ds_write_b64 v228, v[206:207]
.LBB75_134:
	s_or_b64 exec, exec, s[2:3]
	s_waitcnt lgkmcnt(0)
	s_barrier
	ds_read_b64 v[206:207], v228
	v_cmp_lt_u32_e32 vcc, 26, v230
	s_and_saveexec_b64 s[2:3], vcc
	s_cbranch_execz .LBB75_136
; %bb.135:
	ds_read2_b64 v[208:211], v229 offset0:27 offset1:28
	ds_read2_b64 v[212:215], v229 offset0:29 offset1:30
	;; [unrolled: 1-line block ×3, first 2 shown]
	s_waitcnt vmcnt(11) lgkmcnt(3)
	v_mul_f64 v[126:127], v[206:207], v[126:127]
	s_waitcnt vmcnt(10) lgkmcnt(2)
	v_fma_f64 v[88:89], -v[126:127], v[208:209], v[88:89]
	s_waitcnt vmcnt(9)
	v_fma_f64 v[124:125], -v[126:127], v[210:211], v[124:125]
	ds_read2_b64 v[208:211], v229 offset0:33 offset1:34
	s_waitcnt vmcnt(8) lgkmcnt(2)
	v_fma_f64 v[86:87], -v[126:127], v[212:213], v[86:87]
	s_waitcnt vmcnt(7)
	v_fma_f64 v[122:123], -v[126:127], v[214:215], v[122:123]
	s_waitcnt vmcnt(6) lgkmcnt(1)
	v_fma_f64 v[84:85], -v[126:127], v[216:217], v[84:85]
	ds_read2_b64 v[212:215], v229 offset0:35 offset1:36
	ds_read_b64 v[216:217], v229 offset:296
	s_waitcnt vmcnt(5)
	v_fma_f64 v[120:121], -v[126:127], v[218:219], v[120:121]
	s_waitcnt vmcnt(4) lgkmcnt(2)
	v_fma_f64 v[82:83], -v[126:127], v[208:209], v[82:83]
	s_waitcnt vmcnt(3)
	v_fma_f64 v[118:119], -v[126:127], v[210:211], v[118:119]
	s_waitcnt vmcnt(2) lgkmcnt(1)
	v_fma_f64 v[80:81], -v[126:127], v[212:213], v[80:81]
	;; [unrolled: 4-line block ×3, first 2 shown]
.LBB75_136:
	s_or_b64 exec, exec, s[2:3]
	v_cmp_eq_u32_e32 vcc, 27, v230
	s_waitcnt lgkmcnt(0)
	s_barrier
	s_and_saveexec_b64 s[2:3], vcc
	s_cbranch_execz .LBB75_139
; %bb.137:
	s_waitcnt vmcnt(9)
	v_mov_b32_e32 v208, v124
	v_mov_b32_e32 v209, v125
	s_waitcnt vmcnt(8)
	v_mov_b32_e32 v210, v86
	v_mov_b32_e32 v211, v87
	ds_write_b64 v228, v[88:89]
	ds_write2_b64 v229, v[208:209], v[210:211] offset0:28 offset1:29
	s_waitcnt vmcnt(7)
	v_mov_b32_e32 v208, v122
	v_mov_b32_e32 v209, v123
	s_waitcnt vmcnt(6)
	v_mov_b32_e32 v210, v84
	v_mov_b32_e32 v211, v85
	ds_write2_b64 v229, v[208:209], v[210:211] offset0:30 offset1:31
	s_waitcnt vmcnt(5)
	v_mov_b32_e32 v208, v120
	v_mov_b32_e32 v209, v121
	s_waitcnt vmcnt(4)
	v_mov_b32_e32 v210, v82
	v_mov_b32_e32 v211, v83
	ds_write2_b64 v229, v[208:209], v[210:211] offset0:32 offset1:33
	s_waitcnt vmcnt(3)
	v_mov_b32_e32 v208, v118
	v_mov_b32_e32 v209, v119
	s_waitcnt vmcnt(2)
	v_mov_b32_e32 v210, v80
	v_mov_b32_e32 v211, v81
	ds_write2_b64 v229, v[208:209], v[210:211] offset0:34 offset1:35
	s_waitcnt vmcnt(1)
	v_mov_b32_e32 v208, v116
	v_mov_b32_e32 v209, v117
	s_waitcnt vmcnt(0)
	ds_write2_b64 v229, v[208:209], v[152:153] offset0:36 offset1:37
	ds_read_b64 v[208:209], v228
	s_waitcnt lgkmcnt(0)
	v_cmp_neq_f64_e32 vcc, 0, v[208:209]
	s_and_b64 exec, exec, vcc
	s_cbranch_execz .LBB75_139
; %bb.138:
	v_div_scale_f64 v[210:211], s[6:7], v[208:209], v[208:209], 1.0
	v_rcp_f64_e32 v[212:213], v[210:211]
	v_div_scale_f64 v[214:215], vcc, 1.0, v[208:209], 1.0
	v_fma_f64 v[216:217], -v[210:211], v[212:213], 1.0
	v_fmac_f64_e32 v[212:213], v[212:213], v[216:217]
	v_fma_f64 v[216:217], -v[210:211], v[212:213], 1.0
	v_fmac_f64_e32 v[212:213], v[212:213], v[216:217]
	v_mul_f64 v[216:217], v[214:215], v[212:213]
	v_fma_f64 v[210:211], -v[210:211], v[216:217], v[214:215]
	v_div_fmas_f64 v[210:211], v[210:211], v[212:213], v[216:217]
	v_div_fixup_f64 v[208:209], v[210:211], v[208:209], 1.0
	ds_write_b64 v228, v[208:209]
.LBB75_139:
	s_or_b64 exec, exec, s[2:3]
	s_waitcnt lgkmcnt(0)
	s_barrier
	ds_read_b64 v[208:209], v228
	v_cmp_lt_u32_e32 vcc, 27, v230
	s_and_saveexec_b64 s[2:3], vcc
	s_cbranch_execz .LBB75_141
; %bb.140:
	ds_read2_b64 v[210:213], v229 offset0:28 offset1:29
	ds_read2_b64 v[214:217], v229 offset0:30 offset1:31
	s_waitcnt vmcnt(10) lgkmcnt(2)
	v_mul_f64 v[88:89], v[208:209], v[88:89]
	ds_read2_b64 v[218:221], v229 offset0:34 offset1:35
	s_waitcnt vmcnt(9) lgkmcnt(2)
	v_fma_f64 v[124:125], -v[88:89], v[210:211], v[124:125]
	s_waitcnt vmcnt(8)
	v_fma_f64 v[86:87], -v[88:89], v[212:213], v[86:87]
	ds_read2_b64 v[210:213], v229 offset0:32 offset1:33
	s_waitcnt vmcnt(7) lgkmcnt(2)
	v_fma_f64 v[122:123], -v[88:89], v[214:215], v[122:123]
	s_waitcnt vmcnt(6)
	v_fma_f64 v[84:85], -v[88:89], v[216:217], v[84:85]
	ds_read2_b64 v[214:217], v229 offset0:36 offset1:37
	s_waitcnt vmcnt(3) lgkmcnt(2)
	v_fma_f64 v[118:119], -v[88:89], v[218:219], v[118:119]
	s_waitcnt lgkmcnt(1)
	v_fma_f64 v[120:121], -v[88:89], v[210:211], v[120:121]
	v_fma_f64 v[82:83], -v[88:89], v[212:213], v[82:83]
	s_waitcnt vmcnt(2)
	v_fma_f64 v[80:81], -v[88:89], v[220:221], v[80:81]
	s_waitcnt vmcnt(1) lgkmcnt(0)
	v_fma_f64 v[116:117], -v[88:89], v[214:215], v[116:117]
	s_waitcnt vmcnt(0)
	v_fma_f64 v[152:153], -v[88:89], v[216:217], v[152:153]
.LBB75_141:
	s_or_b64 exec, exec, s[2:3]
	v_cmp_eq_u32_e32 vcc, 28, v230
	s_waitcnt lgkmcnt(0)
	s_barrier
	s_and_saveexec_b64 s[2:3], vcc
	s_cbranch_execz .LBB75_144
; %bb.142:
	s_waitcnt vmcnt(9)
	ds_write_b64 v228, v[124:125]
	s_waitcnt vmcnt(7)
	ds_write2_b64 v229, v[86:87], v[122:123] offset0:29 offset1:30
	s_waitcnt vmcnt(5)
	ds_write2_b64 v229, v[84:85], v[120:121] offset0:31 offset1:32
	;; [unrolled: 2-line block ×4, first 2 shown]
	s_waitcnt vmcnt(0)
	ds_write_b64 v229, v[152:153] offset:296
	ds_read_b64 v[210:211], v228
	s_waitcnt lgkmcnt(0)
	v_cmp_neq_f64_e32 vcc, 0, v[210:211]
	s_and_b64 exec, exec, vcc
	s_cbranch_execz .LBB75_144
; %bb.143:
	v_div_scale_f64 v[212:213], s[6:7], v[210:211], v[210:211], 1.0
	v_rcp_f64_e32 v[214:215], v[212:213]
	v_div_scale_f64 v[216:217], vcc, 1.0, v[210:211], 1.0
	v_fma_f64 v[218:219], -v[212:213], v[214:215], 1.0
	v_fmac_f64_e32 v[214:215], v[214:215], v[218:219]
	v_fma_f64 v[218:219], -v[212:213], v[214:215], 1.0
	v_fmac_f64_e32 v[214:215], v[214:215], v[218:219]
	v_mul_f64 v[218:219], v[216:217], v[214:215]
	v_fma_f64 v[212:213], -v[212:213], v[218:219], v[216:217]
	v_div_fmas_f64 v[212:213], v[212:213], v[214:215], v[218:219]
	v_div_fixup_f64 v[210:211], v[212:213], v[210:211], 1.0
	ds_write_b64 v228, v[210:211]
.LBB75_144:
	s_or_b64 exec, exec, s[2:3]
	s_waitcnt lgkmcnt(0)
	s_barrier
	ds_read_b64 v[210:211], v228
	v_cmp_lt_u32_e32 vcc, 28, v230
	s_and_saveexec_b64 s[2:3], vcc
	s_cbranch_execz .LBB75_146
; %bb.145:
	ds_read2_b64 v[212:215], v229 offset0:29 offset1:30
	ds_read2_b64 v[216:219], v229 offset0:31 offset1:32
	s_waitcnt vmcnt(9) lgkmcnt(2)
	v_mul_f64 v[124:125], v[210:211], v[124:125]
	ds_read2_b64 v[220:223], v229 offset0:35 offset1:36
	s_waitcnt vmcnt(8) lgkmcnt(2)
	v_fma_f64 v[86:87], -v[124:125], v[212:213], v[86:87]
	s_waitcnt vmcnt(7)
	v_fma_f64 v[122:123], -v[124:125], v[214:215], v[122:123]
	ds_read2_b64 v[212:215], v229 offset0:33 offset1:34
	s_waitcnt vmcnt(6) lgkmcnt(2)
	v_fma_f64 v[84:85], -v[124:125], v[216:217], v[84:85]
	ds_read_b64 v[216:217], v229 offset:296
	s_waitcnt vmcnt(5)
	v_fma_f64 v[120:121], -v[124:125], v[218:219], v[120:121]
	s_waitcnt vmcnt(2) lgkmcnt(2)
	v_fma_f64 v[80:81], -v[124:125], v[220:221], v[80:81]
	s_waitcnt lgkmcnt(1)
	v_fma_f64 v[82:83], -v[124:125], v[212:213], v[82:83]
	v_fma_f64 v[118:119], -v[124:125], v[214:215], v[118:119]
	s_waitcnt vmcnt(1)
	v_fma_f64 v[116:117], -v[124:125], v[222:223], v[116:117]
	s_waitcnt vmcnt(0) lgkmcnt(0)
	v_fma_f64 v[152:153], -v[124:125], v[216:217], v[152:153]
.LBB75_146:
	s_or_b64 exec, exec, s[2:3]
	v_cmp_eq_u32_e32 vcc, 29, v230
	s_waitcnt lgkmcnt(0)
	s_barrier
	s_and_saveexec_b64 s[2:3], vcc
	s_cbranch_execz .LBB75_149
; %bb.147:
	s_waitcnt vmcnt(7)
	v_mov_b32_e32 v212, v122
	v_mov_b32_e32 v213, v123
	s_waitcnt vmcnt(6)
	v_mov_b32_e32 v214, v84
	v_mov_b32_e32 v215, v85
	ds_write_b64 v228, v[86:87]
	ds_write2_b64 v229, v[212:213], v[214:215] offset0:30 offset1:31
	s_waitcnt vmcnt(5)
	v_mov_b32_e32 v212, v120
	v_mov_b32_e32 v213, v121
	s_waitcnt vmcnt(4)
	v_mov_b32_e32 v214, v82
	v_mov_b32_e32 v215, v83
	ds_write2_b64 v229, v[212:213], v[214:215] offset0:32 offset1:33
	s_waitcnt vmcnt(3)
	v_mov_b32_e32 v212, v118
	v_mov_b32_e32 v213, v119
	s_waitcnt vmcnt(2)
	v_mov_b32_e32 v214, v80
	v_mov_b32_e32 v215, v81
	ds_write2_b64 v229, v[212:213], v[214:215] offset0:34 offset1:35
	s_waitcnt vmcnt(1)
	v_mov_b32_e32 v212, v116
	v_mov_b32_e32 v213, v117
	s_waitcnt vmcnt(0)
	ds_write2_b64 v229, v[212:213], v[152:153] offset0:36 offset1:37
	ds_read_b64 v[212:213], v228
	s_waitcnt lgkmcnt(0)
	v_cmp_neq_f64_e32 vcc, 0, v[212:213]
	s_and_b64 exec, exec, vcc
	s_cbranch_execz .LBB75_149
; %bb.148:
	v_div_scale_f64 v[214:215], s[6:7], v[212:213], v[212:213], 1.0
	v_rcp_f64_e32 v[216:217], v[214:215]
	v_div_scale_f64 v[218:219], vcc, 1.0, v[212:213], 1.0
	v_fma_f64 v[220:221], -v[214:215], v[216:217], 1.0
	v_fmac_f64_e32 v[216:217], v[216:217], v[220:221]
	v_fma_f64 v[220:221], -v[214:215], v[216:217], 1.0
	v_fmac_f64_e32 v[216:217], v[216:217], v[220:221]
	v_mul_f64 v[220:221], v[218:219], v[216:217]
	v_fma_f64 v[214:215], -v[214:215], v[220:221], v[218:219]
	v_div_fmas_f64 v[214:215], v[214:215], v[216:217], v[220:221]
	v_div_fixup_f64 v[212:213], v[214:215], v[212:213], 1.0
	ds_write_b64 v228, v[212:213]
.LBB75_149:
	s_or_b64 exec, exec, s[2:3]
	s_waitcnt lgkmcnt(0)
	s_barrier
	ds_read_b64 v[212:213], v228
	v_cmp_lt_u32_e32 vcc, 29, v230
	s_and_saveexec_b64 s[2:3], vcc
	s_cbranch_execz .LBB75_151
; %bb.150:
	ds_read2_b64 v[214:217], v229 offset0:30 offset1:31
	ds_read2_b64 v[218:221], v229 offset0:32 offset1:33
	s_waitcnt vmcnt(8) lgkmcnt(2)
	v_mul_f64 v[86:87], v[212:213], v[86:87]
	ds_read2_b64 v[222:225], v229 offset0:34 offset1:35
	s_waitcnt vmcnt(7) lgkmcnt(2)
	v_fma_f64 v[122:123], -v[86:87], v[214:215], v[122:123]
	s_waitcnt vmcnt(6)
	v_fma_f64 v[84:85], -v[86:87], v[216:217], v[84:85]
	ds_read2_b64 v[214:217], v229 offset0:36 offset1:37
	s_waitcnt vmcnt(5) lgkmcnt(2)
	v_fma_f64 v[120:121], -v[86:87], v[218:219], v[120:121]
	s_waitcnt vmcnt(4)
	v_fma_f64 v[82:83], -v[86:87], v[220:221], v[82:83]
	s_waitcnt vmcnt(3) lgkmcnt(1)
	v_fma_f64 v[118:119], -v[86:87], v[222:223], v[118:119]
	s_waitcnt vmcnt(2)
	v_fma_f64 v[80:81], -v[86:87], v[224:225], v[80:81]
	;; [unrolled: 4-line block ×3, first 2 shown]
.LBB75_151:
	s_or_b64 exec, exec, s[2:3]
	v_cmp_eq_u32_e32 vcc, 30, v230
	s_waitcnt lgkmcnt(0)
	s_barrier
	s_and_saveexec_b64 s[2:3], vcc
	s_cbranch_execz .LBB75_154
; %bb.152:
	s_waitcnt vmcnt(7)
	ds_write_b64 v228, v[122:123]
	s_waitcnt vmcnt(5)
	ds_write2_b64 v229, v[84:85], v[120:121] offset0:31 offset1:32
	s_waitcnt vmcnt(3)
	ds_write2_b64 v229, v[82:83], v[118:119] offset0:33 offset1:34
	s_waitcnt vmcnt(1)
	ds_write2_b64 v229, v[80:81], v[116:117] offset0:35 offset1:36
	s_waitcnt vmcnt(0)
	ds_write_b64 v229, v[152:153] offset:296
	ds_read_b64 v[214:215], v228
	s_waitcnt lgkmcnt(0)
	v_cmp_neq_f64_e32 vcc, 0, v[214:215]
	s_and_b64 exec, exec, vcc
	s_cbranch_execz .LBB75_154
; %bb.153:
	v_div_scale_f64 v[216:217], s[6:7], v[214:215], v[214:215], 1.0
	v_rcp_f64_e32 v[218:219], v[216:217]
	v_div_scale_f64 v[220:221], vcc, 1.0, v[214:215], 1.0
	v_fma_f64 v[222:223], -v[216:217], v[218:219], 1.0
	v_fmac_f64_e32 v[218:219], v[218:219], v[222:223]
	v_fma_f64 v[222:223], -v[216:217], v[218:219], 1.0
	v_fmac_f64_e32 v[218:219], v[218:219], v[222:223]
	v_mul_f64 v[222:223], v[220:221], v[218:219]
	v_fma_f64 v[216:217], -v[216:217], v[222:223], v[220:221]
	v_div_fmas_f64 v[216:217], v[216:217], v[218:219], v[222:223]
	v_div_fixup_f64 v[214:215], v[216:217], v[214:215], 1.0
	ds_write_b64 v228, v[214:215]
.LBB75_154:
	s_or_b64 exec, exec, s[2:3]
	s_waitcnt lgkmcnt(0)
	s_barrier
	ds_read_b64 v[214:215], v228
	v_cmp_lt_u32_e32 vcc, 30, v230
	s_and_saveexec_b64 s[2:3], vcc
	s_cbranch_execz .LBB75_156
; %bb.155:
	ds_read2_b64 v[216:219], v229 offset0:31 offset1:32
	ds_read2_b64 v[220:223], v229 offset0:33 offset1:34
	s_waitcnt vmcnt(7) lgkmcnt(2)
	v_mul_f64 v[122:123], v[214:215], v[122:123]
	ds_read2_b64 v[224:227], v229 offset0:35 offset1:36
	s_waitcnt vmcnt(6) lgkmcnt(2)
	v_fma_f64 v[84:85], -v[122:123], v[216:217], v[84:85]
	ds_read_b64 v[216:217], v229 offset:296
	s_waitcnt vmcnt(5)
	v_fma_f64 v[120:121], -v[122:123], v[218:219], v[120:121]
	s_waitcnt vmcnt(4) lgkmcnt(2)
	v_fma_f64 v[82:83], -v[122:123], v[220:221], v[82:83]
	s_waitcnt vmcnt(3)
	v_fma_f64 v[118:119], -v[122:123], v[222:223], v[118:119]
	s_waitcnt vmcnt(2) lgkmcnt(1)
	v_fma_f64 v[80:81], -v[122:123], v[224:225], v[80:81]
	;; [unrolled: 4-line block ×3, first 2 shown]
.LBB75_156:
	s_or_b64 exec, exec, s[2:3]
	v_cmp_eq_u32_e32 vcc, 31, v230
	s_waitcnt lgkmcnt(0)
	s_barrier
	s_and_saveexec_b64 s[2:3], vcc
	s_cbranch_execz .LBB75_159
; %bb.157:
	s_waitcnt vmcnt(5)
	v_mov_b32_e32 v216, v120
	v_mov_b32_e32 v217, v121
	s_waitcnt vmcnt(4)
	v_mov_b32_e32 v218, v82
	v_mov_b32_e32 v219, v83
	ds_write_b64 v228, v[84:85]
	ds_write2_b64 v229, v[216:217], v[218:219] offset0:32 offset1:33
	s_waitcnt vmcnt(3)
	v_mov_b32_e32 v216, v118
	v_mov_b32_e32 v217, v119
	s_waitcnt vmcnt(2)
	v_mov_b32_e32 v218, v80
	v_mov_b32_e32 v219, v81
	ds_write2_b64 v229, v[216:217], v[218:219] offset0:34 offset1:35
	s_waitcnt vmcnt(1)
	v_mov_b32_e32 v216, v116
	v_mov_b32_e32 v217, v117
	s_waitcnt vmcnt(0)
	ds_write2_b64 v229, v[216:217], v[152:153] offset0:36 offset1:37
	ds_read_b64 v[216:217], v228
	s_waitcnt lgkmcnt(0)
	v_cmp_neq_f64_e32 vcc, 0, v[216:217]
	s_and_b64 exec, exec, vcc
	s_cbranch_execz .LBB75_159
; %bb.158:
	v_div_scale_f64 v[218:219], s[6:7], v[216:217], v[216:217], 1.0
	v_rcp_f64_e32 v[220:221], v[218:219]
	v_div_scale_f64 v[222:223], vcc, 1.0, v[216:217], 1.0
	v_fma_f64 v[224:225], -v[218:219], v[220:221], 1.0
	v_fmac_f64_e32 v[220:221], v[220:221], v[224:225]
	v_fma_f64 v[224:225], -v[218:219], v[220:221], 1.0
	v_fmac_f64_e32 v[220:221], v[220:221], v[224:225]
	v_mul_f64 v[224:225], v[222:223], v[220:221]
	v_fma_f64 v[218:219], -v[218:219], v[224:225], v[222:223]
	v_div_fmas_f64 v[218:219], v[218:219], v[220:221], v[224:225]
	v_div_fixup_f64 v[216:217], v[218:219], v[216:217], 1.0
	ds_write_b64 v228, v[216:217]
.LBB75_159:
	s_or_b64 exec, exec, s[2:3]
	s_waitcnt lgkmcnt(0)
	s_barrier
	ds_read_b64 v[216:217], v228
	v_cmp_lt_u32_e32 vcc, 31, v230
	s_and_saveexec_b64 s[2:3], vcc
	s_cbranch_execz .LBB75_161
; %bb.160:
	ds_read2_b64 v[218:221], v229 offset0:32 offset1:33
	ds_read2_b64 v[222:225], v229 offset0:34 offset1:35
	;; [unrolled: 1-line block ×3, first 2 shown]
	s_waitcnt vmcnt(6) lgkmcnt(3)
	v_mul_f64 v[84:85], v[216:217], v[84:85]
	s_waitcnt vmcnt(5) lgkmcnt(2)
	v_fma_f64 v[120:121], -v[84:85], v[218:219], v[120:121]
	s_waitcnt vmcnt(4)
	v_fma_f64 v[82:83], -v[84:85], v[220:221], v[82:83]
	s_waitcnt vmcnt(3) lgkmcnt(1)
	v_fma_f64 v[118:119], -v[84:85], v[222:223], v[118:119]
	s_waitcnt vmcnt(2)
	v_fma_f64 v[80:81], -v[84:85], v[224:225], v[80:81]
	;; [unrolled: 4-line block ×3, first 2 shown]
.LBB75_161:
	s_or_b64 exec, exec, s[2:3]
	v_cmp_eq_u32_e32 vcc, 32, v230
	s_waitcnt lgkmcnt(0)
	s_barrier
	s_and_saveexec_b64 s[2:3], vcc
	s_cbranch_execz .LBB75_164
; %bb.162:
	s_waitcnt vmcnt(5)
	ds_write_b64 v228, v[120:121]
	s_waitcnt vmcnt(3)
	ds_write2_b64 v229, v[82:83], v[118:119] offset0:33 offset1:34
	s_waitcnt vmcnt(1)
	ds_write2_b64 v229, v[80:81], v[116:117] offset0:35 offset1:36
	s_waitcnt vmcnt(0)
	ds_write_b64 v229, v[152:153] offset:296
	ds_read_b64 v[218:219], v228
	s_waitcnt lgkmcnt(0)
	v_cmp_neq_f64_e32 vcc, 0, v[218:219]
	s_and_b64 exec, exec, vcc
	s_cbranch_execz .LBB75_164
; %bb.163:
	v_div_scale_f64 v[220:221], s[6:7], v[218:219], v[218:219], 1.0
	v_rcp_f64_e32 v[222:223], v[220:221]
	v_div_scale_f64 v[224:225], vcc, 1.0, v[218:219], 1.0
	v_fma_f64 v[226:227], -v[220:221], v[222:223], 1.0
	v_fmac_f64_e32 v[222:223], v[222:223], v[226:227]
	v_fma_f64 v[226:227], -v[220:221], v[222:223], 1.0
	v_fmac_f64_e32 v[222:223], v[222:223], v[226:227]
	v_mul_f64 v[226:227], v[224:225], v[222:223]
	v_fma_f64 v[220:221], -v[220:221], v[226:227], v[224:225]
	v_div_fmas_f64 v[220:221], v[220:221], v[222:223], v[226:227]
	v_div_fixup_f64 v[218:219], v[220:221], v[218:219], 1.0
	ds_write_b64 v228, v[218:219]
.LBB75_164:
	s_or_b64 exec, exec, s[2:3]
	s_waitcnt lgkmcnt(0)
	s_barrier
	ds_read_b64 v[218:219], v228
	v_cmp_lt_u32_e32 vcc, 32, v230
	s_and_saveexec_b64 s[2:3], vcc
	s_cbranch_execz .LBB75_166
; %bb.165:
	ds_read2_b64 v[220:223], v229 offset0:33 offset1:34
	ds_read2_b64 v[224:227], v229 offset0:35 offset1:36
	ds_read_b64 v[232:233], v229 offset:296
	s_waitcnt vmcnt(5) lgkmcnt(3)
	v_mul_f64 v[120:121], v[218:219], v[120:121]
	s_waitcnt vmcnt(4) lgkmcnt(2)
	v_fma_f64 v[82:83], -v[120:121], v[220:221], v[82:83]
	s_waitcnt vmcnt(3)
	v_fma_f64 v[118:119], -v[120:121], v[222:223], v[118:119]
	s_waitcnt vmcnt(2) lgkmcnt(1)
	v_fma_f64 v[80:81], -v[120:121], v[224:225], v[80:81]
	s_waitcnt vmcnt(1)
	v_fma_f64 v[116:117], -v[120:121], v[226:227], v[116:117]
	s_waitcnt vmcnt(0) lgkmcnt(0)
	v_fma_f64 v[152:153], -v[120:121], v[232:233], v[152:153]
.LBB75_166:
	s_or_b64 exec, exec, s[2:3]
	v_cmp_eq_u32_e32 vcc, 33, v230
	s_waitcnt lgkmcnt(0)
	s_barrier
	s_and_saveexec_b64 s[2:3], vcc
	s_cbranch_execz .LBB75_169
; %bb.167:
	s_waitcnt vmcnt(3)
	v_mov_b32_e32 v220, v118
	v_mov_b32_e32 v221, v119
	s_waitcnt vmcnt(2)
	v_mov_b32_e32 v222, v80
	v_mov_b32_e32 v223, v81
	ds_write_b64 v228, v[82:83]
	ds_write2_b64 v229, v[220:221], v[222:223] offset0:34 offset1:35
	s_waitcnt vmcnt(1)
	v_mov_b32_e32 v220, v116
	v_mov_b32_e32 v221, v117
	s_waitcnt vmcnt(0)
	ds_write2_b64 v229, v[220:221], v[152:153] offset0:36 offset1:37
	ds_read_b64 v[220:221], v228
	s_waitcnt lgkmcnt(0)
	v_cmp_neq_f64_e32 vcc, 0, v[220:221]
	s_and_b64 exec, exec, vcc
	s_cbranch_execz .LBB75_169
; %bb.168:
	v_div_scale_f64 v[222:223], s[6:7], v[220:221], v[220:221], 1.0
	v_rcp_f64_e32 v[224:225], v[222:223]
	v_div_scale_f64 v[226:227], vcc, 1.0, v[220:221], 1.0
	v_fma_f64 v[232:233], -v[222:223], v[224:225], 1.0
	v_fmac_f64_e32 v[224:225], v[224:225], v[232:233]
	v_fma_f64 v[232:233], -v[222:223], v[224:225], 1.0
	v_fmac_f64_e32 v[224:225], v[224:225], v[232:233]
	v_mul_f64 v[232:233], v[226:227], v[224:225]
	v_fma_f64 v[222:223], -v[222:223], v[232:233], v[226:227]
	v_div_fmas_f64 v[222:223], v[222:223], v[224:225], v[232:233]
	v_div_fixup_f64 v[220:221], v[222:223], v[220:221], 1.0
	ds_write_b64 v228, v[220:221]
.LBB75_169:
	s_or_b64 exec, exec, s[2:3]
	s_waitcnt lgkmcnt(0)
	s_barrier
	ds_read_b64 v[220:221], v228
	v_cmp_lt_u32_e32 vcc, 33, v230
	s_and_saveexec_b64 s[2:3], vcc
	s_cbranch_execz .LBB75_171
; %bb.170:
	ds_read2_b64 v[222:225], v229 offset0:34 offset1:35
	ds_read2_b64 v[232:235], v229 offset0:36 offset1:37
	s_waitcnt vmcnt(4) lgkmcnt(2)
	v_mul_f64 v[82:83], v[220:221], v[82:83]
	s_waitcnt vmcnt(3) lgkmcnt(1)
	v_fma_f64 v[118:119], -v[82:83], v[222:223], v[118:119]
	s_waitcnt vmcnt(2)
	v_fma_f64 v[80:81], -v[82:83], v[224:225], v[80:81]
	s_waitcnt vmcnt(1) lgkmcnt(0)
	v_fma_f64 v[116:117], -v[82:83], v[232:233], v[116:117]
	s_waitcnt vmcnt(0)
	v_fma_f64 v[152:153], -v[82:83], v[234:235], v[152:153]
.LBB75_171:
	s_or_b64 exec, exec, s[2:3]
	v_cmp_eq_u32_e32 vcc, 34, v230
	s_waitcnt lgkmcnt(0)
	s_barrier
	s_and_saveexec_b64 s[2:3], vcc
	s_cbranch_execz .LBB75_174
; %bb.172:
	s_waitcnt vmcnt(3)
	ds_write_b64 v228, v[118:119]
	s_waitcnt vmcnt(1)
	ds_write2_b64 v229, v[80:81], v[116:117] offset0:35 offset1:36
	s_waitcnt vmcnt(0)
	ds_write_b64 v229, v[152:153] offset:296
	ds_read_b64 v[222:223], v228
	s_waitcnt lgkmcnt(0)
	v_cmp_neq_f64_e32 vcc, 0, v[222:223]
	s_and_b64 exec, exec, vcc
	s_cbranch_execz .LBB75_174
; %bb.173:
	v_div_scale_f64 v[224:225], s[6:7], v[222:223], v[222:223], 1.0
	v_rcp_f64_e32 v[226:227], v[224:225]
	v_div_scale_f64 v[232:233], vcc, 1.0, v[222:223], 1.0
	v_fma_f64 v[234:235], -v[224:225], v[226:227], 1.0
	v_fmac_f64_e32 v[226:227], v[226:227], v[234:235]
	v_fma_f64 v[234:235], -v[224:225], v[226:227], 1.0
	v_fmac_f64_e32 v[226:227], v[226:227], v[234:235]
	v_mul_f64 v[234:235], v[232:233], v[226:227]
	v_fma_f64 v[224:225], -v[224:225], v[234:235], v[232:233]
	v_div_fmas_f64 v[224:225], v[224:225], v[226:227], v[234:235]
	v_div_fixup_f64 v[222:223], v[224:225], v[222:223], 1.0
	ds_write_b64 v228, v[222:223]
.LBB75_174:
	s_or_b64 exec, exec, s[2:3]
	s_waitcnt lgkmcnt(0)
	s_barrier
	ds_read_b64 v[222:223], v228
	v_cmp_lt_u32_e32 vcc, 34, v230
	s_and_saveexec_b64 s[2:3], vcc
	s_cbranch_execz .LBB75_176
; %bb.175:
	ds_read2_b64 v[224:227], v229 offset0:35 offset1:36
	ds_read_b64 v[232:233], v229 offset:296
	s_waitcnt vmcnt(3) lgkmcnt(2)
	v_mul_f64 v[118:119], v[222:223], v[118:119]
	s_waitcnt vmcnt(2) lgkmcnt(1)
	v_fma_f64 v[80:81], -v[118:119], v[224:225], v[80:81]
	s_waitcnt vmcnt(1)
	v_fma_f64 v[116:117], -v[118:119], v[226:227], v[116:117]
	s_waitcnt vmcnt(0) lgkmcnt(0)
	v_fma_f64 v[152:153], -v[118:119], v[232:233], v[152:153]
.LBB75_176:
	s_or_b64 exec, exec, s[2:3]
	v_cmp_eq_u32_e32 vcc, 35, v230
	s_waitcnt lgkmcnt(0)
	s_barrier
	s_and_saveexec_b64 s[2:3], vcc
	s_cbranch_execz .LBB75_179
; %bb.177:
	s_waitcnt vmcnt(1)
	v_mov_b32_e32 v224, v116
	v_mov_b32_e32 v225, v117
	ds_write_b64 v228, v[80:81]
	s_waitcnt vmcnt(0)
	ds_write2_b64 v229, v[224:225], v[152:153] offset0:36 offset1:37
	ds_read_b64 v[224:225], v228
	s_waitcnt lgkmcnt(0)
	v_cmp_neq_f64_e32 vcc, 0, v[224:225]
	s_and_b64 exec, exec, vcc
	s_cbranch_execz .LBB75_179
; %bb.178:
	v_div_scale_f64 v[226:227], s[6:7], v[224:225], v[224:225], 1.0
	v_rcp_f64_e32 v[232:233], v[226:227]
	v_div_scale_f64 v[234:235], vcc, 1.0, v[224:225], 1.0
	v_fma_f64 v[236:237], -v[226:227], v[232:233], 1.0
	v_fmac_f64_e32 v[232:233], v[232:233], v[236:237]
	v_fma_f64 v[236:237], -v[226:227], v[232:233], 1.0
	v_fmac_f64_e32 v[232:233], v[232:233], v[236:237]
	v_mul_f64 v[236:237], v[234:235], v[232:233]
	v_fma_f64 v[226:227], -v[226:227], v[236:237], v[234:235]
	v_div_fmas_f64 v[226:227], v[226:227], v[232:233], v[236:237]
	v_div_fixup_f64 v[224:225], v[226:227], v[224:225], 1.0
	ds_write_b64 v228, v[224:225]
.LBB75_179:
	s_or_b64 exec, exec, s[2:3]
	s_waitcnt lgkmcnt(0)
	s_barrier
	ds_read_b64 v[224:225], v228
	v_cmp_lt_u32_e32 vcc, 35, v230
	s_and_saveexec_b64 s[2:3], vcc
	s_cbranch_execz .LBB75_181
; %bb.180:
	ds_read2_b64 v[232:235], v229 offset0:36 offset1:37
	s_waitcnt vmcnt(2) lgkmcnt(1)
	v_mul_f64 v[80:81], v[224:225], v[80:81]
	s_waitcnt vmcnt(1) lgkmcnt(0)
	v_fma_f64 v[116:117], -v[80:81], v[232:233], v[116:117]
	s_waitcnt vmcnt(0)
	v_fma_f64 v[152:153], -v[80:81], v[234:235], v[152:153]
.LBB75_181:
	s_or_b64 exec, exec, s[2:3]
	v_cmp_eq_u32_e32 vcc, 36, v230
	s_waitcnt lgkmcnt(0)
	s_barrier
	s_and_saveexec_b64 s[2:3], vcc
	s_cbranch_execz .LBB75_184
; %bb.182:
	s_waitcnt vmcnt(1)
	ds_write_b64 v228, v[116:117]
	s_waitcnt vmcnt(0)
	ds_write_b64 v229, v[152:153] offset:296
	ds_read_b64 v[226:227], v228
	s_waitcnt lgkmcnt(0)
	v_cmp_neq_f64_e32 vcc, 0, v[226:227]
	s_and_b64 exec, exec, vcc
	s_cbranch_execz .LBB75_184
; %bb.183:
	v_div_scale_f64 v[232:233], s[6:7], v[226:227], v[226:227], 1.0
	v_rcp_f64_e32 v[234:235], v[232:233]
	v_div_scale_f64 v[236:237], vcc, 1.0, v[226:227], 1.0
	v_fma_f64 v[238:239], -v[232:233], v[234:235], 1.0
	v_fmac_f64_e32 v[234:235], v[234:235], v[238:239]
	v_fma_f64 v[238:239], -v[232:233], v[234:235], 1.0
	v_fmac_f64_e32 v[234:235], v[234:235], v[238:239]
	v_mul_f64 v[238:239], v[236:237], v[234:235]
	v_fma_f64 v[232:233], -v[232:233], v[238:239], v[236:237]
	v_div_fmas_f64 v[232:233], v[232:233], v[234:235], v[238:239]
	v_div_fixup_f64 v[226:227], v[232:233], v[226:227], 1.0
	ds_write_b64 v228, v[226:227]
.LBB75_184:
	s_or_b64 exec, exec, s[2:3]
	s_waitcnt lgkmcnt(0)
	s_barrier
	ds_read_b64 v[226:227], v228
	v_cmp_lt_u32_e32 vcc, 36, v230
	s_and_saveexec_b64 s[2:3], vcc
	s_cbranch_execz .LBB75_186
; %bb.185:
	ds_read_b64 v[232:233], v229 offset:296
	s_waitcnt vmcnt(1) lgkmcnt(1)
	v_mul_f64 v[116:117], v[226:227], v[116:117]
	s_waitcnt vmcnt(0) lgkmcnt(0)
	v_fma_f64 v[152:153], -v[116:117], v[232:233], v[152:153]
.LBB75_186:
	s_or_b64 exec, exec, s[2:3]
	v_cmp_eq_u32_e32 vcc, 37, v230
	s_waitcnt lgkmcnt(0)
	s_barrier
	s_and_saveexec_b64 s[2:3], vcc
	s_cbranch_execz .LBB75_189
; %bb.187:
	s_waitcnt vmcnt(0)
	v_cmp_neq_f64_e32 vcc, 0, v[152:153]
	ds_write_b64 v228, v[152:153]
	s_and_b64 exec, exec, vcc
	s_cbranch_execz .LBB75_189
; %bb.188:
	v_div_scale_f64 v[232:233], s[6:7], v[152:153], v[152:153], 1.0
	v_rcp_f64_e32 v[234:235], v[232:233]
	v_div_scale_f64 v[236:237], vcc, 1.0, v[152:153], 1.0
	v_fma_f64 v[238:239], -v[232:233], v[234:235], 1.0
	v_fmac_f64_e32 v[234:235], v[234:235], v[238:239]
	v_fma_f64 v[238:239], -v[232:233], v[234:235], 1.0
	v_fmac_f64_e32 v[234:235], v[234:235], v[238:239]
	v_mul_f64 v[238:239], v[236:237], v[234:235]
	v_fma_f64 v[232:233], -v[232:233], v[238:239], v[236:237]
	v_div_fmas_f64 v[232:233], v[232:233], v[234:235], v[238:239]
	v_div_fixup_f64 v[232:233], v[232:233], v[152:153], 1.0
	ds_write_b64 v228, v[232:233]
.LBB75_189:
	s_or_b64 exec, exec, s[2:3]
	s_waitcnt lgkmcnt(0)
	s_barrier
	ds_read_b64 v[228:229], v228
	s_waitcnt lgkmcnt(0)
	s_barrier
	s_and_saveexec_b64 s[2:3], s[0:1]
	s_cbranch_execz .LBB75_192
; %bb.190:
	v_cmp_eq_f64_e32 vcc, 0, v[154:155]
	v_cmp_neq_f64_e64 s[0:1], 0, v[156:157]
	v_cndmask_b32_e64 v154, 0, 1, vcc
	s_or_b64 vcc, s[0:1], vcc
	v_cndmask_b32_e32 v154, 2, v154, vcc
	v_cmp_eq_f64_e32 vcc, 0, v[158:159]
	v_cmp_eq_u32_e64 s[0:1], 0, v154
	s_and_b64 s[0:1], vcc, s[0:1]
	v_cndmask_b32_e64 v154, v154, 3, s[0:1]
	v_cmp_eq_f64_e32 vcc, 0, v[160:161]
	v_cmp_eq_u32_e64 s[0:1], 0, v154
	s_and_b64 s[0:1], vcc, s[0:1]
	v_cndmask_b32_e64 v154, v154, 4, s[0:1]
	;; [unrolled: 4-line block ×14, first 2 shown]
	v_cmp_eq_f64_e32 vcc, 0, v[186:187]
	v_cmp_eq_u32_e64 s[0:1], 0, v154
	s_load_dwordx2 s[4:5], s[4:5], 0x28
	s_and_b64 s[0:1], vcc, s[0:1]
	v_cndmask_b32_e64 v154, v154, 17, s[0:1]
	v_cmp_eq_f64_e32 vcc, 0, v[188:189]
	v_cmp_eq_u32_e64 s[0:1], 0, v154
	s_and_b64 s[0:1], vcc, s[0:1]
	v_lshlrev_b64 v[2:3], 2, v[2:3]
	v_cndmask_b32_e64 v154, v154, 18, s[0:1]
	s_waitcnt lgkmcnt(0)
	v_mov_b32_e32 v155, s5
	v_add_co_u32_e64 v2, s[0:1], s4, v2
	v_addc_co_u32_e64 v3, s[0:1], v155, v3, s[0:1]
	global_load_dword v155, v[2:3], off
	v_cmp_eq_f64_e32 vcc, 0, v[190:191]
	v_cmp_eq_u32_e64 s[0:1], 0, v154
	s_and_b64 s[0:1], vcc, s[0:1]
	v_cndmask_b32_e64 v154, v154, 19, s[0:1]
	v_cmp_eq_f64_e32 vcc, 0, v[192:193]
	v_cmp_eq_u32_e64 s[0:1], 0, v154
	s_and_b64 s[0:1], vcc, s[0:1]
	v_cndmask_b32_e64 v154, v154, 20, s[0:1]
	;; [unrolled: 4-line block ×20, first 2 shown]
	s_waitcnt vmcnt(0)
	v_cmp_eq_u32_e32 vcc, 0, v155
	v_cmp_ne_u32_e64 s[0:1], 0, v154
	s_and_b64 s[0:1], vcc, s[0:1]
	s_and_b64 exec, exec, s[0:1]
	s_cbranch_execz .LBB75_192
; %bb.191:
	v_add_u32_e32 v154, s9, v154
	global_store_dword v[2:3], v154, off
.LBB75_192:
	s_or_b64 exec, exec, s[2:3]
	s_waitcnt vmcnt(0)
	v_mul_f64 v[2:3], v[228:229], v[152:153]
	v_cmp_lt_u32_e32 vcc, 37, v230
	v_cndmask_b32_e32 v3, v153, v3, vcc
	v_cndmask_b32_e32 v2, v152, v2, vcc
	global_store_dwordx2 v[74:75], v[78:79], off
	global_store_dwordx2 v[76:77], v[114:115], off
	;; [unrolled: 1-line block ×38, first 2 shown]
.LBB75_193:
	s_endpgm
	.section	.rodata,"a",@progbits
	.p2align	6, 0x0
	.amdhsa_kernel _ZN9rocsolver6v33100L23getf2_npvt_small_kernelILi38EdiiPKPdEEvT1_T3_lS5_lPT2_S5_S5_
		.amdhsa_group_segment_fixed_size 0
		.amdhsa_private_segment_fixed_size 0
		.amdhsa_kernarg_size 312
		.amdhsa_user_sgpr_count 6
		.amdhsa_user_sgpr_private_segment_buffer 1
		.amdhsa_user_sgpr_dispatch_ptr 0
		.amdhsa_user_sgpr_queue_ptr 0
		.amdhsa_user_sgpr_kernarg_segment_ptr 1
		.amdhsa_user_sgpr_dispatch_id 0
		.amdhsa_user_sgpr_flat_scratch_init 0
		.amdhsa_user_sgpr_kernarg_preload_length 0
		.amdhsa_user_sgpr_kernarg_preload_offset 0
		.amdhsa_user_sgpr_private_segment_size 0
		.amdhsa_uses_dynamic_stack 0
		.amdhsa_system_sgpr_private_segment_wavefront_offset 0
		.amdhsa_system_sgpr_workgroup_id_x 1
		.amdhsa_system_sgpr_workgroup_id_y 1
		.amdhsa_system_sgpr_workgroup_id_z 0
		.amdhsa_system_sgpr_workgroup_info 0
		.amdhsa_system_vgpr_workitem_id 1
		.amdhsa_next_free_vgpr 240
		.amdhsa_next_free_sgpr 16
		.amdhsa_accum_offset 240
		.amdhsa_reserve_vcc 1
		.amdhsa_reserve_flat_scratch 0
		.amdhsa_float_round_mode_32 0
		.amdhsa_float_round_mode_16_64 0
		.amdhsa_float_denorm_mode_32 3
		.amdhsa_float_denorm_mode_16_64 3
		.amdhsa_dx10_clamp 1
		.amdhsa_ieee_mode 1
		.amdhsa_fp16_overflow 0
		.amdhsa_tg_split 0
		.amdhsa_exception_fp_ieee_invalid_op 0
		.amdhsa_exception_fp_denorm_src 0
		.amdhsa_exception_fp_ieee_div_zero 0
		.amdhsa_exception_fp_ieee_overflow 0
		.amdhsa_exception_fp_ieee_underflow 0
		.amdhsa_exception_fp_ieee_inexact 0
		.amdhsa_exception_int_div_zero 0
	.end_amdhsa_kernel
	.section	.text._ZN9rocsolver6v33100L23getf2_npvt_small_kernelILi38EdiiPKPdEEvT1_T3_lS5_lPT2_S5_S5_,"axG",@progbits,_ZN9rocsolver6v33100L23getf2_npvt_small_kernelILi38EdiiPKPdEEvT1_T3_lS5_lPT2_S5_S5_,comdat
.Lfunc_end75:
	.size	_ZN9rocsolver6v33100L23getf2_npvt_small_kernelILi38EdiiPKPdEEvT1_T3_lS5_lPT2_S5_S5_, .Lfunc_end75-_ZN9rocsolver6v33100L23getf2_npvt_small_kernelILi38EdiiPKPdEEvT1_T3_lS5_lPT2_S5_S5_
                                        ; -- End function
	.section	.AMDGPU.csdata,"",@progbits
; Kernel info:
; codeLenInByte = 28652
; NumSgprs: 20
; NumVgprs: 240
; NumAgprs: 0
; TotalNumVgprs: 240
; ScratchSize: 0
; MemoryBound: 0
; FloatMode: 240
; IeeeMode: 1
; LDSByteSize: 0 bytes/workgroup (compile time only)
; SGPRBlocks: 2
; VGPRBlocks: 29
; NumSGPRsForWavesPerEU: 20
; NumVGPRsForWavesPerEU: 240
; AccumOffset: 240
; Occupancy: 2
; WaveLimiterHint : 1
; COMPUTE_PGM_RSRC2:SCRATCH_EN: 0
; COMPUTE_PGM_RSRC2:USER_SGPR: 6
; COMPUTE_PGM_RSRC2:TRAP_HANDLER: 0
; COMPUTE_PGM_RSRC2:TGID_X_EN: 1
; COMPUTE_PGM_RSRC2:TGID_Y_EN: 1
; COMPUTE_PGM_RSRC2:TGID_Z_EN: 0
; COMPUTE_PGM_RSRC2:TIDIG_COMP_CNT: 1
; COMPUTE_PGM_RSRC3_GFX90A:ACCUM_OFFSET: 59
; COMPUTE_PGM_RSRC3_GFX90A:TG_SPLIT: 0
	.section	.text._ZN9rocsolver6v33100L18getf2_small_kernelILi39EdiiPKPdEEvT1_T3_lS5_lPS5_llPT2_S5_S5_S7_l,"axG",@progbits,_ZN9rocsolver6v33100L18getf2_small_kernelILi39EdiiPKPdEEvT1_T3_lS5_lPS5_llPT2_S5_S5_S7_l,comdat
	.globl	_ZN9rocsolver6v33100L18getf2_small_kernelILi39EdiiPKPdEEvT1_T3_lS5_lPS5_llPT2_S5_S5_S7_l ; -- Begin function _ZN9rocsolver6v33100L18getf2_small_kernelILi39EdiiPKPdEEvT1_T3_lS5_lPS5_llPT2_S5_S5_S7_l
	.p2align	8
	.type	_ZN9rocsolver6v33100L18getf2_small_kernelILi39EdiiPKPdEEvT1_T3_lS5_lPS5_llPT2_S5_S5_S7_l,@function
_ZN9rocsolver6v33100L18getf2_small_kernelILi39EdiiPKPdEEvT1_T3_lS5_lPS5_llPT2_S5_S5_S7_l: ; @_ZN9rocsolver6v33100L18getf2_small_kernelILi39EdiiPKPdEEvT1_T3_lS5_lPS5_llPT2_S5_S5_S7_l
; %bb.0:
	s_load_dword s0, s[4:5], 0x6c
	s_load_dwordx2 s[12:13], s[4:5], 0x48
	v_bfe_u32 v82, v0, 10, 10
	s_waitcnt lgkmcnt(0)
	s_lshr_b32 s0, s0, 16
	s_mul_i32 s7, s7, s0
	v_add_u32_e32 v2, s7, v82
	v_cmp_gt_i32_e32 vcc, s12, v2
	s_and_saveexec_b64 s[0:1], vcc
	s_cbranch_execz .LBB76_660
; %bb.1:
	s_load_dwordx4 s[0:3], s[4:5], 0x8
	s_load_dwordx4 s[8:11], s[4:5], 0x50
	v_ashrrev_i32_e32 v3, 31, v2
	v_lshlrev_b64 v[4:5], 3, v[2:3]
	s_waitcnt lgkmcnt(0)
	v_mov_b32_e32 v1, s1
	v_add_co_u32_e32 v4, vcc, s0, v4
	v_addc_co_u32_e32 v5, vcc, v1, v5, vcc
	global_load_dwordx2 v[6:7], v[4:5], off
	s_cmp_eq_u64 s[8:9], 0
	s_cselect_b64 s[6:7], -1, 0
	s_and_b64 vcc, exec, s[6:7]
	v_pk_mov_b32 v[4:5], 0, 0
	s_cbranch_vccnz .LBB76_3
; %bb.2:
	v_mul_lo_u32 v1, v3, s10
	v_mul_lo_u32 v8, v2, s11
	v_mad_u64_u32 v[4:5], s[0:1], v2, s10, 0
	v_add3_u32 v5, v5, v8, v1
	v_lshlrev_b64 v[4:5], 2, v[4:5]
	v_mov_b32_e32 v1, s9
	v_add_co_u32_e32 v4, vcc, s8, v4
	v_addc_co_u32_e32 v5, vcc, v1, v5, vcc
.LBB76_3:
	s_load_dword s8, s[4:5], 0x18
	s_load_dword s18, s[4:5], 0x0
	s_lshl_b64 s[0:1], s[2:3], 3
	v_and_b32_e32 v90, 0x3ff, v0
	v_mov_b32_e32 v1, s1
	s_waitcnt lgkmcnt(0)
	s_add_i32 s12, s8, s8
	s_waitcnt vmcnt(0)
	v_add_co_u32_e32 v88, vcc, s0, v6
	v_add_u32_e32 v0, s12, v90
	v_addc_co_u32_e32 v89, vcc, v7, v1, vcc
	v_ashrrev_i32_e32 v1, 31, v0
	v_lshlrev_b64 v[6:7], 3, v[0:1]
	v_add_u32_e32 v0, s8, v0
	v_add_co_u32_e32 v6, vcc, v88, v6
	v_ashrrev_i32_e32 v1, 31, v0
	v_addc_co_u32_e32 v7, vcc, v89, v7, vcc
	v_lshlrev_b64 v[8:9], 3, v[0:1]
	v_add_u32_e32 v0, s8, v0
	v_add_co_u32_e32 v8, vcc, v88, v8
	v_ashrrev_i32_e32 v1, 31, v0
	v_addc_co_u32_e32 v9, vcc, v89, v9, vcc
	;; [unrolled: 5-line block ×36, first 2 shown]
	v_lshlrev_b64 v[0:1], 3, v[0:1]
	v_add_co_u32_e32 v132, vcc, v88, v0
	v_addc_co_u32_e32 v133, vcc, v89, v1, vcc
	v_lshlrev_b32_e32 v83, 3, v90
	v_add_co_u32_e32 v0, vcc, v88, v83
	s_ashr_i32 s9, s8, 31
	v_addc_co_u32_e32 v1, vcc, 0, v89, vcc
	s_lshl_b64 s[10:11], s[8:9], 3
	v_mov_b32_e32 v33, s11
	v_add_co_u32_e32 v32, vcc, s10, v0
	v_addc_co_u32_e32 v33, vcc, v1, v33, vcc
	global_load_dwordx2 v[78:79], v[0:1], off
	global_load_dwordx2 v[76:77], v[32:33], off
	;; [unrolled: 1-line block ×15, first 2 shown]
                                        ; kill: killed $vgpr8 killed $vgpr9
                                        ; kill: killed $vgpr12 killed $vgpr13
                                        ; kill: killed $vgpr16 killed $vgpr17
                                        ; kill: killed $vgpr20 killed $vgpr21
                                        ; kill: killed $vgpr24 killed $vgpr25
                                        ; kill: killed $vgpr28 killed $vgpr29
                                        ; kill: killed $vgpr0 killed $vgpr1
                                        ; kill: killed $vgpr6 killed $vgpr7
                                        ; kill: killed $vgpr32 killed $vgpr33
                                        ; kill: killed $vgpr10 killed $vgpr11
                                        ; kill: killed $vgpr14 killed $vgpr15
                                        ; kill: killed $vgpr18 killed $vgpr19
                                        ; kill: killed $vgpr22 killed $vgpr23
                                        ; kill: killed $vgpr26 killed $vgpr27
                                        ; kill: killed $vgpr30 killed $vgpr31
	global_load_dwordx2 v[50:51], v[80:81], off
	global_load_dwordx2 v[46:47], v[84:85], off
	;; [unrolled: 1-line block ×15, first 2 shown]
                                        ; kill: killed $vgpr84 killed $vgpr85
                                        ; kill: killed $vgpr92 killed $vgpr93
                                        ; kill: killed $vgpr96 killed $vgpr97
                                        ; kill: killed $vgpr100 killed $vgpr101
                                        ; kill: killed $vgpr104 killed $vgpr105
                                        ; kill: killed $vgpr108 killed $vgpr109
                                        ; kill: killed $vgpr112 killed $vgpr113
                                        ; kill: killed $vgpr80 killed $vgpr81
                                        ; kill: killed $vgpr86 killed $vgpr87
                                        ; kill: killed $vgpr94 killed $vgpr95
                                        ; kill: killed $vgpr98 killed $vgpr99
                                        ; kill: killed $vgpr102 killed $vgpr103
                                        ; kill: killed $vgpr106 killed $vgpr107
                                        ; kill: killed $vgpr110 killed $vgpr111
                                        ; kill: killed $vgpr114 killed $vgpr115
	global_load_dwordx2 v[20:21], v[116:117], off
	global_load_dwordx2 v[16:17], v[118:119], off
	;; [unrolled: 1-line block ×9, first 2 shown]
	s_max_i32 s0, s18, 39
	v_mul_lo_u32 v84, s0, v82
	v_lshl_add_u32 v86, v84, 3, 0
	v_add_u32_e32 v82, v86, v83
	s_cmp_lt_i32 s18, 2
	v_lshlrev_b32_e32 v91, 3, v84
	v_mov_b32_e32 v84, 0
	s_waitcnt vmcnt(38)
	ds_write_b64 v82, v[78:79]
	s_waitcnt lgkmcnt(0)
	s_barrier
	ds_read_b64 v[82:83], v86
	s_cbranch_scc1 .LBB76_6
; %bb.4:
	v_add3_u32 v85, v91, 0, 8
	s_mov_b32 s0, 1
	v_mov_b32_e32 v84, 0
.LBB76_5:                               ; =>This Inner Loop Header: Depth=1
	ds_read_b64 v[92:93], v85
	v_mov_b32_e32 v87, s0
	s_add_i32 s0, s0, 1
	v_add_u32_e32 v85, 8, v85
	s_cmp_eq_u32 s18, s0
	s_waitcnt lgkmcnt(0)
	v_cmp_lt_f64_e64 vcc, |v[82:83]|, |v[92:93]|
	v_cndmask_b32_e32 v83, v83, v93, vcc
	v_cndmask_b32_e32 v82, v82, v92, vcc
	;; [unrolled: 1-line block ×3, first 2 shown]
	s_cbranch_scc0 .LBB76_5
.LBB76_6:
	v_cmp_ne_u32_e32 vcc, v90, v84
                                        ; implicit-def: $vgpr87
	s_and_saveexec_b64 s[0:1], vcc
	s_xor_b64 s[0:1], exec, s[0:1]
	s_cbranch_execz .LBB76_12
; %bb.7:
	v_cmp_eq_u32_e32 vcc, 0, v90
	s_and_saveexec_b64 s[2:3], vcc
	s_cbranch_execz .LBB76_11
; %bb.8:
	v_cmp_ne_u32_e32 vcc, 0, v84
	s_xor_b64 s[14:15], s[6:7], -1
	s_and_b64 s[16:17], s[14:15], vcc
	s_and_saveexec_b64 s[14:15], s[16:17]
	s_cbranch_execz .LBB76_10
; %bb.9:
	v_ashrrev_i32_e32 v85, 31, v84
	v_lshlrev_b64 v[92:93], 2, v[84:85]
	v_add_co_u32_e32 v92, vcc, v4, v92
	v_addc_co_u32_e32 v93, vcc, v5, v93, vcc
	flat_load_dword v85, v[92:93]
	flat_load_dword v87, v[4:5]
	s_waitcnt vmcnt(0) lgkmcnt(0)
	flat_store_dword v[4:5], v85
	flat_store_dword v[92:93], v87
.LBB76_10:
	s_or_b64 exec, exec, s[14:15]
	v_mov_b32_e32 v90, v84
.LBB76_11:
	s_or_b64 exec, exec, s[2:3]
	v_mov_b32_e32 v87, v90
                                        ; implicit-def: $vgpr90
.LBB76_12:
	s_or_saveexec_b64 s[0:1], s[0:1]
	v_mov_b32_e32 v85, v87
	s_xor_b64 exec, exec, s[0:1]
	s_cbranch_execz .LBB76_14
; %bb.13:
	v_mov_b32_e32 v87, 0
	v_mov_b32_e32 v85, v90
	s_waitcnt vmcnt(0)
	ds_write2_b64 v86, v[76:77], v[74:75] offset0:1 offset1:2
	ds_write2_b64 v86, v[72:73], v[70:71] offset0:3 offset1:4
	;; [unrolled: 1-line block ×19, first 2 shown]
.LBB76_14:
	s_or_b64 exec, exec, s[0:1]
	s_waitcnt lgkmcnt(0)
	v_cmp_eq_f64_e64 s[0:1], 0, v[82:83]
	v_cmp_lt_i32_e32 vcc, 0, v87
	s_barrier
	s_and_saveexec_b64 s[2:3], vcc
	s_cbranch_execz .LBB76_16
; %bb.15:
	v_div_scale_f64 v[92:93], s[14:15], v[82:83], v[82:83], 1.0
	v_rcp_f64_e32 v[94:95], v[92:93]
	v_div_scale_f64 v[96:97], vcc, 1.0, v[82:83], 1.0
	ds_read2_b64 v[100:103], v86 offset0:5 offset1:6
	v_fma_f64 v[98:99], -v[92:93], v[94:95], 1.0
	v_fmac_f64_e32 v[94:95], v[94:95], v[98:99]
	v_fma_f64 v[98:99], -v[92:93], v[94:95], 1.0
	v_fmac_f64_e32 v[94:95], v[94:95], v[98:99]
	v_mul_f64 v[98:99], v[96:97], v[94:95]
	v_fma_f64 v[92:93], -v[92:93], v[98:99], v[96:97]
	v_div_fmas_f64 v[92:93], v[92:93], v[94:95], v[98:99]
	v_div_fixup_f64 v[96:97], v[92:93], v[82:83], 1.0
	ds_read2_b64 v[92:95], v86 offset0:1 offset1:2
	v_cndmask_b32_e64 v83, v97, v83, s[0:1]
	v_cndmask_b32_e64 v82, v96, v82, s[0:1]
	ds_read2_b64 v[96:99], v86 offset0:3 offset1:4
	v_mul_f64 v[78:79], v[82:83], v[78:79]
	s_waitcnt vmcnt(0) lgkmcnt(0)
	v_fma_f64 v[76:77], -v[78:79], v[92:93], v[76:77]
	v_fma_f64 v[74:75], -v[78:79], v[94:95], v[74:75]
	ds_read2_b64 v[92:95], v86 offset0:7 offset1:8
	v_fma_f64 v[72:73], -v[78:79], v[96:97], v[72:73]
	v_fma_f64 v[70:71], -v[78:79], v[98:99], v[70:71]
	;; [unrolled: 1-line block ×3, first 2 shown]
	ds_read2_b64 v[96:99], v86 offset0:9 offset1:10
	v_fma_f64 v[66:67], -v[78:79], v[102:103], v[66:67]
	ds_read2_b64 v[100:103], v86 offset0:11 offset1:12
	s_waitcnt lgkmcnt(2)
	v_fma_f64 v[64:65], -v[78:79], v[92:93], v[64:65]
	v_fma_f64 v[62:63], -v[78:79], v[94:95], v[62:63]
	ds_read2_b64 v[92:95], v86 offset0:13 offset1:14
	s_waitcnt lgkmcnt(2)
	v_fma_f64 v[60:61], -v[78:79], v[96:97], v[60:61]
	;; [unrolled: 4-line block ×3, first 2 shown]
	v_fma_f64 v[54:55], -v[78:79], v[102:103], v[54:55]
	s_waitcnt lgkmcnt(1)
	v_fma_f64 v[52:53], -v[78:79], v[92:93], v[52:53]
	ds_read2_b64 v[100:103], v86 offset0:17 offset1:18
	v_fma_f64 v[48:49], -v[78:79], v[94:95], v[48:49]
	ds_read2_b64 v[92:95], v86 offset0:19 offset1:20
	s_waitcnt lgkmcnt(2)
	v_fma_f64 v[50:51], -v[78:79], v[96:97], v[50:51]
	v_fma_f64 v[46:47], -v[78:79], v[98:99], v[46:47]
	s_waitcnt lgkmcnt(1)
	v_fma_f64 v[44:45], -v[78:79], v[100:101], v[44:45]
	ds_read2_b64 v[96:99], v86 offset0:21 offset1:22
	v_fma_f64 v[42:43], -v[78:79], v[102:103], v[42:43]
	ds_read2_b64 v[100:103], v86 offset0:23 offset1:24
	s_waitcnt lgkmcnt(2)
	v_fma_f64 v[40:41], -v[78:79], v[92:93], v[40:41]
	v_fma_f64 v[38:39], -v[78:79], v[94:95], v[38:39]
	ds_read2_b64 v[92:95], v86 offset0:25 offset1:26
	s_waitcnt lgkmcnt(2)
	v_fma_f64 v[36:37], -v[78:79], v[96:97], v[36:37]
	;; [unrolled: 4-line block ×3, first 2 shown]
	v_fma_f64 v[30:31], -v[78:79], v[102:103], v[30:31]
	s_waitcnt lgkmcnt(1)
	v_fma_f64 v[28:29], -v[78:79], v[92:93], v[28:29]
	ds_read2_b64 v[100:103], v86 offset0:29 offset1:30
	v_fma_f64 v[26:27], -v[78:79], v[94:95], v[26:27]
	ds_read2_b64 v[92:95], v86 offset0:31 offset1:32
	s_waitcnt lgkmcnt(2)
	v_fma_f64 v[24:25], -v[78:79], v[96:97], v[24:25]
	v_fma_f64 v[22:23], -v[78:79], v[98:99], v[22:23]
	s_waitcnt lgkmcnt(1)
	v_fma_f64 v[18:19], -v[78:79], v[100:101], v[18:19]
	v_fma_f64 v[20:21], -v[78:79], v[102:103], v[20:21]
	ds_read2_b64 v[96:99], v86 offset0:33 offset1:34
	ds_read2_b64 v[100:103], v86 offset0:35 offset1:36
	s_waitcnt lgkmcnt(2)
	v_fma_f64 v[16:17], -v[78:79], v[92:93], v[16:17]
	v_fma_f64 v[14:15], -v[78:79], v[94:95], v[14:15]
	ds_read2_b64 v[92:95], v86 offset0:37 offset1:38
	s_waitcnt lgkmcnt(2)
	v_fma_f64 v[12:13], -v[78:79], v[96:97], v[12:13]
	v_fma_f64 v[10:11], -v[78:79], v[98:99], v[10:11]
	s_waitcnt lgkmcnt(1)
	v_fma_f64 v[8:9], -v[78:79], v[100:101], v[8:9]
	v_fma_f64 v[6:7], -v[78:79], v[102:103], v[6:7]
	;; [unrolled: 3-line block ×3, first 2 shown]
.LBB76_16:
	s_or_b64 exec, exec, s[2:3]
	v_lshl_add_u32 v82, v87, 3, v86
	s_barrier
	s_waitcnt vmcnt(0)
	ds_write_b64 v82, v[76:77]
	s_waitcnt lgkmcnt(0)
	s_barrier
	ds_read_b64 v[82:83], v86 offset:8
	s_cmp_lt_i32 s18, 3
	v_mov_b32_e32 v84, 1
	s_cbranch_scc1 .LBB76_19
; %bb.17:
	v_add3_u32 v90, v91, 0, 16
	s_mov_b32 s2, 2
	v_mov_b32_e32 v84, 1
.LBB76_18:                              ; =>This Inner Loop Header: Depth=1
	ds_read_b64 v[92:93], v90
	v_mov_b32_e32 v94, s2
	s_add_i32 s2, s2, 1
	v_add_u32_e32 v90, 8, v90
	s_cmp_lg_u32 s18, s2
	s_waitcnt lgkmcnt(0)
	v_cmp_lt_f64_e64 vcc, |v[82:83]|, |v[92:93]|
	v_cndmask_b32_e32 v83, v83, v93, vcc
	v_cndmask_b32_e32 v82, v82, v92, vcc
	v_cndmask_b32_e32 v84, v84, v94, vcc
	s_cbranch_scc1 .LBB76_18
.LBB76_19:
	v_cmp_ne_u32_e32 vcc, v87, v84
	s_and_saveexec_b64 s[2:3], vcc
	s_xor_b64 s[2:3], exec, s[2:3]
	s_cbranch_execz .LBB76_25
; %bb.20:
	v_cmp_eq_u32_e32 vcc, 1, v87
	s_and_saveexec_b64 s[14:15], vcc
	s_cbranch_execz .LBB76_24
; %bb.21:
	v_cmp_ne_u32_e32 vcc, 1, v84
	s_xor_b64 s[16:17], s[6:7], -1
	s_and_b64 s[20:21], s[16:17], vcc
	s_and_saveexec_b64 s[16:17], s[20:21]
	s_cbranch_execz .LBB76_23
; %bb.22:
	v_ashrrev_i32_e32 v85, 31, v84
	v_lshlrev_b64 v[92:93], 2, v[84:85]
	v_add_co_u32_e32 v92, vcc, v4, v92
	v_addc_co_u32_e32 v93, vcc, v5, v93, vcc
	flat_load_dword v85, v[92:93]
	flat_load_dword v87, v[4:5] offset:4
	s_waitcnt vmcnt(0) lgkmcnt(0)
	flat_store_dword v[4:5], v85 offset:4
	flat_store_dword v[92:93], v87
.LBB76_23:
	s_or_b64 exec, exec, s[16:17]
	v_mov_b32_e32 v85, v84
	v_mov_b32_e32 v87, v84
.LBB76_24:
	s_or_b64 exec, exec, s[14:15]
.LBB76_25:
	s_andn2_saveexec_b64 s[2:3], s[2:3]
	s_cbranch_execz .LBB76_27
; %bb.26:
	v_mov_b32_e32 v92, v74
	v_mov_b32_e32 v93, v75
	v_mov_b32_e32 v94, v72
	v_mov_b32_e32 v95, v73
	ds_write2_b64 v86, v[92:93], v[94:95] offset0:2 offset1:3
	v_mov_b32_e32 v92, v70
	v_mov_b32_e32 v93, v71
	v_mov_b32_e32 v94, v68
	v_mov_b32_e32 v95, v69
	ds_write2_b64 v86, v[92:93], v[94:95] offset0:4 offset1:5
	;; [unrolled: 5-line block ×17, first 2 shown]
	v_mov_b32_e32 v92, v6
	v_mov_b32_e32 v93, v7
	;; [unrolled: 1-line block ×5, first 2 shown]
	ds_write2_b64 v86, v[92:93], v[94:95] offset0:36 offset1:37
	ds_write_b64 v86, v[80:81] offset:304
.LBB76_27:
	s_or_b64 exec, exec, s[2:3]
	s_waitcnt lgkmcnt(0)
	v_cmp_neq_f64_e64 s[2:3], 0, v[82:83]
	v_cmp_lt_i32_e32 vcc, 1, v87
	s_barrier
	s_and_saveexec_b64 s[14:15], vcc
	s_cbranch_execz .LBB76_29
; %bb.28:
	v_div_scale_f64 v[92:93], s[16:17], v[82:83], v[82:83], 1.0
	v_rcp_f64_e32 v[94:95], v[92:93]
	v_div_scale_f64 v[96:97], vcc, 1.0, v[82:83], 1.0
	ds_read2_b64 v[100:103], v86 offset0:6 offset1:7
	v_fma_f64 v[98:99], -v[92:93], v[94:95], 1.0
	v_fmac_f64_e32 v[94:95], v[94:95], v[98:99]
	v_fma_f64 v[98:99], -v[92:93], v[94:95], 1.0
	v_fmac_f64_e32 v[94:95], v[94:95], v[98:99]
	v_mul_f64 v[98:99], v[96:97], v[94:95]
	v_fma_f64 v[92:93], -v[92:93], v[98:99], v[96:97]
	v_div_fmas_f64 v[92:93], v[92:93], v[94:95], v[98:99]
	v_div_fixup_f64 v[96:97], v[92:93], v[82:83], 1.0
	ds_read2_b64 v[92:95], v86 offset0:2 offset1:3
	v_cndmask_b32_e64 v83, v83, v97, s[2:3]
	v_cndmask_b32_e64 v82, v82, v96, s[2:3]
	ds_read2_b64 v[96:99], v86 offset0:4 offset1:5
	v_mul_f64 v[76:77], v[82:83], v[76:77]
	s_waitcnt lgkmcnt(0)
	v_fma_f64 v[74:75], -v[76:77], v[92:93], v[74:75]
	v_fma_f64 v[72:73], -v[76:77], v[94:95], v[72:73]
	ds_read2_b64 v[92:95], v86 offset0:8 offset1:9
	v_fma_f64 v[70:71], -v[76:77], v[96:97], v[70:71]
	v_fma_f64 v[68:69], -v[76:77], v[98:99], v[68:69]
	;; [unrolled: 1-line block ×3, first 2 shown]
	ds_read2_b64 v[96:99], v86 offset0:10 offset1:11
	v_fma_f64 v[64:65], -v[76:77], v[102:103], v[64:65]
	ds_read2_b64 v[100:103], v86 offset0:12 offset1:13
	s_waitcnt lgkmcnt(0)
	v_fma_f64 v[62:63], -v[76:77], v[92:93], v[62:63]
	v_fma_f64 v[60:61], -v[76:77], v[94:95], v[60:61]
	;; [unrolled: 1-line block ×3, first 2 shown]
	ds_read2_b64 v[92:95], v86 offset0:14 offset1:15
	v_fma_f64 v[56:57], -v[76:77], v[98:99], v[56:57]
	ds_read2_b64 v[96:99], v86 offset0:16 offset1:17
	v_fma_f64 v[54:55], -v[76:77], v[100:101], v[54:55]
	v_fma_f64 v[52:53], -v[76:77], v[102:103], v[52:53]
	ds_read2_b64 v[100:103], v86 offset0:18 offset1:19
	s_waitcnt lgkmcnt(0)
	v_fma_f64 v[48:49], -v[76:77], v[92:93], v[48:49]
	v_fma_f64 v[50:51], -v[76:77], v[94:95], v[50:51]
	ds_read2_b64 v[92:95], v86 offset0:20 offset1:21
	v_fma_f64 v[46:47], -v[76:77], v[96:97], v[46:47]
	v_fma_f64 v[44:45], -v[76:77], v[98:99], v[44:45]
	;; [unrolled: 1-line block ×3, first 2 shown]
	ds_read2_b64 v[96:99], v86 offset0:22 offset1:23
	v_fma_f64 v[40:41], -v[76:77], v[102:103], v[40:41]
	ds_read2_b64 v[100:103], v86 offset0:24 offset1:25
	s_waitcnt lgkmcnt(0)
	v_fma_f64 v[38:39], -v[76:77], v[92:93], v[38:39]
	v_fma_f64 v[36:37], -v[76:77], v[94:95], v[36:37]
	;; [unrolled: 1-line block ×3, first 2 shown]
	ds_read2_b64 v[92:95], v86 offset0:26 offset1:27
	v_fma_f64 v[32:33], -v[76:77], v[98:99], v[32:33]
	ds_read2_b64 v[96:99], v86 offset0:28 offset1:29
	v_fma_f64 v[30:31], -v[76:77], v[100:101], v[30:31]
	v_fma_f64 v[28:29], -v[76:77], v[102:103], v[28:29]
	ds_read2_b64 v[100:103], v86 offset0:30 offset1:31
	s_waitcnt lgkmcnt(0)
	v_fma_f64 v[26:27], -v[76:77], v[92:93], v[26:27]
	v_fma_f64 v[24:25], -v[76:77], v[94:95], v[24:25]
	ds_read2_b64 v[92:95], v86 offset0:32 offset1:33
	v_fma_f64 v[22:23], -v[76:77], v[96:97], v[22:23]
	v_fma_f64 v[18:19], -v[76:77], v[98:99], v[18:19]
	;; [unrolled: 1-line block ×4, first 2 shown]
	ds_read2_b64 v[96:99], v86 offset0:34 offset1:35
	ds_read2_b64 v[100:103], v86 offset0:36 offset1:37
	ds_read_b64 v[82:83], v86 offset:304
	s_waitcnt lgkmcnt(0)
	v_fma_f64 v[14:15], -v[76:77], v[92:93], v[14:15]
	v_fma_f64 v[12:13], -v[76:77], v[94:95], v[12:13]
	;; [unrolled: 1-line block ×7, first 2 shown]
.LBB76_29:
	s_or_b64 exec, exec, s[14:15]
	v_lshl_add_u32 v82, v87, 3, v86
	s_barrier
	ds_write_b64 v82, v[74:75]
	s_waitcnt lgkmcnt(0)
	s_barrier
	ds_read_b64 v[82:83], v86 offset:16
	s_mov_b32 s9, 3
	s_cmp_lt_i32 s18, 4
	v_mov_b32_e32 v84, 2
	s_cbranch_scc1 .LBB76_32
; %bb.30:
	v_add3_u32 v90, v91, 0, 24
	v_mov_b32_e32 v84, 2
.LBB76_31:                              ; =>This Inner Loop Header: Depth=1
	ds_read_b64 v[92:93], v90
	v_mov_b32_e32 v94, s9
	s_add_i32 s9, s9, 1
	v_add_u32_e32 v90, 8, v90
	s_cmp_lg_u32 s18, s9
	s_waitcnt lgkmcnt(0)
	v_cmp_lt_f64_e64 vcc, |v[82:83]|, |v[92:93]|
	v_cndmask_b32_e32 v83, v83, v93, vcc
	v_cndmask_b32_e32 v82, v82, v92, vcc
	;; [unrolled: 1-line block ×3, first 2 shown]
	s_cbranch_scc1 .LBB76_31
.LBB76_32:
	v_cndmask_b32_e64 v90, 2, 1, s[0:1]
	v_cndmask_b32_e64 v92, 0, 1, s[0:1]
	;; [unrolled: 1-line block ×3, first 2 shown]
	s_waitcnt lgkmcnt(0)
	v_cmp_eq_f64_e32 vcc, 0, v[82:83]
	s_and_saveexec_b64 s[0:1], vcc
	s_xor_b64 s[0:1], exec, s[0:1]
; %bb.33:
	v_cmp_ne_u32_e32 vcc, 0, v90
	v_cndmask_b32_e32 v90, 3, v90, vcc
; %bb.34:
	s_andn2_saveexec_b64 s[0:1], s[0:1]
; %bb.35:
	v_div_scale_f64 v[92:93], s[2:3], v[82:83], v[82:83], 1.0
	v_rcp_f64_e32 v[94:95], v[92:93]
	v_div_scale_f64 v[96:97], vcc, 1.0, v[82:83], 1.0
	v_fma_f64 v[98:99], -v[92:93], v[94:95], 1.0
	v_fmac_f64_e32 v[94:95], v[94:95], v[98:99]
	v_fma_f64 v[98:99], -v[92:93], v[94:95], 1.0
	v_fmac_f64_e32 v[94:95], v[94:95], v[98:99]
	v_mul_f64 v[98:99], v[96:97], v[94:95]
	v_fma_f64 v[92:93], -v[92:93], v[98:99], v[96:97]
	v_div_fmas_f64 v[92:93], v[92:93], v[94:95], v[98:99]
	v_div_fixup_f64 v[82:83], v[92:93], v[82:83], 1.0
; %bb.36:
	s_or_b64 exec, exec, s[0:1]
	v_cmp_ne_u32_e32 vcc, v87, v84
	s_and_saveexec_b64 s[0:1], vcc
	s_xor_b64 s[0:1], exec, s[0:1]
	s_cbranch_execz .LBB76_42
; %bb.37:
	v_cmp_eq_u32_e32 vcc, 2, v87
	s_and_saveexec_b64 s[2:3], vcc
	s_cbranch_execz .LBB76_41
; %bb.38:
	v_cmp_ne_u32_e32 vcc, 2, v84
	s_xor_b64 s[14:15], s[6:7], -1
	s_and_b64 s[16:17], s[14:15], vcc
	s_and_saveexec_b64 s[14:15], s[16:17]
	s_cbranch_execz .LBB76_40
; %bb.39:
	v_ashrrev_i32_e32 v85, 31, v84
	v_lshlrev_b64 v[92:93], 2, v[84:85]
	v_add_co_u32_e32 v92, vcc, v4, v92
	v_addc_co_u32_e32 v93, vcc, v5, v93, vcc
	flat_load_dword v85, v[92:93]
	flat_load_dword v87, v[4:5] offset:8
	s_waitcnt vmcnt(0) lgkmcnt(0)
	flat_store_dword v[4:5], v85 offset:8
	flat_store_dword v[92:93], v87
.LBB76_40:
	s_or_b64 exec, exec, s[14:15]
	v_mov_b32_e32 v85, v84
	v_mov_b32_e32 v87, v84
.LBB76_41:
	s_or_b64 exec, exec, s[2:3]
.LBB76_42:
	s_andn2_saveexec_b64 s[0:1], s[0:1]
	s_cbranch_execz .LBB76_44
; %bb.43:
	v_mov_b32_e32 v87, 2
	ds_write2_b64 v86, v[72:73], v[70:71] offset0:3 offset1:4
	ds_write2_b64 v86, v[68:69], v[66:67] offset0:5 offset1:6
	;; [unrolled: 1-line block ×18, first 2 shown]
.LBB76_44:
	s_or_b64 exec, exec, s[0:1]
	v_cmp_lt_i32_e32 vcc, 2, v87
	s_waitcnt lgkmcnt(0)
	s_barrier
	s_and_saveexec_b64 s[0:1], vcc
	s_cbranch_execz .LBB76_46
; %bb.45:
	ds_read2_b64 v[92:95], v86 offset0:3 offset1:4
	ds_read2_b64 v[96:99], v86 offset0:5 offset1:6
	;; [unrolled: 1-line block ×3, first 2 shown]
	v_mul_f64 v[74:75], v[82:83], v[74:75]
	s_waitcnt lgkmcnt(0)
	v_fma_f64 v[72:73], -v[74:75], v[92:93], v[72:73]
	v_fma_f64 v[70:71], -v[74:75], v[94:95], v[70:71]
	ds_read2_b64 v[92:95], v86 offset0:9 offset1:10
	v_fma_f64 v[68:69], -v[74:75], v[96:97], v[68:69]
	v_fma_f64 v[66:67], -v[74:75], v[98:99], v[66:67]
	;; [unrolled: 1-line block ×3, first 2 shown]
	ds_read2_b64 v[96:99], v86 offset0:11 offset1:12
	v_fma_f64 v[62:63], -v[74:75], v[102:103], v[62:63]
	ds_read2_b64 v[100:103], v86 offset0:13 offset1:14
	s_waitcnt lgkmcnt(0)
	v_fma_f64 v[60:61], -v[74:75], v[92:93], v[60:61]
	v_fma_f64 v[58:59], -v[74:75], v[94:95], v[58:59]
	;; [unrolled: 1-line block ×3, first 2 shown]
	ds_read2_b64 v[92:95], v86 offset0:15 offset1:16
	v_fma_f64 v[54:55], -v[74:75], v[98:99], v[54:55]
	ds_read2_b64 v[96:99], v86 offset0:17 offset1:18
	v_fma_f64 v[52:53], -v[74:75], v[100:101], v[52:53]
	v_fma_f64 v[48:49], -v[74:75], v[102:103], v[48:49]
	ds_read2_b64 v[100:103], v86 offset0:19 offset1:20
	s_waitcnt lgkmcnt(0)
	v_fma_f64 v[50:51], -v[74:75], v[92:93], v[50:51]
	v_fma_f64 v[46:47], -v[74:75], v[94:95], v[46:47]
	ds_read2_b64 v[92:95], v86 offset0:21 offset1:22
	v_fma_f64 v[44:45], -v[74:75], v[96:97], v[44:45]
	v_fma_f64 v[42:43], -v[74:75], v[98:99], v[42:43]
	;; [unrolled: 1-line block ×3, first 2 shown]
	ds_read2_b64 v[96:99], v86 offset0:23 offset1:24
	v_fma_f64 v[38:39], -v[74:75], v[102:103], v[38:39]
	ds_read2_b64 v[100:103], v86 offset0:25 offset1:26
	s_waitcnt lgkmcnt(0)
	v_fma_f64 v[36:37], -v[74:75], v[92:93], v[36:37]
	v_fma_f64 v[34:35], -v[74:75], v[94:95], v[34:35]
	v_fma_f64 v[32:33], -v[74:75], v[96:97], v[32:33]
	ds_read2_b64 v[92:95], v86 offset0:27 offset1:28
	v_fma_f64 v[30:31], -v[74:75], v[98:99], v[30:31]
	ds_read2_b64 v[96:99], v86 offset0:29 offset1:30
	v_fma_f64 v[28:29], -v[74:75], v[100:101], v[28:29]
	v_fma_f64 v[26:27], -v[74:75], v[102:103], v[26:27]
	ds_read2_b64 v[100:103], v86 offset0:31 offset1:32
	s_waitcnt lgkmcnt(0)
	v_fma_f64 v[24:25], -v[74:75], v[92:93], v[24:25]
	v_fma_f64 v[22:23], -v[74:75], v[94:95], v[22:23]
	ds_read2_b64 v[92:95], v86 offset0:33 offset1:34
	v_fma_f64 v[18:19], -v[74:75], v[96:97], v[18:19]
	v_fma_f64 v[20:21], -v[74:75], v[98:99], v[20:21]
	;; [unrolled: 1-line block ×3, first 2 shown]
	ds_read2_b64 v[96:99], v86 offset0:35 offset1:36
	v_fma_f64 v[14:15], -v[74:75], v[102:103], v[14:15]
	ds_read2_b64 v[100:103], v86 offset0:37 offset1:38
	s_waitcnt lgkmcnt(0)
	v_fma_f64 v[12:13], -v[74:75], v[92:93], v[12:13]
	v_fma_f64 v[10:11], -v[74:75], v[94:95], v[10:11]
	v_fma_f64 v[8:9], -v[74:75], v[96:97], v[8:9]
	v_fma_f64 v[6:7], -v[74:75], v[98:99], v[6:7]
	v_fma_f64 v[0:1], -v[74:75], v[100:101], v[0:1]
	v_fma_f64 v[80:81], -v[74:75], v[102:103], v[80:81]
.LBB76_46:
	s_or_b64 exec, exec, s[0:1]
	v_lshl_add_u32 v82, v87, 3, v86
	s_barrier
	ds_write_b64 v82, v[72:73]
	s_waitcnt lgkmcnt(0)
	s_barrier
	ds_read_b64 v[82:83], v86 offset:24
	s_cmp_lt_i32 s18, 5
	v_mov_b32_e32 v84, 3
	s_cbranch_scc1 .LBB76_49
; %bb.47:
	v_add3_u32 v92, v91, 0, 32
	s_mov_b32 s0, 4
	v_mov_b32_e32 v84, 3
.LBB76_48:                              ; =>This Inner Loop Header: Depth=1
	ds_read_b64 v[94:95], v92
	v_mov_b32_e32 v93, s0
	s_add_i32 s0, s0, 1
	v_add_u32_e32 v92, 8, v92
	s_cmp_lg_u32 s18, s0
	s_waitcnt lgkmcnt(0)
	v_cmp_lt_f64_e64 vcc, |v[82:83]|, |v[94:95]|
	v_cndmask_b32_e32 v83, v83, v95, vcc
	v_cndmask_b32_e32 v82, v82, v94, vcc
	;; [unrolled: 1-line block ×3, first 2 shown]
	s_cbranch_scc1 .LBB76_48
.LBB76_49:
	s_waitcnt lgkmcnt(0)
	v_cmp_eq_f64_e32 vcc, 0, v[82:83]
	s_and_saveexec_b64 s[0:1], vcc
	s_xor_b64 s[0:1], exec, s[0:1]
; %bb.50:
	v_cmp_ne_u32_e32 vcc, 0, v90
	v_cndmask_b32_e32 v90, 4, v90, vcc
; %bb.51:
	s_andn2_saveexec_b64 s[0:1], s[0:1]
; %bb.52:
	v_div_scale_f64 v[92:93], s[2:3], v[82:83], v[82:83], 1.0
	v_rcp_f64_e32 v[94:95], v[92:93]
	v_div_scale_f64 v[96:97], vcc, 1.0, v[82:83], 1.0
	v_fma_f64 v[98:99], -v[92:93], v[94:95], 1.0
	v_fmac_f64_e32 v[94:95], v[94:95], v[98:99]
	v_fma_f64 v[98:99], -v[92:93], v[94:95], 1.0
	v_fmac_f64_e32 v[94:95], v[94:95], v[98:99]
	v_mul_f64 v[98:99], v[96:97], v[94:95]
	v_fma_f64 v[92:93], -v[92:93], v[98:99], v[96:97]
	v_div_fmas_f64 v[92:93], v[92:93], v[94:95], v[98:99]
	v_div_fixup_f64 v[82:83], v[92:93], v[82:83], 1.0
; %bb.53:
	s_or_b64 exec, exec, s[0:1]
	v_cmp_ne_u32_e32 vcc, v87, v84
	s_and_saveexec_b64 s[0:1], vcc
	s_xor_b64 s[0:1], exec, s[0:1]
	s_cbranch_execz .LBB76_59
; %bb.54:
	v_cmp_eq_u32_e32 vcc, 3, v87
	s_and_saveexec_b64 s[2:3], vcc
	s_cbranch_execz .LBB76_58
; %bb.55:
	v_cmp_ne_u32_e32 vcc, 3, v84
	s_xor_b64 s[14:15], s[6:7], -1
	s_and_b64 s[16:17], s[14:15], vcc
	s_and_saveexec_b64 s[14:15], s[16:17]
	s_cbranch_execz .LBB76_57
; %bb.56:
	v_ashrrev_i32_e32 v85, 31, v84
	v_lshlrev_b64 v[92:93], 2, v[84:85]
	v_add_co_u32_e32 v92, vcc, v4, v92
	v_addc_co_u32_e32 v93, vcc, v5, v93, vcc
	flat_load_dword v85, v[92:93]
	flat_load_dword v87, v[4:5] offset:12
	s_waitcnt vmcnt(0) lgkmcnt(0)
	flat_store_dword v[4:5], v85 offset:12
	flat_store_dword v[92:93], v87
.LBB76_57:
	s_or_b64 exec, exec, s[14:15]
	v_mov_b32_e32 v85, v84
	v_mov_b32_e32 v87, v84
.LBB76_58:
	s_or_b64 exec, exec, s[2:3]
.LBB76_59:
	s_andn2_saveexec_b64 s[0:1], s[0:1]
	s_cbranch_execz .LBB76_61
; %bb.60:
	v_mov_b32_e32 v92, v70
	v_mov_b32_e32 v93, v71
	v_mov_b32_e32 v94, v68
	v_mov_b32_e32 v95, v69
	ds_write2_b64 v86, v[92:93], v[94:95] offset0:4 offset1:5
	v_mov_b32_e32 v92, v66
	v_mov_b32_e32 v93, v67
	v_mov_b32_e32 v94, v64
	v_mov_b32_e32 v95, v65
	ds_write2_b64 v86, v[92:93], v[94:95] offset0:6 offset1:7
	;; [unrolled: 5-line block ×16, first 2 shown]
	v_mov_b32_e32 v92, v6
	v_mov_b32_e32 v93, v7
	;; [unrolled: 1-line block ×5, first 2 shown]
	ds_write2_b64 v86, v[92:93], v[94:95] offset0:36 offset1:37
	ds_write_b64 v86, v[80:81] offset:304
.LBB76_61:
	s_or_b64 exec, exec, s[0:1]
	v_cmp_lt_i32_e32 vcc, 3, v87
	s_waitcnt lgkmcnt(0)
	s_barrier
	s_and_saveexec_b64 s[0:1], vcc
	s_cbranch_execz .LBB76_63
; %bb.62:
	ds_read2_b64 v[92:95], v86 offset0:4 offset1:5
	ds_read2_b64 v[96:99], v86 offset0:6 offset1:7
	v_mul_f64 v[72:73], v[82:83], v[72:73]
	ds_read2_b64 v[100:103], v86 offset0:8 offset1:9
	ds_read_b64 v[82:83], v86 offset:304
	s_waitcnt lgkmcnt(0)
	v_fma_f64 v[70:71], -v[72:73], v[92:93], v[70:71]
	v_fma_f64 v[68:69], -v[72:73], v[94:95], v[68:69]
	ds_read2_b64 v[92:95], v86 offset0:10 offset1:11
	v_fma_f64 v[66:67], -v[72:73], v[96:97], v[66:67]
	v_fma_f64 v[64:65], -v[72:73], v[98:99], v[64:65]
	ds_read2_b64 v[96:99], v86 offset0:12 offset1:13
	;; [unrolled: 3-line block ×3, first 2 shown]
	s_waitcnt lgkmcnt(0)
	v_fma_f64 v[58:59], -v[72:73], v[92:93], v[58:59]
	v_fma_f64 v[56:57], -v[72:73], v[94:95], v[56:57]
	v_fma_f64 v[54:55], -v[72:73], v[96:97], v[54:55]
	ds_read2_b64 v[92:95], v86 offset0:16 offset1:17
	v_fma_f64 v[52:53], -v[72:73], v[98:99], v[52:53]
	ds_read2_b64 v[96:99], v86 offset0:18 offset1:19
	v_fma_f64 v[48:49], -v[72:73], v[100:101], v[48:49]
	v_fma_f64 v[50:51], -v[72:73], v[102:103], v[50:51]
	s_waitcnt lgkmcnt(0)
	v_fma_f64 v[46:47], -v[72:73], v[92:93], v[46:47]
	ds_read2_b64 v[100:103], v86 offset0:20 offset1:21
	v_fma_f64 v[44:45], -v[72:73], v[94:95], v[44:45]
	ds_read2_b64 v[92:95], v86 offset0:22 offset1:23
	v_fma_f64 v[42:43], -v[72:73], v[96:97], v[42:43]
	v_fma_f64 v[40:41], -v[72:73], v[98:99], v[40:41]
	ds_read2_b64 v[96:99], v86 offset0:24 offset1:25
	s_waitcnt lgkmcnt(0)
	v_fma_f64 v[38:39], -v[72:73], v[100:101], v[38:39]
	v_fma_f64 v[36:37], -v[72:73], v[102:103], v[36:37]
	ds_read2_b64 v[100:103], v86 offset0:26 offset1:27
	v_fma_f64 v[34:35], -v[72:73], v[92:93], v[34:35]
	v_fma_f64 v[32:33], -v[72:73], v[94:95], v[32:33]
	;; [unrolled: 1-line block ×3, first 2 shown]
	ds_read2_b64 v[92:95], v86 offset0:28 offset1:29
	v_fma_f64 v[28:29], -v[72:73], v[98:99], v[28:29]
	ds_read2_b64 v[96:99], v86 offset0:30 offset1:31
	s_waitcnt lgkmcnt(0)
	v_fma_f64 v[26:27], -v[72:73], v[100:101], v[26:27]
	v_fma_f64 v[24:25], -v[72:73], v[102:103], v[24:25]
	;; [unrolled: 1-line block ×3, first 2 shown]
	ds_read2_b64 v[100:103], v86 offset0:32 offset1:33
	v_fma_f64 v[18:19], -v[72:73], v[94:95], v[18:19]
	ds_read2_b64 v[92:95], v86 offset0:34 offset1:35
	v_fma_f64 v[20:21], -v[72:73], v[96:97], v[20:21]
	v_fma_f64 v[16:17], -v[72:73], v[98:99], v[16:17]
	ds_read2_b64 v[96:99], v86 offset0:36 offset1:37
	s_waitcnt lgkmcnt(0)
	v_fma_f64 v[14:15], -v[72:73], v[100:101], v[14:15]
	v_fma_f64 v[12:13], -v[72:73], v[102:103], v[12:13]
	;; [unrolled: 1-line block ×7, first 2 shown]
.LBB76_63:
	s_or_b64 exec, exec, s[0:1]
	v_lshl_add_u32 v82, v87, 3, v86
	s_barrier
	ds_write_b64 v82, v[70:71]
	s_waitcnt lgkmcnt(0)
	s_barrier
	ds_read_b64 v[82:83], v86 offset:32
	s_cmp_lt_i32 s18, 6
	v_mov_b32_e32 v84, 4
	s_cbranch_scc1 .LBB76_66
; %bb.64:
	v_add3_u32 v92, v91, 0, 40
	s_mov_b32 s0, 5
	v_mov_b32_e32 v84, 4
.LBB76_65:                              ; =>This Inner Loop Header: Depth=1
	ds_read_b64 v[94:95], v92
	v_mov_b32_e32 v93, s0
	s_add_i32 s0, s0, 1
	v_add_u32_e32 v92, 8, v92
	s_cmp_lg_u32 s18, s0
	s_waitcnt lgkmcnt(0)
	v_cmp_lt_f64_e64 vcc, |v[82:83]|, |v[94:95]|
	v_cndmask_b32_e32 v83, v83, v95, vcc
	v_cndmask_b32_e32 v82, v82, v94, vcc
	;; [unrolled: 1-line block ×3, first 2 shown]
	s_cbranch_scc1 .LBB76_65
.LBB76_66:
	s_waitcnt lgkmcnt(0)
	v_cmp_eq_f64_e32 vcc, 0, v[82:83]
	s_and_saveexec_b64 s[0:1], vcc
	s_xor_b64 s[0:1], exec, s[0:1]
; %bb.67:
	v_cmp_ne_u32_e32 vcc, 0, v90
	v_cndmask_b32_e32 v90, 5, v90, vcc
; %bb.68:
	s_andn2_saveexec_b64 s[0:1], s[0:1]
; %bb.69:
	v_div_scale_f64 v[92:93], s[2:3], v[82:83], v[82:83], 1.0
	v_rcp_f64_e32 v[94:95], v[92:93]
	v_div_scale_f64 v[96:97], vcc, 1.0, v[82:83], 1.0
	v_fma_f64 v[98:99], -v[92:93], v[94:95], 1.0
	v_fmac_f64_e32 v[94:95], v[94:95], v[98:99]
	v_fma_f64 v[98:99], -v[92:93], v[94:95], 1.0
	v_fmac_f64_e32 v[94:95], v[94:95], v[98:99]
	v_mul_f64 v[98:99], v[96:97], v[94:95]
	v_fma_f64 v[92:93], -v[92:93], v[98:99], v[96:97]
	v_div_fmas_f64 v[92:93], v[92:93], v[94:95], v[98:99]
	v_div_fixup_f64 v[82:83], v[92:93], v[82:83], 1.0
; %bb.70:
	s_or_b64 exec, exec, s[0:1]
	v_cmp_ne_u32_e32 vcc, v87, v84
	s_and_saveexec_b64 s[0:1], vcc
	s_xor_b64 s[0:1], exec, s[0:1]
	s_cbranch_execz .LBB76_76
; %bb.71:
	v_cmp_eq_u32_e32 vcc, 4, v87
	s_and_saveexec_b64 s[2:3], vcc
	s_cbranch_execz .LBB76_75
; %bb.72:
	v_cmp_ne_u32_e32 vcc, 4, v84
	s_xor_b64 s[14:15], s[6:7], -1
	s_and_b64 s[16:17], s[14:15], vcc
	s_and_saveexec_b64 s[14:15], s[16:17]
	s_cbranch_execz .LBB76_74
; %bb.73:
	v_ashrrev_i32_e32 v85, 31, v84
	v_lshlrev_b64 v[92:93], 2, v[84:85]
	v_add_co_u32_e32 v92, vcc, v4, v92
	v_addc_co_u32_e32 v93, vcc, v5, v93, vcc
	flat_load_dword v85, v[92:93]
	flat_load_dword v87, v[4:5] offset:16
	s_waitcnt vmcnt(0) lgkmcnt(0)
	flat_store_dword v[4:5], v85 offset:16
	flat_store_dword v[92:93], v87
.LBB76_74:
	s_or_b64 exec, exec, s[14:15]
	v_mov_b32_e32 v85, v84
	v_mov_b32_e32 v87, v84
.LBB76_75:
	s_or_b64 exec, exec, s[2:3]
.LBB76_76:
	s_andn2_saveexec_b64 s[0:1], s[0:1]
	s_cbranch_execz .LBB76_78
; %bb.77:
	v_mov_b32_e32 v87, 4
	ds_write2_b64 v86, v[68:69], v[66:67] offset0:5 offset1:6
	ds_write2_b64 v86, v[64:65], v[62:63] offset0:7 offset1:8
	;; [unrolled: 1-line block ×17, first 2 shown]
.LBB76_78:
	s_or_b64 exec, exec, s[0:1]
	v_cmp_lt_i32_e32 vcc, 4, v87
	s_waitcnt lgkmcnt(0)
	s_barrier
	s_and_saveexec_b64 s[0:1], vcc
	s_cbranch_execz .LBB76_80
; %bb.79:
	ds_read2_b64 v[92:95], v86 offset0:5 offset1:6
	ds_read2_b64 v[96:99], v86 offset0:7 offset1:8
	v_mul_f64 v[70:71], v[82:83], v[70:71]
	ds_read2_b64 v[100:103], v86 offset0:9 offset1:10
	s_waitcnt lgkmcnt(0)
	v_fma_f64 v[68:69], -v[70:71], v[92:93], v[68:69]
	v_fma_f64 v[66:67], -v[70:71], v[94:95], v[66:67]
	ds_read2_b64 v[92:95], v86 offset0:11 offset1:12
	v_fma_f64 v[64:65], -v[70:71], v[96:97], v[64:65]
	v_fma_f64 v[62:63], -v[70:71], v[98:99], v[62:63]
	ds_read2_b64 v[96:99], v86 offset0:13 offset1:14
	;; [unrolled: 3-line block ×3, first 2 shown]
	s_waitcnt lgkmcnt(0)
	v_fma_f64 v[56:57], -v[70:71], v[92:93], v[56:57]
	v_fma_f64 v[54:55], -v[70:71], v[94:95], v[54:55]
	;; [unrolled: 1-line block ×3, first 2 shown]
	ds_read2_b64 v[92:95], v86 offset0:17 offset1:18
	v_fma_f64 v[48:49], -v[70:71], v[98:99], v[48:49]
	ds_read2_b64 v[96:99], v86 offset0:19 offset1:20
	v_fma_f64 v[50:51], -v[70:71], v[100:101], v[50:51]
	v_fma_f64 v[46:47], -v[70:71], v[102:103], v[46:47]
	s_waitcnt lgkmcnt(0)
	v_fma_f64 v[44:45], -v[70:71], v[92:93], v[44:45]
	ds_read2_b64 v[100:103], v86 offset0:21 offset1:22
	v_fma_f64 v[42:43], -v[70:71], v[94:95], v[42:43]
	ds_read2_b64 v[92:95], v86 offset0:23 offset1:24
	v_fma_f64 v[40:41], -v[70:71], v[96:97], v[40:41]
	v_fma_f64 v[38:39], -v[70:71], v[98:99], v[38:39]
	ds_read2_b64 v[96:99], v86 offset0:25 offset1:26
	s_waitcnt lgkmcnt(0)
	v_fma_f64 v[36:37], -v[70:71], v[100:101], v[36:37]
	v_fma_f64 v[34:35], -v[70:71], v[102:103], v[34:35]
	ds_read2_b64 v[100:103], v86 offset0:27 offset1:28
	v_fma_f64 v[32:33], -v[70:71], v[92:93], v[32:33]
	v_fma_f64 v[30:31], -v[70:71], v[94:95], v[30:31]
	;; [unrolled: 1-line block ×3, first 2 shown]
	ds_read2_b64 v[92:95], v86 offset0:29 offset1:30
	v_fma_f64 v[26:27], -v[70:71], v[98:99], v[26:27]
	ds_read2_b64 v[96:99], v86 offset0:31 offset1:32
	s_waitcnt lgkmcnt(0)
	v_fma_f64 v[24:25], -v[70:71], v[100:101], v[24:25]
	v_fma_f64 v[22:23], -v[70:71], v[102:103], v[22:23]
	;; [unrolled: 1-line block ×4, first 2 shown]
	ds_read2_b64 v[92:95], v86 offset0:33 offset1:34
	ds_read2_b64 v[100:103], v86 offset0:35 offset1:36
	v_fma_f64 v[16:17], -v[70:71], v[96:97], v[16:17]
	v_fma_f64 v[14:15], -v[70:71], v[98:99], v[14:15]
	ds_read2_b64 v[96:99], v86 offset0:37 offset1:38
	s_waitcnt lgkmcnt(0)
	v_fma_f64 v[12:13], -v[70:71], v[92:93], v[12:13]
	v_fma_f64 v[10:11], -v[70:71], v[94:95], v[10:11]
	;; [unrolled: 1-line block ×6, first 2 shown]
.LBB76_80:
	s_or_b64 exec, exec, s[0:1]
	v_lshl_add_u32 v82, v87, 3, v86
	s_barrier
	ds_write_b64 v82, v[68:69]
	s_waitcnt lgkmcnt(0)
	s_barrier
	ds_read_b64 v[82:83], v86 offset:40
	s_cmp_lt_i32 s18, 7
	v_mov_b32_e32 v84, 5
	s_cbranch_scc1 .LBB76_83
; %bb.81:
	v_add3_u32 v92, v91, 0, 48
	s_mov_b32 s0, 6
	v_mov_b32_e32 v84, 5
.LBB76_82:                              ; =>This Inner Loop Header: Depth=1
	ds_read_b64 v[94:95], v92
	v_mov_b32_e32 v93, s0
	s_add_i32 s0, s0, 1
	v_add_u32_e32 v92, 8, v92
	s_cmp_lg_u32 s18, s0
	s_waitcnt lgkmcnt(0)
	v_cmp_lt_f64_e64 vcc, |v[82:83]|, |v[94:95]|
	v_cndmask_b32_e32 v83, v83, v95, vcc
	v_cndmask_b32_e32 v82, v82, v94, vcc
	;; [unrolled: 1-line block ×3, first 2 shown]
	s_cbranch_scc1 .LBB76_82
.LBB76_83:
	s_waitcnt lgkmcnt(0)
	v_cmp_eq_f64_e32 vcc, 0, v[82:83]
	s_and_saveexec_b64 s[0:1], vcc
	s_xor_b64 s[0:1], exec, s[0:1]
; %bb.84:
	v_cmp_ne_u32_e32 vcc, 0, v90
	v_cndmask_b32_e32 v90, 6, v90, vcc
; %bb.85:
	s_andn2_saveexec_b64 s[0:1], s[0:1]
; %bb.86:
	v_div_scale_f64 v[92:93], s[2:3], v[82:83], v[82:83], 1.0
	v_rcp_f64_e32 v[94:95], v[92:93]
	v_div_scale_f64 v[96:97], vcc, 1.0, v[82:83], 1.0
	v_fma_f64 v[98:99], -v[92:93], v[94:95], 1.0
	v_fmac_f64_e32 v[94:95], v[94:95], v[98:99]
	v_fma_f64 v[98:99], -v[92:93], v[94:95], 1.0
	v_fmac_f64_e32 v[94:95], v[94:95], v[98:99]
	v_mul_f64 v[98:99], v[96:97], v[94:95]
	v_fma_f64 v[92:93], -v[92:93], v[98:99], v[96:97]
	v_div_fmas_f64 v[92:93], v[92:93], v[94:95], v[98:99]
	v_div_fixup_f64 v[82:83], v[92:93], v[82:83], 1.0
; %bb.87:
	s_or_b64 exec, exec, s[0:1]
	v_cmp_ne_u32_e32 vcc, v87, v84
	s_and_saveexec_b64 s[0:1], vcc
	s_xor_b64 s[0:1], exec, s[0:1]
	s_cbranch_execz .LBB76_93
; %bb.88:
	v_cmp_eq_u32_e32 vcc, 5, v87
	s_and_saveexec_b64 s[2:3], vcc
	s_cbranch_execz .LBB76_92
; %bb.89:
	v_cmp_ne_u32_e32 vcc, 5, v84
	s_xor_b64 s[14:15], s[6:7], -1
	s_and_b64 s[16:17], s[14:15], vcc
	s_and_saveexec_b64 s[14:15], s[16:17]
	s_cbranch_execz .LBB76_91
; %bb.90:
	v_ashrrev_i32_e32 v85, 31, v84
	v_lshlrev_b64 v[92:93], 2, v[84:85]
	v_add_co_u32_e32 v92, vcc, v4, v92
	v_addc_co_u32_e32 v93, vcc, v5, v93, vcc
	flat_load_dword v85, v[92:93]
	flat_load_dword v87, v[4:5] offset:20
	s_waitcnt vmcnt(0) lgkmcnt(0)
	flat_store_dword v[4:5], v85 offset:20
	flat_store_dword v[92:93], v87
.LBB76_91:
	s_or_b64 exec, exec, s[14:15]
	v_mov_b32_e32 v85, v84
	v_mov_b32_e32 v87, v84
.LBB76_92:
	s_or_b64 exec, exec, s[2:3]
.LBB76_93:
	s_andn2_saveexec_b64 s[0:1], s[0:1]
	s_cbranch_execz .LBB76_95
; %bb.94:
	v_mov_b32_e32 v92, v66
	v_mov_b32_e32 v93, v67
	v_mov_b32_e32 v94, v64
	v_mov_b32_e32 v95, v65
	ds_write2_b64 v86, v[92:93], v[94:95] offset0:6 offset1:7
	v_mov_b32_e32 v92, v62
	v_mov_b32_e32 v93, v63
	v_mov_b32_e32 v94, v60
	v_mov_b32_e32 v95, v61
	ds_write2_b64 v86, v[92:93], v[94:95] offset0:8 offset1:9
	;; [unrolled: 5-line block ×15, first 2 shown]
	v_mov_b32_e32 v92, v6
	v_mov_b32_e32 v93, v7
	;; [unrolled: 1-line block ×5, first 2 shown]
	ds_write2_b64 v86, v[92:93], v[94:95] offset0:36 offset1:37
	ds_write_b64 v86, v[80:81] offset:304
.LBB76_95:
	s_or_b64 exec, exec, s[0:1]
	v_cmp_lt_i32_e32 vcc, 5, v87
	s_waitcnt lgkmcnt(0)
	s_barrier
	s_and_saveexec_b64 s[0:1], vcc
	s_cbranch_execz .LBB76_97
; %bb.96:
	ds_read2_b64 v[92:95], v86 offset0:6 offset1:7
	ds_read2_b64 v[96:99], v86 offset0:8 offset1:9
	v_mul_f64 v[68:69], v[82:83], v[68:69]
	ds_read2_b64 v[100:103], v86 offset0:10 offset1:11
	ds_read_b64 v[82:83], v86 offset:304
	s_waitcnt lgkmcnt(0)
	v_fma_f64 v[66:67], -v[68:69], v[92:93], v[66:67]
	v_fma_f64 v[64:65], -v[68:69], v[94:95], v[64:65]
	ds_read2_b64 v[92:95], v86 offset0:12 offset1:13
	v_fma_f64 v[62:63], -v[68:69], v[96:97], v[62:63]
	v_fma_f64 v[60:61], -v[68:69], v[98:99], v[60:61]
	v_fma_f64 v[58:59], -v[68:69], v[100:101], v[58:59]
	ds_read2_b64 v[96:99], v86 offset0:14 offset1:15
	v_fma_f64 v[56:57], -v[68:69], v[102:103], v[56:57]
	ds_read2_b64 v[100:103], v86 offset0:16 offset1:17
	s_waitcnt lgkmcnt(0)
	v_fma_f64 v[54:55], -v[68:69], v[92:93], v[54:55]
	v_fma_f64 v[52:53], -v[68:69], v[94:95], v[52:53]
	ds_read2_b64 v[92:95], v86 offset0:18 offset1:19
	v_fma_f64 v[48:49], -v[68:69], v[96:97], v[48:49]
	v_fma_f64 v[50:51], -v[68:69], v[98:99], v[50:51]
	ds_read2_b64 v[96:99], v86 offset0:20 offset1:21
	v_fma_f64 v[46:47], -v[68:69], v[100:101], v[46:47]
	v_fma_f64 v[44:45], -v[68:69], v[102:103], v[44:45]
	s_waitcnt lgkmcnt(0)
	v_fma_f64 v[42:43], -v[68:69], v[92:93], v[42:43]
	ds_read2_b64 v[100:103], v86 offset0:22 offset1:23
	v_fma_f64 v[40:41], -v[68:69], v[94:95], v[40:41]
	ds_read2_b64 v[92:95], v86 offset0:24 offset1:25
	v_fma_f64 v[38:39], -v[68:69], v[96:97], v[38:39]
	v_fma_f64 v[36:37], -v[68:69], v[98:99], v[36:37]
	s_waitcnt lgkmcnt(0)
	v_fma_f64 v[34:35], -v[68:69], v[100:101], v[34:35]
	ds_read2_b64 v[96:99], v86 offset0:26 offset1:27
	v_fma_f64 v[32:33], -v[68:69], v[102:103], v[32:33]
	ds_read2_b64 v[100:103], v86 offset0:28 offset1:29
	v_fma_f64 v[30:31], -v[68:69], v[92:93], v[30:31]
	v_fma_f64 v[28:29], -v[68:69], v[94:95], v[28:29]
	ds_read2_b64 v[92:95], v86 offset0:30 offset1:31
	s_waitcnt lgkmcnt(0)
	v_fma_f64 v[26:27], -v[68:69], v[96:97], v[26:27]
	v_fma_f64 v[24:25], -v[68:69], v[98:99], v[24:25]
	ds_read2_b64 v[96:99], v86 offset0:32 offset1:33
	v_fma_f64 v[22:23], -v[68:69], v[100:101], v[22:23]
	v_fma_f64 v[18:19], -v[68:69], v[102:103], v[18:19]
	;; [unrolled: 1-line block ×4, first 2 shown]
	ds_read2_b64 v[92:95], v86 offset0:34 offset1:35
	ds_read2_b64 v[100:103], v86 offset0:36 offset1:37
	s_waitcnt lgkmcnt(0)
	v_fma_f64 v[14:15], -v[68:69], v[96:97], v[14:15]
	v_fma_f64 v[12:13], -v[68:69], v[98:99], v[12:13]
	;; [unrolled: 1-line block ×7, first 2 shown]
.LBB76_97:
	s_or_b64 exec, exec, s[0:1]
	v_lshl_add_u32 v82, v87, 3, v86
	s_barrier
	ds_write_b64 v82, v[66:67]
	s_waitcnt lgkmcnt(0)
	s_barrier
	ds_read_b64 v[82:83], v86 offset:48
	s_cmp_lt_i32 s18, 8
	v_mov_b32_e32 v84, 6
	s_cbranch_scc1 .LBB76_100
; %bb.98:
	v_add3_u32 v92, v91, 0, 56
	s_mov_b32 s0, 7
	v_mov_b32_e32 v84, 6
.LBB76_99:                              ; =>This Inner Loop Header: Depth=1
	ds_read_b64 v[94:95], v92
	v_mov_b32_e32 v93, s0
	s_add_i32 s0, s0, 1
	v_add_u32_e32 v92, 8, v92
	s_cmp_lg_u32 s18, s0
	s_waitcnt lgkmcnt(0)
	v_cmp_lt_f64_e64 vcc, |v[82:83]|, |v[94:95]|
	v_cndmask_b32_e32 v83, v83, v95, vcc
	v_cndmask_b32_e32 v82, v82, v94, vcc
	;; [unrolled: 1-line block ×3, first 2 shown]
	s_cbranch_scc1 .LBB76_99
.LBB76_100:
	s_waitcnt lgkmcnt(0)
	v_cmp_eq_f64_e32 vcc, 0, v[82:83]
	s_and_saveexec_b64 s[0:1], vcc
	s_xor_b64 s[0:1], exec, s[0:1]
; %bb.101:
	v_cmp_ne_u32_e32 vcc, 0, v90
	v_cndmask_b32_e32 v90, 7, v90, vcc
; %bb.102:
	s_andn2_saveexec_b64 s[0:1], s[0:1]
; %bb.103:
	v_div_scale_f64 v[92:93], s[2:3], v[82:83], v[82:83], 1.0
	v_rcp_f64_e32 v[94:95], v[92:93]
	v_div_scale_f64 v[96:97], vcc, 1.0, v[82:83], 1.0
	v_fma_f64 v[98:99], -v[92:93], v[94:95], 1.0
	v_fmac_f64_e32 v[94:95], v[94:95], v[98:99]
	v_fma_f64 v[98:99], -v[92:93], v[94:95], 1.0
	v_fmac_f64_e32 v[94:95], v[94:95], v[98:99]
	v_mul_f64 v[98:99], v[96:97], v[94:95]
	v_fma_f64 v[92:93], -v[92:93], v[98:99], v[96:97]
	v_div_fmas_f64 v[92:93], v[92:93], v[94:95], v[98:99]
	v_div_fixup_f64 v[82:83], v[92:93], v[82:83], 1.0
; %bb.104:
	s_or_b64 exec, exec, s[0:1]
	v_cmp_ne_u32_e32 vcc, v87, v84
	s_and_saveexec_b64 s[0:1], vcc
	s_xor_b64 s[0:1], exec, s[0:1]
	s_cbranch_execz .LBB76_110
; %bb.105:
	v_cmp_eq_u32_e32 vcc, 6, v87
	s_and_saveexec_b64 s[2:3], vcc
	s_cbranch_execz .LBB76_109
; %bb.106:
	v_cmp_ne_u32_e32 vcc, 6, v84
	s_xor_b64 s[14:15], s[6:7], -1
	s_and_b64 s[16:17], s[14:15], vcc
	s_and_saveexec_b64 s[14:15], s[16:17]
	s_cbranch_execz .LBB76_108
; %bb.107:
	v_ashrrev_i32_e32 v85, 31, v84
	v_lshlrev_b64 v[92:93], 2, v[84:85]
	v_add_co_u32_e32 v92, vcc, v4, v92
	v_addc_co_u32_e32 v93, vcc, v5, v93, vcc
	flat_load_dword v85, v[92:93]
	flat_load_dword v87, v[4:5] offset:24
	s_waitcnt vmcnt(0) lgkmcnt(0)
	flat_store_dword v[4:5], v85 offset:24
	flat_store_dword v[92:93], v87
.LBB76_108:
	s_or_b64 exec, exec, s[14:15]
	v_mov_b32_e32 v85, v84
	v_mov_b32_e32 v87, v84
.LBB76_109:
	s_or_b64 exec, exec, s[2:3]
.LBB76_110:
	s_andn2_saveexec_b64 s[0:1], s[0:1]
	s_cbranch_execz .LBB76_112
; %bb.111:
	v_mov_b32_e32 v87, 6
	ds_write2_b64 v86, v[64:65], v[62:63] offset0:7 offset1:8
	ds_write2_b64 v86, v[60:61], v[58:59] offset0:9 offset1:10
	;; [unrolled: 1-line block ×16, first 2 shown]
.LBB76_112:
	s_or_b64 exec, exec, s[0:1]
	v_cmp_lt_i32_e32 vcc, 6, v87
	s_waitcnt lgkmcnt(0)
	s_barrier
	s_and_saveexec_b64 s[0:1], vcc
	s_cbranch_execz .LBB76_114
; %bb.113:
	ds_read2_b64 v[92:95], v86 offset0:7 offset1:8
	ds_read2_b64 v[96:99], v86 offset0:9 offset1:10
	v_mul_f64 v[66:67], v[82:83], v[66:67]
	ds_read2_b64 v[100:103], v86 offset0:11 offset1:12
	s_waitcnt lgkmcnt(0)
	v_fma_f64 v[64:65], -v[66:67], v[92:93], v[64:65]
	v_fma_f64 v[62:63], -v[66:67], v[94:95], v[62:63]
	ds_read2_b64 v[92:95], v86 offset0:13 offset1:14
	v_fma_f64 v[60:61], -v[66:67], v[96:97], v[60:61]
	v_fma_f64 v[58:59], -v[66:67], v[98:99], v[58:59]
	;; [unrolled: 1-line block ×3, first 2 shown]
	ds_read2_b64 v[96:99], v86 offset0:15 offset1:16
	v_fma_f64 v[54:55], -v[66:67], v[102:103], v[54:55]
	ds_read2_b64 v[100:103], v86 offset0:17 offset1:18
	s_waitcnt lgkmcnt(0)
	v_fma_f64 v[52:53], -v[66:67], v[92:93], v[52:53]
	v_fma_f64 v[48:49], -v[66:67], v[94:95], v[48:49]
	ds_read2_b64 v[92:95], v86 offset0:19 offset1:20
	v_fma_f64 v[50:51], -v[66:67], v[96:97], v[50:51]
	v_fma_f64 v[46:47], -v[66:67], v[98:99], v[46:47]
	ds_read2_b64 v[96:99], v86 offset0:21 offset1:22
	v_fma_f64 v[44:45], -v[66:67], v[100:101], v[44:45]
	v_fma_f64 v[42:43], -v[66:67], v[102:103], v[42:43]
	s_waitcnt lgkmcnt(0)
	v_fma_f64 v[40:41], -v[66:67], v[92:93], v[40:41]
	ds_read2_b64 v[100:103], v86 offset0:23 offset1:24
	v_fma_f64 v[38:39], -v[66:67], v[94:95], v[38:39]
	ds_read2_b64 v[92:95], v86 offset0:25 offset1:26
	v_fma_f64 v[36:37], -v[66:67], v[96:97], v[36:37]
	v_fma_f64 v[34:35], -v[66:67], v[98:99], v[34:35]
	s_waitcnt lgkmcnt(0)
	v_fma_f64 v[32:33], -v[66:67], v[100:101], v[32:33]
	ds_read2_b64 v[96:99], v86 offset0:27 offset1:28
	v_fma_f64 v[30:31], -v[66:67], v[102:103], v[30:31]
	ds_read2_b64 v[100:103], v86 offset0:29 offset1:30
	v_fma_f64 v[28:29], -v[66:67], v[92:93], v[28:29]
	v_fma_f64 v[26:27], -v[66:67], v[94:95], v[26:27]
	ds_read2_b64 v[92:95], v86 offset0:31 offset1:32
	s_waitcnt lgkmcnt(0)
	v_fma_f64 v[24:25], -v[66:67], v[96:97], v[24:25]
	v_fma_f64 v[22:23], -v[66:67], v[98:99], v[22:23]
	ds_read2_b64 v[96:99], v86 offset0:33 offset1:34
	v_fma_f64 v[18:19], -v[66:67], v[100:101], v[18:19]
	v_fma_f64 v[20:21], -v[66:67], v[102:103], v[20:21]
	;; [unrolled: 1-line block ×3, first 2 shown]
	ds_read2_b64 v[100:103], v86 offset0:35 offset1:36
	v_fma_f64 v[14:15], -v[66:67], v[94:95], v[14:15]
	ds_read2_b64 v[92:95], v86 offset0:37 offset1:38
	s_waitcnt lgkmcnt(0)
	v_fma_f64 v[12:13], -v[66:67], v[96:97], v[12:13]
	v_fma_f64 v[10:11], -v[66:67], v[98:99], v[10:11]
	v_fma_f64 v[8:9], -v[66:67], v[100:101], v[8:9]
	v_fma_f64 v[6:7], -v[66:67], v[102:103], v[6:7]
	v_fma_f64 v[0:1], -v[66:67], v[92:93], v[0:1]
	v_fma_f64 v[80:81], -v[66:67], v[94:95], v[80:81]
.LBB76_114:
	s_or_b64 exec, exec, s[0:1]
	v_lshl_add_u32 v82, v87, 3, v86
	s_barrier
	ds_write_b64 v82, v[64:65]
	s_waitcnt lgkmcnt(0)
	s_barrier
	ds_read_b64 v[82:83], v86 offset:56
	s_cmp_lt_i32 s18, 9
	v_mov_b32_e32 v84, 7
	s_cbranch_scc1 .LBB76_117
; %bb.115:
	v_add3_u32 v91, v91, 0, 64
	s_mov_b32 s0, 8
	v_mov_b32_e32 v84, 7
.LBB76_116:                             ; =>This Inner Loop Header: Depth=1
	ds_read_b64 v[92:93], v91
	v_mov_b32_e32 v94, s0
	s_add_i32 s0, s0, 1
	v_add_u32_e32 v91, 8, v91
	s_cmp_lg_u32 s18, s0
	s_waitcnt lgkmcnt(0)
	v_cmp_lt_f64_e64 vcc, |v[82:83]|, |v[92:93]|
	v_cndmask_b32_e32 v83, v83, v93, vcc
	v_cndmask_b32_e32 v82, v82, v92, vcc
	;; [unrolled: 1-line block ×3, first 2 shown]
	s_cbranch_scc1 .LBB76_116
.LBB76_117:
	s_waitcnt lgkmcnt(0)
	v_cmp_eq_f64_e32 vcc, 0, v[82:83]
	s_and_saveexec_b64 s[0:1], vcc
	s_xor_b64 s[0:1], exec, s[0:1]
; %bb.118:
	v_cmp_ne_u32_e32 vcc, 0, v90
	v_cndmask_b32_e32 v90, 8, v90, vcc
; %bb.119:
	s_andn2_saveexec_b64 s[0:1], s[0:1]
; %bb.120:
	v_div_scale_f64 v[92:93], s[2:3], v[82:83], v[82:83], 1.0
	v_rcp_f64_e32 v[94:95], v[92:93]
	v_div_scale_f64 v[96:97], vcc, 1.0, v[82:83], 1.0
	v_fma_f64 v[98:99], -v[92:93], v[94:95], 1.0
	v_fmac_f64_e32 v[94:95], v[94:95], v[98:99]
	v_fma_f64 v[98:99], -v[92:93], v[94:95], 1.0
	v_fmac_f64_e32 v[94:95], v[94:95], v[98:99]
	v_mul_f64 v[98:99], v[96:97], v[94:95]
	v_fma_f64 v[92:93], -v[92:93], v[98:99], v[96:97]
	v_div_fmas_f64 v[92:93], v[92:93], v[94:95], v[98:99]
	v_div_fixup_f64 v[82:83], v[92:93], v[82:83], 1.0
; %bb.121:
	s_or_b64 exec, exec, s[0:1]
	v_cmp_ne_u32_e32 vcc, v87, v84
	s_and_saveexec_b64 s[0:1], vcc
	s_xor_b64 s[0:1], exec, s[0:1]
	s_cbranch_execz .LBB76_127
; %bb.122:
	v_cmp_eq_u32_e32 vcc, 7, v87
	s_and_saveexec_b64 s[2:3], vcc
	s_cbranch_execz .LBB76_126
; %bb.123:
	v_cmp_ne_u32_e32 vcc, 7, v84
	s_xor_b64 s[14:15], s[6:7], -1
	s_and_b64 s[16:17], s[14:15], vcc
	s_and_saveexec_b64 s[14:15], s[16:17]
	s_cbranch_execz .LBB76_125
; %bb.124:
	v_ashrrev_i32_e32 v85, 31, v84
	v_lshlrev_b64 v[92:93], 2, v[84:85]
	v_add_co_u32_e32 v92, vcc, v4, v92
	v_addc_co_u32_e32 v93, vcc, v5, v93, vcc
	flat_load_dword v85, v[92:93]
	flat_load_dword v87, v[4:5] offset:28
	s_waitcnt vmcnt(0) lgkmcnt(0)
	flat_store_dword v[4:5], v85 offset:28
	flat_store_dword v[92:93], v87
.LBB76_125:
	s_or_b64 exec, exec, s[14:15]
	v_mov_b32_e32 v85, v84
	v_mov_b32_e32 v87, v84
.LBB76_126:
	s_or_b64 exec, exec, s[2:3]
.LBB76_127:
	s_andn2_saveexec_b64 s[0:1], s[0:1]
	s_cbranch_execz .LBB76_129
; %bb.128:
	v_mov_b32_e32 v92, v62
	v_mov_b32_e32 v93, v63
	v_mov_b32_e32 v94, v60
	v_mov_b32_e32 v95, v61
	ds_write2_b64 v86, v[92:93], v[94:95] offset0:8 offset1:9
	v_mov_b32_e32 v92, v58
	v_mov_b32_e32 v93, v59
	v_mov_b32_e32 v94, v56
	v_mov_b32_e32 v95, v57
	ds_write2_b64 v86, v[92:93], v[94:95] offset0:10 offset1:11
	;; [unrolled: 5-line block ×14, first 2 shown]
	v_mov_b32_e32 v92, v6
	v_mov_b32_e32 v93, v7
	;; [unrolled: 1-line block ×5, first 2 shown]
	ds_write2_b64 v86, v[92:93], v[94:95] offset0:36 offset1:37
	ds_write_b64 v86, v[80:81] offset:304
.LBB76_129:
	s_or_b64 exec, exec, s[0:1]
	v_cmp_lt_i32_e32 vcc, 7, v87
	s_waitcnt lgkmcnt(0)
	s_barrier
	s_and_saveexec_b64 s[0:1], vcc
	s_cbranch_execz .LBB76_131
; %bb.130:
	ds_read2_b64 v[92:95], v86 offset0:8 offset1:9
	ds_read2_b64 v[96:99], v86 offset0:10 offset1:11
	;; [unrolled: 1-line block ×3, first 2 shown]
	v_mul_f64 v[64:65], v[82:83], v[64:65]
	ds_read_b64 v[82:83], v86 offset:304
	s_waitcnt lgkmcnt(0)
	v_fma_f64 v[62:63], -v[64:65], v[92:93], v[62:63]
	v_fma_f64 v[60:61], -v[64:65], v[94:95], v[60:61]
	ds_read2_b64 v[92:95], v86 offset0:14 offset1:15
	v_fma_f64 v[58:59], -v[64:65], v[96:97], v[58:59]
	v_fma_f64 v[56:57], -v[64:65], v[98:99], v[56:57]
	;; [unrolled: 1-line block ×3, first 2 shown]
	ds_read2_b64 v[96:99], v86 offset0:16 offset1:17
	v_fma_f64 v[52:53], -v[64:65], v[102:103], v[52:53]
	ds_read2_b64 v[100:103], v86 offset0:18 offset1:19
	s_waitcnt lgkmcnt(0)
	v_fma_f64 v[48:49], -v[64:65], v[92:93], v[48:49]
	v_fma_f64 v[50:51], -v[64:65], v[94:95], v[50:51]
	;; [unrolled: 1-line block ×3, first 2 shown]
	ds_read2_b64 v[92:95], v86 offset0:20 offset1:21
	v_fma_f64 v[44:45], -v[64:65], v[98:99], v[44:45]
	ds_read2_b64 v[96:99], v86 offset0:22 offset1:23
	v_fma_f64 v[42:43], -v[64:65], v[100:101], v[42:43]
	v_fma_f64 v[40:41], -v[64:65], v[102:103], v[40:41]
	ds_read2_b64 v[100:103], v86 offset0:24 offset1:25
	s_waitcnt lgkmcnt(0)
	v_fma_f64 v[38:39], -v[64:65], v[92:93], v[38:39]
	v_fma_f64 v[36:37], -v[64:65], v[94:95], v[36:37]
	ds_read2_b64 v[92:95], v86 offset0:26 offset1:27
	v_fma_f64 v[34:35], -v[64:65], v[96:97], v[34:35]
	v_fma_f64 v[32:33], -v[64:65], v[98:99], v[32:33]
	v_fma_f64 v[30:31], -v[64:65], v[100:101], v[30:31]
	ds_read2_b64 v[96:99], v86 offset0:28 offset1:29
	v_fma_f64 v[28:29], -v[64:65], v[102:103], v[28:29]
	ds_read2_b64 v[100:103], v86 offset0:30 offset1:31
	s_waitcnt lgkmcnt(0)
	v_fma_f64 v[26:27], -v[64:65], v[92:93], v[26:27]
	v_fma_f64 v[24:25], -v[64:65], v[94:95], v[24:25]
	;; [unrolled: 1-line block ×3, first 2 shown]
	ds_read2_b64 v[92:95], v86 offset0:32 offset1:33
	v_fma_f64 v[18:19], -v[64:65], v[98:99], v[18:19]
	ds_read2_b64 v[96:99], v86 offset0:34 offset1:35
	v_fma_f64 v[20:21], -v[64:65], v[100:101], v[20:21]
	v_fma_f64 v[16:17], -v[64:65], v[102:103], v[16:17]
	ds_read2_b64 v[100:103], v86 offset0:36 offset1:37
	s_waitcnt lgkmcnt(0)
	v_fma_f64 v[14:15], -v[64:65], v[92:93], v[14:15]
	v_fma_f64 v[12:13], -v[64:65], v[94:95], v[12:13]
	;; [unrolled: 1-line block ×7, first 2 shown]
.LBB76_131:
	s_or_b64 exec, exec, s[0:1]
	v_lshl_add_u32 v82, v87, 3, v86
	s_barrier
	ds_write_b64 v82, v[62:63]
	s_waitcnt lgkmcnt(0)
	s_barrier
	ds_read_b64 v[82:83], v86 offset:64
	s_cmp_lt_i32 s18, 10
	v_mov_b32_e32 v84, 8
	s_cbranch_scc1 .LBB76_134
; %bb.132:
	v_add_u32_e32 v91, 0x48, v86
	s_mov_b32 s0, 9
	v_mov_b32_e32 v84, 8
.LBB76_133:                             ; =>This Inner Loop Header: Depth=1
	ds_read_b64 v[92:93], v91
	v_mov_b32_e32 v94, s0
	s_add_i32 s0, s0, 1
	v_add_u32_e32 v91, 8, v91
	s_cmp_lg_u32 s18, s0
	s_waitcnt lgkmcnt(0)
	v_cmp_lt_f64_e64 vcc, |v[82:83]|, |v[92:93]|
	v_cndmask_b32_e32 v83, v83, v93, vcc
	v_cndmask_b32_e32 v82, v82, v92, vcc
	;; [unrolled: 1-line block ×3, first 2 shown]
	s_cbranch_scc1 .LBB76_133
.LBB76_134:
	s_waitcnt lgkmcnt(0)
	v_cmp_eq_f64_e32 vcc, 0, v[82:83]
	s_and_saveexec_b64 s[0:1], vcc
	s_xor_b64 s[0:1], exec, s[0:1]
; %bb.135:
	v_cmp_ne_u32_e32 vcc, 0, v90
	v_cndmask_b32_e32 v90, 9, v90, vcc
; %bb.136:
	s_andn2_saveexec_b64 s[0:1], s[0:1]
; %bb.137:
	v_div_scale_f64 v[92:93], s[2:3], v[82:83], v[82:83], 1.0
	v_rcp_f64_e32 v[94:95], v[92:93]
	v_div_scale_f64 v[96:97], vcc, 1.0, v[82:83], 1.0
	v_fma_f64 v[98:99], -v[92:93], v[94:95], 1.0
	v_fmac_f64_e32 v[94:95], v[94:95], v[98:99]
	v_fma_f64 v[98:99], -v[92:93], v[94:95], 1.0
	v_fmac_f64_e32 v[94:95], v[94:95], v[98:99]
	v_mul_f64 v[98:99], v[96:97], v[94:95]
	v_fma_f64 v[92:93], -v[92:93], v[98:99], v[96:97]
	v_div_fmas_f64 v[92:93], v[92:93], v[94:95], v[98:99]
	v_div_fixup_f64 v[82:83], v[92:93], v[82:83], 1.0
; %bb.138:
	s_or_b64 exec, exec, s[0:1]
	v_cmp_ne_u32_e32 vcc, v87, v84
	s_and_saveexec_b64 s[0:1], vcc
	s_xor_b64 s[0:1], exec, s[0:1]
	s_cbranch_execz .LBB76_144
; %bb.139:
	v_cmp_eq_u32_e32 vcc, 8, v87
	s_and_saveexec_b64 s[2:3], vcc
	s_cbranch_execz .LBB76_143
; %bb.140:
	v_cmp_ne_u32_e32 vcc, 8, v84
	s_xor_b64 s[14:15], s[6:7], -1
	s_and_b64 s[16:17], s[14:15], vcc
	s_and_saveexec_b64 s[14:15], s[16:17]
	s_cbranch_execz .LBB76_142
; %bb.141:
	v_ashrrev_i32_e32 v85, 31, v84
	v_lshlrev_b64 v[92:93], 2, v[84:85]
	v_add_co_u32_e32 v92, vcc, v4, v92
	v_addc_co_u32_e32 v93, vcc, v5, v93, vcc
	flat_load_dword v85, v[92:93]
	flat_load_dword v87, v[4:5] offset:32
	s_waitcnt vmcnt(0) lgkmcnt(0)
	flat_store_dword v[4:5], v85 offset:32
	flat_store_dword v[92:93], v87
.LBB76_142:
	s_or_b64 exec, exec, s[14:15]
	v_mov_b32_e32 v85, v84
	v_mov_b32_e32 v87, v84
.LBB76_143:
	s_or_b64 exec, exec, s[2:3]
.LBB76_144:
	s_andn2_saveexec_b64 s[0:1], s[0:1]
	s_cbranch_execz .LBB76_146
; %bb.145:
	v_mov_b32_e32 v87, 8
	ds_write2_b64 v86, v[60:61], v[58:59] offset0:9 offset1:10
	ds_write2_b64 v86, v[56:57], v[54:55] offset0:11 offset1:12
	;; [unrolled: 1-line block ×15, first 2 shown]
.LBB76_146:
	s_or_b64 exec, exec, s[0:1]
	v_cmp_lt_i32_e32 vcc, 8, v87
	s_waitcnt lgkmcnt(0)
	s_barrier
	s_and_saveexec_b64 s[0:1], vcc
	s_cbranch_execz .LBB76_148
; %bb.147:
	ds_read2_b64 v[92:95], v86 offset0:9 offset1:10
	ds_read2_b64 v[96:99], v86 offset0:11 offset1:12
	ds_read2_b64 v[100:103], v86 offset0:13 offset1:14
	v_mul_f64 v[62:63], v[82:83], v[62:63]
	s_waitcnt lgkmcnt(0)
	v_fma_f64 v[60:61], -v[62:63], v[92:93], v[60:61]
	v_fma_f64 v[58:59], -v[62:63], v[94:95], v[58:59]
	ds_read2_b64 v[92:95], v86 offset0:15 offset1:16
	v_fma_f64 v[56:57], -v[62:63], v[96:97], v[56:57]
	v_fma_f64 v[54:55], -v[62:63], v[98:99], v[54:55]
	;; [unrolled: 1-line block ×3, first 2 shown]
	ds_read2_b64 v[96:99], v86 offset0:17 offset1:18
	v_fma_f64 v[48:49], -v[62:63], v[102:103], v[48:49]
	ds_read2_b64 v[100:103], v86 offset0:19 offset1:20
	s_waitcnt lgkmcnt(0)
	v_fma_f64 v[50:51], -v[62:63], v[92:93], v[50:51]
	v_fma_f64 v[46:47], -v[62:63], v[94:95], v[46:47]
	;; [unrolled: 1-line block ×3, first 2 shown]
	ds_read2_b64 v[92:95], v86 offset0:21 offset1:22
	v_fma_f64 v[42:43], -v[62:63], v[98:99], v[42:43]
	ds_read2_b64 v[96:99], v86 offset0:23 offset1:24
	v_fma_f64 v[40:41], -v[62:63], v[100:101], v[40:41]
	v_fma_f64 v[38:39], -v[62:63], v[102:103], v[38:39]
	ds_read2_b64 v[100:103], v86 offset0:25 offset1:26
	s_waitcnt lgkmcnt(0)
	v_fma_f64 v[36:37], -v[62:63], v[92:93], v[36:37]
	v_fma_f64 v[34:35], -v[62:63], v[94:95], v[34:35]
	ds_read2_b64 v[92:95], v86 offset0:27 offset1:28
	v_fma_f64 v[32:33], -v[62:63], v[96:97], v[32:33]
	v_fma_f64 v[30:31], -v[62:63], v[98:99], v[30:31]
	;; [unrolled: 1-line block ×3, first 2 shown]
	ds_read2_b64 v[96:99], v86 offset0:29 offset1:30
	v_fma_f64 v[26:27], -v[62:63], v[102:103], v[26:27]
	ds_read2_b64 v[100:103], v86 offset0:31 offset1:32
	s_waitcnt lgkmcnt(0)
	v_fma_f64 v[24:25], -v[62:63], v[92:93], v[24:25]
	v_fma_f64 v[22:23], -v[62:63], v[94:95], v[22:23]
	;; [unrolled: 1-line block ×4, first 2 shown]
	ds_read2_b64 v[92:95], v86 offset0:33 offset1:34
	ds_read2_b64 v[96:99], v86 offset0:35 offset1:36
	v_fma_f64 v[16:17], -v[62:63], v[100:101], v[16:17]
	v_fma_f64 v[14:15], -v[62:63], v[102:103], v[14:15]
	ds_read2_b64 v[100:103], v86 offset0:37 offset1:38
	s_waitcnt lgkmcnt(0)
	v_fma_f64 v[12:13], -v[62:63], v[92:93], v[12:13]
	v_fma_f64 v[10:11], -v[62:63], v[94:95], v[10:11]
	;; [unrolled: 1-line block ×6, first 2 shown]
.LBB76_148:
	s_or_b64 exec, exec, s[0:1]
	v_lshl_add_u32 v82, v87, 3, v86
	s_barrier
	ds_write_b64 v82, v[60:61]
	s_waitcnt lgkmcnt(0)
	s_barrier
	ds_read_b64 v[82:83], v86 offset:72
	s_cmp_lt_i32 s18, 11
	v_mov_b32_e32 v84, 9
	s_cbranch_scc1 .LBB76_151
; %bb.149:
	v_add_u32_e32 v91, 0x50, v86
	s_mov_b32 s0, 10
	v_mov_b32_e32 v84, 9
.LBB76_150:                             ; =>This Inner Loop Header: Depth=1
	ds_read_b64 v[92:93], v91
	v_mov_b32_e32 v94, s0
	s_add_i32 s0, s0, 1
	v_add_u32_e32 v91, 8, v91
	s_cmp_lg_u32 s18, s0
	s_waitcnt lgkmcnt(0)
	v_cmp_lt_f64_e64 vcc, |v[82:83]|, |v[92:93]|
	v_cndmask_b32_e32 v83, v83, v93, vcc
	v_cndmask_b32_e32 v82, v82, v92, vcc
	;; [unrolled: 1-line block ×3, first 2 shown]
	s_cbranch_scc1 .LBB76_150
.LBB76_151:
	s_waitcnt lgkmcnt(0)
	v_cmp_eq_f64_e32 vcc, 0, v[82:83]
	s_and_saveexec_b64 s[0:1], vcc
	s_xor_b64 s[0:1], exec, s[0:1]
; %bb.152:
	v_cmp_ne_u32_e32 vcc, 0, v90
	v_cndmask_b32_e32 v90, 10, v90, vcc
; %bb.153:
	s_andn2_saveexec_b64 s[0:1], s[0:1]
; %bb.154:
	v_div_scale_f64 v[92:93], s[2:3], v[82:83], v[82:83], 1.0
	v_rcp_f64_e32 v[94:95], v[92:93]
	v_div_scale_f64 v[96:97], vcc, 1.0, v[82:83], 1.0
	v_fma_f64 v[98:99], -v[92:93], v[94:95], 1.0
	v_fmac_f64_e32 v[94:95], v[94:95], v[98:99]
	v_fma_f64 v[98:99], -v[92:93], v[94:95], 1.0
	v_fmac_f64_e32 v[94:95], v[94:95], v[98:99]
	v_mul_f64 v[98:99], v[96:97], v[94:95]
	v_fma_f64 v[92:93], -v[92:93], v[98:99], v[96:97]
	v_div_fmas_f64 v[92:93], v[92:93], v[94:95], v[98:99]
	v_div_fixup_f64 v[82:83], v[92:93], v[82:83], 1.0
; %bb.155:
	s_or_b64 exec, exec, s[0:1]
	v_cmp_ne_u32_e32 vcc, v87, v84
	s_and_saveexec_b64 s[0:1], vcc
	s_xor_b64 s[0:1], exec, s[0:1]
	s_cbranch_execz .LBB76_161
; %bb.156:
	v_cmp_eq_u32_e32 vcc, 9, v87
	s_and_saveexec_b64 s[2:3], vcc
	s_cbranch_execz .LBB76_160
; %bb.157:
	v_cmp_ne_u32_e32 vcc, 9, v84
	s_xor_b64 s[14:15], s[6:7], -1
	s_and_b64 s[16:17], s[14:15], vcc
	s_and_saveexec_b64 s[14:15], s[16:17]
	s_cbranch_execz .LBB76_159
; %bb.158:
	v_ashrrev_i32_e32 v85, 31, v84
	v_lshlrev_b64 v[92:93], 2, v[84:85]
	v_add_co_u32_e32 v92, vcc, v4, v92
	v_addc_co_u32_e32 v93, vcc, v5, v93, vcc
	flat_load_dword v85, v[92:93]
	flat_load_dword v87, v[4:5] offset:36
	s_waitcnt vmcnt(0) lgkmcnt(0)
	flat_store_dword v[4:5], v85 offset:36
	flat_store_dword v[92:93], v87
.LBB76_159:
	s_or_b64 exec, exec, s[14:15]
	v_mov_b32_e32 v85, v84
	v_mov_b32_e32 v87, v84
.LBB76_160:
	s_or_b64 exec, exec, s[2:3]
.LBB76_161:
	s_andn2_saveexec_b64 s[0:1], s[0:1]
	s_cbranch_execz .LBB76_163
; %bb.162:
	v_mov_b32_e32 v92, v58
	v_mov_b32_e32 v93, v59
	v_mov_b32_e32 v94, v56
	v_mov_b32_e32 v95, v57
	ds_write2_b64 v86, v[92:93], v[94:95] offset0:10 offset1:11
	v_mov_b32_e32 v92, v54
	v_mov_b32_e32 v93, v55
	v_mov_b32_e32 v94, v52
	v_mov_b32_e32 v95, v53
	ds_write2_b64 v86, v[92:93], v[94:95] offset0:12 offset1:13
	;; [unrolled: 5-line block ×13, first 2 shown]
	v_mov_b32_e32 v92, v6
	v_mov_b32_e32 v93, v7
	;; [unrolled: 1-line block ×5, first 2 shown]
	ds_write2_b64 v86, v[92:93], v[94:95] offset0:36 offset1:37
	ds_write_b64 v86, v[80:81] offset:304
.LBB76_163:
	s_or_b64 exec, exec, s[0:1]
	v_cmp_lt_i32_e32 vcc, 9, v87
	s_waitcnt lgkmcnt(0)
	s_barrier
	s_and_saveexec_b64 s[0:1], vcc
	s_cbranch_execz .LBB76_165
; %bb.164:
	ds_read2_b64 v[92:95], v86 offset0:10 offset1:11
	ds_read2_b64 v[96:99], v86 offset0:12 offset1:13
	v_mul_f64 v[60:61], v[82:83], v[60:61]
	ds_read2_b64 v[100:103], v86 offset0:14 offset1:15
	ds_read_b64 v[82:83], v86 offset:304
	s_waitcnt lgkmcnt(0)
	v_fma_f64 v[58:59], -v[60:61], v[92:93], v[58:59]
	v_fma_f64 v[56:57], -v[60:61], v[94:95], v[56:57]
	ds_read2_b64 v[92:95], v86 offset0:16 offset1:17
	v_fma_f64 v[54:55], -v[60:61], v[96:97], v[54:55]
	v_fma_f64 v[52:53], -v[60:61], v[98:99], v[52:53]
	ds_read2_b64 v[96:99], v86 offset0:18 offset1:19
	;; [unrolled: 3-line block ×3, first 2 shown]
	s_waitcnt lgkmcnt(0)
	v_fma_f64 v[46:47], -v[60:61], v[92:93], v[46:47]
	v_fma_f64 v[44:45], -v[60:61], v[94:95], v[44:45]
	;; [unrolled: 1-line block ×3, first 2 shown]
	ds_read2_b64 v[92:95], v86 offset0:22 offset1:23
	v_fma_f64 v[40:41], -v[60:61], v[98:99], v[40:41]
	ds_read2_b64 v[96:99], v86 offset0:24 offset1:25
	v_fma_f64 v[38:39], -v[60:61], v[100:101], v[38:39]
	v_fma_f64 v[36:37], -v[60:61], v[102:103], v[36:37]
	s_waitcnt lgkmcnt(0)
	v_fma_f64 v[34:35], -v[60:61], v[92:93], v[34:35]
	ds_read2_b64 v[100:103], v86 offset0:26 offset1:27
	v_fma_f64 v[32:33], -v[60:61], v[94:95], v[32:33]
	ds_read2_b64 v[92:95], v86 offset0:28 offset1:29
	v_fma_f64 v[30:31], -v[60:61], v[96:97], v[30:31]
	v_fma_f64 v[28:29], -v[60:61], v[98:99], v[28:29]
	ds_read2_b64 v[96:99], v86 offset0:30 offset1:31
	s_waitcnt lgkmcnt(0)
	v_fma_f64 v[26:27], -v[60:61], v[100:101], v[26:27]
	v_fma_f64 v[24:25], -v[60:61], v[102:103], v[24:25]
	ds_read2_b64 v[100:103], v86 offset0:32 offset1:33
	v_fma_f64 v[22:23], -v[60:61], v[92:93], v[22:23]
	v_fma_f64 v[18:19], -v[60:61], v[94:95], v[18:19]
	;; [unrolled: 1-line block ×4, first 2 shown]
	ds_read2_b64 v[92:95], v86 offset0:34 offset1:35
	ds_read2_b64 v[96:99], v86 offset0:36 offset1:37
	s_waitcnt lgkmcnt(0)
	v_fma_f64 v[14:15], -v[60:61], v[100:101], v[14:15]
	v_fma_f64 v[12:13], -v[60:61], v[102:103], v[12:13]
	;; [unrolled: 1-line block ×7, first 2 shown]
.LBB76_165:
	s_or_b64 exec, exec, s[0:1]
	v_lshl_add_u32 v82, v87, 3, v86
	s_barrier
	ds_write_b64 v82, v[58:59]
	s_waitcnt lgkmcnt(0)
	s_barrier
	ds_read_b64 v[82:83], v86 offset:80
	s_cmp_lt_i32 s18, 12
	v_mov_b32_e32 v84, 10
	s_cbranch_scc1 .LBB76_168
; %bb.166:
	v_add_u32_e32 v91, 0x58, v86
	s_mov_b32 s0, 11
	v_mov_b32_e32 v84, 10
.LBB76_167:                             ; =>This Inner Loop Header: Depth=1
	ds_read_b64 v[92:93], v91
	v_mov_b32_e32 v94, s0
	s_add_i32 s0, s0, 1
	v_add_u32_e32 v91, 8, v91
	s_cmp_lg_u32 s18, s0
	s_waitcnt lgkmcnt(0)
	v_cmp_lt_f64_e64 vcc, |v[82:83]|, |v[92:93]|
	v_cndmask_b32_e32 v83, v83, v93, vcc
	v_cndmask_b32_e32 v82, v82, v92, vcc
	;; [unrolled: 1-line block ×3, first 2 shown]
	s_cbranch_scc1 .LBB76_167
.LBB76_168:
	s_waitcnt lgkmcnt(0)
	v_cmp_eq_f64_e32 vcc, 0, v[82:83]
	s_and_saveexec_b64 s[0:1], vcc
	s_xor_b64 s[0:1], exec, s[0:1]
; %bb.169:
	v_cmp_ne_u32_e32 vcc, 0, v90
	v_cndmask_b32_e32 v90, 11, v90, vcc
; %bb.170:
	s_andn2_saveexec_b64 s[0:1], s[0:1]
; %bb.171:
	v_div_scale_f64 v[92:93], s[2:3], v[82:83], v[82:83], 1.0
	v_rcp_f64_e32 v[94:95], v[92:93]
	v_div_scale_f64 v[96:97], vcc, 1.0, v[82:83], 1.0
	v_fma_f64 v[98:99], -v[92:93], v[94:95], 1.0
	v_fmac_f64_e32 v[94:95], v[94:95], v[98:99]
	v_fma_f64 v[98:99], -v[92:93], v[94:95], 1.0
	v_fmac_f64_e32 v[94:95], v[94:95], v[98:99]
	v_mul_f64 v[98:99], v[96:97], v[94:95]
	v_fma_f64 v[92:93], -v[92:93], v[98:99], v[96:97]
	v_div_fmas_f64 v[92:93], v[92:93], v[94:95], v[98:99]
	v_div_fixup_f64 v[82:83], v[92:93], v[82:83], 1.0
; %bb.172:
	s_or_b64 exec, exec, s[0:1]
	v_cmp_ne_u32_e32 vcc, v87, v84
	s_and_saveexec_b64 s[0:1], vcc
	s_xor_b64 s[0:1], exec, s[0:1]
	s_cbranch_execz .LBB76_178
; %bb.173:
	v_cmp_eq_u32_e32 vcc, 10, v87
	s_and_saveexec_b64 s[2:3], vcc
	s_cbranch_execz .LBB76_177
; %bb.174:
	v_cmp_ne_u32_e32 vcc, 10, v84
	s_xor_b64 s[14:15], s[6:7], -1
	s_and_b64 s[16:17], s[14:15], vcc
	s_and_saveexec_b64 s[14:15], s[16:17]
	s_cbranch_execz .LBB76_176
; %bb.175:
	v_ashrrev_i32_e32 v85, 31, v84
	v_lshlrev_b64 v[92:93], 2, v[84:85]
	v_add_co_u32_e32 v92, vcc, v4, v92
	v_addc_co_u32_e32 v93, vcc, v5, v93, vcc
	flat_load_dword v85, v[92:93]
	flat_load_dword v87, v[4:5] offset:40
	s_waitcnt vmcnt(0) lgkmcnt(0)
	flat_store_dword v[4:5], v85 offset:40
	flat_store_dword v[92:93], v87
.LBB76_176:
	s_or_b64 exec, exec, s[14:15]
	v_mov_b32_e32 v85, v84
	v_mov_b32_e32 v87, v84
.LBB76_177:
	s_or_b64 exec, exec, s[2:3]
.LBB76_178:
	s_andn2_saveexec_b64 s[0:1], s[0:1]
	s_cbranch_execz .LBB76_180
; %bb.179:
	v_mov_b32_e32 v87, 10
	ds_write2_b64 v86, v[56:57], v[54:55] offset0:11 offset1:12
	ds_write2_b64 v86, v[52:53], v[48:49] offset0:13 offset1:14
	;; [unrolled: 1-line block ×14, first 2 shown]
.LBB76_180:
	s_or_b64 exec, exec, s[0:1]
	v_cmp_lt_i32_e32 vcc, 10, v87
	s_waitcnt lgkmcnt(0)
	s_barrier
	s_and_saveexec_b64 s[0:1], vcc
	s_cbranch_execz .LBB76_182
; %bb.181:
	ds_read2_b64 v[92:95], v86 offset0:11 offset1:12
	ds_read2_b64 v[96:99], v86 offset0:13 offset1:14
	v_mul_f64 v[58:59], v[82:83], v[58:59]
	ds_read2_b64 v[100:103], v86 offset0:15 offset1:16
	s_waitcnt lgkmcnt(0)
	v_fma_f64 v[56:57], -v[58:59], v[92:93], v[56:57]
	v_fma_f64 v[54:55], -v[58:59], v[94:95], v[54:55]
	ds_read2_b64 v[92:95], v86 offset0:17 offset1:18
	v_fma_f64 v[52:53], -v[58:59], v[96:97], v[52:53]
	v_fma_f64 v[48:49], -v[58:59], v[98:99], v[48:49]
	ds_read2_b64 v[96:99], v86 offset0:19 offset1:20
	;; [unrolled: 3-line block ×3, first 2 shown]
	s_waitcnt lgkmcnt(0)
	v_fma_f64 v[44:45], -v[58:59], v[92:93], v[44:45]
	v_fma_f64 v[42:43], -v[58:59], v[94:95], v[42:43]
	;; [unrolled: 1-line block ×3, first 2 shown]
	ds_read2_b64 v[92:95], v86 offset0:23 offset1:24
	v_fma_f64 v[38:39], -v[58:59], v[98:99], v[38:39]
	ds_read2_b64 v[96:99], v86 offset0:25 offset1:26
	v_fma_f64 v[36:37], -v[58:59], v[100:101], v[36:37]
	v_fma_f64 v[34:35], -v[58:59], v[102:103], v[34:35]
	s_waitcnt lgkmcnt(0)
	v_fma_f64 v[32:33], -v[58:59], v[92:93], v[32:33]
	ds_read2_b64 v[100:103], v86 offset0:27 offset1:28
	v_fma_f64 v[30:31], -v[58:59], v[94:95], v[30:31]
	ds_read2_b64 v[92:95], v86 offset0:29 offset1:30
	v_fma_f64 v[28:29], -v[58:59], v[96:97], v[28:29]
	v_fma_f64 v[26:27], -v[58:59], v[98:99], v[26:27]
	ds_read2_b64 v[96:99], v86 offset0:31 offset1:32
	s_waitcnt lgkmcnt(0)
	v_fma_f64 v[24:25], -v[58:59], v[100:101], v[24:25]
	v_fma_f64 v[22:23], -v[58:59], v[102:103], v[22:23]
	;; [unrolled: 1-line block ×4, first 2 shown]
	ds_read2_b64 v[92:95], v86 offset0:33 offset1:34
	v_fma_f64 v[16:17], -v[58:59], v[96:97], v[16:17]
	ds_read2_b64 v[100:103], v86 offset0:35 offset1:36
	v_fma_f64 v[14:15], -v[58:59], v[98:99], v[14:15]
	ds_read2_b64 v[96:99], v86 offset0:37 offset1:38
	s_waitcnt lgkmcnt(0)
	v_fma_f64 v[12:13], -v[58:59], v[92:93], v[12:13]
	v_fma_f64 v[10:11], -v[58:59], v[94:95], v[10:11]
	;; [unrolled: 1-line block ×6, first 2 shown]
.LBB76_182:
	s_or_b64 exec, exec, s[0:1]
	v_lshl_add_u32 v82, v87, 3, v86
	s_barrier
	ds_write_b64 v82, v[56:57]
	s_waitcnt lgkmcnt(0)
	s_barrier
	ds_read_b64 v[82:83], v86 offset:88
	s_cmp_lt_i32 s18, 13
	v_mov_b32_e32 v84, 11
	s_cbranch_scc1 .LBB76_185
; %bb.183:
	v_add_u32_e32 v91, 0x60, v86
	s_mov_b32 s0, 12
	v_mov_b32_e32 v84, 11
.LBB76_184:                             ; =>This Inner Loop Header: Depth=1
	ds_read_b64 v[92:93], v91
	v_mov_b32_e32 v94, s0
	s_add_i32 s0, s0, 1
	v_add_u32_e32 v91, 8, v91
	s_cmp_lg_u32 s18, s0
	s_waitcnt lgkmcnt(0)
	v_cmp_lt_f64_e64 vcc, |v[82:83]|, |v[92:93]|
	v_cndmask_b32_e32 v83, v83, v93, vcc
	v_cndmask_b32_e32 v82, v82, v92, vcc
	;; [unrolled: 1-line block ×3, first 2 shown]
	s_cbranch_scc1 .LBB76_184
.LBB76_185:
	s_waitcnt lgkmcnt(0)
	v_cmp_eq_f64_e32 vcc, 0, v[82:83]
	s_and_saveexec_b64 s[0:1], vcc
	s_xor_b64 s[0:1], exec, s[0:1]
; %bb.186:
	v_cmp_ne_u32_e32 vcc, 0, v90
	v_cndmask_b32_e32 v90, 12, v90, vcc
; %bb.187:
	s_andn2_saveexec_b64 s[0:1], s[0:1]
; %bb.188:
	v_div_scale_f64 v[92:93], s[2:3], v[82:83], v[82:83], 1.0
	v_rcp_f64_e32 v[94:95], v[92:93]
	v_div_scale_f64 v[96:97], vcc, 1.0, v[82:83], 1.0
	v_fma_f64 v[98:99], -v[92:93], v[94:95], 1.0
	v_fmac_f64_e32 v[94:95], v[94:95], v[98:99]
	v_fma_f64 v[98:99], -v[92:93], v[94:95], 1.0
	v_fmac_f64_e32 v[94:95], v[94:95], v[98:99]
	v_mul_f64 v[98:99], v[96:97], v[94:95]
	v_fma_f64 v[92:93], -v[92:93], v[98:99], v[96:97]
	v_div_fmas_f64 v[92:93], v[92:93], v[94:95], v[98:99]
	v_div_fixup_f64 v[82:83], v[92:93], v[82:83], 1.0
; %bb.189:
	s_or_b64 exec, exec, s[0:1]
	v_cmp_ne_u32_e32 vcc, v87, v84
	s_and_saveexec_b64 s[0:1], vcc
	s_xor_b64 s[0:1], exec, s[0:1]
	s_cbranch_execz .LBB76_195
; %bb.190:
	v_cmp_eq_u32_e32 vcc, 11, v87
	s_and_saveexec_b64 s[2:3], vcc
	s_cbranch_execz .LBB76_194
; %bb.191:
	v_cmp_ne_u32_e32 vcc, 11, v84
	s_xor_b64 s[14:15], s[6:7], -1
	s_and_b64 s[16:17], s[14:15], vcc
	s_and_saveexec_b64 s[14:15], s[16:17]
	s_cbranch_execz .LBB76_193
; %bb.192:
	v_ashrrev_i32_e32 v85, 31, v84
	v_lshlrev_b64 v[92:93], 2, v[84:85]
	v_add_co_u32_e32 v92, vcc, v4, v92
	v_addc_co_u32_e32 v93, vcc, v5, v93, vcc
	flat_load_dword v85, v[92:93]
	flat_load_dword v87, v[4:5] offset:44
	s_waitcnt vmcnt(0) lgkmcnt(0)
	flat_store_dword v[4:5], v85 offset:44
	flat_store_dword v[92:93], v87
.LBB76_193:
	s_or_b64 exec, exec, s[14:15]
	v_mov_b32_e32 v85, v84
	v_mov_b32_e32 v87, v84
.LBB76_194:
	s_or_b64 exec, exec, s[2:3]
.LBB76_195:
	s_andn2_saveexec_b64 s[0:1], s[0:1]
	s_cbranch_execz .LBB76_197
; %bb.196:
	v_mov_b32_e32 v92, v54
	v_mov_b32_e32 v93, v55
	v_mov_b32_e32 v94, v52
	v_mov_b32_e32 v95, v53
	ds_write2_b64 v86, v[92:93], v[94:95] offset0:12 offset1:13
	v_mov_b32_e32 v92, v48
	v_mov_b32_e32 v93, v49
	v_mov_b32_e32 v94, v50
	v_mov_b32_e32 v95, v51
	ds_write2_b64 v86, v[92:93], v[94:95] offset0:14 offset1:15
	v_mov_b32_e32 v92, v46
	v_mov_b32_e32 v93, v47
	v_mov_b32_e32 v94, v44
	v_mov_b32_e32 v95, v45
	ds_write2_b64 v86, v[92:93], v[94:95] offset0:16 offset1:17
	v_mov_b32_e32 v92, v42
	v_mov_b32_e32 v93, v43
	v_mov_b32_e32 v94, v40
	v_mov_b32_e32 v95, v41
	ds_write2_b64 v86, v[92:93], v[94:95] offset0:18 offset1:19
	v_mov_b32_e32 v92, v38
	v_mov_b32_e32 v93, v39
	v_mov_b32_e32 v94, v36
	v_mov_b32_e32 v95, v37
	ds_write2_b64 v86, v[92:93], v[94:95] offset0:20 offset1:21
	v_mov_b32_e32 v92, v34
	v_mov_b32_e32 v93, v35
	v_mov_b32_e32 v94, v32
	v_mov_b32_e32 v95, v33
	ds_write2_b64 v86, v[92:93], v[94:95] offset0:22 offset1:23
	v_mov_b32_e32 v92, v30
	v_mov_b32_e32 v93, v31
	v_mov_b32_e32 v94, v28
	v_mov_b32_e32 v95, v29
	ds_write2_b64 v86, v[92:93], v[94:95] offset0:24 offset1:25
	v_mov_b32_e32 v92, v26
	v_mov_b32_e32 v93, v27
	v_mov_b32_e32 v94, v24
	v_mov_b32_e32 v95, v25
	ds_write2_b64 v86, v[92:93], v[94:95] offset0:26 offset1:27
	v_mov_b32_e32 v92, v22
	v_mov_b32_e32 v93, v23
	v_mov_b32_e32 v94, v18
	v_mov_b32_e32 v95, v19
	ds_write2_b64 v86, v[92:93], v[94:95] offset0:28 offset1:29
	v_mov_b32_e32 v92, v20
	v_mov_b32_e32 v93, v21
	v_mov_b32_e32 v94, v16
	v_mov_b32_e32 v95, v17
	ds_write2_b64 v86, v[92:93], v[94:95] offset0:30 offset1:31
	v_mov_b32_e32 v92, v14
	v_mov_b32_e32 v93, v15
	v_mov_b32_e32 v94, v12
	v_mov_b32_e32 v95, v13
	ds_write2_b64 v86, v[92:93], v[94:95] offset0:32 offset1:33
	v_mov_b32_e32 v92, v10
	v_mov_b32_e32 v93, v11
	v_mov_b32_e32 v94, v8
	v_mov_b32_e32 v95, v9
	ds_write2_b64 v86, v[92:93], v[94:95] offset0:34 offset1:35
	v_mov_b32_e32 v92, v6
	v_mov_b32_e32 v93, v7
	;; [unrolled: 1-line block ×5, first 2 shown]
	ds_write2_b64 v86, v[92:93], v[94:95] offset0:36 offset1:37
	ds_write_b64 v86, v[80:81] offset:304
.LBB76_197:
	s_or_b64 exec, exec, s[0:1]
	v_cmp_lt_i32_e32 vcc, 11, v87
	s_waitcnt lgkmcnt(0)
	s_barrier
	s_and_saveexec_b64 s[0:1], vcc
	s_cbranch_execz .LBB76_199
; %bb.198:
	ds_read2_b64 v[92:95], v86 offset0:12 offset1:13
	ds_read2_b64 v[96:99], v86 offset0:14 offset1:15
	v_mul_f64 v[56:57], v[82:83], v[56:57]
	ds_read2_b64 v[100:103], v86 offset0:16 offset1:17
	ds_read_b64 v[82:83], v86 offset:304
	s_waitcnt lgkmcnt(0)
	v_fma_f64 v[54:55], -v[56:57], v[92:93], v[54:55]
	v_fma_f64 v[52:53], -v[56:57], v[94:95], v[52:53]
	ds_read2_b64 v[92:95], v86 offset0:18 offset1:19
	v_fma_f64 v[48:49], -v[56:57], v[96:97], v[48:49]
	v_fma_f64 v[50:51], -v[56:57], v[98:99], v[50:51]
	;; [unrolled: 1-line block ×3, first 2 shown]
	ds_read2_b64 v[96:99], v86 offset0:20 offset1:21
	v_fma_f64 v[44:45], -v[56:57], v[102:103], v[44:45]
	ds_read2_b64 v[100:103], v86 offset0:22 offset1:23
	s_waitcnt lgkmcnt(0)
	v_fma_f64 v[42:43], -v[56:57], v[92:93], v[42:43]
	v_fma_f64 v[40:41], -v[56:57], v[94:95], v[40:41]
	ds_read2_b64 v[92:95], v86 offset0:24 offset1:25
	v_fma_f64 v[38:39], -v[56:57], v[96:97], v[38:39]
	v_fma_f64 v[36:37], -v[56:57], v[98:99], v[36:37]
	ds_read2_b64 v[96:99], v86 offset0:26 offset1:27
	v_fma_f64 v[34:35], -v[56:57], v[100:101], v[34:35]
	v_fma_f64 v[32:33], -v[56:57], v[102:103], v[32:33]
	s_waitcnt lgkmcnt(0)
	v_fma_f64 v[30:31], -v[56:57], v[92:93], v[30:31]
	ds_read2_b64 v[100:103], v86 offset0:28 offset1:29
	v_fma_f64 v[28:29], -v[56:57], v[94:95], v[28:29]
	ds_read2_b64 v[92:95], v86 offset0:30 offset1:31
	v_fma_f64 v[26:27], -v[56:57], v[96:97], v[26:27]
	v_fma_f64 v[24:25], -v[56:57], v[98:99], v[24:25]
	s_waitcnt lgkmcnt(0)
	v_fma_f64 v[22:23], -v[56:57], v[100:101], v[22:23]
	ds_read2_b64 v[96:99], v86 offset0:32 offset1:33
	v_fma_f64 v[18:19], -v[56:57], v[102:103], v[18:19]
	v_fma_f64 v[20:21], -v[56:57], v[92:93], v[20:21]
	;; [unrolled: 1-line block ×3, first 2 shown]
	ds_read2_b64 v[92:95], v86 offset0:34 offset1:35
	ds_read2_b64 v[100:103], v86 offset0:36 offset1:37
	s_waitcnt lgkmcnt(0)
	v_fma_f64 v[14:15], -v[56:57], v[96:97], v[14:15]
	v_fma_f64 v[12:13], -v[56:57], v[98:99], v[12:13]
	;; [unrolled: 1-line block ×7, first 2 shown]
.LBB76_199:
	s_or_b64 exec, exec, s[0:1]
	v_lshl_add_u32 v82, v87, 3, v86
	s_barrier
	ds_write_b64 v82, v[54:55]
	s_waitcnt lgkmcnt(0)
	s_barrier
	ds_read_b64 v[82:83], v86 offset:96
	s_cmp_lt_i32 s18, 14
	v_mov_b32_e32 v84, 12
	s_cbranch_scc1 .LBB76_202
; %bb.200:
	v_add_u32_e32 v91, 0x68, v86
	s_mov_b32 s0, 13
	v_mov_b32_e32 v84, 12
.LBB76_201:                             ; =>This Inner Loop Header: Depth=1
	ds_read_b64 v[92:93], v91
	v_mov_b32_e32 v94, s0
	s_add_i32 s0, s0, 1
	v_add_u32_e32 v91, 8, v91
	s_cmp_lg_u32 s18, s0
	s_waitcnt lgkmcnt(0)
	v_cmp_lt_f64_e64 vcc, |v[82:83]|, |v[92:93]|
	v_cndmask_b32_e32 v83, v83, v93, vcc
	v_cndmask_b32_e32 v82, v82, v92, vcc
	;; [unrolled: 1-line block ×3, first 2 shown]
	s_cbranch_scc1 .LBB76_201
.LBB76_202:
	s_waitcnt lgkmcnt(0)
	v_cmp_eq_f64_e32 vcc, 0, v[82:83]
	s_and_saveexec_b64 s[0:1], vcc
	s_xor_b64 s[0:1], exec, s[0:1]
; %bb.203:
	v_cmp_ne_u32_e32 vcc, 0, v90
	v_cndmask_b32_e32 v90, 13, v90, vcc
; %bb.204:
	s_andn2_saveexec_b64 s[0:1], s[0:1]
; %bb.205:
	v_div_scale_f64 v[92:93], s[2:3], v[82:83], v[82:83], 1.0
	v_rcp_f64_e32 v[94:95], v[92:93]
	v_div_scale_f64 v[96:97], vcc, 1.0, v[82:83], 1.0
	v_fma_f64 v[98:99], -v[92:93], v[94:95], 1.0
	v_fmac_f64_e32 v[94:95], v[94:95], v[98:99]
	v_fma_f64 v[98:99], -v[92:93], v[94:95], 1.0
	v_fmac_f64_e32 v[94:95], v[94:95], v[98:99]
	v_mul_f64 v[98:99], v[96:97], v[94:95]
	v_fma_f64 v[92:93], -v[92:93], v[98:99], v[96:97]
	v_div_fmas_f64 v[92:93], v[92:93], v[94:95], v[98:99]
	v_div_fixup_f64 v[82:83], v[92:93], v[82:83], 1.0
; %bb.206:
	s_or_b64 exec, exec, s[0:1]
	v_cmp_ne_u32_e32 vcc, v87, v84
	s_and_saveexec_b64 s[0:1], vcc
	s_xor_b64 s[0:1], exec, s[0:1]
	s_cbranch_execz .LBB76_212
; %bb.207:
	v_cmp_eq_u32_e32 vcc, 12, v87
	s_and_saveexec_b64 s[2:3], vcc
	s_cbranch_execz .LBB76_211
; %bb.208:
	v_cmp_ne_u32_e32 vcc, 12, v84
	s_xor_b64 s[14:15], s[6:7], -1
	s_and_b64 s[16:17], s[14:15], vcc
	s_and_saveexec_b64 s[14:15], s[16:17]
	s_cbranch_execz .LBB76_210
; %bb.209:
	v_ashrrev_i32_e32 v85, 31, v84
	v_lshlrev_b64 v[92:93], 2, v[84:85]
	v_add_co_u32_e32 v92, vcc, v4, v92
	v_addc_co_u32_e32 v93, vcc, v5, v93, vcc
	flat_load_dword v85, v[92:93]
	flat_load_dword v87, v[4:5] offset:48
	s_waitcnt vmcnt(0) lgkmcnt(0)
	flat_store_dword v[4:5], v85 offset:48
	flat_store_dword v[92:93], v87
.LBB76_210:
	s_or_b64 exec, exec, s[14:15]
	v_mov_b32_e32 v85, v84
	v_mov_b32_e32 v87, v84
.LBB76_211:
	s_or_b64 exec, exec, s[2:3]
.LBB76_212:
	s_andn2_saveexec_b64 s[0:1], s[0:1]
	s_cbranch_execz .LBB76_214
; %bb.213:
	v_mov_b32_e32 v87, 12
	ds_write2_b64 v86, v[52:53], v[48:49] offset0:13 offset1:14
	ds_write2_b64 v86, v[50:51], v[46:47] offset0:15 offset1:16
	ds_write2_b64 v86, v[44:45], v[42:43] offset0:17 offset1:18
	ds_write2_b64 v86, v[40:41], v[38:39] offset0:19 offset1:20
	ds_write2_b64 v86, v[36:37], v[34:35] offset0:21 offset1:22
	ds_write2_b64 v86, v[32:33], v[30:31] offset0:23 offset1:24
	ds_write2_b64 v86, v[28:29], v[26:27] offset0:25 offset1:26
	ds_write2_b64 v86, v[24:25], v[22:23] offset0:27 offset1:28
	ds_write2_b64 v86, v[18:19], v[20:21] offset0:29 offset1:30
	ds_write2_b64 v86, v[16:17], v[14:15] offset0:31 offset1:32
	ds_write2_b64 v86, v[12:13], v[10:11] offset0:33 offset1:34
	ds_write2_b64 v86, v[8:9], v[6:7] offset0:35 offset1:36
	ds_write2_b64 v86, v[0:1], v[80:81] offset0:37 offset1:38
.LBB76_214:
	s_or_b64 exec, exec, s[0:1]
	v_cmp_lt_i32_e32 vcc, 12, v87
	s_waitcnt lgkmcnt(0)
	s_barrier
	s_and_saveexec_b64 s[0:1], vcc
	s_cbranch_execz .LBB76_216
; %bb.215:
	ds_read2_b64 v[92:95], v86 offset0:13 offset1:14
	ds_read2_b64 v[96:99], v86 offset0:15 offset1:16
	v_mul_f64 v[54:55], v[82:83], v[54:55]
	ds_read2_b64 v[100:103], v86 offset0:17 offset1:18
	s_waitcnt lgkmcnt(0)
	v_fma_f64 v[52:53], -v[54:55], v[92:93], v[52:53]
	v_fma_f64 v[48:49], -v[54:55], v[94:95], v[48:49]
	ds_read2_b64 v[92:95], v86 offset0:19 offset1:20
	v_fma_f64 v[50:51], -v[54:55], v[96:97], v[50:51]
	v_fma_f64 v[46:47], -v[54:55], v[98:99], v[46:47]
	;; [unrolled: 1-line block ×3, first 2 shown]
	ds_read2_b64 v[96:99], v86 offset0:21 offset1:22
	v_fma_f64 v[42:43], -v[54:55], v[102:103], v[42:43]
	ds_read2_b64 v[100:103], v86 offset0:23 offset1:24
	s_waitcnt lgkmcnt(0)
	v_fma_f64 v[40:41], -v[54:55], v[92:93], v[40:41]
	v_fma_f64 v[38:39], -v[54:55], v[94:95], v[38:39]
	ds_read2_b64 v[92:95], v86 offset0:25 offset1:26
	v_fma_f64 v[36:37], -v[54:55], v[96:97], v[36:37]
	v_fma_f64 v[34:35], -v[54:55], v[98:99], v[34:35]
	ds_read2_b64 v[96:99], v86 offset0:27 offset1:28
	v_fma_f64 v[32:33], -v[54:55], v[100:101], v[32:33]
	v_fma_f64 v[30:31], -v[54:55], v[102:103], v[30:31]
	s_waitcnt lgkmcnt(0)
	v_fma_f64 v[28:29], -v[54:55], v[92:93], v[28:29]
	ds_read2_b64 v[100:103], v86 offset0:29 offset1:30
	v_fma_f64 v[26:27], -v[54:55], v[94:95], v[26:27]
	ds_read2_b64 v[92:95], v86 offset0:31 offset1:32
	v_fma_f64 v[24:25], -v[54:55], v[96:97], v[24:25]
	v_fma_f64 v[22:23], -v[54:55], v[98:99], v[22:23]
	s_waitcnt lgkmcnt(0)
	v_fma_f64 v[18:19], -v[54:55], v[100:101], v[18:19]
	v_fma_f64 v[20:21], -v[54:55], v[102:103], v[20:21]
	ds_read2_b64 v[96:99], v86 offset0:33 offset1:34
	ds_read2_b64 v[100:103], v86 offset0:35 offset1:36
	v_fma_f64 v[16:17], -v[54:55], v[92:93], v[16:17]
	v_fma_f64 v[14:15], -v[54:55], v[94:95], v[14:15]
	ds_read2_b64 v[92:95], v86 offset0:37 offset1:38
	s_waitcnt lgkmcnt(0)
	v_fma_f64 v[12:13], -v[54:55], v[96:97], v[12:13]
	v_fma_f64 v[10:11], -v[54:55], v[98:99], v[10:11]
	;; [unrolled: 1-line block ×6, first 2 shown]
.LBB76_216:
	s_or_b64 exec, exec, s[0:1]
	v_lshl_add_u32 v82, v87, 3, v86
	s_barrier
	ds_write_b64 v82, v[52:53]
	s_waitcnt lgkmcnt(0)
	s_barrier
	ds_read_b64 v[82:83], v86 offset:104
	s_cmp_lt_i32 s18, 15
	v_mov_b32_e32 v84, 13
	s_cbranch_scc1 .LBB76_219
; %bb.217:
	v_add_u32_e32 v91, 0x70, v86
	s_mov_b32 s0, 14
	v_mov_b32_e32 v84, 13
.LBB76_218:                             ; =>This Inner Loop Header: Depth=1
	ds_read_b64 v[92:93], v91
	v_mov_b32_e32 v94, s0
	s_add_i32 s0, s0, 1
	v_add_u32_e32 v91, 8, v91
	s_cmp_lg_u32 s18, s0
	s_waitcnt lgkmcnt(0)
	v_cmp_lt_f64_e64 vcc, |v[82:83]|, |v[92:93]|
	v_cndmask_b32_e32 v83, v83, v93, vcc
	v_cndmask_b32_e32 v82, v82, v92, vcc
	;; [unrolled: 1-line block ×3, first 2 shown]
	s_cbranch_scc1 .LBB76_218
.LBB76_219:
	s_waitcnt lgkmcnt(0)
	v_cmp_eq_f64_e32 vcc, 0, v[82:83]
	s_and_saveexec_b64 s[0:1], vcc
	s_xor_b64 s[0:1], exec, s[0:1]
; %bb.220:
	v_cmp_ne_u32_e32 vcc, 0, v90
	v_cndmask_b32_e32 v90, 14, v90, vcc
; %bb.221:
	s_andn2_saveexec_b64 s[0:1], s[0:1]
; %bb.222:
	v_div_scale_f64 v[92:93], s[2:3], v[82:83], v[82:83], 1.0
	v_rcp_f64_e32 v[94:95], v[92:93]
	v_div_scale_f64 v[96:97], vcc, 1.0, v[82:83], 1.0
	v_fma_f64 v[98:99], -v[92:93], v[94:95], 1.0
	v_fmac_f64_e32 v[94:95], v[94:95], v[98:99]
	v_fma_f64 v[98:99], -v[92:93], v[94:95], 1.0
	v_fmac_f64_e32 v[94:95], v[94:95], v[98:99]
	v_mul_f64 v[98:99], v[96:97], v[94:95]
	v_fma_f64 v[92:93], -v[92:93], v[98:99], v[96:97]
	v_div_fmas_f64 v[92:93], v[92:93], v[94:95], v[98:99]
	v_div_fixup_f64 v[82:83], v[92:93], v[82:83], 1.0
; %bb.223:
	s_or_b64 exec, exec, s[0:1]
	v_cmp_ne_u32_e32 vcc, v87, v84
	s_and_saveexec_b64 s[0:1], vcc
	s_xor_b64 s[0:1], exec, s[0:1]
	s_cbranch_execz .LBB76_229
; %bb.224:
	v_cmp_eq_u32_e32 vcc, 13, v87
	s_and_saveexec_b64 s[2:3], vcc
	s_cbranch_execz .LBB76_228
; %bb.225:
	v_cmp_ne_u32_e32 vcc, 13, v84
	s_xor_b64 s[14:15], s[6:7], -1
	s_and_b64 s[16:17], s[14:15], vcc
	s_and_saveexec_b64 s[14:15], s[16:17]
	s_cbranch_execz .LBB76_227
; %bb.226:
	v_ashrrev_i32_e32 v85, 31, v84
	v_lshlrev_b64 v[92:93], 2, v[84:85]
	v_add_co_u32_e32 v92, vcc, v4, v92
	v_addc_co_u32_e32 v93, vcc, v5, v93, vcc
	flat_load_dword v85, v[92:93]
	flat_load_dword v87, v[4:5] offset:52
	s_waitcnt vmcnt(0) lgkmcnt(0)
	flat_store_dword v[4:5], v85 offset:52
	flat_store_dword v[92:93], v87
.LBB76_227:
	s_or_b64 exec, exec, s[14:15]
	v_mov_b32_e32 v85, v84
	v_mov_b32_e32 v87, v84
.LBB76_228:
	s_or_b64 exec, exec, s[2:3]
.LBB76_229:
	s_andn2_saveexec_b64 s[0:1], s[0:1]
	s_cbranch_execz .LBB76_231
; %bb.230:
	v_mov_b32_e32 v92, v48
	v_mov_b32_e32 v93, v49
	v_mov_b32_e32 v94, v50
	v_mov_b32_e32 v95, v51
	ds_write2_b64 v86, v[92:93], v[94:95] offset0:14 offset1:15
	v_mov_b32_e32 v92, v46
	v_mov_b32_e32 v93, v47
	v_mov_b32_e32 v94, v44
	v_mov_b32_e32 v95, v45
	ds_write2_b64 v86, v[92:93], v[94:95] offset0:16 offset1:17
	;; [unrolled: 5-line block ×11, first 2 shown]
	v_mov_b32_e32 v92, v6
	v_mov_b32_e32 v93, v7
	;; [unrolled: 1-line block ×5, first 2 shown]
	ds_write2_b64 v86, v[92:93], v[94:95] offset0:36 offset1:37
	ds_write_b64 v86, v[80:81] offset:304
.LBB76_231:
	s_or_b64 exec, exec, s[0:1]
	v_cmp_lt_i32_e32 vcc, 13, v87
	s_waitcnt lgkmcnt(0)
	s_barrier
	s_and_saveexec_b64 s[0:1], vcc
	s_cbranch_execz .LBB76_233
; %bb.232:
	ds_read2_b64 v[92:95], v86 offset0:14 offset1:15
	ds_read2_b64 v[96:99], v86 offset0:16 offset1:17
	;; [unrolled: 1-line block ×3, first 2 shown]
	v_mul_f64 v[52:53], v[82:83], v[52:53]
	ds_read_b64 v[82:83], v86 offset:304
	s_waitcnt lgkmcnt(0)
	v_fma_f64 v[48:49], -v[52:53], v[92:93], v[48:49]
	v_fma_f64 v[50:51], -v[52:53], v[94:95], v[50:51]
	ds_read2_b64 v[92:95], v86 offset0:20 offset1:21
	v_fma_f64 v[46:47], -v[52:53], v[96:97], v[46:47]
	v_fma_f64 v[44:45], -v[52:53], v[98:99], v[44:45]
	;; [unrolled: 1-line block ×3, first 2 shown]
	ds_read2_b64 v[96:99], v86 offset0:22 offset1:23
	v_fma_f64 v[40:41], -v[52:53], v[102:103], v[40:41]
	ds_read2_b64 v[100:103], v86 offset0:24 offset1:25
	s_waitcnt lgkmcnt(0)
	v_fma_f64 v[38:39], -v[52:53], v[92:93], v[38:39]
	v_fma_f64 v[36:37], -v[52:53], v[94:95], v[36:37]
	;; [unrolled: 1-line block ×3, first 2 shown]
	ds_read2_b64 v[92:95], v86 offset0:26 offset1:27
	v_fma_f64 v[32:33], -v[52:53], v[98:99], v[32:33]
	ds_read2_b64 v[96:99], v86 offset0:28 offset1:29
	v_fma_f64 v[30:31], -v[52:53], v[100:101], v[30:31]
	v_fma_f64 v[28:29], -v[52:53], v[102:103], v[28:29]
	ds_read2_b64 v[100:103], v86 offset0:30 offset1:31
	s_waitcnt lgkmcnt(0)
	v_fma_f64 v[26:27], -v[52:53], v[92:93], v[26:27]
	v_fma_f64 v[24:25], -v[52:53], v[94:95], v[24:25]
	ds_read2_b64 v[92:95], v86 offset0:32 offset1:33
	v_fma_f64 v[22:23], -v[52:53], v[96:97], v[22:23]
	v_fma_f64 v[18:19], -v[52:53], v[98:99], v[18:19]
	;; [unrolled: 1-line block ×4, first 2 shown]
	ds_read2_b64 v[96:99], v86 offset0:34 offset1:35
	ds_read2_b64 v[100:103], v86 offset0:36 offset1:37
	s_waitcnt lgkmcnt(0)
	v_fma_f64 v[14:15], -v[52:53], v[92:93], v[14:15]
	v_fma_f64 v[12:13], -v[52:53], v[94:95], v[12:13]
	;; [unrolled: 1-line block ×7, first 2 shown]
.LBB76_233:
	s_or_b64 exec, exec, s[0:1]
	v_lshl_add_u32 v82, v87, 3, v86
	s_barrier
	ds_write_b64 v82, v[48:49]
	s_waitcnt lgkmcnt(0)
	s_barrier
	ds_read_b64 v[82:83], v86 offset:112
	s_cmp_lt_i32 s18, 16
	v_mov_b32_e32 v84, 14
	s_cbranch_scc1 .LBB76_236
; %bb.234:
	v_add_u32_e32 v91, 0x78, v86
	s_mov_b32 s0, 15
	v_mov_b32_e32 v84, 14
.LBB76_235:                             ; =>This Inner Loop Header: Depth=1
	ds_read_b64 v[92:93], v91
	v_mov_b32_e32 v94, s0
	s_add_i32 s0, s0, 1
	v_add_u32_e32 v91, 8, v91
	s_cmp_lg_u32 s18, s0
	s_waitcnt lgkmcnt(0)
	v_cmp_lt_f64_e64 vcc, |v[82:83]|, |v[92:93]|
	v_cndmask_b32_e32 v83, v83, v93, vcc
	v_cndmask_b32_e32 v82, v82, v92, vcc
	;; [unrolled: 1-line block ×3, first 2 shown]
	s_cbranch_scc1 .LBB76_235
.LBB76_236:
	s_waitcnt lgkmcnt(0)
	v_cmp_eq_f64_e32 vcc, 0, v[82:83]
	s_and_saveexec_b64 s[0:1], vcc
	s_xor_b64 s[0:1], exec, s[0:1]
; %bb.237:
	v_cmp_ne_u32_e32 vcc, 0, v90
	v_cndmask_b32_e32 v90, 15, v90, vcc
; %bb.238:
	s_andn2_saveexec_b64 s[0:1], s[0:1]
; %bb.239:
	v_div_scale_f64 v[92:93], s[2:3], v[82:83], v[82:83], 1.0
	v_rcp_f64_e32 v[94:95], v[92:93]
	v_div_scale_f64 v[96:97], vcc, 1.0, v[82:83], 1.0
	v_fma_f64 v[98:99], -v[92:93], v[94:95], 1.0
	v_fmac_f64_e32 v[94:95], v[94:95], v[98:99]
	v_fma_f64 v[98:99], -v[92:93], v[94:95], 1.0
	v_fmac_f64_e32 v[94:95], v[94:95], v[98:99]
	v_mul_f64 v[98:99], v[96:97], v[94:95]
	v_fma_f64 v[92:93], -v[92:93], v[98:99], v[96:97]
	v_div_fmas_f64 v[92:93], v[92:93], v[94:95], v[98:99]
	v_div_fixup_f64 v[82:83], v[92:93], v[82:83], 1.0
; %bb.240:
	s_or_b64 exec, exec, s[0:1]
	v_cmp_ne_u32_e32 vcc, v87, v84
	s_and_saveexec_b64 s[0:1], vcc
	s_xor_b64 s[0:1], exec, s[0:1]
	s_cbranch_execz .LBB76_246
; %bb.241:
	v_cmp_eq_u32_e32 vcc, 14, v87
	s_and_saveexec_b64 s[2:3], vcc
	s_cbranch_execz .LBB76_245
; %bb.242:
	v_cmp_ne_u32_e32 vcc, 14, v84
	s_xor_b64 s[14:15], s[6:7], -1
	s_and_b64 s[16:17], s[14:15], vcc
	s_and_saveexec_b64 s[14:15], s[16:17]
	s_cbranch_execz .LBB76_244
; %bb.243:
	v_ashrrev_i32_e32 v85, 31, v84
	v_lshlrev_b64 v[92:93], 2, v[84:85]
	v_add_co_u32_e32 v92, vcc, v4, v92
	v_addc_co_u32_e32 v93, vcc, v5, v93, vcc
	flat_load_dword v85, v[92:93]
	flat_load_dword v87, v[4:5] offset:56
	s_waitcnt vmcnt(0) lgkmcnt(0)
	flat_store_dword v[4:5], v85 offset:56
	flat_store_dword v[92:93], v87
.LBB76_244:
	s_or_b64 exec, exec, s[14:15]
	v_mov_b32_e32 v85, v84
	v_mov_b32_e32 v87, v84
.LBB76_245:
	s_or_b64 exec, exec, s[2:3]
.LBB76_246:
	s_andn2_saveexec_b64 s[0:1], s[0:1]
	s_cbranch_execz .LBB76_248
; %bb.247:
	v_mov_b32_e32 v87, 14
	ds_write2_b64 v86, v[50:51], v[46:47] offset0:15 offset1:16
	ds_write2_b64 v86, v[44:45], v[42:43] offset0:17 offset1:18
	;; [unrolled: 1-line block ×12, first 2 shown]
.LBB76_248:
	s_or_b64 exec, exec, s[0:1]
	v_cmp_lt_i32_e32 vcc, 14, v87
	s_waitcnt lgkmcnt(0)
	s_barrier
	s_and_saveexec_b64 s[0:1], vcc
	s_cbranch_execz .LBB76_250
; %bb.249:
	ds_read2_b64 v[92:95], v86 offset0:15 offset1:16
	ds_read2_b64 v[96:99], v86 offset0:17 offset1:18
	;; [unrolled: 1-line block ×3, first 2 shown]
	v_mul_f64 v[48:49], v[82:83], v[48:49]
	s_waitcnt lgkmcnt(0)
	v_fma_f64 v[50:51], -v[48:49], v[92:93], v[50:51]
	v_fma_f64 v[46:47], -v[48:49], v[94:95], v[46:47]
	ds_read2_b64 v[92:95], v86 offset0:21 offset1:22
	v_fma_f64 v[44:45], -v[48:49], v[96:97], v[44:45]
	v_fma_f64 v[42:43], -v[48:49], v[98:99], v[42:43]
	;; [unrolled: 1-line block ×3, first 2 shown]
	ds_read2_b64 v[96:99], v86 offset0:23 offset1:24
	v_fma_f64 v[38:39], -v[48:49], v[102:103], v[38:39]
	ds_read2_b64 v[100:103], v86 offset0:25 offset1:26
	s_waitcnt lgkmcnt(0)
	v_fma_f64 v[36:37], -v[48:49], v[92:93], v[36:37]
	v_fma_f64 v[34:35], -v[48:49], v[94:95], v[34:35]
	;; [unrolled: 1-line block ×3, first 2 shown]
	ds_read2_b64 v[92:95], v86 offset0:27 offset1:28
	v_fma_f64 v[30:31], -v[48:49], v[98:99], v[30:31]
	ds_read2_b64 v[96:99], v86 offset0:29 offset1:30
	v_fma_f64 v[28:29], -v[48:49], v[100:101], v[28:29]
	v_fma_f64 v[26:27], -v[48:49], v[102:103], v[26:27]
	ds_read2_b64 v[100:103], v86 offset0:31 offset1:32
	s_waitcnt lgkmcnt(0)
	v_fma_f64 v[24:25], -v[48:49], v[92:93], v[24:25]
	v_fma_f64 v[22:23], -v[48:49], v[94:95], v[22:23]
	ds_read2_b64 v[92:95], v86 offset0:33 offset1:34
	v_fma_f64 v[18:19], -v[48:49], v[96:97], v[18:19]
	v_fma_f64 v[20:21], -v[48:49], v[98:99], v[20:21]
	;; [unrolled: 1-line block ×3, first 2 shown]
	ds_read2_b64 v[96:99], v86 offset0:35 offset1:36
	v_fma_f64 v[14:15], -v[48:49], v[102:103], v[14:15]
	ds_read2_b64 v[100:103], v86 offset0:37 offset1:38
	s_waitcnt lgkmcnt(0)
	v_fma_f64 v[12:13], -v[48:49], v[92:93], v[12:13]
	v_fma_f64 v[10:11], -v[48:49], v[94:95], v[10:11]
	;; [unrolled: 1-line block ×6, first 2 shown]
.LBB76_250:
	s_or_b64 exec, exec, s[0:1]
	v_lshl_add_u32 v82, v87, 3, v86
	s_barrier
	ds_write_b64 v82, v[50:51]
	s_waitcnt lgkmcnt(0)
	s_barrier
	ds_read_b64 v[82:83], v86 offset:120
	s_cmp_lt_i32 s18, 17
	v_mov_b32_e32 v84, 15
	s_cbranch_scc1 .LBB76_253
; %bb.251:
	v_add_u32_e32 v91, 0x80, v86
	s_mov_b32 s0, 16
	v_mov_b32_e32 v84, 15
.LBB76_252:                             ; =>This Inner Loop Header: Depth=1
	ds_read_b64 v[92:93], v91
	v_mov_b32_e32 v94, s0
	s_add_i32 s0, s0, 1
	v_add_u32_e32 v91, 8, v91
	s_cmp_lg_u32 s18, s0
	s_waitcnt lgkmcnt(0)
	v_cmp_lt_f64_e64 vcc, |v[82:83]|, |v[92:93]|
	v_cndmask_b32_e32 v83, v83, v93, vcc
	v_cndmask_b32_e32 v82, v82, v92, vcc
	v_cndmask_b32_e32 v84, v84, v94, vcc
	s_cbranch_scc1 .LBB76_252
.LBB76_253:
	s_waitcnt lgkmcnt(0)
	v_cmp_eq_f64_e32 vcc, 0, v[82:83]
	s_and_saveexec_b64 s[0:1], vcc
	s_xor_b64 s[0:1], exec, s[0:1]
; %bb.254:
	v_cmp_ne_u32_e32 vcc, 0, v90
	v_cndmask_b32_e32 v90, 16, v90, vcc
; %bb.255:
	s_andn2_saveexec_b64 s[0:1], s[0:1]
; %bb.256:
	v_div_scale_f64 v[92:93], s[2:3], v[82:83], v[82:83], 1.0
	v_rcp_f64_e32 v[94:95], v[92:93]
	v_div_scale_f64 v[96:97], vcc, 1.0, v[82:83], 1.0
	v_fma_f64 v[98:99], -v[92:93], v[94:95], 1.0
	v_fmac_f64_e32 v[94:95], v[94:95], v[98:99]
	v_fma_f64 v[98:99], -v[92:93], v[94:95], 1.0
	v_fmac_f64_e32 v[94:95], v[94:95], v[98:99]
	v_mul_f64 v[98:99], v[96:97], v[94:95]
	v_fma_f64 v[92:93], -v[92:93], v[98:99], v[96:97]
	v_div_fmas_f64 v[92:93], v[92:93], v[94:95], v[98:99]
	v_div_fixup_f64 v[82:83], v[92:93], v[82:83], 1.0
; %bb.257:
	s_or_b64 exec, exec, s[0:1]
	v_cmp_ne_u32_e32 vcc, v87, v84
	s_and_saveexec_b64 s[0:1], vcc
	s_xor_b64 s[0:1], exec, s[0:1]
	s_cbranch_execz .LBB76_263
; %bb.258:
	v_cmp_eq_u32_e32 vcc, 15, v87
	s_and_saveexec_b64 s[2:3], vcc
	s_cbranch_execz .LBB76_262
; %bb.259:
	v_cmp_ne_u32_e32 vcc, 15, v84
	s_xor_b64 s[14:15], s[6:7], -1
	s_and_b64 s[16:17], s[14:15], vcc
	s_and_saveexec_b64 s[14:15], s[16:17]
	s_cbranch_execz .LBB76_261
; %bb.260:
	v_ashrrev_i32_e32 v85, 31, v84
	v_lshlrev_b64 v[92:93], 2, v[84:85]
	v_add_co_u32_e32 v92, vcc, v4, v92
	v_addc_co_u32_e32 v93, vcc, v5, v93, vcc
	flat_load_dword v85, v[92:93]
	flat_load_dword v87, v[4:5] offset:60
	s_waitcnt vmcnt(0) lgkmcnt(0)
	flat_store_dword v[4:5], v85 offset:60
	flat_store_dword v[92:93], v87
.LBB76_261:
	s_or_b64 exec, exec, s[14:15]
	v_mov_b32_e32 v85, v84
	v_mov_b32_e32 v87, v84
.LBB76_262:
	s_or_b64 exec, exec, s[2:3]
.LBB76_263:
	s_andn2_saveexec_b64 s[0:1], s[0:1]
	s_cbranch_execz .LBB76_265
; %bb.264:
	v_mov_b32_e32 v92, v46
	v_mov_b32_e32 v93, v47
	v_mov_b32_e32 v94, v44
	v_mov_b32_e32 v95, v45
	ds_write2_b64 v86, v[92:93], v[94:95] offset0:16 offset1:17
	v_mov_b32_e32 v92, v42
	v_mov_b32_e32 v93, v43
	v_mov_b32_e32 v94, v40
	v_mov_b32_e32 v95, v41
	ds_write2_b64 v86, v[92:93], v[94:95] offset0:18 offset1:19
	;; [unrolled: 5-line block ×10, first 2 shown]
	v_mov_b32_e32 v92, v6
	v_mov_b32_e32 v93, v7
	;; [unrolled: 1-line block ×5, first 2 shown]
	ds_write2_b64 v86, v[92:93], v[94:95] offset0:36 offset1:37
	ds_write_b64 v86, v[80:81] offset:304
.LBB76_265:
	s_or_b64 exec, exec, s[0:1]
	v_cmp_lt_i32_e32 vcc, 15, v87
	s_waitcnt lgkmcnt(0)
	s_barrier
	s_and_saveexec_b64 s[0:1], vcc
	s_cbranch_execz .LBB76_267
; %bb.266:
	ds_read2_b64 v[92:95], v86 offset0:16 offset1:17
	ds_read2_b64 v[96:99], v86 offset0:18 offset1:19
	v_mul_f64 v[50:51], v[82:83], v[50:51]
	ds_read2_b64 v[100:103], v86 offset0:20 offset1:21
	ds_read_b64 v[82:83], v86 offset:304
	s_waitcnt lgkmcnt(0)
	v_fma_f64 v[46:47], -v[50:51], v[92:93], v[46:47]
	v_fma_f64 v[44:45], -v[50:51], v[94:95], v[44:45]
	ds_read2_b64 v[92:95], v86 offset0:22 offset1:23
	v_fma_f64 v[42:43], -v[50:51], v[96:97], v[42:43]
	v_fma_f64 v[40:41], -v[50:51], v[98:99], v[40:41]
	ds_read2_b64 v[96:99], v86 offset0:24 offset1:25
	v_fma_f64 v[38:39], -v[50:51], v[100:101], v[38:39]
	v_fma_f64 v[36:37], -v[50:51], v[102:103], v[36:37]
	ds_read2_b64 v[100:103], v86 offset0:26 offset1:27
	s_waitcnt lgkmcnt(0)
	v_fma_f64 v[34:35], -v[50:51], v[92:93], v[34:35]
	v_fma_f64 v[32:33], -v[50:51], v[94:95], v[32:33]
	;; [unrolled: 1-line block ×3, first 2 shown]
	ds_read2_b64 v[92:95], v86 offset0:28 offset1:29
	v_fma_f64 v[28:29], -v[50:51], v[98:99], v[28:29]
	ds_read2_b64 v[96:99], v86 offset0:30 offset1:31
	v_fma_f64 v[26:27], -v[50:51], v[100:101], v[26:27]
	v_fma_f64 v[24:25], -v[50:51], v[102:103], v[24:25]
	s_waitcnt lgkmcnt(0)
	v_fma_f64 v[22:23], -v[50:51], v[92:93], v[22:23]
	ds_read2_b64 v[100:103], v86 offset0:32 offset1:33
	v_fma_f64 v[18:19], -v[50:51], v[94:95], v[18:19]
	ds_read2_b64 v[92:95], v86 offset0:34 offset1:35
	v_fma_f64 v[20:21], -v[50:51], v[96:97], v[20:21]
	v_fma_f64 v[16:17], -v[50:51], v[98:99], v[16:17]
	ds_read2_b64 v[96:99], v86 offset0:36 offset1:37
	s_waitcnt lgkmcnt(0)
	v_fma_f64 v[14:15], -v[50:51], v[100:101], v[14:15]
	v_fma_f64 v[12:13], -v[50:51], v[102:103], v[12:13]
	;; [unrolled: 1-line block ×7, first 2 shown]
.LBB76_267:
	s_or_b64 exec, exec, s[0:1]
	v_lshl_add_u32 v82, v87, 3, v86
	s_barrier
	ds_write_b64 v82, v[46:47]
	s_waitcnt lgkmcnt(0)
	s_barrier
	ds_read_b64 v[82:83], v86 offset:128
	s_cmp_lt_i32 s18, 18
	v_mov_b32_e32 v84, 16
	s_cbranch_scc1 .LBB76_270
; %bb.268:
	v_add_u32_e32 v91, 0x88, v86
	s_mov_b32 s0, 17
	v_mov_b32_e32 v84, 16
.LBB76_269:                             ; =>This Inner Loop Header: Depth=1
	ds_read_b64 v[92:93], v91
	v_mov_b32_e32 v94, s0
	s_add_i32 s0, s0, 1
	v_add_u32_e32 v91, 8, v91
	s_cmp_lg_u32 s18, s0
	s_waitcnt lgkmcnt(0)
	v_cmp_lt_f64_e64 vcc, |v[82:83]|, |v[92:93]|
	v_cndmask_b32_e32 v83, v83, v93, vcc
	v_cndmask_b32_e32 v82, v82, v92, vcc
	v_cndmask_b32_e32 v84, v84, v94, vcc
	s_cbranch_scc1 .LBB76_269
.LBB76_270:
	s_waitcnt lgkmcnt(0)
	v_cmp_eq_f64_e32 vcc, 0, v[82:83]
	s_and_saveexec_b64 s[0:1], vcc
	s_xor_b64 s[0:1], exec, s[0:1]
; %bb.271:
	v_cmp_ne_u32_e32 vcc, 0, v90
	v_cndmask_b32_e32 v90, 17, v90, vcc
; %bb.272:
	s_andn2_saveexec_b64 s[0:1], s[0:1]
; %bb.273:
	v_div_scale_f64 v[92:93], s[2:3], v[82:83], v[82:83], 1.0
	v_rcp_f64_e32 v[94:95], v[92:93]
	v_div_scale_f64 v[96:97], vcc, 1.0, v[82:83], 1.0
	v_fma_f64 v[98:99], -v[92:93], v[94:95], 1.0
	v_fmac_f64_e32 v[94:95], v[94:95], v[98:99]
	v_fma_f64 v[98:99], -v[92:93], v[94:95], 1.0
	v_fmac_f64_e32 v[94:95], v[94:95], v[98:99]
	v_mul_f64 v[98:99], v[96:97], v[94:95]
	v_fma_f64 v[92:93], -v[92:93], v[98:99], v[96:97]
	v_div_fmas_f64 v[92:93], v[92:93], v[94:95], v[98:99]
	v_div_fixup_f64 v[82:83], v[92:93], v[82:83], 1.0
; %bb.274:
	s_or_b64 exec, exec, s[0:1]
	v_cmp_ne_u32_e32 vcc, v87, v84
	s_and_saveexec_b64 s[0:1], vcc
	s_xor_b64 s[0:1], exec, s[0:1]
	s_cbranch_execz .LBB76_280
; %bb.275:
	v_cmp_eq_u32_e32 vcc, 16, v87
	s_and_saveexec_b64 s[2:3], vcc
	s_cbranch_execz .LBB76_279
; %bb.276:
	v_cmp_ne_u32_e32 vcc, 16, v84
	s_xor_b64 s[14:15], s[6:7], -1
	s_and_b64 s[16:17], s[14:15], vcc
	s_and_saveexec_b64 s[14:15], s[16:17]
	s_cbranch_execz .LBB76_278
; %bb.277:
	v_ashrrev_i32_e32 v85, 31, v84
	v_lshlrev_b64 v[92:93], 2, v[84:85]
	v_add_co_u32_e32 v92, vcc, v4, v92
	v_addc_co_u32_e32 v93, vcc, v5, v93, vcc
	flat_load_dword v85, v[92:93]
	flat_load_dword v87, v[4:5] offset:64
	s_waitcnt vmcnt(0) lgkmcnt(0)
	flat_store_dword v[4:5], v85 offset:64
	flat_store_dword v[92:93], v87
.LBB76_278:
	s_or_b64 exec, exec, s[14:15]
	v_mov_b32_e32 v85, v84
	v_mov_b32_e32 v87, v84
.LBB76_279:
	s_or_b64 exec, exec, s[2:3]
.LBB76_280:
	s_andn2_saveexec_b64 s[0:1], s[0:1]
	s_cbranch_execz .LBB76_282
; %bb.281:
	v_mov_b32_e32 v87, 16
	ds_write2_b64 v86, v[44:45], v[42:43] offset0:17 offset1:18
	ds_write2_b64 v86, v[40:41], v[38:39] offset0:19 offset1:20
	;; [unrolled: 1-line block ×11, first 2 shown]
.LBB76_282:
	s_or_b64 exec, exec, s[0:1]
	v_cmp_lt_i32_e32 vcc, 16, v87
	s_waitcnt lgkmcnt(0)
	s_barrier
	s_and_saveexec_b64 s[0:1], vcc
	s_cbranch_execz .LBB76_284
; %bb.283:
	ds_read2_b64 v[92:95], v86 offset0:17 offset1:18
	ds_read2_b64 v[96:99], v86 offset0:19 offset1:20
	v_mul_f64 v[46:47], v[82:83], v[46:47]
	ds_read2_b64 v[100:103], v86 offset0:21 offset1:22
	s_waitcnt lgkmcnt(0)
	v_fma_f64 v[44:45], -v[46:47], v[92:93], v[44:45]
	v_fma_f64 v[42:43], -v[46:47], v[94:95], v[42:43]
	ds_read2_b64 v[92:95], v86 offset0:23 offset1:24
	v_fma_f64 v[40:41], -v[46:47], v[96:97], v[40:41]
	v_fma_f64 v[38:39], -v[46:47], v[98:99], v[38:39]
	ds_read2_b64 v[96:99], v86 offset0:25 offset1:26
	;; [unrolled: 3-line block ×3, first 2 shown]
	s_waitcnt lgkmcnt(0)
	v_fma_f64 v[32:33], -v[46:47], v[92:93], v[32:33]
	v_fma_f64 v[30:31], -v[46:47], v[94:95], v[30:31]
	;; [unrolled: 1-line block ×3, first 2 shown]
	ds_read2_b64 v[92:95], v86 offset0:29 offset1:30
	v_fma_f64 v[26:27], -v[46:47], v[98:99], v[26:27]
	ds_read2_b64 v[96:99], v86 offset0:31 offset1:32
	v_fma_f64 v[24:25], -v[46:47], v[100:101], v[24:25]
	v_fma_f64 v[22:23], -v[46:47], v[102:103], v[22:23]
	s_waitcnt lgkmcnt(0)
	v_fma_f64 v[18:19], -v[46:47], v[92:93], v[18:19]
	v_fma_f64 v[20:21], -v[46:47], v[94:95], v[20:21]
	ds_read2_b64 v[92:95], v86 offset0:33 offset1:34
	ds_read2_b64 v[100:103], v86 offset0:35 offset1:36
	v_fma_f64 v[16:17], -v[46:47], v[96:97], v[16:17]
	v_fma_f64 v[14:15], -v[46:47], v[98:99], v[14:15]
	ds_read2_b64 v[96:99], v86 offset0:37 offset1:38
	s_waitcnt lgkmcnt(0)
	v_fma_f64 v[12:13], -v[46:47], v[92:93], v[12:13]
	v_fma_f64 v[10:11], -v[46:47], v[94:95], v[10:11]
	;; [unrolled: 1-line block ×6, first 2 shown]
.LBB76_284:
	s_or_b64 exec, exec, s[0:1]
	v_lshl_add_u32 v82, v87, 3, v86
	s_barrier
	ds_write_b64 v82, v[44:45]
	s_waitcnt lgkmcnt(0)
	s_barrier
	ds_read_b64 v[82:83], v86 offset:136
	s_cmp_lt_i32 s18, 19
	v_mov_b32_e32 v84, 17
	s_cbranch_scc1 .LBB76_287
; %bb.285:
	v_add_u32_e32 v91, 0x90, v86
	s_mov_b32 s0, 18
	v_mov_b32_e32 v84, 17
.LBB76_286:                             ; =>This Inner Loop Header: Depth=1
	ds_read_b64 v[92:93], v91
	v_mov_b32_e32 v94, s0
	s_add_i32 s0, s0, 1
	v_add_u32_e32 v91, 8, v91
	s_cmp_lg_u32 s18, s0
	s_waitcnt lgkmcnt(0)
	v_cmp_lt_f64_e64 vcc, |v[82:83]|, |v[92:93]|
	v_cndmask_b32_e32 v83, v83, v93, vcc
	v_cndmask_b32_e32 v82, v82, v92, vcc
	;; [unrolled: 1-line block ×3, first 2 shown]
	s_cbranch_scc1 .LBB76_286
.LBB76_287:
	s_waitcnt lgkmcnt(0)
	v_cmp_eq_f64_e32 vcc, 0, v[82:83]
	s_and_saveexec_b64 s[0:1], vcc
	s_xor_b64 s[0:1], exec, s[0:1]
; %bb.288:
	v_cmp_ne_u32_e32 vcc, 0, v90
	v_cndmask_b32_e32 v90, 18, v90, vcc
; %bb.289:
	s_andn2_saveexec_b64 s[0:1], s[0:1]
; %bb.290:
	v_div_scale_f64 v[92:93], s[2:3], v[82:83], v[82:83], 1.0
	v_rcp_f64_e32 v[94:95], v[92:93]
	v_div_scale_f64 v[96:97], vcc, 1.0, v[82:83], 1.0
	v_fma_f64 v[98:99], -v[92:93], v[94:95], 1.0
	v_fmac_f64_e32 v[94:95], v[94:95], v[98:99]
	v_fma_f64 v[98:99], -v[92:93], v[94:95], 1.0
	v_fmac_f64_e32 v[94:95], v[94:95], v[98:99]
	v_mul_f64 v[98:99], v[96:97], v[94:95]
	v_fma_f64 v[92:93], -v[92:93], v[98:99], v[96:97]
	v_div_fmas_f64 v[92:93], v[92:93], v[94:95], v[98:99]
	v_div_fixup_f64 v[82:83], v[92:93], v[82:83], 1.0
; %bb.291:
	s_or_b64 exec, exec, s[0:1]
	v_cmp_ne_u32_e32 vcc, v87, v84
	s_and_saveexec_b64 s[0:1], vcc
	s_xor_b64 s[0:1], exec, s[0:1]
	s_cbranch_execz .LBB76_297
; %bb.292:
	v_cmp_eq_u32_e32 vcc, 17, v87
	s_and_saveexec_b64 s[2:3], vcc
	s_cbranch_execz .LBB76_296
; %bb.293:
	v_cmp_ne_u32_e32 vcc, 17, v84
	s_xor_b64 s[14:15], s[6:7], -1
	s_and_b64 s[16:17], s[14:15], vcc
	s_and_saveexec_b64 s[14:15], s[16:17]
	s_cbranch_execz .LBB76_295
; %bb.294:
	v_ashrrev_i32_e32 v85, 31, v84
	v_lshlrev_b64 v[92:93], 2, v[84:85]
	v_add_co_u32_e32 v92, vcc, v4, v92
	v_addc_co_u32_e32 v93, vcc, v5, v93, vcc
	flat_load_dword v85, v[92:93]
	flat_load_dword v87, v[4:5] offset:68
	s_waitcnt vmcnt(0) lgkmcnt(0)
	flat_store_dword v[4:5], v85 offset:68
	flat_store_dword v[92:93], v87
.LBB76_295:
	s_or_b64 exec, exec, s[14:15]
	v_mov_b32_e32 v85, v84
	v_mov_b32_e32 v87, v84
.LBB76_296:
	s_or_b64 exec, exec, s[2:3]
.LBB76_297:
	s_andn2_saveexec_b64 s[0:1], s[0:1]
	s_cbranch_execz .LBB76_299
; %bb.298:
	v_mov_b32_e32 v92, v42
	v_mov_b32_e32 v93, v43
	v_mov_b32_e32 v94, v40
	v_mov_b32_e32 v95, v41
	ds_write2_b64 v86, v[92:93], v[94:95] offset0:18 offset1:19
	v_mov_b32_e32 v92, v38
	v_mov_b32_e32 v93, v39
	v_mov_b32_e32 v94, v36
	v_mov_b32_e32 v95, v37
	ds_write2_b64 v86, v[92:93], v[94:95] offset0:20 offset1:21
	;; [unrolled: 5-line block ×9, first 2 shown]
	v_mov_b32_e32 v92, v6
	v_mov_b32_e32 v93, v7
	;; [unrolled: 1-line block ×5, first 2 shown]
	ds_write2_b64 v86, v[92:93], v[94:95] offset0:36 offset1:37
	ds_write_b64 v86, v[80:81] offset:304
.LBB76_299:
	s_or_b64 exec, exec, s[0:1]
	v_cmp_lt_i32_e32 vcc, 17, v87
	s_waitcnt lgkmcnt(0)
	s_barrier
	s_and_saveexec_b64 s[0:1], vcc
	s_cbranch_execz .LBB76_301
; %bb.300:
	ds_read2_b64 v[92:95], v86 offset0:18 offset1:19
	ds_read2_b64 v[96:99], v86 offset0:20 offset1:21
	v_mul_f64 v[44:45], v[82:83], v[44:45]
	ds_read2_b64 v[100:103], v86 offset0:22 offset1:23
	ds_read_b64 v[82:83], v86 offset:304
	s_waitcnt lgkmcnt(0)
	v_fma_f64 v[42:43], -v[44:45], v[92:93], v[42:43]
	v_fma_f64 v[40:41], -v[44:45], v[94:95], v[40:41]
	ds_read2_b64 v[92:95], v86 offset0:24 offset1:25
	v_fma_f64 v[38:39], -v[44:45], v[96:97], v[38:39]
	v_fma_f64 v[36:37], -v[44:45], v[98:99], v[36:37]
	;; [unrolled: 1-line block ×3, first 2 shown]
	ds_read2_b64 v[96:99], v86 offset0:26 offset1:27
	v_fma_f64 v[32:33], -v[44:45], v[102:103], v[32:33]
	ds_read2_b64 v[100:103], v86 offset0:28 offset1:29
	s_waitcnt lgkmcnt(0)
	v_fma_f64 v[30:31], -v[44:45], v[92:93], v[30:31]
	v_fma_f64 v[28:29], -v[44:45], v[94:95], v[28:29]
	ds_read2_b64 v[92:95], v86 offset0:30 offset1:31
	v_fma_f64 v[26:27], -v[44:45], v[96:97], v[26:27]
	v_fma_f64 v[24:25], -v[44:45], v[98:99], v[24:25]
	ds_read2_b64 v[96:99], v86 offset0:32 offset1:33
	v_fma_f64 v[22:23], -v[44:45], v[100:101], v[22:23]
	v_fma_f64 v[18:19], -v[44:45], v[102:103], v[18:19]
	s_waitcnt lgkmcnt(0)
	v_fma_f64 v[20:21], -v[44:45], v[92:93], v[20:21]
	v_fma_f64 v[16:17], -v[44:45], v[94:95], v[16:17]
	ds_read2_b64 v[92:95], v86 offset0:34 offset1:35
	ds_read2_b64 v[100:103], v86 offset0:36 offset1:37
	v_fma_f64 v[14:15], -v[44:45], v[96:97], v[14:15]
	v_fma_f64 v[12:13], -v[44:45], v[98:99], v[12:13]
	;; [unrolled: 1-line block ×3, first 2 shown]
	s_waitcnt lgkmcnt(0)
	v_fma_f64 v[10:11], -v[44:45], v[92:93], v[10:11]
	v_fma_f64 v[8:9], -v[44:45], v[94:95], v[8:9]
	;; [unrolled: 1-line block ×4, first 2 shown]
.LBB76_301:
	s_or_b64 exec, exec, s[0:1]
	v_lshl_add_u32 v82, v87, 3, v86
	s_barrier
	ds_write_b64 v82, v[42:43]
	s_waitcnt lgkmcnt(0)
	s_barrier
	ds_read_b64 v[82:83], v86 offset:144
	s_cmp_lt_i32 s18, 20
	v_mov_b32_e32 v84, 18
	s_cbranch_scc1 .LBB76_304
; %bb.302:
	v_add_u32_e32 v91, 0x98, v86
	s_mov_b32 s0, 19
	v_mov_b32_e32 v84, 18
.LBB76_303:                             ; =>This Inner Loop Header: Depth=1
	ds_read_b64 v[92:93], v91
	v_mov_b32_e32 v94, s0
	s_add_i32 s0, s0, 1
	v_add_u32_e32 v91, 8, v91
	s_cmp_lg_u32 s18, s0
	s_waitcnt lgkmcnt(0)
	v_cmp_lt_f64_e64 vcc, |v[82:83]|, |v[92:93]|
	v_cndmask_b32_e32 v83, v83, v93, vcc
	v_cndmask_b32_e32 v82, v82, v92, vcc
	;; [unrolled: 1-line block ×3, first 2 shown]
	s_cbranch_scc1 .LBB76_303
.LBB76_304:
	s_waitcnt lgkmcnt(0)
	v_cmp_eq_f64_e32 vcc, 0, v[82:83]
	s_and_saveexec_b64 s[0:1], vcc
	s_xor_b64 s[0:1], exec, s[0:1]
; %bb.305:
	v_cmp_ne_u32_e32 vcc, 0, v90
	v_cndmask_b32_e32 v90, 19, v90, vcc
; %bb.306:
	s_andn2_saveexec_b64 s[0:1], s[0:1]
; %bb.307:
	v_div_scale_f64 v[92:93], s[2:3], v[82:83], v[82:83], 1.0
	v_rcp_f64_e32 v[94:95], v[92:93]
	v_div_scale_f64 v[96:97], vcc, 1.0, v[82:83], 1.0
	v_fma_f64 v[98:99], -v[92:93], v[94:95], 1.0
	v_fmac_f64_e32 v[94:95], v[94:95], v[98:99]
	v_fma_f64 v[98:99], -v[92:93], v[94:95], 1.0
	v_fmac_f64_e32 v[94:95], v[94:95], v[98:99]
	v_mul_f64 v[98:99], v[96:97], v[94:95]
	v_fma_f64 v[92:93], -v[92:93], v[98:99], v[96:97]
	v_div_fmas_f64 v[92:93], v[92:93], v[94:95], v[98:99]
	v_div_fixup_f64 v[82:83], v[92:93], v[82:83], 1.0
; %bb.308:
	s_or_b64 exec, exec, s[0:1]
	v_cmp_ne_u32_e32 vcc, v87, v84
	s_and_saveexec_b64 s[0:1], vcc
	s_xor_b64 s[0:1], exec, s[0:1]
	s_cbranch_execz .LBB76_314
; %bb.309:
	v_cmp_eq_u32_e32 vcc, 18, v87
	s_and_saveexec_b64 s[2:3], vcc
	s_cbranch_execz .LBB76_313
; %bb.310:
	v_cmp_ne_u32_e32 vcc, 18, v84
	s_xor_b64 s[14:15], s[6:7], -1
	s_and_b64 s[16:17], s[14:15], vcc
	s_and_saveexec_b64 s[14:15], s[16:17]
	s_cbranch_execz .LBB76_312
; %bb.311:
	v_ashrrev_i32_e32 v85, 31, v84
	v_lshlrev_b64 v[92:93], 2, v[84:85]
	v_add_co_u32_e32 v92, vcc, v4, v92
	v_addc_co_u32_e32 v93, vcc, v5, v93, vcc
	flat_load_dword v85, v[92:93]
	flat_load_dword v87, v[4:5] offset:72
	s_waitcnt vmcnt(0) lgkmcnt(0)
	flat_store_dword v[4:5], v85 offset:72
	flat_store_dword v[92:93], v87
.LBB76_312:
	s_or_b64 exec, exec, s[14:15]
	v_mov_b32_e32 v85, v84
	v_mov_b32_e32 v87, v84
.LBB76_313:
	s_or_b64 exec, exec, s[2:3]
.LBB76_314:
	s_andn2_saveexec_b64 s[0:1], s[0:1]
	s_cbranch_execz .LBB76_316
; %bb.315:
	v_mov_b32_e32 v87, 18
	ds_write2_b64 v86, v[40:41], v[38:39] offset0:19 offset1:20
	ds_write2_b64 v86, v[36:37], v[34:35] offset0:21 offset1:22
	;; [unrolled: 1-line block ×10, first 2 shown]
.LBB76_316:
	s_or_b64 exec, exec, s[0:1]
	v_cmp_lt_i32_e32 vcc, 18, v87
	s_waitcnt lgkmcnt(0)
	s_barrier
	s_and_saveexec_b64 s[0:1], vcc
	s_cbranch_execz .LBB76_318
; %bb.317:
	ds_read2_b64 v[92:95], v86 offset0:19 offset1:20
	ds_read2_b64 v[96:99], v86 offset0:21 offset1:22
	v_mul_f64 v[42:43], v[82:83], v[42:43]
	ds_read2_b64 v[100:103], v86 offset0:23 offset1:24
	s_waitcnt lgkmcnt(0)
	v_fma_f64 v[40:41], -v[42:43], v[92:93], v[40:41]
	v_fma_f64 v[38:39], -v[42:43], v[94:95], v[38:39]
	ds_read2_b64 v[92:95], v86 offset0:25 offset1:26
	v_fma_f64 v[36:37], -v[42:43], v[96:97], v[36:37]
	v_fma_f64 v[34:35], -v[42:43], v[98:99], v[34:35]
	;; [unrolled: 1-line block ×3, first 2 shown]
	ds_read2_b64 v[96:99], v86 offset0:27 offset1:28
	v_fma_f64 v[30:31], -v[42:43], v[102:103], v[30:31]
	ds_read2_b64 v[100:103], v86 offset0:29 offset1:30
	s_waitcnt lgkmcnt(0)
	v_fma_f64 v[28:29], -v[42:43], v[92:93], v[28:29]
	v_fma_f64 v[26:27], -v[42:43], v[94:95], v[26:27]
	ds_read2_b64 v[92:95], v86 offset0:31 offset1:32
	v_fma_f64 v[24:25], -v[42:43], v[96:97], v[24:25]
	v_fma_f64 v[22:23], -v[42:43], v[98:99], v[22:23]
	ds_read2_b64 v[96:99], v86 offset0:33 offset1:34
	v_fma_f64 v[18:19], -v[42:43], v[100:101], v[18:19]
	v_fma_f64 v[20:21], -v[42:43], v[102:103], v[20:21]
	s_waitcnt lgkmcnt(0)
	v_fma_f64 v[16:17], -v[42:43], v[92:93], v[16:17]
	ds_read2_b64 v[100:103], v86 offset0:35 offset1:36
	v_fma_f64 v[14:15], -v[42:43], v[94:95], v[14:15]
	ds_read2_b64 v[92:95], v86 offset0:37 offset1:38
	v_fma_f64 v[12:13], -v[42:43], v[96:97], v[12:13]
	v_fma_f64 v[10:11], -v[42:43], v[98:99], v[10:11]
	s_waitcnt lgkmcnt(0)
	v_fma_f64 v[8:9], -v[42:43], v[100:101], v[8:9]
	v_fma_f64 v[6:7], -v[42:43], v[102:103], v[6:7]
	;; [unrolled: 1-line block ×4, first 2 shown]
.LBB76_318:
	s_or_b64 exec, exec, s[0:1]
	v_lshl_add_u32 v82, v87, 3, v86
	s_barrier
	ds_write_b64 v82, v[40:41]
	s_waitcnt lgkmcnt(0)
	s_barrier
	ds_read_b64 v[82:83], v86 offset:152
	s_cmp_lt_i32 s18, 21
	v_mov_b32_e32 v84, 19
	s_cbranch_scc1 .LBB76_321
; %bb.319:
	v_add_u32_e32 v91, 0xa0, v86
	s_mov_b32 s0, 20
	v_mov_b32_e32 v84, 19
.LBB76_320:                             ; =>This Inner Loop Header: Depth=1
	ds_read_b64 v[92:93], v91
	v_mov_b32_e32 v94, s0
	s_add_i32 s0, s0, 1
	v_add_u32_e32 v91, 8, v91
	s_cmp_lg_u32 s18, s0
	s_waitcnt lgkmcnt(0)
	v_cmp_lt_f64_e64 vcc, |v[82:83]|, |v[92:93]|
	v_cndmask_b32_e32 v83, v83, v93, vcc
	v_cndmask_b32_e32 v82, v82, v92, vcc
	;; [unrolled: 1-line block ×3, first 2 shown]
	s_cbranch_scc1 .LBB76_320
.LBB76_321:
	s_waitcnt lgkmcnt(0)
	v_cmp_eq_f64_e32 vcc, 0, v[82:83]
	s_and_saveexec_b64 s[0:1], vcc
	s_xor_b64 s[0:1], exec, s[0:1]
; %bb.322:
	v_cmp_ne_u32_e32 vcc, 0, v90
	v_cndmask_b32_e32 v90, 20, v90, vcc
; %bb.323:
	s_andn2_saveexec_b64 s[0:1], s[0:1]
; %bb.324:
	v_div_scale_f64 v[92:93], s[2:3], v[82:83], v[82:83], 1.0
	v_rcp_f64_e32 v[94:95], v[92:93]
	v_div_scale_f64 v[96:97], vcc, 1.0, v[82:83], 1.0
	v_fma_f64 v[98:99], -v[92:93], v[94:95], 1.0
	v_fmac_f64_e32 v[94:95], v[94:95], v[98:99]
	v_fma_f64 v[98:99], -v[92:93], v[94:95], 1.0
	v_fmac_f64_e32 v[94:95], v[94:95], v[98:99]
	v_mul_f64 v[98:99], v[96:97], v[94:95]
	v_fma_f64 v[92:93], -v[92:93], v[98:99], v[96:97]
	v_div_fmas_f64 v[92:93], v[92:93], v[94:95], v[98:99]
	v_div_fixup_f64 v[82:83], v[92:93], v[82:83], 1.0
; %bb.325:
	s_or_b64 exec, exec, s[0:1]
	v_cmp_ne_u32_e32 vcc, v87, v84
	s_and_saveexec_b64 s[0:1], vcc
	s_xor_b64 s[0:1], exec, s[0:1]
	s_cbranch_execz .LBB76_331
; %bb.326:
	v_cmp_eq_u32_e32 vcc, 19, v87
	s_and_saveexec_b64 s[2:3], vcc
	s_cbranch_execz .LBB76_330
; %bb.327:
	v_cmp_ne_u32_e32 vcc, 19, v84
	s_xor_b64 s[14:15], s[6:7], -1
	s_and_b64 s[16:17], s[14:15], vcc
	s_and_saveexec_b64 s[14:15], s[16:17]
	s_cbranch_execz .LBB76_329
; %bb.328:
	v_ashrrev_i32_e32 v85, 31, v84
	v_lshlrev_b64 v[92:93], 2, v[84:85]
	v_add_co_u32_e32 v92, vcc, v4, v92
	v_addc_co_u32_e32 v93, vcc, v5, v93, vcc
	flat_load_dword v85, v[92:93]
	flat_load_dword v87, v[4:5] offset:76
	s_waitcnt vmcnt(0) lgkmcnt(0)
	flat_store_dword v[4:5], v85 offset:76
	flat_store_dword v[92:93], v87
.LBB76_329:
	s_or_b64 exec, exec, s[14:15]
	v_mov_b32_e32 v85, v84
	v_mov_b32_e32 v87, v84
.LBB76_330:
	s_or_b64 exec, exec, s[2:3]
.LBB76_331:
	s_andn2_saveexec_b64 s[0:1], s[0:1]
	s_cbranch_execz .LBB76_333
; %bb.332:
	v_mov_b32_e32 v92, v38
	v_mov_b32_e32 v93, v39
	v_mov_b32_e32 v94, v36
	v_mov_b32_e32 v95, v37
	ds_write2_b64 v86, v[92:93], v[94:95] offset0:20 offset1:21
	v_mov_b32_e32 v92, v34
	v_mov_b32_e32 v93, v35
	v_mov_b32_e32 v94, v32
	v_mov_b32_e32 v95, v33
	ds_write2_b64 v86, v[92:93], v[94:95] offset0:22 offset1:23
	;; [unrolled: 5-line block ×8, first 2 shown]
	v_mov_b32_e32 v92, v6
	v_mov_b32_e32 v93, v7
	;; [unrolled: 1-line block ×5, first 2 shown]
	ds_write2_b64 v86, v[92:93], v[94:95] offset0:36 offset1:37
	ds_write_b64 v86, v[80:81] offset:304
.LBB76_333:
	s_or_b64 exec, exec, s[0:1]
	v_cmp_lt_i32_e32 vcc, 19, v87
	s_waitcnt lgkmcnt(0)
	s_barrier
	s_and_saveexec_b64 s[0:1], vcc
	s_cbranch_execz .LBB76_335
; %bb.334:
	ds_read2_b64 v[92:95], v86 offset0:20 offset1:21
	ds_read2_b64 v[96:99], v86 offset0:22 offset1:23
	;; [unrolled: 1-line block ×3, first 2 shown]
	v_mul_f64 v[40:41], v[82:83], v[40:41]
	ds_read_b64 v[82:83], v86 offset:304
	s_waitcnt lgkmcnt(0)
	v_fma_f64 v[38:39], -v[40:41], v[92:93], v[38:39]
	v_fma_f64 v[36:37], -v[40:41], v[94:95], v[36:37]
	ds_read2_b64 v[92:95], v86 offset0:26 offset1:27
	v_fma_f64 v[34:35], -v[40:41], v[96:97], v[34:35]
	v_fma_f64 v[32:33], -v[40:41], v[98:99], v[32:33]
	;; [unrolled: 1-line block ×3, first 2 shown]
	ds_read2_b64 v[96:99], v86 offset0:28 offset1:29
	v_fma_f64 v[28:29], -v[40:41], v[102:103], v[28:29]
	ds_read2_b64 v[100:103], v86 offset0:30 offset1:31
	s_waitcnt lgkmcnt(0)
	v_fma_f64 v[26:27], -v[40:41], v[92:93], v[26:27]
	v_fma_f64 v[24:25], -v[40:41], v[94:95], v[24:25]
	;; [unrolled: 1-line block ×3, first 2 shown]
	ds_read2_b64 v[92:95], v86 offset0:32 offset1:33
	v_fma_f64 v[18:19], -v[40:41], v[98:99], v[18:19]
	ds_read2_b64 v[96:99], v86 offset0:34 offset1:35
	v_fma_f64 v[20:21], -v[40:41], v[100:101], v[20:21]
	v_fma_f64 v[16:17], -v[40:41], v[102:103], v[16:17]
	ds_read2_b64 v[100:103], v86 offset0:36 offset1:37
	s_waitcnt lgkmcnt(0)
	v_fma_f64 v[14:15], -v[40:41], v[92:93], v[14:15]
	v_fma_f64 v[12:13], -v[40:41], v[94:95], v[12:13]
	;; [unrolled: 1-line block ×7, first 2 shown]
.LBB76_335:
	s_or_b64 exec, exec, s[0:1]
	v_lshl_add_u32 v82, v87, 3, v86
	s_barrier
	ds_write_b64 v82, v[38:39]
	s_waitcnt lgkmcnt(0)
	s_barrier
	ds_read_b64 v[82:83], v86 offset:160
	s_cmp_lt_i32 s18, 22
	v_mov_b32_e32 v84, 20
	s_cbranch_scc1 .LBB76_338
; %bb.336:
	v_add_u32_e32 v91, 0xa8, v86
	s_mov_b32 s0, 21
	v_mov_b32_e32 v84, 20
.LBB76_337:                             ; =>This Inner Loop Header: Depth=1
	ds_read_b64 v[92:93], v91
	v_mov_b32_e32 v94, s0
	s_add_i32 s0, s0, 1
	v_add_u32_e32 v91, 8, v91
	s_cmp_lg_u32 s18, s0
	s_waitcnt lgkmcnt(0)
	v_cmp_lt_f64_e64 vcc, |v[82:83]|, |v[92:93]|
	v_cndmask_b32_e32 v83, v83, v93, vcc
	v_cndmask_b32_e32 v82, v82, v92, vcc
	;; [unrolled: 1-line block ×3, first 2 shown]
	s_cbranch_scc1 .LBB76_337
.LBB76_338:
	s_waitcnt lgkmcnt(0)
	v_cmp_eq_f64_e32 vcc, 0, v[82:83]
	s_and_saveexec_b64 s[0:1], vcc
	s_xor_b64 s[0:1], exec, s[0:1]
; %bb.339:
	v_cmp_ne_u32_e32 vcc, 0, v90
	v_cndmask_b32_e32 v90, 21, v90, vcc
; %bb.340:
	s_andn2_saveexec_b64 s[0:1], s[0:1]
; %bb.341:
	v_div_scale_f64 v[92:93], s[2:3], v[82:83], v[82:83], 1.0
	v_rcp_f64_e32 v[94:95], v[92:93]
	v_div_scale_f64 v[96:97], vcc, 1.0, v[82:83], 1.0
	v_fma_f64 v[98:99], -v[92:93], v[94:95], 1.0
	v_fmac_f64_e32 v[94:95], v[94:95], v[98:99]
	v_fma_f64 v[98:99], -v[92:93], v[94:95], 1.0
	v_fmac_f64_e32 v[94:95], v[94:95], v[98:99]
	v_mul_f64 v[98:99], v[96:97], v[94:95]
	v_fma_f64 v[92:93], -v[92:93], v[98:99], v[96:97]
	v_div_fmas_f64 v[92:93], v[92:93], v[94:95], v[98:99]
	v_div_fixup_f64 v[82:83], v[92:93], v[82:83], 1.0
; %bb.342:
	s_or_b64 exec, exec, s[0:1]
	v_cmp_ne_u32_e32 vcc, v87, v84
	s_and_saveexec_b64 s[0:1], vcc
	s_xor_b64 s[0:1], exec, s[0:1]
	s_cbranch_execz .LBB76_348
; %bb.343:
	v_cmp_eq_u32_e32 vcc, 20, v87
	s_and_saveexec_b64 s[2:3], vcc
	s_cbranch_execz .LBB76_347
; %bb.344:
	v_cmp_ne_u32_e32 vcc, 20, v84
	s_xor_b64 s[14:15], s[6:7], -1
	s_and_b64 s[16:17], s[14:15], vcc
	s_and_saveexec_b64 s[14:15], s[16:17]
	s_cbranch_execz .LBB76_346
; %bb.345:
	v_ashrrev_i32_e32 v85, 31, v84
	v_lshlrev_b64 v[92:93], 2, v[84:85]
	v_add_co_u32_e32 v92, vcc, v4, v92
	v_addc_co_u32_e32 v93, vcc, v5, v93, vcc
	flat_load_dword v85, v[92:93]
	flat_load_dword v87, v[4:5] offset:80
	s_waitcnt vmcnt(0) lgkmcnt(0)
	flat_store_dword v[4:5], v85 offset:80
	flat_store_dword v[92:93], v87
.LBB76_346:
	s_or_b64 exec, exec, s[14:15]
	v_mov_b32_e32 v85, v84
	v_mov_b32_e32 v87, v84
.LBB76_347:
	s_or_b64 exec, exec, s[2:3]
.LBB76_348:
	s_andn2_saveexec_b64 s[0:1], s[0:1]
	s_cbranch_execz .LBB76_350
; %bb.349:
	v_mov_b32_e32 v87, 20
	ds_write2_b64 v86, v[36:37], v[34:35] offset0:21 offset1:22
	ds_write2_b64 v86, v[32:33], v[30:31] offset0:23 offset1:24
	;; [unrolled: 1-line block ×9, first 2 shown]
.LBB76_350:
	s_or_b64 exec, exec, s[0:1]
	v_cmp_lt_i32_e32 vcc, 20, v87
	s_waitcnt lgkmcnt(0)
	s_barrier
	s_and_saveexec_b64 s[0:1], vcc
	s_cbranch_execz .LBB76_352
; %bb.351:
	ds_read2_b64 v[92:95], v86 offset0:21 offset1:22
	ds_read2_b64 v[96:99], v86 offset0:23 offset1:24
	;; [unrolled: 1-line block ×3, first 2 shown]
	v_mul_f64 v[38:39], v[82:83], v[38:39]
	s_waitcnt lgkmcnt(0)
	v_fma_f64 v[36:37], -v[38:39], v[92:93], v[36:37]
	v_fma_f64 v[34:35], -v[38:39], v[94:95], v[34:35]
	ds_read2_b64 v[92:95], v86 offset0:27 offset1:28
	v_fma_f64 v[32:33], -v[38:39], v[96:97], v[32:33]
	v_fma_f64 v[30:31], -v[38:39], v[98:99], v[30:31]
	;; [unrolled: 1-line block ×3, first 2 shown]
	ds_read2_b64 v[96:99], v86 offset0:29 offset1:30
	v_fma_f64 v[26:27], -v[38:39], v[102:103], v[26:27]
	ds_read2_b64 v[100:103], v86 offset0:31 offset1:32
	s_waitcnt lgkmcnt(0)
	v_fma_f64 v[24:25], -v[38:39], v[92:93], v[24:25]
	v_fma_f64 v[22:23], -v[38:39], v[94:95], v[22:23]
	;; [unrolled: 1-line block ×4, first 2 shown]
	ds_read2_b64 v[92:95], v86 offset0:33 offset1:34
	ds_read2_b64 v[96:99], v86 offset0:35 offset1:36
	v_fma_f64 v[16:17], -v[38:39], v[100:101], v[16:17]
	v_fma_f64 v[14:15], -v[38:39], v[102:103], v[14:15]
	ds_read2_b64 v[100:103], v86 offset0:37 offset1:38
	s_waitcnt lgkmcnt(0)
	v_fma_f64 v[12:13], -v[38:39], v[92:93], v[12:13]
	v_fma_f64 v[10:11], -v[38:39], v[94:95], v[10:11]
	;; [unrolled: 1-line block ×6, first 2 shown]
.LBB76_352:
	s_or_b64 exec, exec, s[0:1]
	v_lshl_add_u32 v82, v87, 3, v86
	s_barrier
	ds_write_b64 v82, v[36:37]
	s_waitcnt lgkmcnt(0)
	s_barrier
	ds_read_b64 v[82:83], v86 offset:168
	s_cmp_lt_i32 s18, 23
	v_mov_b32_e32 v84, 21
	s_cbranch_scc1 .LBB76_355
; %bb.353:
	v_add_u32_e32 v91, 0xb0, v86
	s_mov_b32 s0, 22
	v_mov_b32_e32 v84, 21
.LBB76_354:                             ; =>This Inner Loop Header: Depth=1
	ds_read_b64 v[92:93], v91
	v_mov_b32_e32 v94, s0
	s_add_i32 s0, s0, 1
	v_add_u32_e32 v91, 8, v91
	s_cmp_lg_u32 s18, s0
	s_waitcnt lgkmcnt(0)
	v_cmp_lt_f64_e64 vcc, |v[82:83]|, |v[92:93]|
	v_cndmask_b32_e32 v83, v83, v93, vcc
	v_cndmask_b32_e32 v82, v82, v92, vcc
	;; [unrolled: 1-line block ×3, first 2 shown]
	s_cbranch_scc1 .LBB76_354
.LBB76_355:
	s_waitcnt lgkmcnt(0)
	v_cmp_eq_f64_e32 vcc, 0, v[82:83]
	s_and_saveexec_b64 s[0:1], vcc
	s_xor_b64 s[0:1], exec, s[0:1]
; %bb.356:
	v_cmp_ne_u32_e32 vcc, 0, v90
	v_cndmask_b32_e32 v90, 22, v90, vcc
; %bb.357:
	s_andn2_saveexec_b64 s[0:1], s[0:1]
; %bb.358:
	v_div_scale_f64 v[92:93], s[2:3], v[82:83], v[82:83], 1.0
	v_rcp_f64_e32 v[94:95], v[92:93]
	v_div_scale_f64 v[96:97], vcc, 1.0, v[82:83], 1.0
	v_fma_f64 v[98:99], -v[92:93], v[94:95], 1.0
	v_fmac_f64_e32 v[94:95], v[94:95], v[98:99]
	v_fma_f64 v[98:99], -v[92:93], v[94:95], 1.0
	v_fmac_f64_e32 v[94:95], v[94:95], v[98:99]
	v_mul_f64 v[98:99], v[96:97], v[94:95]
	v_fma_f64 v[92:93], -v[92:93], v[98:99], v[96:97]
	v_div_fmas_f64 v[92:93], v[92:93], v[94:95], v[98:99]
	v_div_fixup_f64 v[82:83], v[92:93], v[82:83], 1.0
; %bb.359:
	s_or_b64 exec, exec, s[0:1]
	v_cmp_ne_u32_e32 vcc, v87, v84
	s_and_saveexec_b64 s[0:1], vcc
	s_xor_b64 s[0:1], exec, s[0:1]
	s_cbranch_execz .LBB76_365
; %bb.360:
	v_cmp_eq_u32_e32 vcc, 21, v87
	s_and_saveexec_b64 s[2:3], vcc
	s_cbranch_execz .LBB76_364
; %bb.361:
	v_cmp_ne_u32_e32 vcc, 21, v84
	s_xor_b64 s[14:15], s[6:7], -1
	s_and_b64 s[16:17], s[14:15], vcc
	s_and_saveexec_b64 s[14:15], s[16:17]
	s_cbranch_execz .LBB76_363
; %bb.362:
	v_ashrrev_i32_e32 v85, 31, v84
	v_lshlrev_b64 v[92:93], 2, v[84:85]
	v_add_co_u32_e32 v92, vcc, v4, v92
	v_addc_co_u32_e32 v93, vcc, v5, v93, vcc
	flat_load_dword v85, v[92:93]
	flat_load_dword v87, v[4:5] offset:84
	s_waitcnt vmcnt(0) lgkmcnt(0)
	flat_store_dword v[4:5], v85 offset:84
	flat_store_dword v[92:93], v87
.LBB76_363:
	s_or_b64 exec, exec, s[14:15]
	v_mov_b32_e32 v85, v84
	v_mov_b32_e32 v87, v84
.LBB76_364:
	s_or_b64 exec, exec, s[2:3]
.LBB76_365:
	s_andn2_saveexec_b64 s[0:1], s[0:1]
	s_cbranch_execz .LBB76_367
; %bb.366:
	v_mov_b32_e32 v92, v34
	v_mov_b32_e32 v93, v35
	v_mov_b32_e32 v94, v32
	v_mov_b32_e32 v95, v33
	ds_write2_b64 v86, v[92:93], v[94:95] offset0:22 offset1:23
	v_mov_b32_e32 v92, v30
	v_mov_b32_e32 v93, v31
	v_mov_b32_e32 v94, v28
	v_mov_b32_e32 v95, v29
	ds_write2_b64 v86, v[92:93], v[94:95] offset0:24 offset1:25
	v_mov_b32_e32 v92, v26
	v_mov_b32_e32 v93, v27
	v_mov_b32_e32 v94, v24
	v_mov_b32_e32 v95, v25
	ds_write2_b64 v86, v[92:93], v[94:95] offset0:26 offset1:27
	v_mov_b32_e32 v92, v22
	v_mov_b32_e32 v93, v23
	v_mov_b32_e32 v94, v18
	v_mov_b32_e32 v95, v19
	ds_write2_b64 v86, v[92:93], v[94:95] offset0:28 offset1:29
	v_mov_b32_e32 v92, v20
	v_mov_b32_e32 v93, v21
	v_mov_b32_e32 v94, v16
	v_mov_b32_e32 v95, v17
	ds_write2_b64 v86, v[92:93], v[94:95] offset0:30 offset1:31
	v_mov_b32_e32 v92, v14
	v_mov_b32_e32 v93, v15
	v_mov_b32_e32 v94, v12
	v_mov_b32_e32 v95, v13
	ds_write2_b64 v86, v[92:93], v[94:95] offset0:32 offset1:33
	v_mov_b32_e32 v92, v10
	v_mov_b32_e32 v93, v11
	v_mov_b32_e32 v94, v8
	v_mov_b32_e32 v95, v9
	ds_write2_b64 v86, v[92:93], v[94:95] offset0:34 offset1:35
	v_mov_b32_e32 v92, v6
	v_mov_b32_e32 v93, v7
	;; [unrolled: 1-line block ×5, first 2 shown]
	ds_write2_b64 v86, v[92:93], v[94:95] offset0:36 offset1:37
	ds_write_b64 v86, v[80:81] offset:304
.LBB76_367:
	s_or_b64 exec, exec, s[0:1]
	v_cmp_lt_i32_e32 vcc, 21, v87
	s_waitcnt lgkmcnt(0)
	s_barrier
	s_and_saveexec_b64 s[0:1], vcc
	s_cbranch_execz .LBB76_369
; %bb.368:
	ds_read2_b64 v[92:95], v86 offset0:22 offset1:23
	ds_read2_b64 v[96:99], v86 offset0:24 offset1:25
	v_mul_f64 v[36:37], v[82:83], v[36:37]
	ds_read2_b64 v[100:103], v86 offset0:26 offset1:27
	ds_read_b64 v[82:83], v86 offset:304
	s_waitcnt lgkmcnt(0)
	v_fma_f64 v[34:35], -v[36:37], v[92:93], v[34:35]
	v_fma_f64 v[32:33], -v[36:37], v[94:95], v[32:33]
	ds_read2_b64 v[92:95], v86 offset0:28 offset1:29
	v_fma_f64 v[30:31], -v[36:37], v[96:97], v[30:31]
	v_fma_f64 v[28:29], -v[36:37], v[98:99], v[28:29]
	ds_read2_b64 v[96:99], v86 offset0:30 offset1:31
	;; [unrolled: 3-line block ×3, first 2 shown]
	s_waitcnt lgkmcnt(0)
	v_fma_f64 v[22:23], -v[36:37], v[92:93], v[22:23]
	v_fma_f64 v[18:19], -v[36:37], v[94:95], v[18:19]
	;; [unrolled: 1-line block ×4, first 2 shown]
	ds_read2_b64 v[92:95], v86 offset0:34 offset1:35
	ds_read2_b64 v[96:99], v86 offset0:36 offset1:37
	v_fma_f64 v[14:15], -v[36:37], v[100:101], v[14:15]
	v_fma_f64 v[12:13], -v[36:37], v[102:103], v[12:13]
	;; [unrolled: 1-line block ×3, first 2 shown]
	s_waitcnt lgkmcnt(0)
	v_fma_f64 v[10:11], -v[36:37], v[92:93], v[10:11]
	v_fma_f64 v[8:9], -v[36:37], v[94:95], v[8:9]
	;; [unrolled: 1-line block ×4, first 2 shown]
.LBB76_369:
	s_or_b64 exec, exec, s[0:1]
	v_lshl_add_u32 v82, v87, 3, v86
	s_barrier
	ds_write_b64 v82, v[34:35]
	s_waitcnt lgkmcnt(0)
	s_barrier
	ds_read_b64 v[82:83], v86 offset:176
	s_cmp_lt_i32 s18, 24
	v_mov_b32_e32 v84, 22
	s_cbranch_scc1 .LBB76_372
; %bb.370:
	v_add_u32_e32 v91, 0xb8, v86
	s_mov_b32 s0, 23
	v_mov_b32_e32 v84, 22
.LBB76_371:                             ; =>This Inner Loop Header: Depth=1
	ds_read_b64 v[92:93], v91
	v_mov_b32_e32 v94, s0
	s_add_i32 s0, s0, 1
	v_add_u32_e32 v91, 8, v91
	s_cmp_lg_u32 s18, s0
	s_waitcnt lgkmcnt(0)
	v_cmp_lt_f64_e64 vcc, |v[82:83]|, |v[92:93]|
	v_cndmask_b32_e32 v83, v83, v93, vcc
	v_cndmask_b32_e32 v82, v82, v92, vcc
	;; [unrolled: 1-line block ×3, first 2 shown]
	s_cbranch_scc1 .LBB76_371
.LBB76_372:
	s_waitcnt lgkmcnt(0)
	v_cmp_eq_f64_e32 vcc, 0, v[82:83]
	s_and_saveexec_b64 s[0:1], vcc
	s_xor_b64 s[0:1], exec, s[0:1]
; %bb.373:
	v_cmp_ne_u32_e32 vcc, 0, v90
	v_cndmask_b32_e32 v90, 23, v90, vcc
; %bb.374:
	s_andn2_saveexec_b64 s[0:1], s[0:1]
; %bb.375:
	v_div_scale_f64 v[92:93], s[2:3], v[82:83], v[82:83], 1.0
	v_rcp_f64_e32 v[94:95], v[92:93]
	v_div_scale_f64 v[96:97], vcc, 1.0, v[82:83], 1.0
	v_fma_f64 v[98:99], -v[92:93], v[94:95], 1.0
	v_fmac_f64_e32 v[94:95], v[94:95], v[98:99]
	v_fma_f64 v[98:99], -v[92:93], v[94:95], 1.0
	v_fmac_f64_e32 v[94:95], v[94:95], v[98:99]
	v_mul_f64 v[98:99], v[96:97], v[94:95]
	v_fma_f64 v[92:93], -v[92:93], v[98:99], v[96:97]
	v_div_fmas_f64 v[92:93], v[92:93], v[94:95], v[98:99]
	v_div_fixup_f64 v[82:83], v[92:93], v[82:83], 1.0
; %bb.376:
	s_or_b64 exec, exec, s[0:1]
	v_cmp_ne_u32_e32 vcc, v87, v84
	s_and_saveexec_b64 s[0:1], vcc
	s_xor_b64 s[0:1], exec, s[0:1]
	s_cbranch_execz .LBB76_382
; %bb.377:
	v_cmp_eq_u32_e32 vcc, 22, v87
	s_and_saveexec_b64 s[2:3], vcc
	s_cbranch_execz .LBB76_381
; %bb.378:
	v_cmp_ne_u32_e32 vcc, 22, v84
	s_xor_b64 s[14:15], s[6:7], -1
	s_and_b64 s[16:17], s[14:15], vcc
	s_and_saveexec_b64 s[14:15], s[16:17]
	s_cbranch_execz .LBB76_380
; %bb.379:
	v_ashrrev_i32_e32 v85, 31, v84
	v_lshlrev_b64 v[92:93], 2, v[84:85]
	v_add_co_u32_e32 v92, vcc, v4, v92
	v_addc_co_u32_e32 v93, vcc, v5, v93, vcc
	flat_load_dword v85, v[92:93]
	flat_load_dword v87, v[4:5] offset:88
	s_waitcnt vmcnt(0) lgkmcnt(0)
	flat_store_dword v[4:5], v85 offset:88
	flat_store_dword v[92:93], v87
.LBB76_380:
	s_or_b64 exec, exec, s[14:15]
	v_mov_b32_e32 v85, v84
	v_mov_b32_e32 v87, v84
.LBB76_381:
	s_or_b64 exec, exec, s[2:3]
.LBB76_382:
	s_andn2_saveexec_b64 s[0:1], s[0:1]
	s_cbranch_execz .LBB76_384
; %bb.383:
	v_mov_b32_e32 v87, 22
	ds_write2_b64 v86, v[32:33], v[30:31] offset0:23 offset1:24
	ds_write2_b64 v86, v[28:29], v[26:27] offset0:25 offset1:26
	;; [unrolled: 1-line block ×8, first 2 shown]
.LBB76_384:
	s_or_b64 exec, exec, s[0:1]
	v_cmp_lt_i32_e32 vcc, 22, v87
	s_waitcnt lgkmcnt(0)
	s_barrier
	s_and_saveexec_b64 s[0:1], vcc
	s_cbranch_execz .LBB76_386
; %bb.385:
	ds_read2_b64 v[92:95], v86 offset0:23 offset1:24
	ds_read2_b64 v[96:99], v86 offset0:25 offset1:26
	v_mul_f64 v[34:35], v[82:83], v[34:35]
	ds_read2_b64 v[100:103], v86 offset0:27 offset1:28
	s_waitcnt lgkmcnt(0)
	v_fma_f64 v[32:33], -v[34:35], v[92:93], v[32:33]
	v_fma_f64 v[30:31], -v[34:35], v[94:95], v[30:31]
	ds_read2_b64 v[92:95], v86 offset0:29 offset1:30
	v_fma_f64 v[28:29], -v[34:35], v[96:97], v[28:29]
	v_fma_f64 v[26:27], -v[34:35], v[98:99], v[26:27]
	ds_read2_b64 v[96:99], v86 offset0:31 offset1:32
	v_fma_f64 v[24:25], -v[34:35], v[100:101], v[24:25]
	v_fma_f64 v[22:23], -v[34:35], v[102:103], v[22:23]
	s_waitcnt lgkmcnt(0)
	v_fma_f64 v[18:19], -v[34:35], v[92:93], v[18:19]
	v_fma_f64 v[20:21], -v[34:35], v[94:95], v[20:21]
	ds_read2_b64 v[92:95], v86 offset0:33 offset1:34
	v_fma_f64 v[16:17], -v[34:35], v[96:97], v[16:17]
	ds_read2_b64 v[100:103], v86 offset0:35 offset1:36
	;; [unrolled: 2-line block ×3, first 2 shown]
	s_waitcnt lgkmcnt(0)
	v_fma_f64 v[12:13], -v[34:35], v[92:93], v[12:13]
	v_fma_f64 v[10:11], -v[34:35], v[94:95], v[10:11]
	;; [unrolled: 1-line block ×6, first 2 shown]
.LBB76_386:
	s_or_b64 exec, exec, s[0:1]
	v_lshl_add_u32 v82, v87, 3, v86
	s_barrier
	ds_write_b64 v82, v[32:33]
	s_waitcnt lgkmcnt(0)
	s_barrier
	ds_read_b64 v[82:83], v86 offset:184
	s_cmp_lt_i32 s18, 25
	v_mov_b32_e32 v84, 23
	s_cbranch_scc1 .LBB76_389
; %bb.387:
	v_add_u32_e32 v91, 0xc0, v86
	s_mov_b32 s0, 24
	v_mov_b32_e32 v84, 23
.LBB76_388:                             ; =>This Inner Loop Header: Depth=1
	ds_read_b64 v[92:93], v91
	v_mov_b32_e32 v94, s0
	s_add_i32 s0, s0, 1
	v_add_u32_e32 v91, 8, v91
	s_cmp_lg_u32 s18, s0
	s_waitcnt lgkmcnt(0)
	v_cmp_lt_f64_e64 vcc, |v[82:83]|, |v[92:93]|
	v_cndmask_b32_e32 v83, v83, v93, vcc
	v_cndmask_b32_e32 v82, v82, v92, vcc
	;; [unrolled: 1-line block ×3, first 2 shown]
	s_cbranch_scc1 .LBB76_388
.LBB76_389:
	s_waitcnt lgkmcnt(0)
	v_cmp_eq_f64_e32 vcc, 0, v[82:83]
	s_and_saveexec_b64 s[0:1], vcc
	s_xor_b64 s[0:1], exec, s[0:1]
; %bb.390:
	v_cmp_ne_u32_e32 vcc, 0, v90
	v_cndmask_b32_e32 v90, 24, v90, vcc
; %bb.391:
	s_andn2_saveexec_b64 s[0:1], s[0:1]
; %bb.392:
	v_div_scale_f64 v[92:93], s[2:3], v[82:83], v[82:83], 1.0
	v_rcp_f64_e32 v[94:95], v[92:93]
	v_div_scale_f64 v[96:97], vcc, 1.0, v[82:83], 1.0
	v_fma_f64 v[98:99], -v[92:93], v[94:95], 1.0
	v_fmac_f64_e32 v[94:95], v[94:95], v[98:99]
	v_fma_f64 v[98:99], -v[92:93], v[94:95], 1.0
	v_fmac_f64_e32 v[94:95], v[94:95], v[98:99]
	v_mul_f64 v[98:99], v[96:97], v[94:95]
	v_fma_f64 v[92:93], -v[92:93], v[98:99], v[96:97]
	v_div_fmas_f64 v[92:93], v[92:93], v[94:95], v[98:99]
	v_div_fixup_f64 v[82:83], v[92:93], v[82:83], 1.0
; %bb.393:
	s_or_b64 exec, exec, s[0:1]
	v_cmp_ne_u32_e32 vcc, v87, v84
	s_and_saveexec_b64 s[0:1], vcc
	s_xor_b64 s[0:1], exec, s[0:1]
	s_cbranch_execz .LBB76_399
; %bb.394:
	v_cmp_eq_u32_e32 vcc, 23, v87
	s_and_saveexec_b64 s[2:3], vcc
	s_cbranch_execz .LBB76_398
; %bb.395:
	v_cmp_ne_u32_e32 vcc, 23, v84
	s_xor_b64 s[14:15], s[6:7], -1
	s_and_b64 s[16:17], s[14:15], vcc
	s_and_saveexec_b64 s[14:15], s[16:17]
	s_cbranch_execz .LBB76_397
; %bb.396:
	v_ashrrev_i32_e32 v85, 31, v84
	v_lshlrev_b64 v[92:93], 2, v[84:85]
	v_add_co_u32_e32 v92, vcc, v4, v92
	v_addc_co_u32_e32 v93, vcc, v5, v93, vcc
	flat_load_dword v85, v[92:93]
	flat_load_dword v87, v[4:5] offset:92
	s_waitcnt vmcnt(0) lgkmcnt(0)
	flat_store_dword v[4:5], v85 offset:92
	flat_store_dword v[92:93], v87
.LBB76_397:
	s_or_b64 exec, exec, s[14:15]
	v_mov_b32_e32 v85, v84
	v_mov_b32_e32 v87, v84
.LBB76_398:
	s_or_b64 exec, exec, s[2:3]
.LBB76_399:
	s_andn2_saveexec_b64 s[0:1], s[0:1]
	s_cbranch_execz .LBB76_401
; %bb.400:
	v_mov_b32_e32 v92, v30
	v_mov_b32_e32 v93, v31
	v_mov_b32_e32 v94, v28
	v_mov_b32_e32 v95, v29
	ds_write2_b64 v86, v[92:93], v[94:95] offset0:24 offset1:25
	v_mov_b32_e32 v92, v26
	v_mov_b32_e32 v93, v27
	v_mov_b32_e32 v94, v24
	v_mov_b32_e32 v95, v25
	ds_write2_b64 v86, v[92:93], v[94:95] offset0:26 offset1:27
	;; [unrolled: 5-line block ×6, first 2 shown]
	v_mov_b32_e32 v92, v6
	v_mov_b32_e32 v93, v7
	;; [unrolled: 1-line block ×5, first 2 shown]
	ds_write2_b64 v86, v[92:93], v[94:95] offset0:36 offset1:37
	ds_write_b64 v86, v[80:81] offset:304
.LBB76_401:
	s_or_b64 exec, exec, s[0:1]
	v_cmp_lt_i32_e32 vcc, 23, v87
	s_waitcnt lgkmcnt(0)
	s_barrier
	s_and_saveexec_b64 s[0:1], vcc
	s_cbranch_execz .LBB76_403
; %bb.402:
	ds_read2_b64 v[92:95], v86 offset0:24 offset1:25
	ds_read2_b64 v[96:99], v86 offset0:26 offset1:27
	v_mul_f64 v[32:33], v[82:83], v[32:33]
	ds_read2_b64 v[100:103], v86 offset0:28 offset1:29
	ds_read_b64 v[82:83], v86 offset:304
	s_waitcnt lgkmcnt(0)
	v_fma_f64 v[30:31], -v[32:33], v[92:93], v[30:31]
	v_fma_f64 v[28:29], -v[32:33], v[94:95], v[28:29]
	ds_read2_b64 v[92:95], v86 offset0:30 offset1:31
	v_fma_f64 v[26:27], -v[32:33], v[96:97], v[26:27]
	v_fma_f64 v[24:25], -v[32:33], v[98:99], v[24:25]
	;; [unrolled: 1-line block ×3, first 2 shown]
	ds_read2_b64 v[96:99], v86 offset0:32 offset1:33
	v_fma_f64 v[18:19], -v[32:33], v[102:103], v[18:19]
	s_waitcnt lgkmcnt(0)
	v_fma_f64 v[20:21], -v[32:33], v[92:93], v[20:21]
	v_fma_f64 v[16:17], -v[32:33], v[94:95], v[16:17]
	ds_read2_b64 v[92:95], v86 offset0:34 offset1:35
	ds_read2_b64 v[100:103], v86 offset0:36 offset1:37
	v_fma_f64 v[14:15], -v[32:33], v[96:97], v[14:15]
	v_fma_f64 v[12:13], -v[32:33], v[98:99], v[12:13]
	;; [unrolled: 1-line block ×3, first 2 shown]
	s_waitcnt lgkmcnt(0)
	v_fma_f64 v[10:11], -v[32:33], v[92:93], v[10:11]
	v_fma_f64 v[8:9], -v[32:33], v[94:95], v[8:9]
	;; [unrolled: 1-line block ×4, first 2 shown]
.LBB76_403:
	s_or_b64 exec, exec, s[0:1]
	v_lshl_add_u32 v82, v87, 3, v86
	s_barrier
	ds_write_b64 v82, v[30:31]
	s_waitcnt lgkmcnt(0)
	s_barrier
	ds_read_b64 v[82:83], v86 offset:192
	s_cmp_lt_i32 s18, 26
	v_mov_b32_e32 v84, 24
	s_cbranch_scc1 .LBB76_406
; %bb.404:
	v_add_u32_e32 v91, 0xc8, v86
	s_mov_b32 s0, 25
	v_mov_b32_e32 v84, 24
.LBB76_405:                             ; =>This Inner Loop Header: Depth=1
	ds_read_b64 v[92:93], v91
	v_mov_b32_e32 v94, s0
	s_add_i32 s0, s0, 1
	v_add_u32_e32 v91, 8, v91
	s_cmp_lg_u32 s18, s0
	s_waitcnt lgkmcnt(0)
	v_cmp_lt_f64_e64 vcc, |v[82:83]|, |v[92:93]|
	v_cndmask_b32_e32 v83, v83, v93, vcc
	v_cndmask_b32_e32 v82, v82, v92, vcc
	;; [unrolled: 1-line block ×3, first 2 shown]
	s_cbranch_scc1 .LBB76_405
.LBB76_406:
	s_waitcnt lgkmcnt(0)
	v_cmp_eq_f64_e32 vcc, 0, v[82:83]
	s_and_saveexec_b64 s[0:1], vcc
	s_xor_b64 s[0:1], exec, s[0:1]
; %bb.407:
	v_cmp_ne_u32_e32 vcc, 0, v90
	v_cndmask_b32_e32 v90, 25, v90, vcc
; %bb.408:
	s_andn2_saveexec_b64 s[0:1], s[0:1]
; %bb.409:
	v_div_scale_f64 v[92:93], s[2:3], v[82:83], v[82:83], 1.0
	v_rcp_f64_e32 v[94:95], v[92:93]
	v_div_scale_f64 v[96:97], vcc, 1.0, v[82:83], 1.0
	v_fma_f64 v[98:99], -v[92:93], v[94:95], 1.0
	v_fmac_f64_e32 v[94:95], v[94:95], v[98:99]
	v_fma_f64 v[98:99], -v[92:93], v[94:95], 1.0
	v_fmac_f64_e32 v[94:95], v[94:95], v[98:99]
	v_mul_f64 v[98:99], v[96:97], v[94:95]
	v_fma_f64 v[92:93], -v[92:93], v[98:99], v[96:97]
	v_div_fmas_f64 v[92:93], v[92:93], v[94:95], v[98:99]
	v_div_fixup_f64 v[82:83], v[92:93], v[82:83], 1.0
; %bb.410:
	s_or_b64 exec, exec, s[0:1]
	v_cmp_ne_u32_e32 vcc, v87, v84
	s_and_saveexec_b64 s[0:1], vcc
	s_xor_b64 s[0:1], exec, s[0:1]
	s_cbranch_execz .LBB76_416
; %bb.411:
	v_cmp_eq_u32_e32 vcc, 24, v87
	s_and_saveexec_b64 s[2:3], vcc
	s_cbranch_execz .LBB76_415
; %bb.412:
	v_cmp_ne_u32_e32 vcc, 24, v84
	s_xor_b64 s[14:15], s[6:7], -1
	s_and_b64 s[16:17], s[14:15], vcc
	s_and_saveexec_b64 s[14:15], s[16:17]
	s_cbranch_execz .LBB76_414
; %bb.413:
	v_ashrrev_i32_e32 v85, 31, v84
	v_lshlrev_b64 v[92:93], 2, v[84:85]
	v_add_co_u32_e32 v92, vcc, v4, v92
	v_addc_co_u32_e32 v93, vcc, v5, v93, vcc
	flat_load_dword v85, v[92:93]
	flat_load_dword v87, v[4:5] offset:96
	s_waitcnt vmcnt(0) lgkmcnt(0)
	flat_store_dword v[4:5], v85 offset:96
	flat_store_dword v[92:93], v87
.LBB76_414:
	s_or_b64 exec, exec, s[14:15]
	v_mov_b32_e32 v85, v84
	v_mov_b32_e32 v87, v84
.LBB76_415:
	s_or_b64 exec, exec, s[2:3]
.LBB76_416:
	s_andn2_saveexec_b64 s[0:1], s[0:1]
	s_cbranch_execz .LBB76_418
; %bb.417:
	v_mov_b32_e32 v87, 24
	ds_write2_b64 v86, v[28:29], v[26:27] offset0:25 offset1:26
	ds_write2_b64 v86, v[24:25], v[22:23] offset0:27 offset1:28
	;; [unrolled: 1-line block ×7, first 2 shown]
.LBB76_418:
	s_or_b64 exec, exec, s[0:1]
	v_cmp_lt_i32_e32 vcc, 24, v87
	s_waitcnt lgkmcnt(0)
	s_barrier
	s_and_saveexec_b64 s[0:1], vcc
	s_cbranch_execz .LBB76_420
; %bb.419:
	ds_read2_b64 v[92:95], v86 offset0:25 offset1:26
	ds_read2_b64 v[96:99], v86 offset0:27 offset1:28
	v_mul_f64 v[30:31], v[82:83], v[30:31]
	ds_read2_b64 v[100:103], v86 offset0:29 offset1:30
	s_waitcnt lgkmcnt(0)
	v_fma_f64 v[28:29], -v[30:31], v[92:93], v[28:29]
	v_fma_f64 v[26:27], -v[30:31], v[94:95], v[26:27]
	ds_read2_b64 v[92:95], v86 offset0:31 offset1:32
	v_fma_f64 v[24:25], -v[30:31], v[96:97], v[24:25]
	v_fma_f64 v[22:23], -v[30:31], v[98:99], v[22:23]
	;; [unrolled: 1-line block ×4, first 2 shown]
	ds_read2_b64 v[96:99], v86 offset0:33 offset1:34
	ds_read2_b64 v[100:103], v86 offset0:35 offset1:36
	s_waitcnt lgkmcnt(0)
	v_fma_f64 v[16:17], -v[30:31], v[92:93], v[16:17]
	v_fma_f64 v[14:15], -v[30:31], v[94:95], v[14:15]
	ds_read2_b64 v[92:95], v86 offset0:37 offset1:38
	v_fma_f64 v[12:13], -v[30:31], v[96:97], v[12:13]
	v_fma_f64 v[10:11], -v[30:31], v[98:99], v[10:11]
	;; [unrolled: 1-line block ×4, first 2 shown]
	s_waitcnt lgkmcnt(0)
	v_fma_f64 v[0:1], -v[30:31], v[92:93], v[0:1]
	v_fma_f64 v[80:81], -v[30:31], v[94:95], v[80:81]
.LBB76_420:
	s_or_b64 exec, exec, s[0:1]
	v_lshl_add_u32 v82, v87, 3, v86
	s_barrier
	ds_write_b64 v82, v[28:29]
	s_waitcnt lgkmcnt(0)
	s_barrier
	ds_read_b64 v[82:83], v86 offset:200
	s_cmp_lt_i32 s18, 27
	v_mov_b32_e32 v84, 25
	s_cbranch_scc1 .LBB76_423
; %bb.421:
	v_add_u32_e32 v91, 0xd0, v86
	s_mov_b32 s0, 26
	v_mov_b32_e32 v84, 25
.LBB76_422:                             ; =>This Inner Loop Header: Depth=1
	ds_read_b64 v[92:93], v91
	v_mov_b32_e32 v94, s0
	s_add_i32 s0, s0, 1
	v_add_u32_e32 v91, 8, v91
	s_cmp_lg_u32 s18, s0
	s_waitcnt lgkmcnt(0)
	v_cmp_lt_f64_e64 vcc, |v[82:83]|, |v[92:93]|
	v_cndmask_b32_e32 v83, v83, v93, vcc
	v_cndmask_b32_e32 v82, v82, v92, vcc
	;; [unrolled: 1-line block ×3, first 2 shown]
	s_cbranch_scc1 .LBB76_422
.LBB76_423:
	s_waitcnt lgkmcnt(0)
	v_cmp_eq_f64_e32 vcc, 0, v[82:83]
	s_and_saveexec_b64 s[0:1], vcc
	s_xor_b64 s[0:1], exec, s[0:1]
; %bb.424:
	v_cmp_ne_u32_e32 vcc, 0, v90
	v_cndmask_b32_e32 v90, 26, v90, vcc
; %bb.425:
	s_andn2_saveexec_b64 s[0:1], s[0:1]
; %bb.426:
	v_div_scale_f64 v[92:93], s[2:3], v[82:83], v[82:83], 1.0
	v_rcp_f64_e32 v[94:95], v[92:93]
	v_div_scale_f64 v[96:97], vcc, 1.0, v[82:83], 1.0
	v_fma_f64 v[98:99], -v[92:93], v[94:95], 1.0
	v_fmac_f64_e32 v[94:95], v[94:95], v[98:99]
	v_fma_f64 v[98:99], -v[92:93], v[94:95], 1.0
	v_fmac_f64_e32 v[94:95], v[94:95], v[98:99]
	v_mul_f64 v[98:99], v[96:97], v[94:95]
	v_fma_f64 v[92:93], -v[92:93], v[98:99], v[96:97]
	v_div_fmas_f64 v[92:93], v[92:93], v[94:95], v[98:99]
	v_div_fixup_f64 v[82:83], v[92:93], v[82:83], 1.0
; %bb.427:
	s_or_b64 exec, exec, s[0:1]
	v_cmp_ne_u32_e32 vcc, v87, v84
	s_and_saveexec_b64 s[0:1], vcc
	s_xor_b64 s[0:1], exec, s[0:1]
	s_cbranch_execz .LBB76_433
; %bb.428:
	v_cmp_eq_u32_e32 vcc, 25, v87
	s_and_saveexec_b64 s[2:3], vcc
	s_cbranch_execz .LBB76_432
; %bb.429:
	v_cmp_ne_u32_e32 vcc, 25, v84
	s_xor_b64 s[14:15], s[6:7], -1
	s_and_b64 s[16:17], s[14:15], vcc
	s_and_saveexec_b64 s[14:15], s[16:17]
	s_cbranch_execz .LBB76_431
; %bb.430:
	v_ashrrev_i32_e32 v85, 31, v84
	v_lshlrev_b64 v[92:93], 2, v[84:85]
	v_add_co_u32_e32 v92, vcc, v4, v92
	v_addc_co_u32_e32 v93, vcc, v5, v93, vcc
	flat_load_dword v85, v[92:93]
	flat_load_dword v87, v[4:5] offset:100
	s_waitcnt vmcnt(0) lgkmcnt(0)
	flat_store_dword v[4:5], v85 offset:100
	flat_store_dword v[92:93], v87
.LBB76_431:
	s_or_b64 exec, exec, s[14:15]
	v_mov_b32_e32 v85, v84
	v_mov_b32_e32 v87, v84
.LBB76_432:
	s_or_b64 exec, exec, s[2:3]
.LBB76_433:
	s_andn2_saveexec_b64 s[0:1], s[0:1]
	s_cbranch_execz .LBB76_435
; %bb.434:
	v_mov_b32_e32 v92, v26
	v_mov_b32_e32 v93, v27
	v_mov_b32_e32 v94, v24
	v_mov_b32_e32 v95, v25
	ds_write2_b64 v86, v[92:93], v[94:95] offset0:26 offset1:27
	v_mov_b32_e32 v92, v22
	v_mov_b32_e32 v93, v23
	v_mov_b32_e32 v94, v18
	v_mov_b32_e32 v95, v19
	ds_write2_b64 v86, v[92:93], v[94:95] offset0:28 offset1:29
	;; [unrolled: 5-line block ×5, first 2 shown]
	v_mov_b32_e32 v92, v6
	v_mov_b32_e32 v93, v7
	;; [unrolled: 1-line block ×5, first 2 shown]
	ds_write2_b64 v86, v[92:93], v[94:95] offset0:36 offset1:37
	ds_write_b64 v86, v[80:81] offset:304
.LBB76_435:
	s_or_b64 exec, exec, s[0:1]
	v_cmp_lt_i32_e32 vcc, 25, v87
	s_waitcnt lgkmcnt(0)
	s_barrier
	s_and_saveexec_b64 s[0:1], vcc
	s_cbranch_execz .LBB76_437
; %bb.436:
	ds_read2_b64 v[92:95], v86 offset0:26 offset1:27
	ds_read2_b64 v[96:99], v86 offset0:28 offset1:29
	;; [unrolled: 1-line block ×3, first 2 shown]
	v_mul_f64 v[28:29], v[82:83], v[28:29]
	ds_read_b64 v[82:83], v86 offset:304
	s_waitcnt lgkmcnt(0)
	v_fma_f64 v[26:27], -v[28:29], v[92:93], v[26:27]
	v_fma_f64 v[24:25], -v[28:29], v[94:95], v[24:25]
	ds_read2_b64 v[92:95], v86 offset0:32 offset1:33
	v_fma_f64 v[22:23], -v[28:29], v[96:97], v[22:23]
	v_fma_f64 v[18:19], -v[28:29], v[98:99], v[18:19]
	;; [unrolled: 1-line block ×4, first 2 shown]
	ds_read2_b64 v[96:99], v86 offset0:34 offset1:35
	ds_read2_b64 v[100:103], v86 offset0:36 offset1:37
	s_waitcnt lgkmcnt(0)
	v_fma_f64 v[14:15], -v[28:29], v[92:93], v[14:15]
	v_fma_f64 v[12:13], -v[28:29], v[94:95], v[12:13]
	;; [unrolled: 1-line block ×7, first 2 shown]
.LBB76_437:
	s_or_b64 exec, exec, s[0:1]
	v_lshl_add_u32 v82, v87, 3, v86
	s_barrier
	ds_write_b64 v82, v[26:27]
	s_waitcnt lgkmcnt(0)
	s_barrier
	ds_read_b64 v[82:83], v86 offset:208
	s_cmp_lt_i32 s18, 28
	v_mov_b32_e32 v84, 26
	s_cbranch_scc1 .LBB76_440
; %bb.438:
	v_add_u32_e32 v91, 0xd8, v86
	s_mov_b32 s0, 27
	v_mov_b32_e32 v84, 26
.LBB76_439:                             ; =>This Inner Loop Header: Depth=1
	ds_read_b64 v[92:93], v91
	v_mov_b32_e32 v94, s0
	s_add_i32 s0, s0, 1
	v_add_u32_e32 v91, 8, v91
	s_cmp_lg_u32 s18, s0
	s_waitcnt lgkmcnt(0)
	v_cmp_lt_f64_e64 vcc, |v[82:83]|, |v[92:93]|
	v_cndmask_b32_e32 v83, v83, v93, vcc
	v_cndmask_b32_e32 v82, v82, v92, vcc
	;; [unrolled: 1-line block ×3, first 2 shown]
	s_cbranch_scc1 .LBB76_439
.LBB76_440:
	s_waitcnt lgkmcnt(0)
	v_cmp_eq_f64_e32 vcc, 0, v[82:83]
	s_and_saveexec_b64 s[0:1], vcc
	s_xor_b64 s[0:1], exec, s[0:1]
; %bb.441:
	v_cmp_ne_u32_e32 vcc, 0, v90
	v_cndmask_b32_e32 v90, 27, v90, vcc
; %bb.442:
	s_andn2_saveexec_b64 s[0:1], s[0:1]
; %bb.443:
	v_div_scale_f64 v[92:93], s[2:3], v[82:83], v[82:83], 1.0
	v_rcp_f64_e32 v[94:95], v[92:93]
	v_div_scale_f64 v[96:97], vcc, 1.0, v[82:83], 1.0
	v_fma_f64 v[98:99], -v[92:93], v[94:95], 1.0
	v_fmac_f64_e32 v[94:95], v[94:95], v[98:99]
	v_fma_f64 v[98:99], -v[92:93], v[94:95], 1.0
	v_fmac_f64_e32 v[94:95], v[94:95], v[98:99]
	v_mul_f64 v[98:99], v[96:97], v[94:95]
	v_fma_f64 v[92:93], -v[92:93], v[98:99], v[96:97]
	v_div_fmas_f64 v[92:93], v[92:93], v[94:95], v[98:99]
	v_div_fixup_f64 v[82:83], v[92:93], v[82:83], 1.0
; %bb.444:
	s_or_b64 exec, exec, s[0:1]
	v_cmp_ne_u32_e32 vcc, v87, v84
	s_and_saveexec_b64 s[0:1], vcc
	s_xor_b64 s[0:1], exec, s[0:1]
	s_cbranch_execz .LBB76_450
; %bb.445:
	v_cmp_eq_u32_e32 vcc, 26, v87
	s_and_saveexec_b64 s[2:3], vcc
	s_cbranch_execz .LBB76_449
; %bb.446:
	v_cmp_ne_u32_e32 vcc, 26, v84
	s_xor_b64 s[14:15], s[6:7], -1
	s_and_b64 s[16:17], s[14:15], vcc
	s_and_saveexec_b64 s[14:15], s[16:17]
	s_cbranch_execz .LBB76_448
; %bb.447:
	v_ashrrev_i32_e32 v85, 31, v84
	v_lshlrev_b64 v[92:93], 2, v[84:85]
	v_add_co_u32_e32 v92, vcc, v4, v92
	v_addc_co_u32_e32 v93, vcc, v5, v93, vcc
	flat_load_dword v85, v[92:93]
	flat_load_dword v87, v[4:5] offset:104
	s_waitcnt vmcnt(0) lgkmcnt(0)
	flat_store_dword v[4:5], v85 offset:104
	flat_store_dword v[92:93], v87
.LBB76_448:
	s_or_b64 exec, exec, s[14:15]
	v_mov_b32_e32 v85, v84
	v_mov_b32_e32 v87, v84
.LBB76_449:
	s_or_b64 exec, exec, s[2:3]
.LBB76_450:
	s_andn2_saveexec_b64 s[0:1], s[0:1]
	s_cbranch_execz .LBB76_452
; %bb.451:
	v_mov_b32_e32 v87, 26
	ds_write2_b64 v86, v[24:25], v[22:23] offset0:27 offset1:28
	ds_write2_b64 v86, v[18:19], v[20:21] offset0:29 offset1:30
	;; [unrolled: 1-line block ×6, first 2 shown]
.LBB76_452:
	s_or_b64 exec, exec, s[0:1]
	v_cmp_lt_i32_e32 vcc, 26, v87
	s_waitcnt lgkmcnt(0)
	s_barrier
	s_and_saveexec_b64 s[0:1], vcc
	s_cbranch_execz .LBB76_454
; %bb.453:
	ds_read2_b64 v[92:95], v86 offset0:27 offset1:28
	ds_read2_b64 v[96:99], v86 offset0:29 offset1:30
	;; [unrolled: 1-line block ×3, first 2 shown]
	v_mul_f64 v[26:27], v[82:83], v[26:27]
	s_waitcnt lgkmcnt(0)
	v_fma_f64 v[24:25], -v[26:27], v[92:93], v[24:25]
	v_fma_f64 v[22:23], -v[26:27], v[94:95], v[22:23]
	ds_read2_b64 v[92:95], v86 offset0:33 offset1:34
	v_fma_f64 v[18:19], -v[26:27], v[96:97], v[18:19]
	v_fma_f64 v[20:21], -v[26:27], v[98:99], v[20:21]
	;; [unrolled: 1-line block ×3, first 2 shown]
	ds_read2_b64 v[96:99], v86 offset0:35 offset1:36
	v_fma_f64 v[14:15], -v[26:27], v[102:103], v[14:15]
	ds_read2_b64 v[100:103], v86 offset0:37 offset1:38
	s_waitcnt lgkmcnt(0)
	v_fma_f64 v[12:13], -v[26:27], v[92:93], v[12:13]
	v_fma_f64 v[10:11], -v[26:27], v[94:95], v[10:11]
	;; [unrolled: 1-line block ×6, first 2 shown]
.LBB76_454:
	s_or_b64 exec, exec, s[0:1]
	v_lshl_add_u32 v82, v87, 3, v86
	s_barrier
	ds_write_b64 v82, v[24:25]
	s_waitcnt lgkmcnt(0)
	s_barrier
	ds_read_b64 v[82:83], v86 offset:216
	s_cmp_lt_i32 s18, 29
	v_mov_b32_e32 v84, 27
	s_cbranch_scc1 .LBB76_457
; %bb.455:
	v_add_u32_e32 v91, 0xe0, v86
	s_mov_b32 s0, 28
	v_mov_b32_e32 v84, 27
.LBB76_456:                             ; =>This Inner Loop Header: Depth=1
	ds_read_b64 v[92:93], v91
	v_mov_b32_e32 v94, s0
	s_add_i32 s0, s0, 1
	v_add_u32_e32 v91, 8, v91
	s_cmp_lg_u32 s18, s0
	s_waitcnt lgkmcnt(0)
	v_cmp_lt_f64_e64 vcc, |v[82:83]|, |v[92:93]|
	v_cndmask_b32_e32 v83, v83, v93, vcc
	v_cndmask_b32_e32 v82, v82, v92, vcc
	;; [unrolled: 1-line block ×3, first 2 shown]
	s_cbranch_scc1 .LBB76_456
.LBB76_457:
	s_waitcnt lgkmcnt(0)
	v_cmp_eq_f64_e32 vcc, 0, v[82:83]
	s_and_saveexec_b64 s[0:1], vcc
	s_xor_b64 s[0:1], exec, s[0:1]
; %bb.458:
	v_cmp_ne_u32_e32 vcc, 0, v90
	v_cndmask_b32_e32 v90, 28, v90, vcc
; %bb.459:
	s_andn2_saveexec_b64 s[0:1], s[0:1]
; %bb.460:
	v_div_scale_f64 v[92:93], s[2:3], v[82:83], v[82:83], 1.0
	v_rcp_f64_e32 v[94:95], v[92:93]
	v_div_scale_f64 v[96:97], vcc, 1.0, v[82:83], 1.0
	v_fma_f64 v[98:99], -v[92:93], v[94:95], 1.0
	v_fmac_f64_e32 v[94:95], v[94:95], v[98:99]
	v_fma_f64 v[98:99], -v[92:93], v[94:95], 1.0
	v_fmac_f64_e32 v[94:95], v[94:95], v[98:99]
	v_mul_f64 v[98:99], v[96:97], v[94:95]
	v_fma_f64 v[92:93], -v[92:93], v[98:99], v[96:97]
	v_div_fmas_f64 v[92:93], v[92:93], v[94:95], v[98:99]
	v_div_fixup_f64 v[82:83], v[92:93], v[82:83], 1.0
; %bb.461:
	s_or_b64 exec, exec, s[0:1]
	v_cmp_ne_u32_e32 vcc, v87, v84
	s_and_saveexec_b64 s[0:1], vcc
	s_xor_b64 s[0:1], exec, s[0:1]
	s_cbranch_execz .LBB76_467
; %bb.462:
	v_cmp_eq_u32_e32 vcc, 27, v87
	s_and_saveexec_b64 s[2:3], vcc
	s_cbranch_execz .LBB76_466
; %bb.463:
	v_cmp_ne_u32_e32 vcc, 27, v84
	s_xor_b64 s[14:15], s[6:7], -1
	s_and_b64 s[16:17], s[14:15], vcc
	s_and_saveexec_b64 s[14:15], s[16:17]
	s_cbranch_execz .LBB76_465
; %bb.464:
	v_ashrrev_i32_e32 v85, 31, v84
	v_lshlrev_b64 v[92:93], 2, v[84:85]
	v_add_co_u32_e32 v92, vcc, v4, v92
	v_addc_co_u32_e32 v93, vcc, v5, v93, vcc
	flat_load_dword v85, v[92:93]
	flat_load_dword v87, v[4:5] offset:108
	s_waitcnt vmcnt(0) lgkmcnt(0)
	flat_store_dword v[4:5], v85 offset:108
	flat_store_dword v[92:93], v87
.LBB76_465:
	s_or_b64 exec, exec, s[14:15]
	v_mov_b32_e32 v85, v84
	v_mov_b32_e32 v87, v84
.LBB76_466:
	s_or_b64 exec, exec, s[2:3]
.LBB76_467:
	s_andn2_saveexec_b64 s[0:1], s[0:1]
	s_cbranch_execz .LBB76_469
; %bb.468:
	v_mov_b32_e32 v92, v22
	v_mov_b32_e32 v93, v23
	v_mov_b32_e32 v94, v18
	v_mov_b32_e32 v95, v19
	ds_write2_b64 v86, v[92:93], v[94:95] offset0:28 offset1:29
	v_mov_b32_e32 v92, v20
	v_mov_b32_e32 v93, v21
	v_mov_b32_e32 v94, v16
	v_mov_b32_e32 v95, v17
	ds_write2_b64 v86, v[92:93], v[94:95] offset0:30 offset1:31
	;; [unrolled: 5-line block ×4, first 2 shown]
	v_mov_b32_e32 v92, v6
	v_mov_b32_e32 v93, v7
	;; [unrolled: 1-line block ×5, first 2 shown]
	ds_write2_b64 v86, v[92:93], v[94:95] offset0:36 offset1:37
	ds_write_b64 v86, v[80:81] offset:304
.LBB76_469:
	s_or_b64 exec, exec, s[0:1]
	v_cmp_lt_i32_e32 vcc, 27, v87
	s_waitcnt lgkmcnt(0)
	s_barrier
	s_and_saveexec_b64 s[0:1], vcc
	s_cbranch_execz .LBB76_471
; %bb.470:
	ds_read2_b64 v[92:95], v86 offset0:28 offset1:29
	ds_read2_b64 v[96:99], v86 offset0:30 offset1:31
	v_mul_f64 v[24:25], v[82:83], v[24:25]
	ds_read2_b64 v[100:103], v86 offset0:32 offset1:33
	ds_read_b64 v[82:83], v86 offset:304
	s_waitcnt lgkmcnt(0)
	v_fma_f64 v[22:23], -v[24:25], v[92:93], v[22:23]
	v_fma_f64 v[18:19], -v[24:25], v[94:95], v[18:19]
	ds_read2_b64 v[92:95], v86 offset0:34 offset1:35
	v_fma_f64 v[20:21], -v[24:25], v[96:97], v[20:21]
	v_fma_f64 v[16:17], -v[24:25], v[98:99], v[16:17]
	ds_read2_b64 v[96:99], v86 offset0:36 offset1:37
	v_fma_f64 v[14:15], -v[24:25], v[100:101], v[14:15]
	v_fma_f64 v[12:13], -v[24:25], v[102:103], v[12:13]
	s_waitcnt lgkmcnt(0)
	v_fma_f64 v[10:11], -v[24:25], v[92:93], v[10:11]
	v_fma_f64 v[8:9], -v[24:25], v[94:95], v[8:9]
	;; [unrolled: 1-line block ×5, first 2 shown]
.LBB76_471:
	s_or_b64 exec, exec, s[0:1]
	v_lshl_add_u32 v82, v87, 3, v86
	s_barrier
	ds_write_b64 v82, v[22:23]
	s_waitcnt lgkmcnt(0)
	s_barrier
	ds_read_b64 v[82:83], v86 offset:224
	s_cmp_lt_i32 s18, 30
	v_mov_b32_e32 v84, 28
	s_cbranch_scc1 .LBB76_474
; %bb.472:
	v_add_u32_e32 v91, 0xe8, v86
	s_mov_b32 s0, 29
	v_mov_b32_e32 v84, 28
.LBB76_473:                             ; =>This Inner Loop Header: Depth=1
	ds_read_b64 v[92:93], v91
	v_mov_b32_e32 v94, s0
	s_add_i32 s0, s0, 1
	v_add_u32_e32 v91, 8, v91
	s_cmp_lg_u32 s18, s0
	s_waitcnt lgkmcnt(0)
	v_cmp_lt_f64_e64 vcc, |v[82:83]|, |v[92:93]|
	v_cndmask_b32_e32 v83, v83, v93, vcc
	v_cndmask_b32_e32 v82, v82, v92, vcc
	;; [unrolled: 1-line block ×3, first 2 shown]
	s_cbranch_scc1 .LBB76_473
.LBB76_474:
	s_waitcnt lgkmcnt(0)
	v_cmp_eq_f64_e32 vcc, 0, v[82:83]
	s_and_saveexec_b64 s[0:1], vcc
	s_xor_b64 s[0:1], exec, s[0:1]
; %bb.475:
	v_cmp_ne_u32_e32 vcc, 0, v90
	v_cndmask_b32_e32 v90, 29, v90, vcc
; %bb.476:
	s_andn2_saveexec_b64 s[0:1], s[0:1]
; %bb.477:
	v_div_scale_f64 v[92:93], s[2:3], v[82:83], v[82:83], 1.0
	v_rcp_f64_e32 v[94:95], v[92:93]
	v_div_scale_f64 v[96:97], vcc, 1.0, v[82:83], 1.0
	v_fma_f64 v[98:99], -v[92:93], v[94:95], 1.0
	v_fmac_f64_e32 v[94:95], v[94:95], v[98:99]
	v_fma_f64 v[98:99], -v[92:93], v[94:95], 1.0
	v_fmac_f64_e32 v[94:95], v[94:95], v[98:99]
	v_mul_f64 v[98:99], v[96:97], v[94:95]
	v_fma_f64 v[92:93], -v[92:93], v[98:99], v[96:97]
	v_div_fmas_f64 v[92:93], v[92:93], v[94:95], v[98:99]
	v_div_fixup_f64 v[82:83], v[92:93], v[82:83], 1.0
; %bb.478:
	s_or_b64 exec, exec, s[0:1]
	v_cmp_ne_u32_e32 vcc, v87, v84
	s_and_saveexec_b64 s[0:1], vcc
	s_xor_b64 s[0:1], exec, s[0:1]
	s_cbranch_execz .LBB76_484
; %bb.479:
	v_cmp_eq_u32_e32 vcc, 28, v87
	s_and_saveexec_b64 s[2:3], vcc
	s_cbranch_execz .LBB76_483
; %bb.480:
	v_cmp_ne_u32_e32 vcc, 28, v84
	s_xor_b64 s[14:15], s[6:7], -1
	s_and_b64 s[16:17], s[14:15], vcc
	s_and_saveexec_b64 s[14:15], s[16:17]
	s_cbranch_execz .LBB76_482
; %bb.481:
	v_ashrrev_i32_e32 v85, 31, v84
	v_lshlrev_b64 v[92:93], 2, v[84:85]
	v_add_co_u32_e32 v92, vcc, v4, v92
	v_addc_co_u32_e32 v93, vcc, v5, v93, vcc
	flat_load_dword v85, v[92:93]
	flat_load_dword v87, v[4:5] offset:112
	s_waitcnt vmcnt(0) lgkmcnt(0)
	flat_store_dword v[4:5], v85 offset:112
	flat_store_dword v[92:93], v87
.LBB76_482:
	s_or_b64 exec, exec, s[14:15]
	v_mov_b32_e32 v85, v84
	v_mov_b32_e32 v87, v84
.LBB76_483:
	s_or_b64 exec, exec, s[2:3]
.LBB76_484:
	s_andn2_saveexec_b64 s[0:1], s[0:1]
	s_cbranch_execz .LBB76_486
; %bb.485:
	v_mov_b32_e32 v87, 28
	ds_write2_b64 v86, v[18:19], v[20:21] offset0:29 offset1:30
	ds_write2_b64 v86, v[16:17], v[14:15] offset0:31 offset1:32
	;; [unrolled: 1-line block ×5, first 2 shown]
.LBB76_486:
	s_or_b64 exec, exec, s[0:1]
	v_cmp_lt_i32_e32 vcc, 28, v87
	s_waitcnt lgkmcnt(0)
	s_barrier
	s_and_saveexec_b64 s[0:1], vcc
	s_cbranch_execz .LBB76_488
; %bb.487:
	ds_read2_b64 v[92:95], v86 offset0:29 offset1:30
	ds_read2_b64 v[96:99], v86 offset0:31 offset1:32
	v_mul_f64 v[22:23], v[82:83], v[22:23]
	ds_read2_b64 v[100:103], v86 offset0:35 offset1:36
	s_waitcnt lgkmcnt(0)
	v_fma_f64 v[18:19], -v[22:23], v[92:93], v[18:19]
	v_fma_f64 v[20:21], -v[22:23], v[94:95], v[20:21]
	ds_read2_b64 v[92:95], v86 offset0:33 offset1:34
	v_fma_f64 v[16:17], -v[22:23], v[96:97], v[16:17]
	v_fma_f64 v[14:15], -v[22:23], v[98:99], v[14:15]
	ds_read2_b64 v[96:99], v86 offset0:37 offset1:38
	v_fma_f64 v[8:9], -v[22:23], v[100:101], v[8:9]
	s_waitcnt lgkmcnt(0)
	v_fma_f64 v[12:13], -v[22:23], v[92:93], v[12:13]
	v_fma_f64 v[10:11], -v[22:23], v[94:95], v[10:11]
	;; [unrolled: 1-line block ×5, first 2 shown]
.LBB76_488:
	s_or_b64 exec, exec, s[0:1]
	v_lshl_add_u32 v82, v87, 3, v86
	s_barrier
	ds_write_b64 v82, v[18:19]
	s_waitcnt lgkmcnt(0)
	s_barrier
	ds_read_b64 v[82:83], v86 offset:232
	s_cmp_lt_i32 s18, 31
	v_mov_b32_e32 v84, 29
	s_cbranch_scc1 .LBB76_491
; %bb.489:
	v_add_u32_e32 v91, 0xf0, v86
	s_mov_b32 s0, 30
	v_mov_b32_e32 v84, 29
.LBB76_490:                             ; =>This Inner Loop Header: Depth=1
	ds_read_b64 v[92:93], v91
	v_mov_b32_e32 v94, s0
	s_add_i32 s0, s0, 1
	v_add_u32_e32 v91, 8, v91
	s_cmp_lg_u32 s18, s0
	s_waitcnt lgkmcnt(0)
	v_cmp_lt_f64_e64 vcc, |v[82:83]|, |v[92:93]|
	v_cndmask_b32_e32 v83, v83, v93, vcc
	v_cndmask_b32_e32 v82, v82, v92, vcc
	;; [unrolled: 1-line block ×3, first 2 shown]
	s_cbranch_scc1 .LBB76_490
.LBB76_491:
	s_waitcnt lgkmcnt(0)
	v_cmp_eq_f64_e32 vcc, 0, v[82:83]
	s_and_saveexec_b64 s[0:1], vcc
	s_xor_b64 s[0:1], exec, s[0:1]
; %bb.492:
	v_cmp_ne_u32_e32 vcc, 0, v90
	v_cndmask_b32_e32 v90, 30, v90, vcc
; %bb.493:
	s_andn2_saveexec_b64 s[0:1], s[0:1]
; %bb.494:
	v_div_scale_f64 v[92:93], s[2:3], v[82:83], v[82:83], 1.0
	v_rcp_f64_e32 v[94:95], v[92:93]
	v_div_scale_f64 v[96:97], vcc, 1.0, v[82:83], 1.0
	v_fma_f64 v[98:99], -v[92:93], v[94:95], 1.0
	v_fmac_f64_e32 v[94:95], v[94:95], v[98:99]
	v_fma_f64 v[98:99], -v[92:93], v[94:95], 1.0
	v_fmac_f64_e32 v[94:95], v[94:95], v[98:99]
	v_mul_f64 v[98:99], v[96:97], v[94:95]
	v_fma_f64 v[92:93], -v[92:93], v[98:99], v[96:97]
	v_div_fmas_f64 v[92:93], v[92:93], v[94:95], v[98:99]
	v_div_fixup_f64 v[82:83], v[92:93], v[82:83], 1.0
; %bb.495:
	s_or_b64 exec, exec, s[0:1]
	v_cmp_ne_u32_e32 vcc, v87, v84
	s_and_saveexec_b64 s[0:1], vcc
	s_xor_b64 s[0:1], exec, s[0:1]
	s_cbranch_execz .LBB76_501
; %bb.496:
	v_cmp_eq_u32_e32 vcc, 29, v87
	s_and_saveexec_b64 s[2:3], vcc
	s_cbranch_execz .LBB76_500
; %bb.497:
	v_cmp_ne_u32_e32 vcc, 29, v84
	s_xor_b64 s[14:15], s[6:7], -1
	s_and_b64 s[16:17], s[14:15], vcc
	s_and_saveexec_b64 s[14:15], s[16:17]
	s_cbranch_execz .LBB76_499
; %bb.498:
	v_ashrrev_i32_e32 v85, 31, v84
	v_lshlrev_b64 v[92:93], 2, v[84:85]
	v_add_co_u32_e32 v92, vcc, v4, v92
	v_addc_co_u32_e32 v93, vcc, v5, v93, vcc
	flat_load_dword v85, v[92:93]
	flat_load_dword v87, v[4:5] offset:116
	s_waitcnt vmcnt(0) lgkmcnt(0)
	flat_store_dword v[4:5], v85 offset:116
	flat_store_dword v[92:93], v87
.LBB76_499:
	s_or_b64 exec, exec, s[14:15]
	v_mov_b32_e32 v85, v84
	v_mov_b32_e32 v87, v84
.LBB76_500:
	s_or_b64 exec, exec, s[2:3]
.LBB76_501:
	s_andn2_saveexec_b64 s[0:1], s[0:1]
	s_cbranch_execz .LBB76_503
; %bb.502:
	v_mov_b32_e32 v92, v20
	v_mov_b32_e32 v93, v21
	v_mov_b32_e32 v94, v16
	v_mov_b32_e32 v95, v17
	ds_write2_b64 v86, v[92:93], v[94:95] offset0:30 offset1:31
	v_mov_b32_e32 v92, v14
	v_mov_b32_e32 v93, v15
	v_mov_b32_e32 v94, v12
	v_mov_b32_e32 v95, v13
	ds_write2_b64 v86, v[92:93], v[94:95] offset0:32 offset1:33
	;; [unrolled: 5-line block ×3, first 2 shown]
	v_mov_b32_e32 v92, v6
	v_mov_b32_e32 v93, v7
	;; [unrolled: 1-line block ×5, first 2 shown]
	ds_write2_b64 v86, v[92:93], v[94:95] offset0:36 offset1:37
	ds_write_b64 v86, v[80:81] offset:304
.LBB76_503:
	s_or_b64 exec, exec, s[0:1]
	v_cmp_lt_i32_e32 vcc, 29, v87
	s_waitcnt lgkmcnt(0)
	s_barrier
	s_and_saveexec_b64 s[0:1], vcc
	s_cbranch_execz .LBB76_505
; %bb.504:
	ds_read2_b64 v[92:95], v86 offset0:30 offset1:31
	ds_read2_b64 v[96:99], v86 offset0:32 offset1:33
	v_mul_f64 v[18:19], v[82:83], v[18:19]
	ds_read_b64 v[82:83], v86 offset:304
	ds_read2_b64 v[100:103], v86 offset0:36 offset1:37
	s_waitcnt lgkmcnt(0)
	v_fma_f64 v[20:21], -v[18:19], v[92:93], v[20:21]
	v_fma_f64 v[16:17], -v[18:19], v[94:95], v[16:17]
	ds_read2_b64 v[92:95], v86 offset0:34 offset1:35
	v_fma_f64 v[14:15], -v[18:19], v[96:97], v[14:15]
	v_fma_f64 v[12:13], -v[18:19], v[98:99], v[12:13]
	;; [unrolled: 1-line block ×4, first 2 shown]
	s_waitcnt lgkmcnt(0)
	v_fma_f64 v[10:11], -v[18:19], v[92:93], v[10:11]
	v_fma_f64 v[8:9], -v[18:19], v[94:95], v[8:9]
	;; [unrolled: 1-line block ×3, first 2 shown]
.LBB76_505:
	s_or_b64 exec, exec, s[0:1]
	v_lshl_add_u32 v82, v87, 3, v86
	s_barrier
	ds_write_b64 v82, v[20:21]
	s_waitcnt lgkmcnt(0)
	s_barrier
	ds_read_b64 v[82:83], v86 offset:240
	s_cmp_lt_i32 s18, 32
	v_mov_b32_e32 v84, 30
	s_cbranch_scc1 .LBB76_508
; %bb.506:
	v_add_u32_e32 v91, 0xf8, v86
	s_mov_b32 s0, 31
	v_mov_b32_e32 v84, 30
.LBB76_507:                             ; =>This Inner Loop Header: Depth=1
	ds_read_b64 v[92:93], v91
	v_mov_b32_e32 v94, s0
	s_add_i32 s0, s0, 1
	v_add_u32_e32 v91, 8, v91
	s_cmp_lg_u32 s18, s0
	s_waitcnt lgkmcnt(0)
	v_cmp_lt_f64_e64 vcc, |v[82:83]|, |v[92:93]|
	v_cndmask_b32_e32 v83, v83, v93, vcc
	v_cndmask_b32_e32 v82, v82, v92, vcc
	;; [unrolled: 1-line block ×3, first 2 shown]
	s_cbranch_scc1 .LBB76_507
.LBB76_508:
	s_waitcnt lgkmcnt(0)
	v_cmp_eq_f64_e32 vcc, 0, v[82:83]
	s_and_saveexec_b64 s[0:1], vcc
	s_xor_b64 s[0:1], exec, s[0:1]
; %bb.509:
	v_cmp_ne_u32_e32 vcc, 0, v90
	v_cndmask_b32_e32 v90, 31, v90, vcc
; %bb.510:
	s_andn2_saveexec_b64 s[0:1], s[0:1]
; %bb.511:
	v_div_scale_f64 v[92:93], s[2:3], v[82:83], v[82:83], 1.0
	v_rcp_f64_e32 v[94:95], v[92:93]
	v_div_scale_f64 v[96:97], vcc, 1.0, v[82:83], 1.0
	v_fma_f64 v[98:99], -v[92:93], v[94:95], 1.0
	v_fmac_f64_e32 v[94:95], v[94:95], v[98:99]
	v_fma_f64 v[98:99], -v[92:93], v[94:95], 1.0
	v_fmac_f64_e32 v[94:95], v[94:95], v[98:99]
	v_mul_f64 v[98:99], v[96:97], v[94:95]
	v_fma_f64 v[92:93], -v[92:93], v[98:99], v[96:97]
	v_div_fmas_f64 v[92:93], v[92:93], v[94:95], v[98:99]
	v_div_fixup_f64 v[82:83], v[92:93], v[82:83], 1.0
; %bb.512:
	s_or_b64 exec, exec, s[0:1]
	v_cmp_ne_u32_e32 vcc, v87, v84
	s_and_saveexec_b64 s[0:1], vcc
	s_xor_b64 s[0:1], exec, s[0:1]
	s_cbranch_execz .LBB76_518
; %bb.513:
	v_cmp_eq_u32_e32 vcc, 30, v87
	s_and_saveexec_b64 s[2:3], vcc
	s_cbranch_execz .LBB76_517
; %bb.514:
	v_cmp_ne_u32_e32 vcc, 30, v84
	s_xor_b64 s[14:15], s[6:7], -1
	s_and_b64 s[16:17], s[14:15], vcc
	s_and_saveexec_b64 s[14:15], s[16:17]
	s_cbranch_execz .LBB76_516
; %bb.515:
	v_ashrrev_i32_e32 v85, 31, v84
	v_lshlrev_b64 v[92:93], 2, v[84:85]
	v_add_co_u32_e32 v92, vcc, v4, v92
	v_addc_co_u32_e32 v93, vcc, v5, v93, vcc
	flat_load_dword v85, v[92:93]
	flat_load_dword v87, v[4:5] offset:120
	s_waitcnt vmcnt(0) lgkmcnt(0)
	flat_store_dword v[4:5], v85 offset:120
	flat_store_dword v[92:93], v87
.LBB76_516:
	s_or_b64 exec, exec, s[14:15]
	v_mov_b32_e32 v85, v84
	v_mov_b32_e32 v87, v84
.LBB76_517:
	s_or_b64 exec, exec, s[2:3]
.LBB76_518:
	s_andn2_saveexec_b64 s[0:1], s[0:1]
	s_cbranch_execz .LBB76_520
; %bb.519:
	v_mov_b32_e32 v87, 30
	ds_write2_b64 v86, v[16:17], v[14:15] offset0:31 offset1:32
	ds_write2_b64 v86, v[12:13], v[10:11] offset0:33 offset1:34
	;; [unrolled: 1-line block ×4, first 2 shown]
.LBB76_520:
	s_or_b64 exec, exec, s[0:1]
	v_cmp_lt_i32_e32 vcc, 30, v87
	s_waitcnt lgkmcnt(0)
	s_barrier
	s_and_saveexec_b64 s[0:1], vcc
	s_cbranch_execz .LBB76_522
; %bb.521:
	ds_read2_b64 v[92:95], v86 offset0:31 offset1:32
	ds_read2_b64 v[96:99], v86 offset0:33 offset1:34
	v_mul_f64 v[20:21], v[82:83], v[20:21]
	ds_read2_b64 v[100:103], v86 offset0:35 offset1:36
	s_waitcnt lgkmcnt(0)
	v_fma_f64 v[16:17], -v[20:21], v[92:93], v[16:17]
	v_fma_f64 v[14:15], -v[20:21], v[94:95], v[14:15]
	ds_read2_b64 v[92:95], v86 offset0:37 offset1:38
	v_fma_f64 v[12:13], -v[20:21], v[96:97], v[12:13]
	v_fma_f64 v[10:11], -v[20:21], v[98:99], v[10:11]
	;; [unrolled: 1-line block ×4, first 2 shown]
	s_waitcnt lgkmcnt(0)
	v_fma_f64 v[0:1], -v[20:21], v[92:93], v[0:1]
	v_fma_f64 v[80:81], -v[20:21], v[94:95], v[80:81]
.LBB76_522:
	s_or_b64 exec, exec, s[0:1]
	v_lshl_add_u32 v82, v87, 3, v86
	s_barrier
	ds_write_b64 v82, v[16:17]
	s_waitcnt lgkmcnt(0)
	s_barrier
	ds_read_b64 v[82:83], v86 offset:248
	s_cmp_lt_i32 s18, 33
	v_mov_b32_e32 v84, 31
	s_cbranch_scc1 .LBB76_525
; %bb.523:
	v_add_u32_e32 v91, 0x100, v86
	s_mov_b32 s0, 32
	v_mov_b32_e32 v84, 31
.LBB76_524:                             ; =>This Inner Loop Header: Depth=1
	ds_read_b64 v[92:93], v91
	v_mov_b32_e32 v94, s0
	s_add_i32 s0, s0, 1
	v_add_u32_e32 v91, 8, v91
	s_cmp_lg_u32 s18, s0
	s_waitcnt lgkmcnt(0)
	v_cmp_lt_f64_e64 vcc, |v[82:83]|, |v[92:93]|
	v_cndmask_b32_e32 v83, v83, v93, vcc
	v_cndmask_b32_e32 v82, v82, v92, vcc
	;; [unrolled: 1-line block ×3, first 2 shown]
	s_cbranch_scc1 .LBB76_524
.LBB76_525:
	s_waitcnt lgkmcnt(0)
	v_cmp_eq_f64_e32 vcc, 0, v[82:83]
	s_and_saveexec_b64 s[0:1], vcc
	s_xor_b64 s[0:1], exec, s[0:1]
; %bb.526:
	v_cmp_ne_u32_e32 vcc, 0, v90
	v_cndmask_b32_e32 v90, 32, v90, vcc
; %bb.527:
	s_andn2_saveexec_b64 s[0:1], s[0:1]
; %bb.528:
	v_div_scale_f64 v[92:93], s[2:3], v[82:83], v[82:83], 1.0
	v_rcp_f64_e32 v[94:95], v[92:93]
	v_div_scale_f64 v[96:97], vcc, 1.0, v[82:83], 1.0
	v_fma_f64 v[98:99], -v[92:93], v[94:95], 1.0
	v_fmac_f64_e32 v[94:95], v[94:95], v[98:99]
	v_fma_f64 v[98:99], -v[92:93], v[94:95], 1.0
	v_fmac_f64_e32 v[94:95], v[94:95], v[98:99]
	v_mul_f64 v[98:99], v[96:97], v[94:95]
	v_fma_f64 v[92:93], -v[92:93], v[98:99], v[96:97]
	v_div_fmas_f64 v[92:93], v[92:93], v[94:95], v[98:99]
	v_div_fixup_f64 v[82:83], v[92:93], v[82:83], 1.0
; %bb.529:
	s_or_b64 exec, exec, s[0:1]
	v_cmp_ne_u32_e32 vcc, v87, v84
	s_and_saveexec_b64 s[0:1], vcc
	s_xor_b64 s[0:1], exec, s[0:1]
	s_cbranch_execz .LBB76_535
; %bb.530:
	v_cmp_eq_u32_e32 vcc, 31, v87
	s_and_saveexec_b64 s[2:3], vcc
	s_cbranch_execz .LBB76_534
; %bb.531:
	v_cmp_ne_u32_e32 vcc, 31, v84
	s_xor_b64 s[14:15], s[6:7], -1
	s_and_b64 s[16:17], s[14:15], vcc
	s_and_saveexec_b64 s[14:15], s[16:17]
	s_cbranch_execz .LBB76_533
; %bb.532:
	v_ashrrev_i32_e32 v85, 31, v84
	v_lshlrev_b64 v[92:93], 2, v[84:85]
	v_add_co_u32_e32 v92, vcc, v4, v92
	v_addc_co_u32_e32 v93, vcc, v5, v93, vcc
	flat_load_dword v85, v[92:93]
	flat_load_dword v87, v[4:5] offset:124
	s_waitcnt vmcnt(0) lgkmcnt(0)
	flat_store_dword v[4:5], v85 offset:124
	flat_store_dword v[92:93], v87
.LBB76_533:
	s_or_b64 exec, exec, s[14:15]
	v_mov_b32_e32 v85, v84
	v_mov_b32_e32 v87, v84
.LBB76_534:
	s_or_b64 exec, exec, s[2:3]
.LBB76_535:
	s_andn2_saveexec_b64 s[0:1], s[0:1]
	s_cbranch_execz .LBB76_537
; %bb.536:
	v_mov_b32_e32 v92, v14
	v_mov_b32_e32 v93, v15
	;; [unrolled: 1-line block ×4, first 2 shown]
	ds_write2_b64 v86, v[92:93], v[94:95] offset0:32 offset1:33
	v_mov_b32_e32 v92, v10
	v_mov_b32_e32 v93, v11
	;; [unrolled: 1-line block ×4, first 2 shown]
	ds_write2_b64 v86, v[92:93], v[94:95] offset0:34 offset1:35
	v_mov_b32_e32 v92, v6
	v_mov_b32_e32 v93, v7
	;; [unrolled: 1-line block ×5, first 2 shown]
	ds_write2_b64 v86, v[92:93], v[94:95] offset0:36 offset1:37
	ds_write_b64 v86, v[80:81] offset:304
.LBB76_537:
	s_or_b64 exec, exec, s[0:1]
	v_cmp_lt_i32_e32 vcc, 31, v87
	s_waitcnt lgkmcnt(0)
	s_barrier
	s_and_saveexec_b64 s[0:1], vcc
	s_cbranch_execz .LBB76_539
; %bb.538:
	ds_read2_b64 v[92:95], v86 offset0:32 offset1:33
	ds_read2_b64 v[96:99], v86 offset0:34 offset1:35
	v_mul_f64 v[16:17], v[82:83], v[16:17]
	ds_read2_b64 v[100:103], v86 offset0:36 offset1:37
	ds_read_b64 v[82:83], v86 offset:304
	s_waitcnt lgkmcnt(0)
	v_fma_f64 v[14:15], -v[16:17], v[92:93], v[14:15]
	v_fma_f64 v[12:13], -v[16:17], v[94:95], v[12:13]
	;; [unrolled: 1-line block ×7, first 2 shown]
.LBB76_539:
	s_or_b64 exec, exec, s[0:1]
	v_lshl_add_u32 v82, v87, 3, v86
	s_barrier
	ds_write_b64 v82, v[14:15]
	s_waitcnt lgkmcnt(0)
	s_barrier
	ds_read_b64 v[82:83], v86 offset:256
	s_cmp_lt_i32 s18, 34
	v_mov_b32_e32 v84, 32
	s_cbranch_scc1 .LBB76_542
; %bb.540:
	v_add_u32_e32 v91, 0x108, v86
	s_mov_b32 s0, 33
	v_mov_b32_e32 v84, 32
.LBB76_541:                             ; =>This Inner Loop Header: Depth=1
	ds_read_b64 v[92:93], v91
	v_mov_b32_e32 v94, s0
	s_add_i32 s0, s0, 1
	v_add_u32_e32 v91, 8, v91
	s_cmp_lg_u32 s18, s0
	s_waitcnt lgkmcnt(0)
	v_cmp_lt_f64_e64 vcc, |v[82:83]|, |v[92:93]|
	v_cndmask_b32_e32 v83, v83, v93, vcc
	v_cndmask_b32_e32 v82, v82, v92, vcc
	;; [unrolled: 1-line block ×3, first 2 shown]
	s_cbranch_scc1 .LBB76_541
.LBB76_542:
	s_waitcnt lgkmcnt(0)
	v_cmp_eq_f64_e32 vcc, 0, v[82:83]
	s_and_saveexec_b64 s[0:1], vcc
	s_xor_b64 s[0:1], exec, s[0:1]
; %bb.543:
	v_cmp_ne_u32_e32 vcc, 0, v90
	v_cndmask_b32_e32 v90, 33, v90, vcc
; %bb.544:
	s_andn2_saveexec_b64 s[0:1], s[0:1]
; %bb.545:
	v_div_scale_f64 v[92:93], s[2:3], v[82:83], v[82:83], 1.0
	v_rcp_f64_e32 v[94:95], v[92:93]
	v_div_scale_f64 v[96:97], vcc, 1.0, v[82:83], 1.0
	v_fma_f64 v[98:99], -v[92:93], v[94:95], 1.0
	v_fmac_f64_e32 v[94:95], v[94:95], v[98:99]
	v_fma_f64 v[98:99], -v[92:93], v[94:95], 1.0
	v_fmac_f64_e32 v[94:95], v[94:95], v[98:99]
	v_mul_f64 v[98:99], v[96:97], v[94:95]
	v_fma_f64 v[92:93], -v[92:93], v[98:99], v[96:97]
	v_div_fmas_f64 v[92:93], v[92:93], v[94:95], v[98:99]
	v_div_fixup_f64 v[82:83], v[92:93], v[82:83], 1.0
; %bb.546:
	s_or_b64 exec, exec, s[0:1]
	v_cmp_ne_u32_e32 vcc, v87, v84
	s_and_saveexec_b64 s[0:1], vcc
	s_xor_b64 s[0:1], exec, s[0:1]
	s_cbranch_execz .LBB76_552
; %bb.547:
	v_cmp_eq_u32_e32 vcc, 32, v87
	s_and_saveexec_b64 s[2:3], vcc
	s_cbranch_execz .LBB76_551
; %bb.548:
	v_cmp_ne_u32_e32 vcc, 32, v84
	s_xor_b64 s[14:15], s[6:7], -1
	s_and_b64 s[16:17], s[14:15], vcc
	s_and_saveexec_b64 s[14:15], s[16:17]
	s_cbranch_execz .LBB76_550
; %bb.549:
	v_ashrrev_i32_e32 v85, 31, v84
	v_lshlrev_b64 v[92:93], 2, v[84:85]
	v_add_co_u32_e32 v92, vcc, v4, v92
	v_addc_co_u32_e32 v93, vcc, v5, v93, vcc
	flat_load_dword v85, v[92:93]
	flat_load_dword v87, v[4:5] offset:128
	s_waitcnt vmcnt(0) lgkmcnt(0)
	flat_store_dword v[4:5], v85 offset:128
	flat_store_dword v[92:93], v87
.LBB76_550:
	s_or_b64 exec, exec, s[14:15]
	v_mov_b32_e32 v85, v84
	v_mov_b32_e32 v87, v84
.LBB76_551:
	s_or_b64 exec, exec, s[2:3]
.LBB76_552:
	s_andn2_saveexec_b64 s[0:1], s[0:1]
	s_cbranch_execz .LBB76_554
; %bb.553:
	v_mov_b32_e32 v87, 32
	ds_write2_b64 v86, v[12:13], v[10:11] offset0:33 offset1:34
	ds_write2_b64 v86, v[8:9], v[6:7] offset0:35 offset1:36
	ds_write2_b64 v86, v[0:1], v[80:81] offset0:37 offset1:38
.LBB76_554:
	s_or_b64 exec, exec, s[0:1]
	v_cmp_lt_i32_e32 vcc, 32, v87
	s_waitcnt lgkmcnt(0)
	s_barrier
	s_and_saveexec_b64 s[0:1], vcc
	s_cbranch_execz .LBB76_556
; %bb.555:
	ds_read2_b64 v[92:95], v86 offset0:33 offset1:34
	ds_read2_b64 v[96:99], v86 offset0:35 offset1:36
	;; [unrolled: 1-line block ×3, first 2 shown]
	v_mul_f64 v[14:15], v[82:83], v[14:15]
	s_waitcnt lgkmcnt(0)
	v_fma_f64 v[12:13], -v[14:15], v[92:93], v[12:13]
	v_fma_f64 v[10:11], -v[14:15], v[94:95], v[10:11]
	;; [unrolled: 1-line block ×6, first 2 shown]
.LBB76_556:
	s_or_b64 exec, exec, s[0:1]
	v_lshl_add_u32 v82, v87, 3, v86
	s_barrier
	ds_write_b64 v82, v[12:13]
	s_waitcnt lgkmcnt(0)
	s_barrier
	ds_read_b64 v[82:83], v86 offset:264
	s_cmp_lt_i32 s18, 35
	v_mov_b32_e32 v84, 33
	s_cbranch_scc1 .LBB76_559
; %bb.557:
	v_add_u32_e32 v91, 0x110, v86
	s_mov_b32 s0, 34
	v_mov_b32_e32 v84, 33
.LBB76_558:                             ; =>This Inner Loop Header: Depth=1
	ds_read_b64 v[92:93], v91
	v_mov_b32_e32 v94, s0
	s_add_i32 s0, s0, 1
	v_add_u32_e32 v91, 8, v91
	s_cmp_lg_u32 s18, s0
	s_waitcnt lgkmcnt(0)
	v_cmp_lt_f64_e64 vcc, |v[82:83]|, |v[92:93]|
	v_cndmask_b32_e32 v83, v83, v93, vcc
	v_cndmask_b32_e32 v82, v82, v92, vcc
	;; [unrolled: 1-line block ×3, first 2 shown]
	s_cbranch_scc1 .LBB76_558
.LBB76_559:
	s_waitcnt lgkmcnt(0)
	v_cmp_eq_f64_e32 vcc, 0, v[82:83]
	s_and_saveexec_b64 s[0:1], vcc
	s_xor_b64 s[0:1], exec, s[0:1]
; %bb.560:
	v_cmp_ne_u32_e32 vcc, 0, v90
	v_cndmask_b32_e32 v90, 34, v90, vcc
; %bb.561:
	s_andn2_saveexec_b64 s[0:1], s[0:1]
; %bb.562:
	v_div_scale_f64 v[92:93], s[2:3], v[82:83], v[82:83], 1.0
	v_rcp_f64_e32 v[94:95], v[92:93]
	v_div_scale_f64 v[96:97], vcc, 1.0, v[82:83], 1.0
	v_fma_f64 v[98:99], -v[92:93], v[94:95], 1.0
	v_fmac_f64_e32 v[94:95], v[94:95], v[98:99]
	v_fma_f64 v[98:99], -v[92:93], v[94:95], 1.0
	v_fmac_f64_e32 v[94:95], v[94:95], v[98:99]
	v_mul_f64 v[98:99], v[96:97], v[94:95]
	v_fma_f64 v[92:93], -v[92:93], v[98:99], v[96:97]
	v_div_fmas_f64 v[92:93], v[92:93], v[94:95], v[98:99]
	v_div_fixup_f64 v[82:83], v[92:93], v[82:83], 1.0
; %bb.563:
	s_or_b64 exec, exec, s[0:1]
	v_cmp_ne_u32_e32 vcc, v87, v84
	s_and_saveexec_b64 s[0:1], vcc
	s_xor_b64 s[0:1], exec, s[0:1]
	s_cbranch_execz .LBB76_569
; %bb.564:
	v_cmp_eq_u32_e32 vcc, 33, v87
	s_and_saveexec_b64 s[2:3], vcc
	s_cbranch_execz .LBB76_568
; %bb.565:
	v_cmp_ne_u32_e32 vcc, 33, v84
	s_xor_b64 s[14:15], s[6:7], -1
	s_and_b64 s[16:17], s[14:15], vcc
	s_and_saveexec_b64 s[14:15], s[16:17]
	s_cbranch_execz .LBB76_567
; %bb.566:
	v_ashrrev_i32_e32 v85, 31, v84
	v_lshlrev_b64 v[92:93], 2, v[84:85]
	v_add_co_u32_e32 v92, vcc, v4, v92
	v_addc_co_u32_e32 v93, vcc, v5, v93, vcc
	flat_load_dword v85, v[92:93]
	flat_load_dword v87, v[4:5] offset:132
	s_waitcnt vmcnt(0) lgkmcnt(0)
	flat_store_dword v[4:5], v85 offset:132
	flat_store_dword v[92:93], v87
.LBB76_567:
	s_or_b64 exec, exec, s[14:15]
	v_mov_b32_e32 v85, v84
	v_mov_b32_e32 v87, v84
.LBB76_568:
	s_or_b64 exec, exec, s[2:3]
.LBB76_569:
	s_andn2_saveexec_b64 s[0:1], s[0:1]
	s_cbranch_execz .LBB76_571
; %bb.570:
	v_mov_b32_e32 v92, v10
	v_mov_b32_e32 v93, v11
	;; [unrolled: 1-line block ×4, first 2 shown]
	ds_write2_b64 v86, v[92:93], v[94:95] offset0:34 offset1:35
	v_mov_b32_e32 v92, v6
	v_mov_b32_e32 v93, v7
	;; [unrolled: 1-line block ×5, first 2 shown]
	ds_write2_b64 v86, v[92:93], v[94:95] offset0:36 offset1:37
	ds_write_b64 v86, v[80:81] offset:304
.LBB76_571:
	s_or_b64 exec, exec, s[0:1]
	v_cmp_lt_i32_e32 vcc, 33, v87
	s_waitcnt lgkmcnt(0)
	s_barrier
	s_and_saveexec_b64 s[0:1], vcc
	s_cbranch_execz .LBB76_573
; %bb.572:
	ds_read2_b64 v[92:95], v86 offset0:34 offset1:35
	ds_read2_b64 v[96:99], v86 offset0:36 offset1:37
	v_mul_f64 v[12:13], v[82:83], v[12:13]
	ds_read_b64 v[82:83], v86 offset:304
	s_waitcnt lgkmcnt(0)
	v_fma_f64 v[10:11], -v[12:13], v[92:93], v[10:11]
	v_fma_f64 v[8:9], -v[12:13], v[94:95], v[8:9]
	;; [unrolled: 1-line block ×5, first 2 shown]
.LBB76_573:
	s_or_b64 exec, exec, s[0:1]
	v_lshl_add_u32 v82, v87, 3, v86
	s_barrier
	ds_write_b64 v82, v[10:11]
	s_waitcnt lgkmcnt(0)
	s_barrier
	ds_read_b64 v[82:83], v86 offset:272
	s_cmp_lt_i32 s18, 36
	v_mov_b32_e32 v84, 34
	s_cbranch_scc1 .LBB76_576
; %bb.574:
	v_add_u32_e32 v91, 0x118, v86
	s_mov_b32 s0, 35
	v_mov_b32_e32 v84, 34
.LBB76_575:                             ; =>This Inner Loop Header: Depth=1
	ds_read_b64 v[92:93], v91
	v_mov_b32_e32 v94, s0
	s_add_i32 s0, s0, 1
	v_add_u32_e32 v91, 8, v91
	s_cmp_lg_u32 s18, s0
	s_waitcnt lgkmcnt(0)
	v_cmp_lt_f64_e64 vcc, |v[82:83]|, |v[92:93]|
	v_cndmask_b32_e32 v83, v83, v93, vcc
	v_cndmask_b32_e32 v82, v82, v92, vcc
	;; [unrolled: 1-line block ×3, first 2 shown]
	s_cbranch_scc1 .LBB76_575
.LBB76_576:
	s_waitcnt lgkmcnt(0)
	v_cmp_eq_f64_e32 vcc, 0, v[82:83]
	s_and_saveexec_b64 s[0:1], vcc
	s_xor_b64 s[0:1], exec, s[0:1]
; %bb.577:
	v_cmp_ne_u32_e32 vcc, 0, v90
	v_cndmask_b32_e32 v90, 35, v90, vcc
; %bb.578:
	s_andn2_saveexec_b64 s[0:1], s[0:1]
; %bb.579:
	v_div_scale_f64 v[92:93], s[2:3], v[82:83], v[82:83], 1.0
	v_rcp_f64_e32 v[94:95], v[92:93]
	v_div_scale_f64 v[96:97], vcc, 1.0, v[82:83], 1.0
	v_fma_f64 v[98:99], -v[92:93], v[94:95], 1.0
	v_fmac_f64_e32 v[94:95], v[94:95], v[98:99]
	v_fma_f64 v[98:99], -v[92:93], v[94:95], 1.0
	v_fmac_f64_e32 v[94:95], v[94:95], v[98:99]
	v_mul_f64 v[98:99], v[96:97], v[94:95]
	v_fma_f64 v[92:93], -v[92:93], v[98:99], v[96:97]
	v_div_fmas_f64 v[92:93], v[92:93], v[94:95], v[98:99]
	v_div_fixup_f64 v[82:83], v[92:93], v[82:83], 1.0
; %bb.580:
	s_or_b64 exec, exec, s[0:1]
	v_cmp_ne_u32_e32 vcc, v87, v84
	s_and_saveexec_b64 s[0:1], vcc
	s_xor_b64 s[0:1], exec, s[0:1]
	s_cbranch_execz .LBB76_586
; %bb.581:
	v_cmp_eq_u32_e32 vcc, 34, v87
	s_and_saveexec_b64 s[2:3], vcc
	s_cbranch_execz .LBB76_585
; %bb.582:
	v_cmp_ne_u32_e32 vcc, 34, v84
	s_xor_b64 s[14:15], s[6:7], -1
	s_and_b64 s[16:17], s[14:15], vcc
	s_and_saveexec_b64 s[14:15], s[16:17]
	s_cbranch_execz .LBB76_584
; %bb.583:
	v_ashrrev_i32_e32 v85, 31, v84
	v_lshlrev_b64 v[92:93], 2, v[84:85]
	v_add_co_u32_e32 v92, vcc, v4, v92
	v_addc_co_u32_e32 v93, vcc, v5, v93, vcc
	flat_load_dword v85, v[92:93]
	flat_load_dword v87, v[4:5] offset:136
	s_waitcnt vmcnt(0) lgkmcnt(0)
	flat_store_dword v[4:5], v85 offset:136
	flat_store_dword v[92:93], v87
.LBB76_584:
	s_or_b64 exec, exec, s[14:15]
	v_mov_b32_e32 v85, v84
	v_mov_b32_e32 v87, v84
.LBB76_585:
	s_or_b64 exec, exec, s[2:3]
.LBB76_586:
	s_andn2_saveexec_b64 s[0:1], s[0:1]
	s_cbranch_execz .LBB76_588
; %bb.587:
	v_mov_b32_e32 v87, 34
	ds_write2_b64 v86, v[8:9], v[6:7] offset0:35 offset1:36
	ds_write2_b64 v86, v[0:1], v[80:81] offset0:37 offset1:38
.LBB76_588:
	s_or_b64 exec, exec, s[0:1]
	v_cmp_lt_i32_e32 vcc, 34, v87
	s_waitcnt lgkmcnt(0)
	s_barrier
	s_and_saveexec_b64 s[0:1], vcc
	s_cbranch_execz .LBB76_590
; %bb.589:
	ds_read2_b64 v[92:95], v86 offset0:35 offset1:36
	ds_read2_b64 v[96:99], v86 offset0:37 offset1:38
	v_mul_f64 v[10:11], v[82:83], v[10:11]
	s_waitcnt lgkmcnt(0)
	v_fma_f64 v[8:9], -v[10:11], v[92:93], v[8:9]
	v_fma_f64 v[6:7], -v[10:11], v[94:95], v[6:7]
	;; [unrolled: 1-line block ×4, first 2 shown]
.LBB76_590:
	s_or_b64 exec, exec, s[0:1]
	v_lshl_add_u32 v82, v87, 3, v86
	s_barrier
	ds_write_b64 v82, v[8:9]
	s_waitcnt lgkmcnt(0)
	s_barrier
	ds_read_b64 v[82:83], v86 offset:280
	s_cmp_lt_i32 s18, 37
	v_mov_b32_e32 v84, 35
	s_cbranch_scc1 .LBB76_593
; %bb.591:
	v_add_u32_e32 v91, 0x120, v86
	s_mov_b32 s0, 36
	v_mov_b32_e32 v84, 35
.LBB76_592:                             ; =>This Inner Loop Header: Depth=1
	ds_read_b64 v[92:93], v91
	v_mov_b32_e32 v94, s0
	s_add_i32 s0, s0, 1
	v_add_u32_e32 v91, 8, v91
	s_cmp_lg_u32 s18, s0
	s_waitcnt lgkmcnt(0)
	v_cmp_lt_f64_e64 vcc, |v[82:83]|, |v[92:93]|
	v_cndmask_b32_e32 v83, v83, v93, vcc
	v_cndmask_b32_e32 v82, v82, v92, vcc
	;; [unrolled: 1-line block ×3, first 2 shown]
	s_cbranch_scc1 .LBB76_592
.LBB76_593:
	s_waitcnt lgkmcnt(0)
	v_cmp_eq_f64_e32 vcc, 0, v[82:83]
	s_and_saveexec_b64 s[0:1], vcc
	s_xor_b64 s[0:1], exec, s[0:1]
; %bb.594:
	v_cmp_ne_u32_e32 vcc, 0, v90
	v_cndmask_b32_e32 v90, 36, v90, vcc
; %bb.595:
	s_andn2_saveexec_b64 s[0:1], s[0:1]
; %bb.596:
	v_div_scale_f64 v[92:93], s[2:3], v[82:83], v[82:83], 1.0
	v_rcp_f64_e32 v[94:95], v[92:93]
	v_div_scale_f64 v[96:97], vcc, 1.0, v[82:83], 1.0
	v_fma_f64 v[98:99], -v[92:93], v[94:95], 1.0
	v_fmac_f64_e32 v[94:95], v[94:95], v[98:99]
	v_fma_f64 v[98:99], -v[92:93], v[94:95], 1.0
	v_fmac_f64_e32 v[94:95], v[94:95], v[98:99]
	v_mul_f64 v[98:99], v[96:97], v[94:95]
	v_fma_f64 v[92:93], -v[92:93], v[98:99], v[96:97]
	v_div_fmas_f64 v[92:93], v[92:93], v[94:95], v[98:99]
	v_div_fixup_f64 v[82:83], v[92:93], v[82:83], 1.0
; %bb.597:
	s_or_b64 exec, exec, s[0:1]
	v_cmp_ne_u32_e32 vcc, v87, v84
	s_and_saveexec_b64 s[0:1], vcc
	s_xor_b64 s[0:1], exec, s[0:1]
	s_cbranch_execz .LBB76_603
; %bb.598:
	v_cmp_eq_u32_e32 vcc, 35, v87
	s_and_saveexec_b64 s[2:3], vcc
	s_cbranch_execz .LBB76_602
; %bb.599:
	v_cmp_ne_u32_e32 vcc, 35, v84
	s_xor_b64 s[14:15], s[6:7], -1
	s_and_b64 s[16:17], s[14:15], vcc
	s_and_saveexec_b64 s[14:15], s[16:17]
	s_cbranch_execz .LBB76_601
; %bb.600:
	v_ashrrev_i32_e32 v85, 31, v84
	v_lshlrev_b64 v[92:93], 2, v[84:85]
	v_add_co_u32_e32 v92, vcc, v4, v92
	v_addc_co_u32_e32 v93, vcc, v5, v93, vcc
	flat_load_dword v85, v[92:93]
	flat_load_dword v87, v[4:5] offset:140
	s_waitcnt vmcnt(0) lgkmcnt(0)
	flat_store_dword v[4:5], v85 offset:140
	flat_store_dword v[92:93], v87
.LBB76_601:
	s_or_b64 exec, exec, s[14:15]
	v_mov_b32_e32 v85, v84
	v_mov_b32_e32 v87, v84
.LBB76_602:
	s_or_b64 exec, exec, s[2:3]
.LBB76_603:
	s_andn2_saveexec_b64 s[0:1], s[0:1]
	s_cbranch_execz .LBB76_605
; %bb.604:
	v_mov_b32_e32 v92, v6
	v_mov_b32_e32 v93, v7
	;; [unrolled: 1-line block ×5, first 2 shown]
	ds_write2_b64 v86, v[92:93], v[94:95] offset0:36 offset1:37
	ds_write_b64 v86, v[80:81] offset:304
.LBB76_605:
	s_or_b64 exec, exec, s[0:1]
	v_cmp_lt_i32_e32 vcc, 35, v87
	s_waitcnt lgkmcnt(0)
	s_barrier
	s_and_saveexec_b64 s[0:1], vcc
	s_cbranch_execz .LBB76_607
; %bb.606:
	ds_read2_b64 v[92:95], v86 offset0:36 offset1:37
	ds_read_b64 v[96:97], v86 offset:304
	v_mul_f64 v[8:9], v[82:83], v[8:9]
	s_waitcnt lgkmcnt(0)
	v_fma_f64 v[6:7], -v[8:9], v[92:93], v[6:7]
	v_fma_f64 v[0:1], -v[8:9], v[94:95], v[0:1]
	;; [unrolled: 1-line block ×3, first 2 shown]
.LBB76_607:
	s_or_b64 exec, exec, s[0:1]
	v_lshl_add_u32 v82, v87, 3, v86
	s_barrier
	ds_write_b64 v82, v[6:7]
	s_waitcnt lgkmcnt(0)
	s_barrier
	ds_read_b64 v[82:83], v86 offset:288
	s_cmp_lt_i32 s18, 38
	v_mov_b32_e32 v84, 36
	s_cbranch_scc1 .LBB76_610
; %bb.608:
	v_add_u32_e32 v91, 0x128, v86
	s_mov_b32 s0, 37
	v_mov_b32_e32 v84, 36
.LBB76_609:                             ; =>This Inner Loop Header: Depth=1
	ds_read_b64 v[92:93], v91
	v_mov_b32_e32 v94, s0
	s_add_i32 s0, s0, 1
	v_add_u32_e32 v91, 8, v91
	s_cmp_lg_u32 s18, s0
	s_waitcnt lgkmcnt(0)
	v_cmp_lt_f64_e64 vcc, |v[82:83]|, |v[92:93]|
	v_cndmask_b32_e32 v83, v83, v93, vcc
	v_cndmask_b32_e32 v82, v82, v92, vcc
	;; [unrolled: 1-line block ×3, first 2 shown]
	s_cbranch_scc1 .LBB76_609
.LBB76_610:
	s_waitcnt lgkmcnt(0)
	v_cmp_eq_f64_e32 vcc, 0, v[82:83]
	s_and_saveexec_b64 s[0:1], vcc
	s_xor_b64 s[0:1], exec, s[0:1]
; %bb.611:
	v_cmp_ne_u32_e32 vcc, 0, v90
	v_cndmask_b32_e32 v90, 37, v90, vcc
; %bb.612:
	s_andn2_saveexec_b64 s[0:1], s[0:1]
; %bb.613:
	v_div_scale_f64 v[92:93], s[2:3], v[82:83], v[82:83], 1.0
	v_rcp_f64_e32 v[94:95], v[92:93]
	v_div_scale_f64 v[96:97], vcc, 1.0, v[82:83], 1.0
	v_fma_f64 v[98:99], -v[92:93], v[94:95], 1.0
	v_fmac_f64_e32 v[94:95], v[94:95], v[98:99]
	v_fma_f64 v[98:99], -v[92:93], v[94:95], 1.0
	v_fmac_f64_e32 v[94:95], v[94:95], v[98:99]
	v_mul_f64 v[98:99], v[96:97], v[94:95]
	v_fma_f64 v[92:93], -v[92:93], v[98:99], v[96:97]
	v_div_fmas_f64 v[92:93], v[92:93], v[94:95], v[98:99]
	v_div_fixup_f64 v[82:83], v[92:93], v[82:83], 1.0
; %bb.614:
	s_or_b64 exec, exec, s[0:1]
	v_cmp_ne_u32_e32 vcc, v87, v84
	s_and_saveexec_b64 s[0:1], vcc
	s_xor_b64 s[0:1], exec, s[0:1]
	s_cbranch_execz .LBB76_620
; %bb.615:
	v_cmp_eq_u32_e32 vcc, 36, v87
	s_and_saveexec_b64 s[2:3], vcc
	s_cbranch_execz .LBB76_619
; %bb.616:
	v_cmp_ne_u32_e32 vcc, 36, v84
	s_xor_b64 s[14:15], s[6:7], -1
	s_and_b64 s[16:17], s[14:15], vcc
	s_and_saveexec_b64 s[14:15], s[16:17]
	s_cbranch_execz .LBB76_618
; %bb.617:
	v_ashrrev_i32_e32 v85, 31, v84
	v_lshlrev_b64 v[92:93], 2, v[84:85]
	v_add_co_u32_e32 v92, vcc, v4, v92
	v_addc_co_u32_e32 v93, vcc, v5, v93, vcc
	flat_load_dword v85, v[92:93]
	flat_load_dword v87, v[4:5] offset:144
	s_waitcnt vmcnt(0) lgkmcnt(0)
	flat_store_dword v[4:5], v85 offset:144
	flat_store_dword v[92:93], v87
.LBB76_618:
	s_or_b64 exec, exec, s[14:15]
	v_mov_b32_e32 v85, v84
	v_mov_b32_e32 v87, v84
.LBB76_619:
	s_or_b64 exec, exec, s[2:3]
.LBB76_620:
	s_andn2_saveexec_b64 s[0:1], s[0:1]
	s_cbranch_execz .LBB76_622
; %bb.621:
	v_mov_b32_e32 v87, 36
	ds_write2_b64 v86, v[0:1], v[80:81] offset0:37 offset1:38
.LBB76_622:
	s_or_b64 exec, exec, s[0:1]
	v_cmp_lt_i32_e32 vcc, 36, v87
	s_waitcnt lgkmcnt(0)
	s_barrier
	s_and_saveexec_b64 s[0:1], vcc
	s_cbranch_execz .LBB76_624
; %bb.623:
	ds_read2_b64 v[92:95], v86 offset0:37 offset1:38
	v_mul_f64 v[6:7], v[82:83], v[6:7]
	s_waitcnt lgkmcnt(0)
	v_fma_f64 v[0:1], -v[6:7], v[92:93], v[0:1]
	v_fma_f64 v[80:81], -v[6:7], v[94:95], v[80:81]
.LBB76_624:
	s_or_b64 exec, exec, s[0:1]
	v_lshl_add_u32 v82, v87, 3, v86
	s_barrier
	ds_write_b64 v82, v[0:1]
	s_waitcnt lgkmcnt(0)
	s_barrier
	ds_read_b64 v[82:83], v86 offset:296
	s_cmp_lt_i32 s18, 39
	v_mov_b32_e32 v84, 37
	s_cbranch_scc1 .LBB76_627
; %bb.625:
	v_add_u32_e32 v91, 0x130, v86
	s_mov_b32 s0, 38
	v_mov_b32_e32 v84, 37
.LBB76_626:                             ; =>This Inner Loop Header: Depth=1
	ds_read_b64 v[92:93], v91
	v_mov_b32_e32 v94, s0
	s_add_i32 s0, s0, 1
	v_add_u32_e32 v91, 8, v91
	s_cmp_lg_u32 s18, s0
	s_waitcnt lgkmcnt(0)
	v_cmp_lt_f64_e64 vcc, |v[82:83]|, |v[92:93]|
	v_cndmask_b32_e32 v83, v83, v93, vcc
	v_cndmask_b32_e32 v82, v82, v92, vcc
	;; [unrolled: 1-line block ×3, first 2 shown]
	s_cbranch_scc1 .LBB76_626
.LBB76_627:
	s_waitcnt lgkmcnt(0)
	v_cmp_eq_f64_e32 vcc, 0, v[82:83]
	s_and_saveexec_b64 s[0:1], vcc
	s_xor_b64 s[0:1], exec, s[0:1]
; %bb.628:
	v_cmp_ne_u32_e32 vcc, 0, v90
	v_cndmask_b32_e32 v90, 38, v90, vcc
; %bb.629:
	s_andn2_saveexec_b64 s[0:1], s[0:1]
; %bb.630:
	v_div_scale_f64 v[92:93], s[2:3], v[82:83], v[82:83], 1.0
	v_rcp_f64_e32 v[94:95], v[92:93]
	v_div_scale_f64 v[96:97], vcc, 1.0, v[82:83], 1.0
	v_fma_f64 v[98:99], -v[92:93], v[94:95], 1.0
	v_fmac_f64_e32 v[94:95], v[94:95], v[98:99]
	v_fma_f64 v[98:99], -v[92:93], v[94:95], 1.0
	v_fmac_f64_e32 v[94:95], v[94:95], v[98:99]
	v_mul_f64 v[98:99], v[96:97], v[94:95]
	v_fma_f64 v[92:93], -v[92:93], v[98:99], v[96:97]
	v_div_fmas_f64 v[92:93], v[92:93], v[94:95], v[98:99]
	v_div_fixup_f64 v[82:83], v[92:93], v[82:83], 1.0
; %bb.631:
	s_or_b64 exec, exec, s[0:1]
	v_cmp_ne_u32_e32 vcc, v87, v84
	s_and_saveexec_b64 s[0:1], vcc
	s_xor_b64 s[0:1], exec, s[0:1]
	s_cbranch_execz .LBB76_637
; %bb.632:
	v_cmp_eq_u32_e32 vcc, 37, v87
	s_and_saveexec_b64 s[2:3], vcc
	s_cbranch_execz .LBB76_636
; %bb.633:
	v_cmp_ne_u32_e32 vcc, 37, v84
	s_xor_b64 s[14:15], s[6:7], -1
	s_and_b64 s[16:17], s[14:15], vcc
	s_and_saveexec_b64 s[14:15], s[16:17]
	s_cbranch_execz .LBB76_635
; %bb.634:
	v_ashrrev_i32_e32 v85, 31, v84
	v_lshlrev_b64 v[92:93], 2, v[84:85]
	v_add_co_u32_e32 v92, vcc, v4, v92
	v_addc_co_u32_e32 v93, vcc, v5, v93, vcc
	flat_load_dword v85, v[92:93]
	flat_load_dword v87, v[4:5] offset:148
	s_waitcnt vmcnt(0) lgkmcnt(0)
	flat_store_dword v[4:5], v85 offset:148
	flat_store_dword v[92:93], v87
.LBB76_635:
	s_or_b64 exec, exec, s[14:15]
	v_mov_b32_e32 v85, v84
	v_mov_b32_e32 v87, v84
.LBB76_636:
	s_or_b64 exec, exec, s[2:3]
.LBB76_637:
	s_andn2_saveexec_b64 s[0:1], s[0:1]
	s_cbranch_execz .LBB76_639
; %bb.638:
	v_mov_b32_e32 v87, 37
	ds_write_b64 v86, v[80:81] offset:304
.LBB76_639:
	s_or_b64 exec, exec, s[0:1]
	v_cmp_lt_i32_e32 vcc, 37, v87
	s_waitcnt lgkmcnt(0)
	s_barrier
	s_and_saveexec_b64 s[0:1], vcc
	s_cbranch_execz .LBB76_641
; %bb.640:
	ds_read_b64 v[92:93], v86 offset:304
	v_mul_f64 v[0:1], v[82:83], v[0:1]
	s_waitcnt lgkmcnt(0)
	v_fma_f64 v[80:81], -v[0:1], v[92:93], v[80:81]
.LBB76_641:
	s_or_b64 exec, exec, s[0:1]
	v_lshl_add_u32 v82, v87, 3, v86
	s_barrier
	ds_write_b64 v82, v[80:81]
	s_waitcnt lgkmcnt(0)
	s_barrier
	ds_read_b64 v[82:83], v86 offset:304
	s_cmp_lt_i32 s18, 40
	v_mov_b32_e32 v84, 38
	s_cbranch_scc1 .LBB76_644
; %bb.642:
	v_add_u32_e32 v86, 0x138, v86
	s_mov_b32 s0, 39
	v_mov_b32_e32 v84, 38
.LBB76_643:                             ; =>This Inner Loop Header: Depth=1
	ds_read_b64 v[92:93], v86
	v_mov_b32_e32 v91, s0
	s_add_i32 s0, s0, 1
	v_add_u32_e32 v86, 8, v86
	s_cmp_lg_u32 s18, s0
	s_waitcnt lgkmcnt(0)
	v_cmp_lt_f64_e64 vcc, |v[82:83]|, |v[92:93]|
	v_cndmask_b32_e32 v83, v83, v93, vcc
	v_cndmask_b32_e32 v82, v82, v92, vcc
	;; [unrolled: 1-line block ×3, first 2 shown]
	s_cbranch_scc1 .LBB76_643
.LBB76_644:
	s_waitcnt lgkmcnt(0)
	v_cmp_eq_f64_e32 vcc, 0, v[82:83]
	s_and_saveexec_b64 s[0:1], vcc
	s_xor_b64 s[0:1], exec, s[0:1]
; %bb.645:
	v_cmp_ne_u32_e32 vcc, 0, v90
	v_cndmask_b32_e32 v90, 39, v90, vcc
; %bb.646:
	s_andn2_saveexec_b64 s[0:1], s[0:1]
; %bb.647:
	v_div_scale_f64 v[92:93], s[2:3], v[82:83], v[82:83], 1.0
	v_rcp_f64_e32 v[94:95], v[92:93]
	v_div_scale_f64 v[96:97], vcc, 1.0, v[82:83], 1.0
	v_fma_f64 v[98:99], -v[92:93], v[94:95], 1.0
	v_fmac_f64_e32 v[94:95], v[94:95], v[98:99]
	v_fma_f64 v[98:99], -v[92:93], v[94:95], 1.0
	v_fmac_f64_e32 v[94:95], v[94:95], v[98:99]
	v_mul_f64 v[98:99], v[96:97], v[94:95]
	v_fma_f64 v[92:93], -v[92:93], v[98:99], v[96:97]
	v_div_fmas_f64 v[92:93], v[92:93], v[94:95], v[98:99]
	v_div_fixup_f64 v[82:83], v[92:93], v[82:83], 1.0
; %bb.648:
	s_or_b64 exec, exec, s[0:1]
	v_cmp_ne_u32_e32 vcc, v87, v84
	v_mov_b32_e32 v86, 38
	s_and_saveexec_b64 s[0:1], vcc
	s_cbranch_execz .LBB76_654
; %bb.649:
	v_cmp_eq_u32_e32 vcc, 38, v87
	s_and_saveexec_b64 s[2:3], vcc
	s_cbranch_execz .LBB76_653
; %bb.650:
	v_cmp_ne_u32_e32 vcc, 38, v84
	s_xor_b64 s[6:7], s[6:7], -1
	s_and_b64 s[14:15], s[6:7], vcc
	s_and_saveexec_b64 s[6:7], s[14:15]
	s_cbranch_execz .LBB76_652
; %bb.651:
	v_ashrrev_i32_e32 v85, 31, v84
	v_lshlrev_b64 v[86:87], 2, v[84:85]
	v_add_co_u32_e32 v86, vcc, v4, v86
	v_addc_co_u32_e32 v87, vcc, v5, v87, vcc
	flat_load_dword v85, v[86:87]
	flat_load_dword v91, v[4:5] offset:152
	s_waitcnt vmcnt(0) lgkmcnt(0)
	flat_store_dword v[4:5], v85 offset:152
	flat_store_dword v[86:87], v91
.LBB76_652:
	s_or_b64 exec, exec, s[6:7]
	v_mov_b32_e32 v85, v84
	v_mov_b32_e32 v87, v84
.LBB76_653:
	s_or_b64 exec, exec, s[2:3]
	v_mov_b32_e32 v86, v87
.LBB76_654:
	s_or_b64 exec, exec, s[0:1]
	s_load_dwordx8 s[0:7], s[4:5], 0x28
	v_cmp_gt_i32_e32 vcc, 39, v86
	v_ashrrev_i32_e32 v87, 31, v86
	s_waitcnt lgkmcnt(0)
	s_barrier
	s_barrier
	s_and_saveexec_b64 s[14:15], vcc
	s_cbranch_execz .LBB76_656
; %bb.655:
	v_mul_lo_u32 v84, v3, s4
	v_mul_lo_u32 v91, v2, s5
	v_mad_u64_u32 v[4:5], s[4:5], v2, s4, 0
	s_lshl_b64 s[2:3], s[2:3], 2
	v_add3_u32 v5, v5, v91, v84
	s_add_u32 s0, s2, s0
	v_lshlrev_b64 v[4:5], 2, v[4:5]
	s_addc_u32 s1, s3, s1
	v_mov_b32_e32 v84, s1
	v_add_co_u32_e32 v91, vcc, s0, v4
	v_addc_co_u32_e32 v84, vcc, v84, v5, vcc
	v_lshlrev_b64 v[4:5], 2, v[86:87]
	v_add_co_u32_e32 v4, vcc, v91, v4
	v_addc_co_u32_e32 v5, vcc, v84, v5, vcc
	v_add3_u32 v84, v85, s13, 1
	global_store_dword v[4:5], v84, off
.LBB76_656:
	s_or_b64 exec, exec, s[14:15]
	v_cmp_eq_u32_e32 vcc, 0, v86
	s_and_saveexec_b64 s[2:3], vcc
	s_cbranch_execz .LBB76_659
; %bb.657:
	v_lshlrev_b64 v[2:3], 2, v[2:3]
	v_mov_b32_e32 v4, s7
	v_add_co_u32_e32 v2, vcc, s6, v2
	v_addc_co_u32_e32 v3, vcc, v4, v3, vcc
	global_load_dword v4, v[2:3], off
	v_cmp_lt_i32_e64 s[0:1], 0, v90
	s_waitcnt vmcnt(0)
	v_cmp_eq_u32_e32 vcc, 0, v4
	s_and_b64 s[0:1], vcc, s[0:1]
	s_and_b64 exec, exec, s[0:1]
	s_cbranch_execz .LBB76_659
; %bb.658:
	v_add_u32_e32 v4, s13, v90
	global_store_dword v[2:3], v4, off
.LBB76_659:
	s_or_b64 exec, exec, s[2:3]
	v_mul_f64 v[2:3], v[82:83], v[80:81]
	v_cmp_lt_i32_e32 vcc, 38, v86
	v_lshlrev_b64 v[4:5], 3, v[86:87]
	v_cndmask_b32_e32 v3, v81, v3, vcc
	v_cndmask_b32_e32 v2, v80, v2, vcc
	v_add_co_u32_e32 v4, vcc, v88, v4
	v_addc_co_u32_e32 v5, vcc, v89, v5, vcc
	global_store_dwordx2 v[4:5], v[78:79], off
	v_mov_b32_e32 v78, s11
	v_add_co_u32_e32 v4, vcc, s10, v4
	v_addc_co_u32_e32 v5, vcc, v5, v78, vcc
	global_store_dwordx2 v[4:5], v[76:77], off
	v_add_u32_e32 v4, s12, v86
	v_ashrrev_i32_e32 v5, 31, v4
	v_lshlrev_b64 v[76:77], 3, v[4:5]
	v_add_co_u32_e32 v76, vcc, v88, v76
	v_add_u32_e32 v4, s8, v4
	v_addc_co_u32_e32 v77, vcc, v89, v77, vcc
	v_ashrrev_i32_e32 v5, 31, v4
	global_store_dwordx2 v[76:77], v[74:75], off
	v_lshlrev_b64 v[74:75], 3, v[4:5]
	v_add_co_u32_e32 v74, vcc, v88, v74
	v_add_u32_e32 v4, s8, v4
	v_addc_co_u32_e32 v75, vcc, v89, v75, vcc
	v_ashrrev_i32_e32 v5, 31, v4
	global_store_dwordx2 v[74:75], v[72:73], off
	;; [unrolled: 6-line block ×35, first 2 shown]
	v_lshlrev_b64 v[6:7], 3, v[4:5]
	v_add_co_u32_e32 v6, vcc, v88, v6
	v_addc_co_u32_e32 v7, vcc, v89, v7, vcc
	global_store_dwordx2 v[6:7], v[0:1], off
	v_add_u32_e32 v0, s8, v4
	v_ashrrev_i32_e32 v1, 31, v0
	v_lshlrev_b64 v[0:1], 3, v[0:1]
	v_add_co_u32_e32 v0, vcc, v88, v0
	v_addc_co_u32_e32 v1, vcc, v89, v1, vcc
	global_store_dwordx2 v[0:1], v[2:3], off
.LBB76_660:
	s_endpgm
	.section	.rodata,"a",@progbits
	.p2align	6, 0x0
	.amdhsa_kernel _ZN9rocsolver6v33100L18getf2_small_kernelILi39EdiiPKPdEEvT1_T3_lS5_lPS5_llPT2_S5_S5_S7_l
		.amdhsa_group_segment_fixed_size 0
		.amdhsa_private_segment_fixed_size 0
		.amdhsa_kernarg_size 352
		.amdhsa_user_sgpr_count 6
		.amdhsa_user_sgpr_private_segment_buffer 1
		.amdhsa_user_sgpr_dispatch_ptr 0
		.amdhsa_user_sgpr_queue_ptr 0
		.amdhsa_user_sgpr_kernarg_segment_ptr 1
		.amdhsa_user_sgpr_dispatch_id 0
		.amdhsa_user_sgpr_flat_scratch_init 0
		.amdhsa_user_sgpr_kernarg_preload_length 0
		.amdhsa_user_sgpr_kernarg_preload_offset 0
		.amdhsa_user_sgpr_private_segment_size 0
		.amdhsa_uses_dynamic_stack 0
		.amdhsa_system_sgpr_private_segment_wavefront_offset 0
		.amdhsa_system_sgpr_workgroup_id_x 1
		.amdhsa_system_sgpr_workgroup_id_y 1
		.amdhsa_system_sgpr_workgroup_id_z 0
		.amdhsa_system_sgpr_workgroup_info 0
		.amdhsa_system_vgpr_workitem_id 1
		.amdhsa_next_free_vgpr 134
		.amdhsa_next_free_sgpr 22
		.amdhsa_accum_offset 136
		.amdhsa_reserve_vcc 1
		.amdhsa_reserve_flat_scratch 0
		.amdhsa_float_round_mode_32 0
		.amdhsa_float_round_mode_16_64 0
		.amdhsa_float_denorm_mode_32 3
		.amdhsa_float_denorm_mode_16_64 3
		.amdhsa_dx10_clamp 1
		.amdhsa_ieee_mode 1
		.amdhsa_fp16_overflow 0
		.amdhsa_tg_split 0
		.amdhsa_exception_fp_ieee_invalid_op 0
		.amdhsa_exception_fp_denorm_src 0
		.amdhsa_exception_fp_ieee_div_zero 0
		.amdhsa_exception_fp_ieee_overflow 0
		.amdhsa_exception_fp_ieee_underflow 0
		.amdhsa_exception_fp_ieee_inexact 0
		.amdhsa_exception_int_div_zero 0
	.end_amdhsa_kernel
	.section	.text._ZN9rocsolver6v33100L18getf2_small_kernelILi39EdiiPKPdEEvT1_T3_lS5_lPS5_llPT2_S5_S5_S7_l,"axG",@progbits,_ZN9rocsolver6v33100L18getf2_small_kernelILi39EdiiPKPdEEvT1_T3_lS5_lPS5_llPT2_S5_S5_S7_l,comdat
.Lfunc_end76:
	.size	_ZN9rocsolver6v33100L18getf2_small_kernelILi39EdiiPKPdEEvT1_T3_lS5_lPS5_llPT2_S5_S5_S7_l, .Lfunc_end76-_ZN9rocsolver6v33100L18getf2_small_kernelILi39EdiiPKPdEEvT1_T3_lS5_lPS5_llPT2_S5_S5_S7_l
                                        ; -- End function
	.section	.AMDGPU.csdata,"",@progbits
; Kernel info:
; codeLenInByte = 33552
; NumSgprs: 26
; NumVgprs: 134
; NumAgprs: 0
; TotalNumVgprs: 134
; ScratchSize: 0
; MemoryBound: 0
; FloatMode: 240
; IeeeMode: 1
; LDSByteSize: 0 bytes/workgroup (compile time only)
; SGPRBlocks: 3
; VGPRBlocks: 16
; NumSGPRsForWavesPerEU: 26
; NumVGPRsForWavesPerEU: 134
; AccumOffset: 136
; Occupancy: 3
; WaveLimiterHint : 1
; COMPUTE_PGM_RSRC2:SCRATCH_EN: 0
; COMPUTE_PGM_RSRC2:USER_SGPR: 6
; COMPUTE_PGM_RSRC2:TRAP_HANDLER: 0
; COMPUTE_PGM_RSRC2:TGID_X_EN: 1
; COMPUTE_PGM_RSRC2:TGID_Y_EN: 1
; COMPUTE_PGM_RSRC2:TGID_Z_EN: 0
; COMPUTE_PGM_RSRC2:TIDIG_COMP_CNT: 1
; COMPUTE_PGM_RSRC3_GFX90A:ACCUM_OFFSET: 33
; COMPUTE_PGM_RSRC3_GFX90A:TG_SPLIT: 0
	.section	.text._ZN9rocsolver6v33100L23getf2_npvt_small_kernelILi39EdiiPKPdEEvT1_T3_lS5_lPT2_S5_S5_,"axG",@progbits,_ZN9rocsolver6v33100L23getf2_npvt_small_kernelILi39EdiiPKPdEEvT1_T3_lS5_lPT2_S5_S5_,comdat
	.globl	_ZN9rocsolver6v33100L23getf2_npvt_small_kernelILi39EdiiPKPdEEvT1_T3_lS5_lPT2_S5_S5_ ; -- Begin function _ZN9rocsolver6v33100L23getf2_npvt_small_kernelILi39EdiiPKPdEEvT1_T3_lS5_lPT2_S5_S5_
	.p2align	8
	.type	_ZN9rocsolver6v33100L23getf2_npvt_small_kernelILi39EdiiPKPdEEvT1_T3_lS5_lPT2_S5_S5_,@function
_ZN9rocsolver6v33100L23getf2_npvt_small_kernelILi39EdiiPKPdEEvT1_T3_lS5_lPT2_S5_S5_: ; @_ZN9rocsolver6v33100L23getf2_npvt_small_kernelILi39EdiiPKPdEEvT1_T3_lS5_lPT2_S5_S5_
; %bb.0:
	s_load_dword s0, s[4:5], 0x44
	s_load_dwordx2 s[8:9], s[4:5], 0x30
	v_bfe_u32 v158, v0, 10, 10
	s_waitcnt lgkmcnt(0)
	s_lshr_b32 s6, s0, 16
	s_mul_i32 s7, s7, s6
	v_add_u32_e32 v2, s7, v158
	v_cmp_gt_i32_e32 vcc, s8, v2
	s_and_saveexec_b64 s[0:1], vcc
	s_cbranch_execz .LBB77_198
; %bb.1:
	s_load_dwordx4 s[12:15], s[4:5], 0x8
	s_load_dword s0, s[4:5], 0x18
	v_ashrrev_i32_e32 v3, 31, v2
	v_lshlrev_b64 v[4:5], 3, v[2:3]
	v_and_b32_e32 v236, 0x3ff, v0
	s_waitcnt lgkmcnt(0)
	v_mov_b32_e32 v1, s13
	v_add_co_u32_e32 v4, vcc, s12, v4
	v_addc_co_u32_e32 v5, vcc, v1, v5, vcc
	global_load_dwordx2 v[4:5], v[4:5], off
	s_add_i32 s1, s0, s0
	s_lshl_b64 s[2:3], s[14:15], 3
	v_add_u32_e32 v0, s1, v236
	v_mov_b32_e32 v25, s3
	v_ashrrev_i32_e32 v1, 31, v0
	v_add_u32_e32 v6, s0, v0
	v_lshlrev_b64 v[0:1], 3, v[0:1]
	v_ashrrev_i32_e32 v7, 31, v6
	v_add_u32_e32 v8, s0, v6
	v_lshlrev_b64 v[6:7], 3, v[6:7]
	;; [unrolled: 3-line block ×10, first 2 shown]
	v_add_u32_e32 v26, s0, v24
	v_ashrrev_i32_e32 v27, 31, v26
	v_add_u32_e32 v28, s0, v26
	v_ashrrev_i32_e32 v29, 31, v28
	;; [unrolled: 2-line block ×22, first 2 shown]
	v_add_u32_e32 v70, s0, v68
	s_waitcnt vmcnt(0)
	v_add_co_u32_e32 v76, vcc, s2, v4
	v_addc_co_u32_e32 v77, vcc, v5, v25, vcc
	v_add_co_u32_e32 v0, vcc, v76, v0
	v_addc_co_u32_e32 v1, vcc, v77, v1, vcc
	;; [unrolled: 2-line block ×10, first 2 shown]
	v_add_co_u32_e32 v20, vcc, v76, v22
	v_ashrrev_i32_e32 v25, 31, v24
	v_addc_co_u32_e32 v21, vcc, v77, v23, vcc
	v_lshlrev_b64 v[22:23], 3, v[24:25]
	v_add_co_u32_e32 v22, vcc, v76, v22
	v_addc_co_u32_e32 v23, vcc, v77, v23, vcc
	v_lshlrev_b64 v[24:25], 3, v[26:27]
	v_add_co_u32_e32 v24, vcc, v76, v24
	;; [unrolled: 3-line block ×23, first 2 shown]
	v_ashrrev_i32_e32 v71, 31, v70
	v_addc_co_u32_e32 v67, vcc, v77, v67, vcc
	v_lshlrev_b64 v[68:69], 3, v[70:71]
	v_add_u32_e32 v72, s0, v70
	v_add_co_u32_e32 v68, vcc, v76, v68
	v_ashrrev_i32_e32 v73, 31, v72
	v_addc_co_u32_e32 v69, vcc, v77, v69, vcc
	v_lshlrev_b64 v[70:71], 3, v[72:73]
	v_add_u32_e32 v74, s0, v72
	v_add_co_u32_e32 v70, vcc, v76, v70
	;; [unrolled: 5-line block ×3, first 2 shown]
	v_ashrrev_i32_e32 v75, 31, v74
	v_addc_co_u32_e32 v73, vcc, v77, v73, vcc
	v_lshlrev_b64 v[74:75], 3, v[74:75]
	v_add_co_u32_e32 v74, vcc, v76, v74
	v_addc_co_u32_e32 v75, vcc, v77, v75, vcc
	v_lshlrev_b32_e32 v78, 3, v236
	v_add_co_u32_e32 v76, vcc, v76, v78
	s_ashr_i32 s1, s0, 31
	v_addc_co_u32_e32 v77, vcc, 0, v77, vcc
	s_lshl_b64 s[0:1], s[0:1], 3
	v_mov_b32_e32 v79, s1
	v_add_co_u32_e32 v78, vcc, s0, v76
	v_addc_co_u32_e32 v79, vcc, v77, v79, vcc
	global_load_dwordx2 v[80:81], v[76:77], off
	global_load_dwordx2 v[118:119], v[78:79], off
	;; [unrolled: 1-line block ×39, first 2 shown]
	s_mulk_i32 s6, 0x138
	s_movk_i32 s0, 0x138
	s_add_i32 s1, s6, 0
	v_mad_u32_u24 v235, v158, s0, 0
	v_lshl_add_u32 v234, v158, 3, s1
	v_cmp_ne_u32_e64 s[2:3], 0, v236
	v_cmp_eq_u32_e64 s[0:1], 0, v236
	s_and_saveexec_b64 s[6:7], s[0:1]
	s_cbranch_execz .LBB77_4
; %bb.2:
	s_waitcnt vmcnt(38)
	ds_write_b64 v234, v[80:81]
	s_waitcnt vmcnt(36)
	ds_write2_b64 v235, v[118:119], v[154:155] offset0:1 offset1:2
	s_waitcnt vmcnt(34)
	ds_write2_b64 v235, v[116:117], v[152:153] offset0:3 offset1:4
	;; [unrolled: 2-line block ×19, first 2 shown]
	ds_read_b64 v[158:159], v234
	s_waitcnt lgkmcnt(0)
	v_cmp_neq_f64_e32 vcc, 0, v[158:159]
	s_and_b64 exec, exec, vcc
	s_cbranch_execz .LBB77_4
; %bb.3:
	v_div_scale_f64 v[160:161], s[10:11], v[158:159], v[158:159], 1.0
	v_rcp_f64_e32 v[162:163], v[160:161]
	v_div_scale_f64 v[164:165], vcc, 1.0, v[158:159], 1.0
	v_fma_f64 v[166:167], -v[160:161], v[162:163], 1.0
	v_fmac_f64_e32 v[162:163], v[162:163], v[166:167]
	v_fma_f64 v[166:167], -v[160:161], v[162:163], 1.0
	v_fmac_f64_e32 v[162:163], v[162:163], v[166:167]
	v_mul_f64 v[166:167], v[164:165], v[162:163]
	v_fma_f64 v[160:161], -v[160:161], v[166:167], v[164:165]
	v_div_fmas_f64 v[160:161], v[160:161], v[162:163], v[166:167]
	v_div_fixup_f64 v[158:159], v[160:161], v[158:159], 1.0
	ds_write_b64 v234, v[158:159]
.LBB77_4:
	s_or_b64 exec, exec, s[6:7]
	s_waitcnt lgkmcnt(0)
	s_barrier
	ds_read_b64 v[158:159], v234
	s_and_saveexec_b64 s[6:7], s[2:3]
	s_cbranch_execz .LBB77_6
; %bb.5:
	ds_read2_b64 v[160:163], v235 offset0:1 offset1:2
	ds_read2_b64 v[164:167], v235 offset0:3 offset1:4
	s_waitcnt vmcnt(38) lgkmcnt(2)
	v_mul_f64 v[80:81], v[158:159], v[80:81]
	ds_read2_b64 v[168:171], v235 offset0:5 offset1:6
	s_waitcnt vmcnt(37) lgkmcnt(2)
	v_fma_f64 v[118:119], -v[80:81], v[160:161], v[118:119]
	s_waitcnt vmcnt(36)
	v_fma_f64 v[154:155], -v[80:81], v[162:163], v[154:155]
	ds_read2_b64 v[160:163], v235 offset0:7 offset1:8
	s_waitcnt vmcnt(35) lgkmcnt(2)
	v_fma_f64 v[116:117], -v[80:81], v[164:165], v[116:117]
	s_waitcnt vmcnt(34)
	v_fma_f64 v[152:153], -v[80:81], v[166:167], v[152:153]
	s_waitcnt vmcnt(33) lgkmcnt(1)
	v_fma_f64 v[114:115], -v[80:81], v[168:169], v[114:115]
	ds_read2_b64 v[164:167], v235 offset0:9 offset1:10
	s_waitcnt vmcnt(32)
	v_fma_f64 v[150:151], -v[80:81], v[170:171], v[150:151]
	ds_read2_b64 v[168:171], v235 offset0:11 offset1:12
	s_waitcnt vmcnt(31) lgkmcnt(2)
	v_fma_f64 v[112:113], -v[80:81], v[160:161], v[112:113]
	s_waitcnt vmcnt(30)
	v_fma_f64 v[148:149], -v[80:81], v[162:163], v[148:149]
	ds_read2_b64 v[160:163], v235 offset0:13 offset1:14
	s_waitcnt vmcnt(29) lgkmcnt(2)
	v_fma_f64 v[110:111], -v[80:81], v[164:165], v[110:111]
	;; [unrolled: 5-line block ×3, first 2 shown]
	s_waitcnt vmcnt(26)
	v_fma_f64 v[144:145], -v[80:81], v[170:171], v[144:145]
	s_waitcnt vmcnt(25) lgkmcnt(1)
	v_fma_f64 v[106:107], -v[80:81], v[160:161], v[106:107]
	ds_read2_b64 v[168:171], v235 offset0:17 offset1:18
	s_waitcnt vmcnt(24)
	v_fma_f64 v[142:143], -v[80:81], v[162:163], v[142:143]
	ds_read2_b64 v[160:163], v235 offset0:19 offset1:20
	s_waitcnt vmcnt(23) lgkmcnt(2)
	v_fma_f64 v[104:105], -v[80:81], v[164:165], v[104:105]
	s_waitcnt vmcnt(22)
	v_fma_f64 v[140:141], -v[80:81], v[166:167], v[140:141]
	s_waitcnt vmcnt(21) lgkmcnt(1)
	v_fma_f64 v[102:103], -v[80:81], v[168:169], v[102:103]
	ds_read2_b64 v[164:167], v235 offset0:21 offset1:22
	s_waitcnt vmcnt(20)
	v_fma_f64 v[138:139], -v[80:81], v[170:171], v[138:139]
	ds_read2_b64 v[168:171], v235 offset0:23 offset1:24
	s_waitcnt vmcnt(19) lgkmcnt(2)
	v_fma_f64 v[100:101], -v[80:81], v[160:161], v[100:101]
	s_waitcnt vmcnt(18)
	v_fma_f64 v[136:137], -v[80:81], v[162:163], v[136:137]
	ds_read2_b64 v[160:163], v235 offset0:25 offset1:26
	s_waitcnt vmcnt(17) lgkmcnt(2)
	v_fma_f64 v[98:99], -v[80:81], v[164:165], v[98:99]
	;; [unrolled: 5-line block ×3, first 2 shown]
	s_waitcnt vmcnt(14)
	v_fma_f64 v[132:133], -v[80:81], v[170:171], v[132:133]
	s_waitcnt vmcnt(13) lgkmcnt(1)
	v_fma_f64 v[94:95], -v[80:81], v[160:161], v[94:95]
	ds_read2_b64 v[168:171], v235 offset0:29 offset1:30
	s_waitcnt vmcnt(12)
	v_fma_f64 v[130:131], -v[80:81], v[162:163], v[130:131]
	ds_read2_b64 v[160:163], v235 offset0:31 offset1:32
	s_waitcnt vmcnt(11) lgkmcnt(2)
	v_fma_f64 v[92:93], -v[80:81], v[164:165], v[92:93]
	s_waitcnt vmcnt(10)
	v_fma_f64 v[128:129], -v[80:81], v[166:167], v[128:129]
	s_waitcnt vmcnt(9) lgkmcnt(1)
	v_fma_f64 v[90:91], -v[80:81], v[168:169], v[90:91]
	s_waitcnt vmcnt(8)
	v_fma_f64 v[126:127], -v[80:81], v[170:171], v[126:127]
	ds_read2_b64 v[164:167], v235 offset0:33 offset1:34
	ds_read2_b64 v[168:171], v235 offset0:35 offset1:36
	s_waitcnt vmcnt(7) lgkmcnt(2)
	v_fma_f64 v[88:89], -v[80:81], v[160:161], v[88:89]
	s_waitcnt vmcnt(6)
	v_fma_f64 v[124:125], -v[80:81], v[162:163], v[124:125]
	ds_read2_b64 v[160:163], v235 offset0:37 offset1:38
	s_waitcnt vmcnt(5) lgkmcnt(2)
	v_fma_f64 v[86:87], -v[80:81], v[164:165], v[86:87]
	s_waitcnt vmcnt(4)
	v_fma_f64 v[122:123], -v[80:81], v[166:167], v[122:123]
	s_waitcnt vmcnt(3) lgkmcnt(1)
	v_fma_f64 v[84:85], -v[80:81], v[168:169], v[84:85]
	s_waitcnt vmcnt(2)
	v_fma_f64 v[120:121], -v[80:81], v[170:171], v[120:121]
	;; [unrolled: 4-line block ×3, first 2 shown]
.LBB77_6:
	s_or_b64 exec, exec, s[6:7]
	v_cmp_eq_u32_e32 vcc, 1, v236
	s_waitcnt lgkmcnt(0)
	s_barrier
	s_and_saveexec_b64 s[2:3], vcc
	s_cbranch_execz .LBB77_9
; %bb.7:
	s_waitcnt vmcnt(36)
	v_mov_b32_e32 v160, v154
	v_mov_b32_e32 v161, v155
	s_waitcnt vmcnt(35)
	v_mov_b32_e32 v162, v116
	v_mov_b32_e32 v163, v117
	ds_write_b64 v234, v[118:119]
	ds_write2_b64 v235, v[160:161], v[162:163] offset0:2 offset1:3
	s_waitcnt vmcnt(34)
	v_mov_b32_e32 v160, v152
	v_mov_b32_e32 v161, v153
	s_waitcnt vmcnt(33)
	v_mov_b32_e32 v162, v114
	v_mov_b32_e32 v163, v115
	ds_write2_b64 v235, v[160:161], v[162:163] offset0:4 offset1:5
	s_waitcnt vmcnt(32)
	v_mov_b32_e32 v160, v150
	v_mov_b32_e32 v161, v151
	s_waitcnt vmcnt(31)
	v_mov_b32_e32 v162, v112
	v_mov_b32_e32 v163, v113
	;; [unrolled: 7-line block ×17, first 2 shown]
	ds_write2_b64 v235, v[160:161], v[162:163] offset0:36 offset1:37
	s_waitcnt vmcnt(0)
	ds_write_b64 v235, v[156:157] offset:304
	ds_read_b64 v[160:161], v234
	s_waitcnt lgkmcnt(0)
	v_cmp_neq_f64_e32 vcc, 0, v[160:161]
	s_and_b64 exec, exec, vcc
	s_cbranch_execz .LBB77_9
; %bb.8:
	v_div_scale_f64 v[162:163], s[6:7], v[160:161], v[160:161], 1.0
	v_rcp_f64_e32 v[164:165], v[162:163]
	v_div_scale_f64 v[166:167], vcc, 1.0, v[160:161], 1.0
	v_fma_f64 v[168:169], -v[162:163], v[164:165], 1.0
	v_fmac_f64_e32 v[164:165], v[164:165], v[168:169]
	v_fma_f64 v[168:169], -v[162:163], v[164:165], 1.0
	v_fmac_f64_e32 v[164:165], v[164:165], v[168:169]
	v_mul_f64 v[168:169], v[166:167], v[164:165]
	v_fma_f64 v[162:163], -v[162:163], v[168:169], v[166:167]
	v_div_fmas_f64 v[162:163], v[162:163], v[164:165], v[168:169]
	v_div_fixup_f64 v[160:161], v[162:163], v[160:161], 1.0
	ds_write_b64 v234, v[160:161]
.LBB77_9:
	s_or_b64 exec, exec, s[2:3]
	s_waitcnt lgkmcnt(0)
	s_barrier
	ds_read_b64 v[160:161], v234
	v_cmp_lt_u32_e32 vcc, 1, v236
	s_and_saveexec_b64 s[2:3], vcc
	s_cbranch_execz .LBB77_11
; %bb.10:
	ds_read2_b64 v[162:165], v235 offset0:2 offset1:3
	ds_read2_b64 v[166:169], v235 offset0:4 offset1:5
	s_waitcnt vmcnt(37) lgkmcnt(2)
	v_mul_f64 v[118:119], v[160:161], v[118:119]
	ds_read2_b64 v[170:173], v235 offset0:6 offset1:7
	s_waitcnt vmcnt(36) lgkmcnt(2)
	v_fma_f64 v[154:155], -v[118:119], v[162:163], v[154:155]
	s_waitcnt vmcnt(35)
	v_fma_f64 v[116:117], -v[118:119], v[164:165], v[116:117]
	ds_read2_b64 v[162:165], v235 offset0:8 offset1:9
	s_waitcnt vmcnt(34) lgkmcnt(2)
	v_fma_f64 v[152:153], -v[118:119], v[166:167], v[152:153]
	s_waitcnt vmcnt(33)
	v_fma_f64 v[114:115], -v[118:119], v[168:169], v[114:115]
	s_waitcnt vmcnt(32) lgkmcnt(1)
	v_fma_f64 v[150:151], -v[118:119], v[170:171], v[150:151]
	ds_read2_b64 v[166:169], v235 offset0:10 offset1:11
	s_waitcnt vmcnt(31)
	v_fma_f64 v[112:113], -v[118:119], v[172:173], v[112:113]
	ds_read2_b64 v[170:173], v235 offset0:12 offset1:13
	s_waitcnt vmcnt(30) lgkmcnt(2)
	v_fma_f64 v[148:149], -v[118:119], v[162:163], v[148:149]
	s_waitcnt vmcnt(29)
	v_fma_f64 v[110:111], -v[118:119], v[164:165], v[110:111]
	ds_read2_b64 v[162:165], v235 offset0:14 offset1:15
	s_waitcnt vmcnt(28) lgkmcnt(2)
	v_fma_f64 v[146:147], -v[118:119], v[166:167], v[146:147]
	;; [unrolled: 5-line block ×3, first 2 shown]
	s_waitcnt vmcnt(25)
	v_fma_f64 v[106:107], -v[118:119], v[172:173], v[106:107]
	s_waitcnt vmcnt(24) lgkmcnt(1)
	v_fma_f64 v[142:143], -v[118:119], v[162:163], v[142:143]
	ds_read2_b64 v[170:173], v235 offset0:18 offset1:19
	s_waitcnt vmcnt(23)
	v_fma_f64 v[104:105], -v[118:119], v[164:165], v[104:105]
	ds_read2_b64 v[162:165], v235 offset0:20 offset1:21
	s_waitcnt vmcnt(22) lgkmcnt(2)
	v_fma_f64 v[140:141], -v[118:119], v[166:167], v[140:141]
	s_waitcnt vmcnt(21)
	v_fma_f64 v[102:103], -v[118:119], v[168:169], v[102:103]
	s_waitcnt vmcnt(20) lgkmcnt(1)
	v_fma_f64 v[138:139], -v[118:119], v[170:171], v[138:139]
	ds_read2_b64 v[166:169], v235 offset0:22 offset1:23
	s_waitcnt vmcnt(19)
	v_fma_f64 v[100:101], -v[118:119], v[172:173], v[100:101]
	ds_read2_b64 v[170:173], v235 offset0:24 offset1:25
	s_waitcnt vmcnt(18) lgkmcnt(2)
	v_fma_f64 v[136:137], -v[118:119], v[162:163], v[136:137]
	s_waitcnt vmcnt(17)
	v_fma_f64 v[98:99], -v[118:119], v[164:165], v[98:99]
	ds_read2_b64 v[162:165], v235 offset0:26 offset1:27
	s_waitcnt vmcnt(16) lgkmcnt(2)
	v_fma_f64 v[134:135], -v[118:119], v[166:167], v[134:135]
	;; [unrolled: 5-line block ×3, first 2 shown]
	s_waitcnt vmcnt(13)
	v_fma_f64 v[94:95], -v[118:119], v[172:173], v[94:95]
	s_waitcnt vmcnt(12) lgkmcnt(1)
	v_fma_f64 v[130:131], -v[118:119], v[162:163], v[130:131]
	ds_read2_b64 v[170:173], v235 offset0:30 offset1:31
	s_waitcnt vmcnt(11)
	v_fma_f64 v[92:93], -v[118:119], v[164:165], v[92:93]
	ds_read2_b64 v[162:165], v235 offset0:32 offset1:33
	s_waitcnt vmcnt(10) lgkmcnt(2)
	v_fma_f64 v[128:129], -v[118:119], v[166:167], v[128:129]
	s_waitcnt vmcnt(9)
	v_fma_f64 v[90:91], -v[118:119], v[168:169], v[90:91]
	s_waitcnt vmcnt(8) lgkmcnt(1)
	v_fma_f64 v[126:127], -v[118:119], v[170:171], v[126:127]
	s_waitcnt vmcnt(7)
	v_fma_f64 v[88:89], -v[118:119], v[172:173], v[88:89]
	ds_read2_b64 v[166:169], v235 offset0:34 offset1:35
	ds_read2_b64 v[170:173], v235 offset0:36 offset1:37
	s_waitcnt vmcnt(6) lgkmcnt(2)
	v_fma_f64 v[124:125], -v[118:119], v[162:163], v[124:125]
	ds_read_b64 v[162:163], v235 offset:304
	s_waitcnt vmcnt(5)
	v_fma_f64 v[86:87], -v[118:119], v[164:165], v[86:87]
	s_waitcnt vmcnt(4) lgkmcnt(2)
	v_fma_f64 v[122:123], -v[118:119], v[166:167], v[122:123]
	s_waitcnt vmcnt(3)
	v_fma_f64 v[84:85], -v[118:119], v[168:169], v[84:85]
	s_waitcnt vmcnt(2) lgkmcnt(1)
	v_fma_f64 v[120:121], -v[118:119], v[170:171], v[120:121]
	;; [unrolled: 4-line block ×3, first 2 shown]
.LBB77_11:
	s_or_b64 exec, exec, s[2:3]
	v_cmp_eq_u32_e32 vcc, 2, v236
	s_waitcnt lgkmcnt(0)
	s_barrier
	s_and_saveexec_b64 s[2:3], vcc
	s_cbranch_execz .LBB77_14
; %bb.12:
	s_waitcnt vmcnt(36)
	ds_write_b64 v234, v[154:155]
	s_waitcnt vmcnt(34)
	ds_write2_b64 v235, v[116:117], v[152:153] offset0:3 offset1:4
	s_waitcnt vmcnt(32)
	ds_write2_b64 v235, v[114:115], v[150:151] offset0:5 offset1:6
	;; [unrolled: 2-line block ×18, first 2 shown]
	ds_read_b64 v[162:163], v234
	s_waitcnt lgkmcnt(0)
	v_cmp_neq_f64_e32 vcc, 0, v[162:163]
	s_and_b64 exec, exec, vcc
	s_cbranch_execz .LBB77_14
; %bb.13:
	v_div_scale_f64 v[164:165], s[6:7], v[162:163], v[162:163], 1.0
	v_rcp_f64_e32 v[166:167], v[164:165]
	v_div_scale_f64 v[168:169], vcc, 1.0, v[162:163], 1.0
	v_fma_f64 v[170:171], -v[164:165], v[166:167], 1.0
	v_fmac_f64_e32 v[166:167], v[166:167], v[170:171]
	v_fma_f64 v[170:171], -v[164:165], v[166:167], 1.0
	v_fmac_f64_e32 v[166:167], v[166:167], v[170:171]
	v_mul_f64 v[170:171], v[168:169], v[166:167]
	v_fma_f64 v[164:165], -v[164:165], v[170:171], v[168:169]
	v_div_fmas_f64 v[164:165], v[164:165], v[166:167], v[170:171]
	v_div_fixup_f64 v[162:163], v[164:165], v[162:163], 1.0
	ds_write_b64 v234, v[162:163]
.LBB77_14:
	s_or_b64 exec, exec, s[2:3]
	s_waitcnt lgkmcnt(0)
	s_barrier
	ds_read_b64 v[162:163], v234
	v_cmp_lt_u32_e32 vcc, 2, v236
	s_and_saveexec_b64 s[2:3], vcc
	s_cbranch_execz .LBB77_16
; %bb.15:
	ds_read2_b64 v[164:167], v235 offset0:3 offset1:4
	ds_read2_b64 v[168:171], v235 offset0:5 offset1:6
	;; [unrolled: 1-line block ×3, first 2 shown]
	s_waitcnt vmcnt(36) lgkmcnt(3)
	v_mul_f64 v[154:155], v[162:163], v[154:155]
	s_waitcnt vmcnt(35) lgkmcnt(2)
	v_fma_f64 v[116:117], -v[154:155], v[164:165], v[116:117]
	s_waitcnt vmcnt(34)
	v_fma_f64 v[152:153], -v[154:155], v[166:167], v[152:153]
	ds_read2_b64 v[164:167], v235 offset0:9 offset1:10
	s_waitcnt vmcnt(33) lgkmcnt(2)
	v_fma_f64 v[114:115], -v[154:155], v[168:169], v[114:115]
	s_waitcnt vmcnt(32)
	v_fma_f64 v[150:151], -v[154:155], v[170:171], v[150:151]
	s_waitcnt vmcnt(31) lgkmcnt(1)
	v_fma_f64 v[112:113], -v[154:155], v[172:173], v[112:113]
	ds_read2_b64 v[168:171], v235 offset0:11 offset1:12
	s_waitcnt vmcnt(30)
	v_fma_f64 v[148:149], -v[154:155], v[174:175], v[148:149]
	ds_read2_b64 v[172:175], v235 offset0:13 offset1:14
	s_waitcnt vmcnt(29) lgkmcnt(2)
	v_fma_f64 v[110:111], -v[154:155], v[164:165], v[110:111]
	s_waitcnt vmcnt(28)
	v_fma_f64 v[146:147], -v[154:155], v[166:167], v[146:147]
	s_waitcnt vmcnt(27) lgkmcnt(1)
	v_fma_f64 v[108:109], -v[154:155], v[168:169], v[108:109]
	ds_read2_b64 v[164:167], v235 offset0:15 offset1:16
	s_waitcnt vmcnt(26)
	v_fma_f64 v[144:145], -v[154:155], v[170:171], v[144:145]
	ds_read2_b64 v[168:171], v235 offset0:17 offset1:18
	s_waitcnt vmcnt(25) lgkmcnt(2)
	v_fma_f64 v[106:107], -v[154:155], v[172:173], v[106:107]
	s_waitcnt vmcnt(24)
	v_fma_f64 v[142:143], -v[154:155], v[174:175], v[142:143]
	ds_read2_b64 v[172:175], v235 offset0:19 offset1:20
	s_waitcnt vmcnt(23) lgkmcnt(2)
	v_fma_f64 v[104:105], -v[154:155], v[164:165], v[104:105]
	;; [unrolled: 5-line block ×3, first 2 shown]
	s_waitcnt vmcnt(20)
	v_fma_f64 v[138:139], -v[154:155], v[170:171], v[138:139]
	s_waitcnt vmcnt(19) lgkmcnt(1)
	v_fma_f64 v[100:101], -v[154:155], v[172:173], v[100:101]
	ds_read2_b64 v[168:171], v235 offset0:23 offset1:24
	s_waitcnt vmcnt(18)
	v_fma_f64 v[136:137], -v[154:155], v[174:175], v[136:137]
	ds_read2_b64 v[172:175], v235 offset0:25 offset1:26
	s_waitcnt vmcnt(17) lgkmcnt(2)
	v_fma_f64 v[98:99], -v[154:155], v[164:165], v[98:99]
	s_waitcnt vmcnt(16)
	v_fma_f64 v[134:135], -v[154:155], v[166:167], v[134:135]
	s_waitcnt vmcnt(15) lgkmcnt(1)
	v_fma_f64 v[96:97], -v[154:155], v[168:169], v[96:97]
	ds_read2_b64 v[164:167], v235 offset0:27 offset1:28
	s_waitcnt vmcnt(14)
	v_fma_f64 v[132:133], -v[154:155], v[170:171], v[132:133]
	ds_read2_b64 v[168:171], v235 offset0:29 offset1:30
	s_waitcnt vmcnt(13) lgkmcnt(2)
	v_fma_f64 v[94:95], -v[154:155], v[172:173], v[94:95]
	s_waitcnt vmcnt(12)
	v_fma_f64 v[130:131], -v[154:155], v[174:175], v[130:131]
	ds_read2_b64 v[172:175], v235 offset0:31 offset1:32
	s_waitcnt vmcnt(11) lgkmcnt(2)
	v_fma_f64 v[92:93], -v[154:155], v[164:165], v[92:93]
	;; [unrolled: 5-line block ×3, first 2 shown]
	s_waitcnt vmcnt(8)
	v_fma_f64 v[126:127], -v[154:155], v[170:171], v[126:127]
	s_waitcnt vmcnt(7) lgkmcnt(1)
	v_fma_f64 v[88:89], -v[154:155], v[172:173], v[88:89]
	ds_read2_b64 v[168:171], v235 offset0:35 offset1:36
	s_waitcnt vmcnt(6)
	v_fma_f64 v[124:125], -v[154:155], v[174:175], v[124:125]
	ds_read2_b64 v[172:175], v235 offset0:37 offset1:38
	s_waitcnt vmcnt(5) lgkmcnt(2)
	v_fma_f64 v[86:87], -v[154:155], v[164:165], v[86:87]
	s_waitcnt vmcnt(4)
	v_fma_f64 v[122:123], -v[154:155], v[166:167], v[122:123]
	s_waitcnt vmcnt(3) lgkmcnt(1)
	v_fma_f64 v[84:85], -v[154:155], v[168:169], v[84:85]
	s_waitcnt vmcnt(2)
	v_fma_f64 v[120:121], -v[154:155], v[170:171], v[120:121]
	;; [unrolled: 4-line block ×3, first 2 shown]
.LBB77_16:
	s_or_b64 exec, exec, s[2:3]
	v_cmp_eq_u32_e32 vcc, 3, v236
	s_waitcnt lgkmcnt(0)
	s_barrier
	s_and_saveexec_b64 s[2:3], vcc
	s_cbranch_execz .LBB77_19
; %bb.17:
	s_waitcnt vmcnt(34)
	v_mov_b32_e32 v164, v152
	v_mov_b32_e32 v165, v153
	s_waitcnt vmcnt(33)
	v_mov_b32_e32 v166, v114
	v_mov_b32_e32 v167, v115
	ds_write_b64 v234, v[116:117]
	ds_write2_b64 v235, v[164:165], v[166:167] offset0:4 offset1:5
	s_waitcnt vmcnt(32)
	v_mov_b32_e32 v164, v150
	v_mov_b32_e32 v165, v151
	s_waitcnt vmcnt(31)
	v_mov_b32_e32 v166, v112
	v_mov_b32_e32 v167, v113
	ds_write2_b64 v235, v[164:165], v[166:167] offset0:6 offset1:7
	s_waitcnt vmcnt(30)
	v_mov_b32_e32 v164, v148
	v_mov_b32_e32 v165, v149
	s_waitcnt vmcnt(29)
	v_mov_b32_e32 v166, v110
	v_mov_b32_e32 v167, v111
	;; [unrolled: 7-line block ×16, first 2 shown]
	ds_write2_b64 v235, v[164:165], v[166:167] offset0:36 offset1:37
	s_waitcnt vmcnt(0)
	ds_write_b64 v235, v[156:157] offset:304
	ds_read_b64 v[164:165], v234
	s_waitcnt lgkmcnt(0)
	v_cmp_neq_f64_e32 vcc, 0, v[164:165]
	s_and_b64 exec, exec, vcc
	s_cbranch_execz .LBB77_19
; %bb.18:
	v_div_scale_f64 v[166:167], s[6:7], v[164:165], v[164:165], 1.0
	v_rcp_f64_e32 v[168:169], v[166:167]
	v_div_scale_f64 v[170:171], vcc, 1.0, v[164:165], 1.0
	v_fma_f64 v[172:173], -v[166:167], v[168:169], 1.0
	v_fmac_f64_e32 v[168:169], v[168:169], v[172:173]
	v_fma_f64 v[172:173], -v[166:167], v[168:169], 1.0
	v_fmac_f64_e32 v[168:169], v[168:169], v[172:173]
	v_mul_f64 v[172:173], v[170:171], v[168:169]
	v_fma_f64 v[166:167], -v[166:167], v[172:173], v[170:171]
	v_div_fmas_f64 v[166:167], v[166:167], v[168:169], v[172:173]
	v_div_fixup_f64 v[164:165], v[166:167], v[164:165], 1.0
	ds_write_b64 v234, v[164:165]
.LBB77_19:
	s_or_b64 exec, exec, s[2:3]
	s_waitcnt lgkmcnt(0)
	s_barrier
	ds_read_b64 v[164:165], v234
	v_cmp_lt_u32_e32 vcc, 3, v236
	s_and_saveexec_b64 s[2:3], vcc
	s_cbranch_execz .LBB77_21
; %bb.20:
	ds_read2_b64 v[166:169], v235 offset0:4 offset1:5
	ds_read2_b64 v[170:173], v235 offset0:6 offset1:7
	ds_read2_b64 v[174:177], v235 offset0:8 offset1:9
	s_waitcnt vmcnt(35) lgkmcnt(3)
	v_mul_f64 v[116:117], v[164:165], v[116:117]
	s_waitcnt vmcnt(34) lgkmcnt(2)
	v_fma_f64 v[152:153], -v[116:117], v[166:167], v[152:153]
	s_waitcnt vmcnt(33)
	v_fma_f64 v[114:115], -v[116:117], v[168:169], v[114:115]
	ds_read2_b64 v[166:169], v235 offset0:10 offset1:11
	s_waitcnt vmcnt(32) lgkmcnt(2)
	v_fma_f64 v[150:151], -v[116:117], v[170:171], v[150:151]
	s_waitcnt vmcnt(31)
	v_fma_f64 v[112:113], -v[116:117], v[172:173], v[112:113]
	s_waitcnt vmcnt(30) lgkmcnt(1)
	v_fma_f64 v[148:149], -v[116:117], v[174:175], v[148:149]
	ds_read2_b64 v[170:173], v235 offset0:12 offset1:13
	s_waitcnt vmcnt(29)
	v_fma_f64 v[110:111], -v[116:117], v[176:177], v[110:111]
	ds_read2_b64 v[174:177], v235 offset0:14 offset1:15
	s_waitcnt vmcnt(28) lgkmcnt(2)
	v_fma_f64 v[146:147], -v[116:117], v[166:167], v[146:147]
	s_waitcnt vmcnt(27)
	v_fma_f64 v[108:109], -v[116:117], v[168:169], v[108:109]
	s_waitcnt vmcnt(26) lgkmcnt(1)
	v_fma_f64 v[144:145], -v[116:117], v[170:171], v[144:145]
	ds_read2_b64 v[166:169], v235 offset0:16 offset1:17
	s_waitcnt vmcnt(25)
	v_fma_f64 v[106:107], -v[116:117], v[172:173], v[106:107]
	ds_read2_b64 v[170:173], v235 offset0:18 offset1:19
	s_waitcnt vmcnt(24) lgkmcnt(2)
	v_fma_f64 v[142:143], -v[116:117], v[174:175], v[142:143]
	s_waitcnt vmcnt(23)
	v_fma_f64 v[104:105], -v[116:117], v[176:177], v[104:105]
	ds_read2_b64 v[174:177], v235 offset0:20 offset1:21
	s_waitcnt vmcnt(22) lgkmcnt(2)
	v_fma_f64 v[140:141], -v[116:117], v[166:167], v[140:141]
	;; [unrolled: 5-line block ×3, first 2 shown]
	s_waitcnt vmcnt(19)
	v_fma_f64 v[100:101], -v[116:117], v[172:173], v[100:101]
	s_waitcnt vmcnt(18) lgkmcnt(1)
	v_fma_f64 v[136:137], -v[116:117], v[174:175], v[136:137]
	ds_read2_b64 v[170:173], v235 offset0:24 offset1:25
	s_waitcnt vmcnt(17)
	v_fma_f64 v[98:99], -v[116:117], v[176:177], v[98:99]
	ds_read2_b64 v[174:177], v235 offset0:26 offset1:27
	s_waitcnt vmcnt(16) lgkmcnt(2)
	v_fma_f64 v[134:135], -v[116:117], v[166:167], v[134:135]
	s_waitcnt vmcnt(15)
	v_fma_f64 v[96:97], -v[116:117], v[168:169], v[96:97]
	s_waitcnt vmcnt(14) lgkmcnt(1)
	v_fma_f64 v[132:133], -v[116:117], v[170:171], v[132:133]
	ds_read2_b64 v[166:169], v235 offset0:28 offset1:29
	s_waitcnt vmcnt(13)
	v_fma_f64 v[94:95], -v[116:117], v[172:173], v[94:95]
	ds_read2_b64 v[170:173], v235 offset0:30 offset1:31
	s_waitcnt vmcnt(12) lgkmcnt(2)
	v_fma_f64 v[130:131], -v[116:117], v[174:175], v[130:131]
	s_waitcnt vmcnt(11)
	v_fma_f64 v[92:93], -v[116:117], v[176:177], v[92:93]
	ds_read2_b64 v[174:177], v235 offset0:32 offset1:33
	s_waitcnt vmcnt(10) lgkmcnt(2)
	v_fma_f64 v[128:129], -v[116:117], v[166:167], v[128:129]
	s_waitcnt vmcnt(9)
	v_fma_f64 v[90:91], -v[116:117], v[168:169], v[90:91]
	ds_read2_b64 v[166:169], v235 offset0:34 offset1:35
	s_waitcnt vmcnt(8) lgkmcnt(2)
	v_fma_f64 v[126:127], -v[116:117], v[170:171], v[126:127]
	s_waitcnt vmcnt(7)
	v_fma_f64 v[88:89], -v[116:117], v[172:173], v[88:89]
	s_waitcnt vmcnt(6) lgkmcnt(1)
	v_fma_f64 v[124:125], -v[116:117], v[174:175], v[124:125]
	ds_read2_b64 v[170:173], v235 offset0:36 offset1:37
	ds_read_b64 v[174:175], v235 offset:304
	s_waitcnt vmcnt(5)
	v_fma_f64 v[86:87], -v[116:117], v[176:177], v[86:87]
	s_waitcnt vmcnt(4) lgkmcnt(2)
	v_fma_f64 v[122:123], -v[116:117], v[166:167], v[122:123]
	s_waitcnt vmcnt(3)
	v_fma_f64 v[84:85], -v[116:117], v[168:169], v[84:85]
	s_waitcnt vmcnt(2) lgkmcnt(1)
	v_fma_f64 v[120:121], -v[116:117], v[170:171], v[120:121]
	;; [unrolled: 4-line block ×3, first 2 shown]
.LBB77_21:
	s_or_b64 exec, exec, s[2:3]
	v_cmp_eq_u32_e32 vcc, 4, v236
	s_waitcnt lgkmcnt(0)
	s_barrier
	s_and_saveexec_b64 s[2:3], vcc
	s_cbranch_execz .LBB77_24
; %bb.22:
	s_waitcnt vmcnt(34)
	ds_write_b64 v234, v[152:153]
	s_waitcnt vmcnt(32)
	ds_write2_b64 v235, v[114:115], v[150:151] offset0:5 offset1:6
	s_waitcnt vmcnt(30)
	ds_write2_b64 v235, v[112:113], v[148:149] offset0:7 offset1:8
	;; [unrolled: 2-line block ×17, first 2 shown]
	ds_read_b64 v[166:167], v234
	s_waitcnt lgkmcnt(0)
	v_cmp_neq_f64_e32 vcc, 0, v[166:167]
	s_and_b64 exec, exec, vcc
	s_cbranch_execz .LBB77_24
; %bb.23:
	v_div_scale_f64 v[168:169], s[6:7], v[166:167], v[166:167], 1.0
	v_rcp_f64_e32 v[170:171], v[168:169]
	v_div_scale_f64 v[172:173], vcc, 1.0, v[166:167], 1.0
	v_fma_f64 v[174:175], -v[168:169], v[170:171], 1.0
	v_fmac_f64_e32 v[170:171], v[170:171], v[174:175]
	v_fma_f64 v[174:175], -v[168:169], v[170:171], 1.0
	v_fmac_f64_e32 v[170:171], v[170:171], v[174:175]
	v_mul_f64 v[174:175], v[172:173], v[170:171]
	v_fma_f64 v[168:169], -v[168:169], v[174:175], v[172:173]
	v_div_fmas_f64 v[168:169], v[168:169], v[170:171], v[174:175]
	v_div_fixup_f64 v[166:167], v[168:169], v[166:167], 1.0
	ds_write_b64 v234, v[166:167]
.LBB77_24:
	s_or_b64 exec, exec, s[2:3]
	s_waitcnt lgkmcnt(0)
	s_barrier
	ds_read_b64 v[166:167], v234
	v_cmp_lt_u32_e32 vcc, 4, v236
	s_and_saveexec_b64 s[2:3], vcc
	s_cbranch_execz .LBB77_26
; %bb.25:
	ds_read2_b64 v[168:171], v235 offset0:5 offset1:6
	ds_read2_b64 v[172:175], v235 offset0:7 offset1:8
	s_waitcnt vmcnt(34) lgkmcnt(2)
	v_mul_f64 v[152:153], v[166:167], v[152:153]
	ds_read2_b64 v[176:179], v235 offset0:9 offset1:10
	s_waitcnt vmcnt(33) lgkmcnt(2)
	v_fma_f64 v[114:115], -v[152:153], v[168:169], v[114:115]
	s_waitcnt vmcnt(32)
	v_fma_f64 v[150:151], -v[152:153], v[170:171], v[150:151]
	ds_read2_b64 v[168:171], v235 offset0:11 offset1:12
	s_waitcnt vmcnt(31) lgkmcnt(2)
	v_fma_f64 v[112:113], -v[152:153], v[172:173], v[112:113]
	s_waitcnt vmcnt(30)
	v_fma_f64 v[148:149], -v[152:153], v[174:175], v[148:149]
	;; [unrolled: 5-line block ×4, first 2 shown]
	s_waitcnt vmcnt(25) lgkmcnt(1)
	v_fma_f64 v[106:107], -v[152:153], v[172:173], v[106:107]
	ds_read2_b64 v[168:171], v235 offset0:17 offset1:18
	s_waitcnt vmcnt(24)
	v_fma_f64 v[142:143], -v[152:153], v[174:175], v[142:143]
	ds_read2_b64 v[172:175], v235 offset0:19 offset1:20
	s_waitcnt vmcnt(23) lgkmcnt(2)
	v_fma_f64 v[104:105], -v[152:153], v[176:177], v[104:105]
	s_waitcnt vmcnt(22)
	v_fma_f64 v[140:141], -v[152:153], v[178:179], v[140:141]
	s_waitcnt vmcnt(21) lgkmcnt(1)
	v_fma_f64 v[102:103], -v[152:153], v[168:169], v[102:103]
	ds_read2_b64 v[176:179], v235 offset0:21 offset1:22
	s_waitcnt vmcnt(20)
	v_fma_f64 v[138:139], -v[152:153], v[170:171], v[138:139]
	ds_read2_b64 v[168:171], v235 offset0:23 offset1:24
	s_waitcnt vmcnt(19) lgkmcnt(2)
	v_fma_f64 v[100:101], -v[152:153], v[172:173], v[100:101]
	s_waitcnt vmcnt(18)
	v_fma_f64 v[136:137], -v[152:153], v[174:175], v[136:137]
	ds_read2_b64 v[172:175], v235 offset0:25 offset1:26
	s_waitcnt vmcnt(17) lgkmcnt(2)
	v_fma_f64 v[98:99], -v[152:153], v[176:177], v[98:99]
	;; [unrolled: 5-line block ×3, first 2 shown]
	s_waitcnt vmcnt(14)
	v_fma_f64 v[132:133], -v[152:153], v[170:171], v[132:133]
	s_waitcnt vmcnt(13) lgkmcnt(1)
	v_fma_f64 v[94:95], -v[152:153], v[172:173], v[94:95]
	ds_read2_b64 v[168:171], v235 offset0:29 offset1:30
	s_waitcnt vmcnt(12)
	v_fma_f64 v[130:131], -v[152:153], v[174:175], v[130:131]
	ds_read2_b64 v[172:175], v235 offset0:31 offset1:32
	s_waitcnt vmcnt(11) lgkmcnt(2)
	v_fma_f64 v[92:93], -v[152:153], v[176:177], v[92:93]
	s_waitcnt vmcnt(10)
	v_fma_f64 v[128:129], -v[152:153], v[178:179], v[128:129]
	s_waitcnt vmcnt(9) lgkmcnt(1)
	v_fma_f64 v[90:91], -v[152:153], v[168:169], v[90:91]
	s_waitcnt vmcnt(8)
	v_fma_f64 v[126:127], -v[152:153], v[170:171], v[126:127]
	ds_read2_b64 v[168:171], v235 offset0:33 offset1:34
	ds_read2_b64 v[176:179], v235 offset0:35 offset1:36
	s_waitcnt vmcnt(7) lgkmcnt(2)
	v_fma_f64 v[88:89], -v[152:153], v[172:173], v[88:89]
	s_waitcnt vmcnt(6)
	v_fma_f64 v[124:125], -v[152:153], v[174:175], v[124:125]
	ds_read2_b64 v[172:175], v235 offset0:37 offset1:38
	s_waitcnt vmcnt(5) lgkmcnt(2)
	v_fma_f64 v[86:87], -v[152:153], v[168:169], v[86:87]
	s_waitcnt vmcnt(4)
	v_fma_f64 v[122:123], -v[152:153], v[170:171], v[122:123]
	s_waitcnt vmcnt(3) lgkmcnt(1)
	v_fma_f64 v[84:85], -v[152:153], v[176:177], v[84:85]
	s_waitcnt vmcnt(2)
	v_fma_f64 v[120:121], -v[152:153], v[178:179], v[120:121]
	;; [unrolled: 4-line block ×3, first 2 shown]
.LBB77_26:
	s_or_b64 exec, exec, s[2:3]
	v_cmp_eq_u32_e32 vcc, 5, v236
	s_waitcnt lgkmcnt(0)
	s_barrier
	s_and_saveexec_b64 s[2:3], vcc
	s_cbranch_execz .LBB77_29
; %bb.27:
	s_waitcnt vmcnt(32)
	v_mov_b32_e32 v168, v150
	v_mov_b32_e32 v169, v151
	s_waitcnt vmcnt(31)
	v_mov_b32_e32 v170, v112
	v_mov_b32_e32 v171, v113
	ds_write_b64 v234, v[114:115]
	ds_write2_b64 v235, v[168:169], v[170:171] offset0:6 offset1:7
	s_waitcnt vmcnt(30)
	v_mov_b32_e32 v168, v148
	v_mov_b32_e32 v169, v149
	s_waitcnt vmcnt(29)
	v_mov_b32_e32 v170, v110
	v_mov_b32_e32 v171, v111
	ds_write2_b64 v235, v[168:169], v[170:171] offset0:8 offset1:9
	s_waitcnt vmcnt(28)
	v_mov_b32_e32 v168, v146
	v_mov_b32_e32 v169, v147
	s_waitcnt vmcnt(27)
	v_mov_b32_e32 v170, v108
	v_mov_b32_e32 v171, v109
	;; [unrolled: 7-line block ×15, first 2 shown]
	ds_write2_b64 v235, v[168:169], v[170:171] offset0:36 offset1:37
	s_waitcnt vmcnt(0)
	ds_write_b64 v235, v[156:157] offset:304
	ds_read_b64 v[168:169], v234
	s_waitcnt lgkmcnt(0)
	v_cmp_neq_f64_e32 vcc, 0, v[168:169]
	s_and_b64 exec, exec, vcc
	s_cbranch_execz .LBB77_29
; %bb.28:
	v_div_scale_f64 v[170:171], s[6:7], v[168:169], v[168:169], 1.0
	v_rcp_f64_e32 v[172:173], v[170:171]
	v_div_scale_f64 v[174:175], vcc, 1.0, v[168:169], 1.0
	v_fma_f64 v[176:177], -v[170:171], v[172:173], 1.0
	v_fmac_f64_e32 v[172:173], v[172:173], v[176:177]
	v_fma_f64 v[176:177], -v[170:171], v[172:173], 1.0
	v_fmac_f64_e32 v[172:173], v[172:173], v[176:177]
	v_mul_f64 v[176:177], v[174:175], v[172:173]
	v_fma_f64 v[170:171], -v[170:171], v[176:177], v[174:175]
	v_div_fmas_f64 v[170:171], v[170:171], v[172:173], v[176:177]
	v_div_fixup_f64 v[168:169], v[170:171], v[168:169], 1.0
	ds_write_b64 v234, v[168:169]
.LBB77_29:
	s_or_b64 exec, exec, s[2:3]
	s_waitcnt lgkmcnt(0)
	s_barrier
	ds_read_b64 v[168:169], v234
	v_cmp_lt_u32_e32 vcc, 5, v236
	s_and_saveexec_b64 s[2:3], vcc
	s_cbranch_execz .LBB77_31
; %bb.30:
	ds_read2_b64 v[170:173], v235 offset0:6 offset1:7
	ds_read2_b64 v[174:177], v235 offset0:8 offset1:9
	s_waitcnt vmcnt(33) lgkmcnt(2)
	v_mul_f64 v[114:115], v[168:169], v[114:115]
	ds_read2_b64 v[178:181], v235 offset0:10 offset1:11
	s_waitcnt vmcnt(32) lgkmcnt(2)
	v_fma_f64 v[150:151], -v[114:115], v[170:171], v[150:151]
	s_waitcnt vmcnt(31)
	v_fma_f64 v[112:113], -v[114:115], v[172:173], v[112:113]
	ds_read2_b64 v[170:173], v235 offset0:12 offset1:13
	s_waitcnt vmcnt(30) lgkmcnt(2)
	v_fma_f64 v[148:149], -v[114:115], v[174:175], v[148:149]
	s_waitcnt vmcnt(29)
	v_fma_f64 v[110:111], -v[114:115], v[176:177], v[110:111]
	;; [unrolled: 5-line block ×4, first 2 shown]
	s_waitcnt vmcnt(24) lgkmcnt(1)
	v_fma_f64 v[142:143], -v[114:115], v[174:175], v[142:143]
	ds_read2_b64 v[170:173], v235 offset0:18 offset1:19
	s_waitcnt vmcnt(23)
	v_fma_f64 v[104:105], -v[114:115], v[176:177], v[104:105]
	ds_read2_b64 v[174:177], v235 offset0:20 offset1:21
	s_waitcnt vmcnt(22) lgkmcnt(2)
	v_fma_f64 v[140:141], -v[114:115], v[178:179], v[140:141]
	s_waitcnt vmcnt(21)
	v_fma_f64 v[102:103], -v[114:115], v[180:181], v[102:103]
	s_waitcnt vmcnt(20) lgkmcnt(1)
	v_fma_f64 v[138:139], -v[114:115], v[170:171], v[138:139]
	ds_read2_b64 v[178:181], v235 offset0:22 offset1:23
	s_waitcnt vmcnt(19)
	v_fma_f64 v[100:101], -v[114:115], v[172:173], v[100:101]
	ds_read2_b64 v[170:173], v235 offset0:24 offset1:25
	s_waitcnt vmcnt(18) lgkmcnt(2)
	v_fma_f64 v[136:137], -v[114:115], v[174:175], v[136:137]
	s_waitcnt vmcnt(17)
	v_fma_f64 v[98:99], -v[114:115], v[176:177], v[98:99]
	ds_read2_b64 v[174:177], v235 offset0:26 offset1:27
	s_waitcnt vmcnt(16) lgkmcnt(2)
	v_fma_f64 v[134:135], -v[114:115], v[178:179], v[134:135]
	;; [unrolled: 5-line block ×3, first 2 shown]
	s_waitcnt vmcnt(13)
	v_fma_f64 v[94:95], -v[114:115], v[172:173], v[94:95]
	s_waitcnt vmcnt(12) lgkmcnt(1)
	v_fma_f64 v[130:131], -v[114:115], v[174:175], v[130:131]
	ds_read2_b64 v[170:173], v235 offset0:30 offset1:31
	s_waitcnt vmcnt(11)
	v_fma_f64 v[92:93], -v[114:115], v[176:177], v[92:93]
	ds_read2_b64 v[174:177], v235 offset0:32 offset1:33
	s_waitcnt vmcnt(10) lgkmcnt(2)
	v_fma_f64 v[128:129], -v[114:115], v[178:179], v[128:129]
	s_waitcnt vmcnt(9)
	v_fma_f64 v[90:91], -v[114:115], v[180:181], v[90:91]
	s_waitcnt vmcnt(8) lgkmcnt(1)
	v_fma_f64 v[126:127], -v[114:115], v[170:171], v[126:127]
	s_waitcnt vmcnt(7)
	v_fma_f64 v[88:89], -v[114:115], v[172:173], v[88:89]
	ds_read2_b64 v[170:173], v235 offset0:34 offset1:35
	ds_read2_b64 v[178:181], v235 offset0:36 offset1:37
	s_waitcnt vmcnt(6) lgkmcnt(2)
	v_fma_f64 v[124:125], -v[114:115], v[174:175], v[124:125]
	ds_read_b64 v[174:175], v235 offset:304
	s_waitcnt vmcnt(5)
	v_fma_f64 v[86:87], -v[114:115], v[176:177], v[86:87]
	s_waitcnt vmcnt(4) lgkmcnt(2)
	v_fma_f64 v[122:123], -v[114:115], v[170:171], v[122:123]
	s_waitcnt vmcnt(3)
	v_fma_f64 v[84:85], -v[114:115], v[172:173], v[84:85]
	s_waitcnt vmcnt(2) lgkmcnt(1)
	v_fma_f64 v[120:121], -v[114:115], v[178:179], v[120:121]
	s_waitcnt vmcnt(1)
	v_fma_f64 v[82:83], -v[114:115], v[180:181], v[82:83]
	s_waitcnt vmcnt(0) lgkmcnt(0)
	v_fma_f64 v[156:157], -v[114:115], v[174:175], v[156:157]
.LBB77_31:
	s_or_b64 exec, exec, s[2:3]
	v_cmp_eq_u32_e32 vcc, 6, v236
	s_waitcnt lgkmcnt(0)
	s_barrier
	s_and_saveexec_b64 s[2:3], vcc
	s_cbranch_execz .LBB77_34
; %bb.32:
	s_waitcnt vmcnt(32)
	ds_write_b64 v234, v[150:151]
	s_waitcnt vmcnt(30)
	ds_write2_b64 v235, v[112:113], v[148:149] offset0:7 offset1:8
	s_waitcnt vmcnt(28)
	ds_write2_b64 v235, v[110:111], v[146:147] offset0:9 offset1:10
	;; [unrolled: 2-line block ×16, first 2 shown]
	ds_read_b64 v[170:171], v234
	s_waitcnt lgkmcnt(0)
	v_cmp_neq_f64_e32 vcc, 0, v[170:171]
	s_and_b64 exec, exec, vcc
	s_cbranch_execz .LBB77_34
; %bb.33:
	v_div_scale_f64 v[172:173], s[6:7], v[170:171], v[170:171], 1.0
	v_rcp_f64_e32 v[174:175], v[172:173]
	v_div_scale_f64 v[176:177], vcc, 1.0, v[170:171], 1.0
	v_fma_f64 v[178:179], -v[172:173], v[174:175], 1.0
	v_fmac_f64_e32 v[174:175], v[174:175], v[178:179]
	v_fma_f64 v[178:179], -v[172:173], v[174:175], 1.0
	v_fmac_f64_e32 v[174:175], v[174:175], v[178:179]
	v_mul_f64 v[178:179], v[176:177], v[174:175]
	v_fma_f64 v[172:173], -v[172:173], v[178:179], v[176:177]
	v_div_fmas_f64 v[172:173], v[172:173], v[174:175], v[178:179]
	v_div_fixup_f64 v[170:171], v[172:173], v[170:171], 1.0
	ds_write_b64 v234, v[170:171]
.LBB77_34:
	s_or_b64 exec, exec, s[2:3]
	s_waitcnt lgkmcnt(0)
	s_barrier
	ds_read_b64 v[170:171], v234
	v_cmp_lt_u32_e32 vcc, 6, v236
	s_and_saveexec_b64 s[2:3], vcc
	s_cbranch_execz .LBB77_36
; %bb.35:
	ds_read2_b64 v[172:175], v235 offset0:7 offset1:8
	ds_read2_b64 v[176:179], v235 offset0:9 offset1:10
	s_waitcnt vmcnt(32) lgkmcnt(2)
	v_mul_f64 v[150:151], v[170:171], v[150:151]
	ds_read2_b64 v[180:183], v235 offset0:11 offset1:12
	s_waitcnt vmcnt(31) lgkmcnt(2)
	v_fma_f64 v[112:113], -v[150:151], v[172:173], v[112:113]
	s_waitcnt vmcnt(30)
	v_fma_f64 v[148:149], -v[150:151], v[174:175], v[148:149]
	ds_read2_b64 v[172:175], v235 offset0:13 offset1:14
	s_waitcnt vmcnt(29) lgkmcnt(2)
	v_fma_f64 v[110:111], -v[150:151], v[176:177], v[110:111]
	s_waitcnt vmcnt(28)
	v_fma_f64 v[146:147], -v[150:151], v[178:179], v[146:147]
	s_waitcnt vmcnt(27) lgkmcnt(1)
	v_fma_f64 v[108:109], -v[150:151], v[180:181], v[108:109]
	ds_read2_b64 v[176:179], v235 offset0:15 offset1:16
	s_waitcnt vmcnt(26)
	v_fma_f64 v[144:145], -v[150:151], v[182:183], v[144:145]
	ds_read2_b64 v[180:183], v235 offset0:17 offset1:18
	s_waitcnt vmcnt(25) lgkmcnt(2)
	v_fma_f64 v[106:107], -v[150:151], v[172:173], v[106:107]
	s_waitcnt vmcnt(24)
	v_fma_f64 v[142:143], -v[150:151], v[174:175], v[142:143]
	ds_read2_b64 v[172:175], v235 offset0:19 offset1:20
	s_waitcnt vmcnt(23) lgkmcnt(2)
	v_fma_f64 v[104:105], -v[150:151], v[176:177], v[104:105]
	;; [unrolled: 5-line block ×3, first 2 shown]
	s_waitcnt vmcnt(20)
	v_fma_f64 v[138:139], -v[150:151], v[182:183], v[138:139]
	s_waitcnt vmcnt(19) lgkmcnt(1)
	v_fma_f64 v[100:101], -v[150:151], v[172:173], v[100:101]
	ds_read2_b64 v[180:183], v235 offset0:23 offset1:24
	s_waitcnt vmcnt(18)
	v_fma_f64 v[136:137], -v[150:151], v[174:175], v[136:137]
	ds_read2_b64 v[172:175], v235 offset0:25 offset1:26
	s_waitcnt vmcnt(17) lgkmcnt(2)
	v_fma_f64 v[98:99], -v[150:151], v[176:177], v[98:99]
	s_waitcnt vmcnt(16)
	v_fma_f64 v[134:135], -v[150:151], v[178:179], v[134:135]
	s_waitcnt vmcnt(15) lgkmcnt(1)
	v_fma_f64 v[96:97], -v[150:151], v[180:181], v[96:97]
	ds_read2_b64 v[176:179], v235 offset0:27 offset1:28
	s_waitcnt vmcnt(14)
	v_fma_f64 v[132:133], -v[150:151], v[182:183], v[132:133]
	ds_read2_b64 v[180:183], v235 offset0:29 offset1:30
	s_waitcnt vmcnt(13) lgkmcnt(2)
	v_fma_f64 v[94:95], -v[150:151], v[172:173], v[94:95]
	s_waitcnt vmcnt(12)
	v_fma_f64 v[130:131], -v[150:151], v[174:175], v[130:131]
	ds_read2_b64 v[172:175], v235 offset0:31 offset1:32
	s_waitcnt vmcnt(11) lgkmcnt(2)
	v_fma_f64 v[92:93], -v[150:151], v[176:177], v[92:93]
	;; [unrolled: 5-line block ×3, first 2 shown]
	s_waitcnt vmcnt(8)
	v_fma_f64 v[126:127], -v[150:151], v[182:183], v[126:127]
	s_waitcnt vmcnt(7) lgkmcnt(1)
	v_fma_f64 v[88:89], -v[150:151], v[172:173], v[88:89]
	ds_read2_b64 v[180:183], v235 offset0:35 offset1:36
	s_waitcnt vmcnt(6)
	v_fma_f64 v[124:125], -v[150:151], v[174:175], v[124:125]
	ds_read2_b64 v[172:175], v235 offset0:37 offset1:38
	s_waitcnt vmcnt(5) lgkmcnt(2)
	v_fma_f64 v[86:87], -v[150:151], v[176:177], v[86:87]
	s_waitcnt vmcnt(4)
	v_fma_f64 v[122:123], -v[150:151], v[178:179], v[122:123]
	s_waitcnt vmcnt(3) lgkmcnt(1)
	v_fma_f64 v[84:85], -v[150:151], v[180:181], v[84:85]
	s_waitcnt vmcnt(2)
	v_fma_f64 v[120:121], -v[150:151], v[182:183], v[120:121]
	;; [unrolled: 4-line block ×3, first 2 shown]
.LBB77_36:
	s_or_b64 exec, exec, s[2:3]
	v_cmp_eq_u32_e32 vcc, 7, v236
	s_waitcnt lgkmcnt(0)
	s_barrier
	s_and_saveexec_b64 s[2:3], vcc
	s_cbranch_execz .LBB77_39
; %bb.37:
	s_waitcnt vmcnt(30)
	v_mov_b32_e32 v172, v148
	v_mov_b32_e32 v173, v149
	s_waitcnt vmcnt(29)
	v_mov_b32_e32 v174, v110
	v_mov_b32_e32 v175, v111
	ds_write_b64 v234, v[112:113]
	ds_write2_b64 v235, v[172:173], v[174:175] offset0:8 offset1:9
	s_waitcnt vmcnt(28)
	v_mov_b32_e32 v172, v146
	v_mov_b32_e32 v173, v147
	s_waitcnt vmcnt(27)
	v_mov_b32_e32 v174, v108
	v_mov_b32_e32 v175, v109
	ds_write2_b64 v235, v[172:173], v[174:175] offset0:10 offset1:11
	s_waitcnt vmcnt(26)
	v_mov_b32_e32 v172, v144
	v_mov_b32_e32 v173, v145
	s_waitcnt vmcnt(25)
	v_mov_b32_e32 v174, v106
	v_mov_b32_e32 v175, v107
	ds_write2_b64 v235, v[172:173], v[174:175] offset0:12 offset1:13
	s_waitcnt vmcnt(24)
	v_mov_b32_e32 v172, v142
	v_mov_b32_e32 v173, v143
	s_waitcnt vmcnt(23)
	v_mov_b32_e32 v174, v104
	v_mov_b32_e32 v175, v105
	ds_write2_b64 v235, v[172:173], v[174:175] offset0:14 offset1:15
	s_waitcnt vmcnt(22)
	v_mov_b32_e32 v172, v140
	v_mov_b32_e32 v173, v141
	s_waitcnt vmcnt(21)
	v_mov_b32_e32 v174, v102
	v_mov_b32_e32 v175, v103
	ds_write2_b64 v235, v[172:173], v[174:175] offset0:16 offset1:17
	s_waitcnt vmcnt(20)
	v_mov_b32_e32 v172, v138
	v_mov_b32_e32 v173, v139
	s_waitcnt vmcnt(19)
	v_mov_b32_e32 v174, v100
	v_mov_b32_e32 v175, v101
	ds_write2_b64 v235, v[172:173], v[174:175] offset0:18 offset1:19
	s_waitcnt vmcnt(18)
	v_mov_b32_e32 v172, v136
	v_mov_b32_e32 v173, v137
	s_waitcnt vmcnt(17)
	v_mov_b32_e32 v174, v98
	v_mov_b32_e32 v175, v99
	ds_write2_b64 v235, v[172:173], v[174:175] offset0:20 offset1:21
	s_waitcnt vmcnt(16)
	v_mov_b32_e32 v172, v134
	v_mov_b32_e32 v173, v135
	s_waitcnt vmcnt(15)
	v_mov_b32_e32 v174, v96
	v_mov_b32_e32 v175, v97
	ds_write2_b64 v235, v[172:173], v[174:175] offset0:22 offset1:23
	s_waitcnt vmcnt(14)
	v_mov_b32_e32 v172, v132
	v_mov_b32_e32 v173, v133
	s_waitcnt vmcnt(13)
	v_mov_b32_e32 v174, v94
	v_mov_b32_e32 v175, v95
	ds_write2_b64 v235, v[172:173], v[174:175] offset0:24 offset1:25
	s_waitcnt vmcnt(12)
	v_mov_b32_e32 v172, v130
	v_mov_b32_e32 v173, v131
	s_waitcnt vmcnt(11)
	v_mov_b32_e32 v174, v92
	v_mov_b32_e32 v175, v93
	ds_write2_b64 v235, v[172:173], v[174:175] offset0:26 offset1:27
	s_waitcnt vmcnt(10)
	v_mov_b32_e32 v172, v128
	v_mov_b32_e32 v173, v129
	s_waitcnt vmcnt(9)
	v_mov_b32_e32 v174, v90
	v_mov_b32_e32 v175, v91
	ds_write2_b64 v235, v[172:173], v[174:175] offset0:28 offset1:29
	s_waitcnt vmcnt(8)
	v_mov_b32_e32 v172, v126
	v_mov_b32_e32 v173, v127
	s_waitcnt vmcnt(7)
	v_mov_b32_e32 v174, v88
	v_mov_b32_e32 v175, v89
	ds_write2_b64 v235, v[172:173], v[174:175] offset0:30 offset1:31
	s_waitcnt vmcnt(6)
	v_mov_b32_e32 v172, v124
	v_mov_b32_e32 v173, v125
	s_waitcnt vmcnt(5)
	v_mov_b32_e32 v174, v86
	v_mov_b32_e32 v175, v87
	ds_write2_b64 v235, v[172:173], v[174:175] offset0:32 offset1:33
	s_waitcnt vmcnt(4)
	v_mov_b32_e32 v172, v122
	v_mov_b32_e32 v173, v123
	s_waitcnt vmcnt(3)
	v_mov_b32_e32 v174, v84
	v_mov_b32_e32 v175, v85
	ds_write2_b64 v235, v[172:173], v[174:175] offset0:34 offset1:35
	s_waitcnt vmcnt(2)
	v_mov_b32_e32 v172, v120
	v_mov_b32_e32 v173, v121
	s_waitcnt vmcnt(1)
	v_mov_b32_e32 v174, v82
	v_mov_b32_e32 v175, v83
	ds_write2_b64 v235, v[172:173], v[174:175] offset0:36 offset1:37
	s_waitcnt vmcnt(0)
	ds_write_b64 v235, v[156:157] offset:304
	ds_read_b64 v[172:173], v234
	s_waitcnt lgkmcnt(0)
	v_cmp_neq_f64_e32 vcc, 0, v[172:173]
	s_and_b64 exec, exec, vcc
	s_cbranch_execz .LBB77_39
; %bb.38:
	v_div_scale_f64 v[174:175], s[6:7], v[172:173], v[172:173], 1.0
	v_rcp_f64_e32 v[176:177], v[174:175]
	v_div_scale_f64 v[178:179], vcc, 1.0, v[172:173], 1.0
	v_fma_f64 v[180:181], -v[174:175], v[176:177], 1.0
	v_fmac_f64_e32 v[176:177], v[176:177], v[180:181]
	v_fma_f64 v[180:181], -v[174:175], v[176:177], 1.0
	v_fmac_f64_e32 v[176:177], v[176:177], v[180:181]
	v_mul_f64 v[180:181], v[178:179], v[176:177]
	v_fma_f64 v[174:175], -v[174:175], v[180:181], v[178:179]
	v_div_fmas_f64 v[174:175], v[174:175], v[176:177], v[180:181]
	v_div_fixup_f64 v[172:173], v[174:175], v[172:173], 1.0
	ds_write_b64 v234, v[172:173]
.LBB77_39:
	s_or_b64 exec, exec, s[2:3]
	s_waitcnt lgkmcnt(0)
	s_barrier
	ds_read_b64 v[172:173], v234
	v_cmp_lt_u32_e32 vcc, 7, v236
	s_and_saveexec_b64 s[2:3], vcc
	s_cbranch_execz .LBB77_41
; %bb.40:
	ds_read2_b64 v[174:177], v235 offset0:8 offset1:9
	ds_read2_b64 v[178:181], v235 offset0:10 offset1:11
	s_waitcnt vmcnt(31) lgkmcnt(2)
	v_mul_f64 v[112:113], v[172:173], v[112:113]
	ds_read2_b64 v[182:185], v235 offset0:12 offset1:13
	s_waitcnt vmcnt(30) lgkmcnt(2)
	v_fma_f64 v[148:149], -v[112:113], v[174:175], v[148:149]
	s_waitcnt vmcnt(29)
	v_fma_f64 v[110:111], -v[112:113], v[176:177], v[110:111]
	ds_read2_b64 v[174:177], v235 offset0:14 offset1:15
	s_waitcnt vmcnt(28) lgkmcnt(2)
	v_fma_f64 v[146:147], -v[112:113], v[178:179], v[146:147]
	s_waitcnt vmcnt(27)
	v_fma_f64 v[108:109], -v[112:113], v[180:181], v[108:109]
	s_waitcnt vmcnt(26) lgkmcnt(1)
	v_fma_f64 v[144:145], -v[112:113], v[182:183], v[144:145]
	ds_read2_b64 v[178:181], v235 offset0:16 offset1:17
	s_waitcnt vmcnt(25)
	v_fma_f64 v[106:107], -v[112:113], v[184:185], v[106:107]
	ds_read2_b64 v[182:185], v235 offset0:18 offset1:19
	s_waitcnt vmcnt(24) lgkmcnt(2)
	v_fma_f64 v[142:143], -v[112:113], v[174:175], v[142:143]
	s_waitcnt vmcnt(23)
	v_fma_f64 v[104:105], -v[112:113], v[176:177], v[104:105]
	ds_read2_b64 v[174:177], v235 offset0:20 offset1:21
	s_waitcnt vmcnt(22) lgkmcnt(2)
	v_fma_f64 v[140:141], -v[112:113], v[178:179], v[140:141]
	;; [unrolled: 5-line block ×3, first 2 shown]
	s_waitcnt vmcnt(19)
	v_fma_f64 v[100:101], -v[112:113], v[184:185], v[100:101]
	s_waitcnt vmcnt(18) lgkmcnt(1)
	v_fma_f64 v[136:137], -v[112:113], v[174:175], v[136:137]
	ds_read2_b64 v[182:185], v235 offset0:24 offset1:25
	s_waitcnt vmcnt(17)
	v_fma_f64 v[98:99], -v[112:113], v[176:177], v[98:99]
	ds_read2_b64 v[174:177], v235 offset0:26 offset1:27
	s_waitcnt vmcnt(16) lgkmcnt(2)
	v_fma_f64 v[134:135], -v[112:113], v[178:179], v[134:135]
	s_waitcnt vmcnt(15)
	v_fma_f64 v[96:97], -v[112:113], v[180:181], v[96:97]
	s_waitcnt vmcnt(14) lgkmcnt(1)
	v_fma_f64 v[132:133], -v[112:113], v[182:183], v[132:133]
	ds_read2_b64 v[178:181], v235 offset0:28 offset1:29
	s_waitcnt vmcnt(13)
	v_fma_f64 v[94:95], -v[112:113], v[184:185], v[94:95]
	ds_read2_b64 v[182:185], v235 offset0:30 offset1:31
	s_waitcnt vmcnt(12) lgkmcnt(2)
	v_fma_f64 v[130:131], -v[112:113], v[174:175], v[130:131]
	s_waitcnt vmcnt(11)
	v_fma_f64 v[92:93], -v[112:113], v[176:177], v[92:93]
	ds_read2_b64 v[174:177], v235 offset0:32 offset1:33
	s_waitcnt vmcnt(10) lgkmcnt(2)
	v_fma_f64 v[128:129], -v[112:113], v[178:179], v[128:129]
	;; [unrolled: 5-line block ×3, first 2 shown]
	s_waitcnt vmcnt(7)
	v_fma_f64 v[88:89], -v[112:113], v[184:185], v[88:89]
	s_waitcnt vmcnt(6) lgkmcnt(1)
	v_fma_f64 v[124:125], -v[112:113], v[174:175], v[124:125]
	ds_read2_b64 v[182:185], v235 offset0:36 offset1:37
	ds_read_b64 v[174:175], v235 offset:304
	s_waitcnt vmcnt(5)
	v_fma_f64 v[86:87], -v[112:113], v[176:177], v[86:87]
	s_waitcnt vmcnt(4) lgkmcnt(2)
	v_fma_f64 v[122:123], -v[112:113], v[178:179], v[122:123]
	s_waitcnt vmcnt(3)
	v_fma_f64 v[84:85], -v[112:113], v[180:181], v[84:85]
	s_waitcnt vmcnt(2) lgkmcnt(1)
	v_fma_f64 v[120:121], -v[112:113], v[182:183], v[120:121]
	;; [unrolled: 4-line block ×3, first 2 shown]
.LBB77_41:
	s_or_b64 exec, exec, s[2:3]
	v_cmp_eq_u32_e32 vcc, 8, v236
	s_waitcnt lgkmcnt(0)
	s_barrier
	s_and_saveexec_b64 s[2:3], vcc
	s_cbranch_execz .LBB77_44
; %bb.42:
	s_waitcnt vmcnt(30)
	ds_write_b64 v234, v[148:149]
	s_waitcnt vmcnt(28)
	ds_write2_b64 v235, v[110:111], v[146:147] offset0:9 offset1:10
	s_waitcnt vmcnt(26)
	ds_write2_b64 v235, v[108:109], v[144:145] offset0:11 offset1:12
	;; [unrolled: 2-line block ×15, first 2 shown]
	ds_read_b64 v[174:175], v234
	s_waitcnt lgkmcnt(0)
	v_cmp_neq_f64_e32 vcc, 0, v[174:175]
	s_and_b64 exec, exec, vcc
	s_cbranch_execz .LBB77_44
; %bb.43:
	v_div_scale_f64 v[176:177], s[6:7], v[174:175], v[174:175], 1.0
	v_rcp_f64_e32 v[178:179], v[176:177]
	v_div_scale_f64 v[180:181], vcc, 1.0, v[174:175], 1.0
	v_fma_f64 v[182:183], -v[176:177], v[178:179], 1.0
	v_fmac_f64_e32 v[178:179], v[178:179], v[182:183]
	v_fma_f64 v[182:183], -v[176:177], v[178:179], 1.0
	v_fmac_f64_e32 v[178:179], v[178:179], v[182:183]
	v_mul_f64 v[182:183], v[180:181], v[178:179]
	v_fma_f64 v[176:177], -v[176:177], v[182:183], v[180:181]
	v_div_fmas_f64 v[176:177], v[176:177], v[178:179], v[182:183]
	v_div_fixup_f64 v[174:175], v[176:177], v[174:175], 1.0
	ds_write_b64 v234, v[174:175]
.LBB77_44:
	s_or_b64 exec, exec, s[2:3]
	s_waitcnt lgkmcnt(0)
	s_barrier
	ds_read_b64 v[174:175], v234
	v_cmp_lt_u32_e32 vcc, 8, v236
	s_and_saveexec_b64 s[2:3], vcc
	s_cbranch_execz .LBB77_46
; %bb.45:
	ds_read2_b64 v[176:179], v235 offset0:9 offset1:10
	ds_read2_b64 v[180:183], v235 offset0:11 offset1:12
	;; [unrolled: 1-line block ×3, first 2 shown]
	s_waitcnt vmcnt(30) lgkmcnt(3)
	v_mul_f64 v[148:149], v[174:175], v[148:149]
	s_waitcnt vmcnt(29) lgkmcnt(2)
	v_fma_f64 v[110:111], -v[148:149], v[176:177], v[110:111]
	s_waitcnt vmcnt(28)
	v_fma_f64 v[146:147], -v[148:149], v[178:179], v[146:147]
	ds_read2_b64 v[176:179], v235 offset0:15 offset1:16
	s_waitcnt vmcnt(27) lgkmcnt(2)
	v_fma_f64 v[108:109], -v[148:149], v[180:181], v[108:109]
	s_waitcnt vmcnt(26)
	v_fma_f64 v[144:145], -v[148:149], v[182:183], v[144:145]
	s_waitcnt vmcnt(25) lgkmcnt(1)
	v_fma_f64 v[106:107], -v[148:149], v[184:185], v[106:107]
	ds_read2_b64 v[180:183], v235 offset0:17 offset1:18
	s_waitcnt vmcnt(24)
	v_fma_f64 v[142:143], -v[148:149], v[186:187], v[142:143]
	ds_read2_b64 v[184:187], v235 offset0:19 offset1:20
	s_waitcnt vmcnt(23) lgkmcnt(2)
	v_fma_f64 v[104:105], -v[148:149], v[176:177], v[104:105]
	s_waitcnt vmcnt(22)
	v_fma_f64 v[140:141], -v[148:149], v[178:179], v[140:141]
	s_waitcnt vmcnt(21) lgkmcnt(1)
	v_fma_f64 v[102:103], -v[148:149], v[180:181], v[102:103]
	ds_read2_b64 v[176:179], v235 offset0:21 offset1:22
	s_waitcnt vmcnt(20)
	v_fma_f64 v[138:139], -v[148:149], v[182:183], v[138:139]
	ds_read2_b64 v[180:183], v235 offset0:23 offset1:24
	s_waitcnt vmcnt(19) lgkmcnt(2)
	v_fma_f64 v[100:101], -v[148:149], v[184:185], v[100:101]
	s_waitcnt vmcnt(18)
	v_fma_f64 v[136:137], -v[148:149], v[186:187], v[136:137]
	ds_read2_b64 v[184:187], v235 offset0:25 offset1:26
	s_waitcnt vmcnt(17) lgkmcnt(2)
	v_fma_f64 v[98:99], -v[148:149], v[176:177], v[98:99]
	;; [unrolled: 5-line block ×3, first 2 shown]
	s_waitcnt vmcnt(14)
	v_fma_f64 v[132:133], -v[148:149], v[182:183], v[132:133]
	s_waitcnt vmcnt(13) lgkmcnt(1)
	v_fma_f64 v[94:95], -v[148:149], v[184:185], v[94:95]
	ds_read2_b64 v[180:183], v235 offset0:29 offset1:30
	s_waitcnt vmcnt(12)
	v_fma_f64 v[130:131], -v[148:149], v[186:187], v[130:131]
	ds_read2_b64 v[184:187], v235 offset0:31 offset1:32
	s_waitcnt vmcnt(11) lgkmcnt(2)
	v_fma_f64 v[92:93], -v[148:149], v[176:177], v[92:93]
	s_waitcnt vmcnt(10)
	v_fma_f64 v[128:129], -v[148:149], v[178:179], v[128:129]
	s_waitcnt vmcnt(9) lgkmcnt(1)
	v_fma_f64 v[90:91], -v[148:149], v[180:181], v[90:91]
	s_waitcnt vmcnt(8)
	v_fma_f64 v[126:127], -v[148:149], v[182:183], v[126:127]
	ds_read2_b64 v[176:179], v235 offset0:33 offset1:34
	ds_read2_b64 v[180:183], v235 offset0:35 offset1:36
	s_waitcnt vmcnt(7) lgkmcnt(2)
	v_fma_f64 v[88:89], -v[148:149], v[184:185], v[88:89]
	s_waitcnt vmcnt(6)
	v_fma_f64 v[124:125], -v[148:149], v[186:187], v[124:125]
	ds_read2_b64 v[184:187], v235 offset0:37 offset1:38
	s_waitcnt vmcnt(5) lgkmcnt(2)
	v_fma_f64 v[86:87], -v[148:149], v[176:177], v[86:87]
	s_waitcnt vmcnt(4)
	v_fma_f64 v[122:123], -v[148:149], v[178:179], v[122:123]
	s_waitcnt vmcnt(3) lgkmcnt(1)
	v_fma_f64 v[84:85], -v[148:149], v[180:181], v[84:85]
	s_waitcnt vmcnt(2)
	v_fma_f64 v[120:121], -v[148:149], v[182:183], v[120:121]
	;; [unrolled: 4-line block ×3, first 2 shown]
.LBB77_46:
	s_or_b64 exec, exec, s[2:3]
	v_cmp_eq_u32_e32 vcc, 9, v236
	s_waitcnt lgkmcnt(0)
	s_barrier
	s_and_saveexec_b64 s[2:3], vcc
	s_cbranch_execz .LBB77_49
; %bb.47:
	s_waitcnt vmcnt(28)
	v_mov_b32_e32 v176, v146
	v_mov_b32_e32 v177, v147
	s_waitcnt vmcnt(27)
	v_mov_b32_e32 v178, v108
	v_mov_b32_e32 v179, v109
	ds_write_b64 v234, v[110:111]
	ds_write2_b64 v235, v[176:177], v[178:179] offset0:10 offset1:11
	s_waitcnt vmcnt(26)
	v_mov_b32_e32 v176, v144
	v_mov_b32_e32 v177, v145
	s_waitcnt vmcnt(25)
	v_mov_b32_e32 v178, v106
	v_mov_b32_e32 v179, v107
	ds_write2_b64 v235, v[176:177], v[178:179] offset0:12 offset1:13
	s_waitcnt vmcnt(24)
	v_mov_b32_e32 v176, v142
	v_mov_b32_e32 v177, v143
	s_waitcnt vmcnt(23)
	v_mov_b32_e32 v178, v104
	v_mov_b32_e32 v179, v105
	ds_write2_b64 v235, v[176:177], v[178:179] offset0:14 offset1:15
	s_waitcnt vmcnt(22)
	v_mov_b32_e32 v176, v140
	v_mov_b32_e32 v177, v141
	s_waitcnt vmcnt(21)
	v_mov_b32_e32 v178, v102
	v_mov_b32_e32 v179, v103
	ds_write2_b64 v235, v[176:177], v[178:179] offset0:16 offset1:17
	s_waitcnt vmcnt(20)
	v_mov_b32_e32 v176, v138
	v_mov_b32_e32 v177, v139
	s_waitcnt vmcnt(19)
	v_mov_b32_e32 v178, v100
	v_mov_b32_e32 v179, v101
	ds_write2_b64 v235, v[176:177], v[178:179] offset0:18 offset1:19
	s_waitcnt vmcnt(18)
	v_mov_b32_e32 v176, v136
	v_mov_b32_e32 v177, v137
	s_waitcnt vmcnt(17)
	v_mov_b32_e32 v178, v98
	v_mov_b32_e32 v179, v99
	ds_write2_b64 v235, v[176:177], v[178:179] offset0:20 offset1:21
	s_waitcnt vmcnt(16)
	v_mov_b32_e32 v176, v134
	v_mov_b32_e32 v177, v135
	s_waitcnt vmcnt(15)
	v_mov_b32_e32 v178, v96
	v_mov_b32_e32 v179, v97
	ds_write2_b64 v235, v[176:177], v[178:179] offset0:22 offset1:23
	s_waitcnt vmcnt(14)
	v_mov_b32_e32 v176, v132
	v_mov_b32_e32 v177, v133
	s_waitcnt vmcnt(13)
	v_mov_b32_e32 v178, v94
	v_mov_b32_e32 v179, v95
	ds_write2_b64 v235, v[176:177], v[178:179] offset0:24 offset1:25
	s_waitcnt vmcnt(12)
	v_mov_b32_e32 v176, v130
	v_mov_b32_e32 v177, v131
	s_waitcnt vmcnt(11)
	v_mov_b32_e32 v178, v92
	v_mov_b32_e32 v179, v93
	ds_write2_b64 v235, v[176:177], v[178:179] offset0:26 offset1:27
	s_waitcnt vmcnt(10)
	v_mov_b32_e32 v176, v128
	v_mov_b32_e32 v177, v129
	s_waitcnt vmcnt(9)
	v_mov_b32_e32 v178, v90
	v_mov_b32_e32 v179, v91
	ds_write2_b64 v235, v[176:177], v[178:179] offset0:28 offset1:29
	s_waitcnt vmcnt(8)
	v_mov_b32_e32 v176, v126
	v_mov_b32_e32 v177, v127
	s_waitcnt vmcnt(7)
	v_mov_b32_e32 v178, v88
	v_mov_b32_e32 v179, v89
	ds_write2_b64 v235, v[176:177], v[178:179] offset0:30 offset1:31
	s_waitcnt vmcnt(6)
	v_mov_b32_e32 v176, v124
	v_mov_b32_e32 v177, v125
	s_waitcnt vmcnt(5)
	v_mov_b32_e32 v178, v86
	v_mov_b32_e32 v179, v87
	ds_write2_b64 v235, v[176:177], v[178:179] offset0:32 offset1:33
	s_waitcnt vmcnt(4)
	v_mov_b32_e32 v176, v122
	v_mov_b32_e32 v177, v123
	s_waitcnt vmcnt(3)
	v_mov_b32_e32 v178, v84
	v_mov_b32_e32 v179, v85
	ds_write2_b64 v235, v[176:177], v[178:179] offset0:34 offset1:35
	s_waitcnt vmcnt(2)
	v_mov_b32_e32 v176, v120
	v_mov_b32_e32 v177, v121
	s_waitcnt vmcnt(1)
	v_mov_b32_e32 v178, v82
	v_mov_b32_e32 v179, v83
	ds_write2_b64 v235, v[176:177], v[178:179] offset0:36 offset1:37
	s_waitcnt vmcnt(0)
	ds_write_b64 v235, v[156:157] offset:304
	ds_read_b64 v[176:177], v234
	s_waitcnt lgkmcnt(0)
	v_cmp_neq_f64_e32 vcc, 0, v[176:177]
	s_and_b64 exec, exec, vcc
	s_cbranch_execz .LBB77_49
; %bb.48:
	v_div_scale_f64 v[178:179], s[6:7], v[176:177], v[176:177], 1.0
	v_rcp_f64_e32 v[180:181], v[178:179]
	v_div_scale_f64 v[182:183], vcc, 1.0, v[176:177], 1.0
	v_fma_f64 v[184:185], -v[178:179], v[180:181], 1.0
	v_fmac_f64_e32 v[180:181], v[180:181], v[184:185]
	v_fma_f64 v[184:185], -v[178:179], v[180:181], 1.0
	v_fmac_f64_e32 v[180:181], v[180:181], v[184:185]
	v_mul_f64 v[184:185], v[182:183], v[180:181]
	v_fma_f64 v[178:179], -v[178:179], v[184:185], v[182:183]
	v_div_fmas_f64 v[178:179], v[178:179], v[180:181], v[184:185]
	v_div_fixup_f64 v[176:177], v[178:179], v[176:177], 1.0
	ds_write_b64 v234, v[176:177]
.LBB77_49:
	s_or_b64 exec, exec, s[2:3]
	s_waitcnt lgkmcnt(0)
	s_barrier
	ds_read_b64 v[176:177], v234
	v_cmp_lt_u32_e32 vcc, 9, v236
	s_and_saveexec_b64 s[2:3], vcc
	s_cbranch_execz .LBB77_51
; %bb.50:
	ds_read2_b64 v[178:181], v235 offset0:10 offset1:11
	ds_read2_b64 v[182:185], v235 offset0:12 offset1:13
	;; [unrolled: 1-line block ×3, first 2 shown]
	s_waitcnt vmcnt(29) lgkmcnt(3)
	v_mul_f64 v[110:111], v[176:177], v[110:111]
	s_waitcnt vmcnt(28) lgkmcnt(2)
	v_fma_f64 v[146:147], -v[110:111], v[178:179], v[146:147]
	s_waitcnt vmcnt(27)
	v_fma_f64 v[108:109], -v[110:111], v[180:181], v[108:109]
	ds_read2_b64 v[178:181], v235 offset0:16 offset1:17
	s_waitcnt vmcnt(26) lgkmcnt(2)
	v_fma_f64 v[144:145], -v[110:111], v[182:183], v[144:145]
	s_waitcnt vmcnt(25)
	v_fma_f64 v[106:107], -v[110:111], v[184:185], v[106:107]
	s_waitcnt vmcnt(24) lgkmcnt(1)
	v_fma_f64 v[142:143], -v[110:111], v[186:187], v[142:143]
	ds_read2_b64 v[182:185], v235 offset0:18 offset1:19
	s_waitcnt vmcnt(23)
	v_fma_f64 v[104:105], -v[110:111], v[188:189], v[104:105]
	ds_read2_b64 v[186:189], v235 offset0:20 offset1:21
	s_waitcnt vmcnt(22) lgkmcnt(2)
	v_fma_f64 v[140:141], -v[110:111], v[178:179], v[140:141]
	s_waitcnt vmcnt(21)
	v_fma_f64 v[102:103], -v[110:111], v[180:181], v[102:103]
	s_waitcnt vmcnt(20) lgkmcnt(1)
	v_fma_f64 v[138:139], -v[110:111], v[182:183], v[138:139]
	ds_read2_b64 v[178:181], v235 offset0:22 offset1:23
	s_waitcnt vmcnt(19)
	v_fma_f64 v[100:101], -v[110:111], v[184:185], v[100:101]
	ds_read2_b64 v[182:185], v235 offset0:24 offset1:25
	s_waitcnt vmcnt(18) lgkmcnt(2)
	v_fma_f64 v[136:137], -v[110:111], v[186:187], v[136:137]
	s_waitcnt vmcnt(17)
	v_fma_f64 v[98:99], -v[110:111], v[188:189], v[98:99]
	ds_read2_b64 v[186:189], v235 offset0:26 offset1:27
	s_waitcnt vmcnt(16) lgkmcnt(2)
	v_fma_f64 v[134:135], -v[110:111], v[178:179], v[134:135]
	;; [unrolled: 5-line block ×3, first 2 shown]
	s_waitcnt vmcnt(13)
	v_fma_f64 v[94:95], -v[110:111], v[184:185], v[94:95]
	s_waitcnt vmcnt(12) lgkmcnt(1)
	v_fma_f64 v[130:131], -v[110:111], v[186:187], v[130:131]
	ds_read2_b64 v[182:185], v235 offset0:30 offset1:31
	s_waitcnt vmcnt(11)
	v_fma_f64 v[92:93], -v[110:111], v[188:189], v[92:93]
	ds_read2_b64 v[186:189], v235 offset0:32 offset1:33
	s_waitcnt vmcnt(10) lgkmcnt(2)
	v_fma_f64 v[128:129], -v[110:111], v[178:179], v[128:129]
	s_waitcnt vmcnt(9)
	v_fma_f64 v[90:91], -v[110:111], v[180:181], v[90:91]
	s_waitcnt vmcnt(8) lgkmcnt(1)
	v_fma_f64 v[126:127], -v[110:111], v[182:183], v[126:127]
	s_waitcnt vmcnt(7)
	v_fma_f64 v[88:89], -v[110:111], v[184:185], v[88:89]
	ds_read2_b64 v[178:181], v235 offset0:34 offset1:35
	ds_read2_b64 v[182:185], v235 offset0:36 offset1:37
	s_waitcnt vmcnt(6) lgkmcnt(2)
	v_fma_f64 v[124:125], -v[110:111], v[186:187], v[124:125]
	ds_read_b64 v[186:187], v235 offset:304
	s_waitcnt vmcnt(5)
	v_fma_f64 v[86:87], -v[110:111], v[188:189], v[86:87]
	s_waitcnt vmcnt(4) lgkmcnt(2)
	v_fma_f64 v[122:123], -v[110:111], v[178:179], v[122:123]
	s_waitcnt vmcnt(3)
	v_fma_f64 v[84:85], -v[110:111], v[180:181], v[84:85]
	s_waitcnt vmcnt(2) lgkmcnt(1)
	v_fma_f64 v[120:121], -v[110:111], v[182:183], v[120:121]
	;; [unrolled: 4-line block ×3, first 2 shown]
.LBB77_51:
	s_or_b64 exec, exec, s[2:3]
	v_cmp_eq_u32_e32 vcc, 10, v236
	s_waitcnt lgkmcnt(0)
	s_barrier
	s_and_saveexec_b64 s[2:3], vcc
	s_cbranch_execz .LBB77_54
; %bb.52:
	s_waitcnt vmcnt(28)
	ds_write_b64 v234, v[146:147]
	s_waitcnt vmcnt(26)
	ds_write2_b64 v235, v[108:109], v[144:145] offset0:11 offset1:12
	s_waitcnt vmcnt(24)
	ds_write2_b64 v235, v[106:107], v[142:143] offset0:13 offset1:14
	;; [unrolled: 2-line block ×14, first 2 shown]
	ds_read_b64 v[178:179], v234
	s_waitcnt lgkmcnt(0)
	v_cmp_neq_f64_e32 vcc, 0, v[178:179]
	s_and_b64 exec, exec, vcc
	s_cbranch_execz .LBB77_54
; %bb.53:
	v_div_scale_f64 v[180:181], s[6:7], v[178:179], v[178:179], 1.0
	v_rcp_f64_e32 v[182:183], v[180:181]
	v_div_scale_f64 v[184:185], vcc, 1.0, v[178:179], 1.0
	v_fma_f64 v[186:187], -v[180:181], v[182:183], 1.0
	v_fmac_f64_e32 v[182:183], v[182:183], v[186:187]
	v_fma_f64 v[186:187], -v[180:181], v[182:183], 1.0
	v_fmac_f64_e32 v[182:183], v[182:183], v[186:187]
	v_mul_f64 v[186:187], v[184:185], v[182:183]
	v_fma_f64 v[180:181], -v[180:181], v[186:187], v[184:185]
	v_div_fmas_f64 v[180:181], v[180:181], v[182:183], v[186:187]
	v_div_fixup_f64 v[178:179], v[180:181], v[178:179], 1.0
	ds_write_b64 v234, v[178:179]
.LBB77_54:
	s_or_b64 exec, exec, s[2:3]
	s_waitcnt lgkmcnt(0)
	s_barrier
	ds_read_b64 v[178:179], v234
	v_cmp_lt_u32_e32 vcc, 10, v236
	s_and_saveexec_b64 s[2:3], vcc
	s_cbranch_execz .LBB77_56
; %bb.55:
	ds_read2_b64 v[180:183], v235 offset0:11 offset1:12
	ds_read2_b64 v[184:187], v235 offset0:13 offset1:14
	s_waitcnt vmcnt(28) lgkmcnt(2)
	v_mul_f64 v[146:147], v[178:179], v[146:147]
	ds_read2_b64 v[188:191], v235 offset0:15 offset1:16
	s_waitcnt vmcnt(27) lgkmcnt(2)
	v_fma_f64 v[108:109], -v[146:147], v[180:181], v[108:109]
	s_waitcnt vmcnt(26)
	v_fma_f64 v[144:145], -v[146:147], v[182:183], v[144:145]
	ds_read2_b64 v[180:183], v235 offset0:17 offset1:18
	s_waitcnt vmcnt(25) lgkmcnt(2)
	v_fma_f64 v[106:107], -v[146:147], v[184:185], v[106:107]
	s_waitcnt vmcnt(24)
	v_fma_f64 v[142:143], -v[146:147], v[186:187], v[142:143]
	;; [unrolled: 5-line block ×4, first 2 shown]
	s_waitcnt vmcnt(19) lgkmcnt(1)
	v_fma_f64 v[100:101], -v[146:147], v[184:185], v[100:101]
	ds_read2_b64 v[180:183], v235 offset0:23 offset1:24
	s_waitcnt vmcnt(18)
	v_fma_f64 v[136:137], -v[146:147], v[186:187], v[136:137]
	ds_read2_b64 v[184:187], v235 offset0:25 offset1:26
	s_waitcnt vmcnt(17) lgkmcnt(2)
	v_fma_f64 v[98:99], -v[146:147], v[188:189], v[98:99]
	s_waitcnt vmcnt(16)
	v_fma_f64 v[134:135], -v[146:147], v[190:191], v[134:135]
	s_waitcnt vmcnt(15) lgkmcnt(1)
	v_fma_f64 v[96:97], -v[146:147], v[180:181], v[96:97]
	ds_read2_b64 v[188:191], v235 offset0:27 offset1:28
	s_waitcnt vmcnt(14)
	v_fma_f64 v[132:133], -v[146:147], v[182:183], v[132:133]
	ds_read2_b64 v[180:183], v235 offset0:29 offset1:30
	s_waitcnt vmcnt(13) lgkmcnt(2)
	v_fma_f64 v[94:95], -v[146:147], v[184:185], v[94:95]
	s_waitcnt vmcnt(12)
	v_fma_f64 v[130:131], -v[146:147], v[186:187], v[130:131]
	ds_read2_b64 v[184:187], v235 offset0:31 offset1:32
	s_waitcnt vmcnt(11) lgkmcnt(2)
	v_fma_f64 v[92:93], -v[146:147], v[188:189], v[92:93]
	s_waitcnt vmcnt(10)
	v_fma_f64 v[128:129], -v[146:147], v[190:191], v[128:129]
	s_waitcnt vmcnt(9) lgkmcnt(1)
	v_fma_f64 v[90:91], -v[146:147], v[180:181], v[90:91]
	s_waitcnt vmcnt(8)
	v_fma_f64 v[126:127], -v[146:147], v[182:183], v[126:127]
	ds_read2_b64 v[180:183], v235 offset0:33 offset1:34
	s_waitcnt vmcnt(7) lgkmcnt(1)
	v_fma_f64 v[88:89], -v[146:147], v[184:185], v[88:89]
	ds_read2_b64 v[188:191], v235 offset0:35 offset1:36
	s_waitcnt vmcnt(6)
	v_fma_f64 v[124:125], -v[146:147], v[186:187], v[124:125]
	ds_read2_b64 v[184:187], v235 offset0:37 offset1:38
	s_waitcnt vmcnt(5) lgkmcnt(2)
	v_fma_f64 v[86:87], -v[146:147], v[180:181], v[86:87]
	s_waitcnt vmcnt(4)
	v_fma_f64 v[122:123], -v[146:147], v[182:183], v[122:123]
	s_waitcnt vmcnt(3) lgkmcnt(1)
	v_fma_f64 v[84:85], -v[146:147], v[188:189], v[84:85]
	s_waitcnt vmcnt(2)
	v_fma_f64 v[120:121], -v[146:147], v[190:191], v[120:121]
	;; [unrolled: 4-line block ×3, first 2 shown]
.LBB77_56:
	s_or_b64 exec, exec, s[2:3]
	v_cmp_eq_u32_e32 vcc, 11, v236
	s_waitcnt lgkmcnt(0)
	s_barrier
	s_and_saveexec_b64 s[2:3], vcc
	s_cbranch_execz .LBB77_59
; %bb.57:
	s_waitcnt vmcnt(26)
	v_mov_b32_e32 v180, v144
	v_mov_b32_e32 v181, v145
	s_waitcnt vmcnt(25)
	v_mov_b32_e32 v182, v106
	v_mov_b32_e32 v183, v107
	ds_write_b64 v234, v[108:109]
	ds_write2_b64 v235, v[180:181], v[182:183] offset0:12 offset1:13
	s_waitcnt vmcnt(24)
	v_mov_b32_e32 v180, v142
	v_mov_b32_e32 v181, v143
	s_waitcnt vmcnt(23)
	v_mov_b32_e32 v182, v104
	v_mov_b32_e32 v183, v105
	ds_write2_b64 v235, v[180:181], v[182:183] offset0:14 offset1:15
	s_waitcnt vmcnt(22)
	v_mov_b32_e32 v180, v140
	v_mov_b32_e32 v181, v141
	s_waitcnt vmcnt(21)
	v_mov_b32_e32 v182, v102
	v_mov_b32_e32 v183, v103
	;; [unrolled: 7-line block ×12, first 2 shown]
	ds_write2_b64 v235, v[180:181], v[182:183] offset0:36 offset1:37
	s_waitcnt vmcnt(0)
	ds_write_b64 v235, v[156:157] offset:304
	ds_read_b64 v[180:181], v234
	s_waitcnt lgkmcnt(0)
	v_cmp_neq_f64_e32 vcc, 0, v[180:181]
	s_and_b64 exec, exec, vcc
	s_cbranch_execz .LBB77_59
; %bb.58:
	v_div_scale_f64 v[182:183], s[6:7], v[180:181], v[180:181], 1.0
	v_rcp_f64_e32 v[184:185], v[182:183]
	v_div_scale_f64 v[186:187], vcc, 1.0, v[180:181], 1.0
	v_fma_f64 v[188:189], -v[182:183], v[184:185], 1.0
	v_fmac_f64_e32 v[184:185], v[184:185], v[188:189]
	v_fma_f64 v[188:189], -v[182:183], v[184:185], 1.0
	v_fmac_f64_e32 v[184:185], v[184:185], v[188:189]
	v_mul_f64 v[188:189], v[186:187], v[184:185]
	v_fma_f64 v[182:183], -v[182:183], v[188:189], v[186:187]
	v_div_fmas_f64 v[182:183], v[182:183], v[184:185], v[188:189]
	v_div_fixup_f64 v[180:181], v[182:183], v[180:181], 1.0
	ds_write_b64 v234, v[180:181]
.LBB77_59:
	s_or_b64 exec, exec, s[2:3]
	s_waitcnt lgkmcnt(0)
	s_barrier
	ds_read_b64 v[180:181], v234
	v_cmp_lt_u32_e32 vcc, 11, v236
	s_and_saveexec_b64 s[2:3], vcc
	s_cbranch_execz .LBB77_61
; %bb.60:
	ds_read2_b64 v[182:185], v235 offset0:12 offset1:13
	ds_read2_b64 v[186:189], v235 offset0:14 offset1:15
	s_waitcnt vmcnt(27) lgkmcnt(2)
	v_mul_f64 v[108:109], v[180:181], v[108:109]
	ds_read2_b64 v[190:193], v235 offset0:16 offset1:17
	s_waitcnt vmcnt(26) lgkmcnt(2)
	v_fma_f64 v[144:145], -v[108:109], v[182:183], v[144:145]
	s_waitcnt vmcnt(25)
	v_fma_f64 v[106:107], -v[108:109], v[184:185], v[106:107]
	ds_read2_b64 v[182:185], v235 offset0:18 offset1:19
	s_waitcnt vmcnt(24) lgkmcnt(2)
	v_fma_f64 v[142:143], -v[108:109], v[186:187], v[142:143]
	s_waitcnt vmcnt(23)
	v_fma_f64 v[104:105], -v[108:109], v[188:189], v[104:105]
	;; [unrolled: 5-line block ×4, first 2 shown]
	s_waitcnt vmcnt(18) lgkmcnt(1)
	v_fma_f64 v[136:137], -v[108:109], v[186:187], v[136:137]
	ds_read2_b64 v[182:185], v235 offset0:24 offset1:25
	s_waitcnt vmcnt(17)
	v_fma_f64 v[98:99], -v[108:109], v[188:189], v[98:99]
	ds_read2_b64 v[186:189], v235 offset0:26 offset1:27
	s_waitcnt vmcnt(16) lgkmcnt(2)
	v_fma_f64 v[134:135], -v[108:109], v[190:191], v[134:135]
	s_waitcnt vmcnt(15)
	v_fma_f64 v[96:97], -v[108:109], v[192:193], v[96:97]
	s_waitcnt vmcnt(14) lgkmcnt(1)
	v_fma_f64 v[132:133], -v[108:109], v[182:183], v[132:133]
	ds_read2_b64 v[190:193], v235 offset0:28 offset1:29
	s_waitcnt vmcnt(13)
	v_fma_f64 v[94:95], -v[108:109], v[184:185], v[94:95]
	ds_read2_b64 v[182:185], v235 offset0:30 offset1:31
	s_waitcnt vmcnt(12) lgkmcnt(2)
	v_fma_f64 v[130:131], -v[108:109], v[186:187], v[130:131]
	s_waitcnt vmcnt(11)
	v_fma_f64 v[92:93], -v[108:109], v[188:189], v[92:93]
	ds_read2_b64 v[186:189], v235 offset0:32 offset1:33
	s_waitcnt vmcnt(10) lgkmcnt(2)
	v_fma_f64 v[128:129], -v[108:109], v[190:191], v[128:129]
	s_waitcnt vmcnt(9)
	v_fma_f64 v[90:91], -v[108:109], v[192:193], v[90:91]
	s_waitcnt vmcnt(8) lgkmcnt(1)
	v_fma_f64 v[126:127], -v[108:109], v[182:183], v[126:127]
	s_waitcnt vmcnt(7)
	v_fma_f64 v[88:89], -v[108:109], v[184:185], v[88:89]
	ds_read2_b64 v[182:185], v235 offset0:34 offset1:35
	s_waitcnt vmcnt(6) lgkmcnt(1)
	v_fma_f64 v[124:125], -v[108:109], v[186:187], v[124:125]
	ds_read2_b64 v[190:193], v235 offset0:36 offset1:37
	ds_read_b64 v[186:187], v235 offset:304
	s_waitcnt vmcnt(5)
	v_fma_f64 v[86:87], -v[108:109], v[188:189], v[86:87]
	s_waitcnt vmcnt(4) lgkmcnt(2)
	v_fma_f64 v[122:123], -v[108:109], v[182:183], v[122:123]
	s_waitcnt vmcnt(3)
	v_fma_f64 v[84:85], -v[108:109], v[184:185], v[84:85]
	s_waitcnt vmcnt(2) lgkmcnt(1)
	v_fma_f64 v[120:121], -v[108:109], v[190:191], v[120:121]
	s_waitcnt vmcnt(1)
	v_fma_f64 v[82:83], -v[108:109], v[192:193], v[82:83]
	s_waitcnt vmcnt(0) lgkmcnt(0)
	v_fma_f64 v[156:157], -v[108:109], v[186:187], v[156:157]
.LBB77_61:
	s_or_b64 exec, exec, s[2:3]
	v_cmp_eq_u32_e32 vcc, 12, v236
	s_waitcnt lgkmcnt(0)
	s_barrier
	s_and_saveexec_b64 s[2:3], vcc
	s_cbranch_execz .LBB77_64
; %bb.62:
	s_waitcnt vmcnt(26)
	ds_write_b64 v234, v[144:145]
	s_waitcnt vmcnt(24)
	ds_write2_b64 v235, v[106:107], v[142:143] offset0:13 offset1:14
	s_waitcnt vmcnt(22)
	ds_write2_b64 v235, v[104:105], v[140:141] offset0:15 offset1:16
	;; [unrolled: 2-line block ×13, first 2 shown]
	ds_read_b64 v[182:183], v234
	s_waitcnt lgkmcnt(0)
	v_cmp_neq_f64_e32 vcc, 0, v[182:183]
	s_and_b64 exec, exec, vcc
	s_cbranch_execz .LBB77_64
; %bb.63:
	v_div_scale_f64 v[184:185], s[6:7], v[182:183], v[182:183], 1.0
	v_rcp_f64_e32 v[186:187], v[184:185]
	v_div_scale_f64 v[188:189], vcc, 1.0, v[182:183], 1.0
	v_fma_f64 v[190:191], -v[184:185], v[186:187], 1.0
	v_fmac_f64_e32 v[186:187], v[186:187], v[190:191]
	v_fma_f64 v[190:191], -v[184:185], v[186:187], 1.0
	v_fmac_f64_e32 v[186:187], v[186:187], v[190:191]
	v_mul_f64 v[190:191], v[188:189], v[186:187]
	v_fma_f64 v[184:185], -v[184:185], v[190:191], v[188:189]
	v_div_fmas_f64 v[184:185], v[184:185], v[186:187], v[190:191]
	v_div_fixup_f64 v[182:183], v[184:185], v[182:183], 1.0
	ds_write_b64 v234, v[182:183]
.LBB77_64:
	s_or_b64 exec, exec, s[2:3]
	s_waitcnt lgkmcnt(0)
	s_barrier
	ds_read_b64 v[182:183], v234
	v_cmp_lt_u32_e32 vcc, 12, v236
	s_and_saveexec_b64 s[2:3], vcc
	s_cbranch_execz .LBB77_66
; %bb.65:
	ds_read2_b64 v[184:187], v235 offset0:13 offset1:14
	ds_read2_b64 v[188:191], v235 offset0:15 offset1:16
	s_waitcnt vmcnt(26) lgkmcnt(2)
	v_mul_f64 v[144:145], v[182:183], v[144:145]
	ds_read2_b64 v[192:195], v235 offset0:17 offset1:18
	s_waitcnt vmcnt(25) lgkmcnt(2)
	v_fma_f64 v[106:107], -v[144:145], v[184:185], v[106:107]
	s_waitcnt vmcnt(24)
	v_fma_f64 v[142:143], -v[144:145], v[186:187], v[142:143]
	ds_read2_b64 v[184:187], v235 offset0:19 offset1:20
	s_waitcnt vmcnt(23) lgkmcnt(2)
	v_fma_f64 v[104:105], -v[144:145], v[188:189], v[104:105]
	s_waitcnt vmcnt(22)
	v_fma_f64 v[140:141], -v[144:145], v[190:191], v[140:141]
	s_waitcnt vmcnt(21) lgkmcnt(1)
	v_fma_f64 v[102:103], -v[144:145], v[192:193], v[102:103]
	ds_read2_b64 v[188:191], v235 offset0:21 offset1:22
	s_waitcnt vmcnt(20)
	v_fma_f64 v[138:139], -v[144:145], v[194:195], v[138:139]
	ds_read2_b64 v[192:195], v235 offset0:23 offset1:24
	s_waitcnt vmcnt(19) lgkmcnt(2)
	v_fma_f64 v[100:101], -v[144:145], v[184:185], v[100:101]
	s_waitcnt vmcnt(18)
	v_fma_f64 v[136:137], -v[144:145], v[186:187], v[136:137]
	ds_read2_b64 v[184:187], v235 offset0:25 offset1:26
	s_waitcnt vmcnt(17) lgkmcnt(2)
	v_fma_f64 v[98:99], -v[144:145], v[188:189], v[98:99]
	;; [unrolled: 5-line block ×3, first 2 shown]
	s_waitcnt vmcnt(14)
	v_fma_f64 v[132:133], -v[144:145], v[194:195], v[132:133]
	s_waitcnt vmcnt(13) lgkmcnt(1)
	v_fma_f64 v[94:95], -v[144:145], v[184:185], v[94:95]
	ds_read2_b64 v[192:195], v235 offset0:29 offset1:30
	s_waitcnt vmcnt(12)
	v_fma_f64 v[130:131], -v[144:145], v[186:187], v[130:131]
	ds_read2_b64 v[184:187], v235 offset0:31 offset1:32
	s_waitcnt vmcnt(11) lgkmcnt(2)
	v_fma_f64 v[92:93], -v[144:145], v[188:189], v[92:93]
	s_waitcnt vmcnt(10)
	v_fma_f64 v[128:129], -v[144:145], v[190:191], v[128:129]
	s_waitcnt vmcnt(9) lgkmcnt(1)
	v_fma_f64 v[90:91], -v[144:145], v[192:193], v[90:91]
	s_waitcnt vmcnt(8)
	v_fma_f64 v[126:127], -v[144:145], v[194:195], v[126:127]
	ds_read2_b64 v[188:191], v235 offset0:33 offset1:34
	ds_read2_b64 v[192:195], v235 offset0:35 offset1:36
	s_waitcnt vmcnt(7) lgkmcnt(2)
	v_fma_f64 v[88:89], -v[144:145], v[184:185], v[88:89]
	s_waitcnt vmcnt(6)
	v_fma_f64 v[124:125], -v[144:145], v[186:187], v[124:125]
	ds_read2_b64 v[184:187], v235 offset0:37 offset1:38
	s_waitcnt vmcnt(5) lgkmcnt(2)
	v_fma_f64 v[86:87], -v[144:145], v[188:189], v[86:87]
	s_waitcnt vmcnt(4)
	v_fma_f64 v[122:123], -v[144:145], v[190:191], v[122:123]
	s_waitcnt vmcnt(3) lgkmcnt(1)
	v_fma_f64 v[84:85], -v[144:145], v[192:193], v[84:85]
	s_waitcnt vmcnt(2)
	v_fma_f64 v[120:121], -v[144:145], v[194:195], v[120:121]
	;; [unrolled: 4-line block ×3, first 2 shown]
.LBB77_66:
	s_or_b64 exec, exec, s[2:3]
	v_cmp_eq_u32_e32 vcc, 13, v236
	s_waitcnt lgkmcnt(0)
	s_barrier
	s_and_saveexec_b64 s[2:3], vcc
	s_cbranch_execz .LBB77_69
; %bb.67:
	s_waitcnt vmcnt(24)
	v_mov_b32_e32 v184, v142
	v_mov_b32_e32 v185, v143
	s_waitcnt vmcnt(23)
	v_mov_b32_e32 v186, v104
	v_mov_b32_e32 v187, v105
	ds_write_b64 v234, v[106:107]
	ds_write2_b64 v235, v[184:185], v[186:187] offset0:14 offset1:15
	s_waitcnt vmcnt(22)
	v_mov_b32_e32 v184, v140
	v_mov_b32_e32 v185, v141
	s_waitcnt vmcnt(21)
	v_mov_b32_e32 v186, v102
	v_mov_b32_e32 v187, v103
	ds_write2_b64 v235, v[184:185], v[186:187] offset0:16 offset1:17
	s_waitcnt vmcnt(20)
	v_mov_b32_e32 v184, v138
	v_mov_b32_e32 v185, v139
	s_waitcnt vmcnt(19)
	v_mov_b32_e32 v186, v100
	v_mov_b32_e32 v187, v101
	;; [unrolled: 7-line block ×11, first 2 shown]
	ds_write2_b64 v235, v[184:185], v[186:187] offset0:36 offset1:37
	s_waitcnt vmcnt(0)
	ds_write_b64 v235, v[156:157] offset:304
	ds_read_b64 v[184:185], v234
	s_waitcnt lgkmcnt(0)
	v_cmp_neq_f64_e32 vcc, 0, v[184:185]
	s_and_b64 exec, exec, vcc
	s_cbranch_execz .LBB77_69
; %bb.68:
	v_div_scale_f64 v[186:187], s[6:7], v[184:185], v[184:185], 1.0
	v_rcp_f64_e32 v[188:189], v[186:187]
	v_div_scale_f64 v[190:191], vcc, 1.0, v[184:185], 1.0
	v_fma_f64 v[192:193], -v[186:187], v[188:189], 1.0
	v_fmac_f64_e32 v[188:189], v[188:189], v[192:193]
	v_fma_f64 v[192:193], -v[186:187], v[188:189], 1.0
	v_fmac_f64_e32 v[188:189], v[188:189], v[192:193]
	v_mul_f64 v[192:193], v[190:191], v[188:189]
	v_fma_f64 v[186:187], -v[186:187], v[192:193], v[190:191]
	v_div_fmas_f64 v[186:187], v[186:187], v[188:189], v[192:193]
	v_div_fixup_f64 v[184:185], v[186:187], v[184:185], 1.0
	ds_write_b64 v234, v[184:185]
.LBB77_69:
	s_or_b64 exec, exec, s[2:3]
	s_waitcnt lgkmcnt(0)
	s_barrier
	ds_read_b64 v[184:185], v234
	v_cmp_lt_u32_e32 vcc, 13, v236
	s_and_saveexec_b64 s[2:3], vcc
	s_cbranch_execz .LBB77_71
; %bb.70:
	ds_read2_b64 v[186:189], v235 offset0:14 offset1:15
	ds_read2_b64 v[190:193], v235 offset0:16 offset1:17
	s_waitcnt vmcnt(25) lgkmcnt(2)
	v_mul_f64 v[106:107], v[184:185], v[106:107]
	ds_read2_b64 v[194:197], v235 offset0:18 offset1:19
	s_waitcnt vmcnt(24) lgkmcnt(2)
	v_fma_f64 v[142:143], -v[106:107], v[186:187], v[142:143]
	s_waitcnt vmcnt(23)
	v_fma_f64 v[104:105], -v[106:107], v[188:189], v[104:105]
	ds_read2_b64 v[186:189], v235 offset0:20 offset1:21
	s_waitcnt vmcnt(22) lgkmcnt(2)
	v_fma_f64 v[140:141], -v[106:107], v[190:191], v[140:141]
	s_waitcnt vmcnt(21)
	v_fma_f64 v[102:103], -v[106:107], v[192:193], v[102:103]
	s_waitcnt vmcnt(20) lgkmcnt(1)
	v_fma_f64 v[138:139], -v[106:107], v[194:195], v[138:139]
	ds_read2_b64 v[190:193], v235 offset0:22 offset1:23
	s_waitcnt vmcnt(19)
	v_fma_f64 v[100:101], -v[106:107], v[196:197], v[100:101]
	ds_read2_b64 v[194:197], v235 offset0:24 offset1:25
	s_waitcnt vmcnt(18) lgkmcnt(2)
	v_fma_f64 v[136:137], -v[106:107], v[186:187], v[136:137]
	s_waitcnt vmcnt(17)
	v_fma_f64 v[98:99], -v[106:107], v[188:189], v[98:99]
	ds_read2_b64 v[186:189], v235 offset0:26 offset1:27
	s_waitcnt vmcnt(16) lgkmcnt(2)
	v_fma_f64 v[134:135], -v[106:107], v[190:191], v[134:135]
	;; [unrolled: 5-line block ×3, first 2 shown]
	s_waitcnt vmcnt(13)
	v_fma_f64 v[94:95], -v[106:107], v[196:197], v[94:95]
	s_waitcnt vmcnt(12) lgkmcnt(1)
	v_fma_f64 v[130:131], -v[106:107], v[186:187], v[130:131]
	ds_read2_b64 v[194:197], v235 offset0:30 offset1:31
	s_waitcnt vmcnt(11)
	v_fma_f64 v[92:93], -v[106:107], v[188:189], v[92:93]
	ds_read2_b64 v[186:189], v235 offset0:32 offset1:33
	s_waitcnt vmcnt(10) lgkmcnt(2)
	v_fma_f64 v[128:129], -v[106:107], v[190:191], v[128:129]
	s_waitcnt vmcnt(9)
	v_fma_f64 v[90:91], -v[106:107], v[192:193], v[90:91]
	s_waitcnt vmcnt(8) lgkmcnt(1)
	v_fma_f64 v[126:127], -v[106:107], v[194:195], v[126:127]
	s_waitcnt vmcnt(7)
	v_fma_f64 v[88:89], -v[106:107], v[196:197], v[88:89]
	ds_read2_b64 v[190:193], v235 offset0:34 offset1:35
	ds_read2_b64 v[194:197], v235 offset0:36 offset1:37
	s_waitcnt vmcnt(6) lgkmcnt(2)
	v_fma_f64 v[124:125], -v[106:107], v[186:187], v[124:125]
	ds_read_b64 v[186:187], v235 offset:304
	s_waitcnt vmcnt(5)
	v_fma_f64 v[86:87], -v[106:107], v[188:189], v[86:87]
	s_waitcnt vmcnt(4) lgkmcnt(2)
	v_fma_f64 v[122:123], -v[106:107], v[190:191], v[122:123]
	s_waitcnt vmcnt(3)
	v_fma_f64 v[84:85], -v[106:107], v[192:193], v[84:85]
	s_waitcnt vmcnt(2) lgkmcnt(1)
	v_fma_f64 v[120:121], -v[106:107], v[194:195], v[120:121]
	;; [unrolled: 4-line block ×3, first 2 shown]
.LBB77_71:
	s_or_b64 exec, exec, s[2:3]
	v_cmp_eq_u32_e32 vcc, 14, v236
	s_waitcnt lgkmcnt(0)
	s_barrier
	s_and_saveexec_b64 s[2:3], vcc
	s_cbranch_execz .LBB77_74
; %bb.72:
	s_waitcnt vmcnt(24)
	ds_write_b64 v234, v[142:143]
	s_waitcnt vmcnt(22)
	ds_write2_b64 v235, v[104:105], v[140:141] offset0:15 offset1:16
	s_waitcnt vmcnt(20)
	ds_write2_b64 v235, v[102:103], v[138:139] offset0:17 offset1:18
	;; [unrolled: 2-line block ×12, first 2 shown]
	ds_read_b64 v[186:187], v234
	s_waitcnt lgkmcnt(0)
	v_cmp_neq_f64_e32 vcc, 0, v[186:187]
	s_and_b64 exec, exec, vcc
	s_cbranch_execz .LBB77_74
; %bb.73:
	v_div_scale_f64 v[188:189], s[6:7], v[186:187], v[186:187], 1.0
	v_rcp_f64_e32 v[190:191], v[188:189]
	v_div_scale_f64 v[192:193], vcc, 1.0, v[186:187], 1.0
	v_fma_f64 v[194:195], -v[188:189], v[190:191], 1.0
	v_fmac_f64_e32 v[190:191], v[190:191], v[194:195]
	v_fma_f64 v[194:195], -v[188:189], v[190:191], 1.0
	v_fmac_f64_e32 v[190:191], v[190:191], v[194:195]
	v_mul_f64 v[194:195], v[192:193], v[190:191]
	v_fma_f64 v[188:189], -v[188:189], v[194:195], v[192:193]
	v_div_fmas_f64 v[188:189], v[188:189], v[190:191], v[194:195]
	v_div_fixup_f64 v[186:187], v[188:189], v[186:187], 1.0
	ds_write_b64 v234, v[186:187]
.LBB77_74:
	s_or_b64 exec, exec, s[2:3]
	s_waitcnt lgkmcnt(0)
	s_barrier
	ds_read_b64 v[186:187], v234
	v_cmp_lt_u32_e32 vcc, 14, v236
	s_and_saveexec_b64 s[2:3], vcc
	s_cbranch_execz .LBB77_76
; %bb.75:
	ds_read2_b64 v[188:191], v235 offset0:15 offset1:16
	ds_read2_b64 v[192:195], v235 offset0:17 offset1:18
	;; [unrolled: 1-line block ×3, first 2 shown]
	s_waitcnt vmcnt(24) lgkmcnt(3)
	v_mul_f64 v[142:143], v[186:187], v[142:143]
	s_waitcnt vmcnt(23) lgkmcnt(2)
	v_fma_f64 v[104:105], -v[142:143], v[188:189], v[104:105]
	s_waitcnt vmcnt(22)
	v_fma_f64 v[140:141], -v[142:143], v[190:191], v[140:141]
	ds_read2_b64 v[188:191], v235 offset0:21 offset1:22
	s_waitcnt vmcnt(21) lgkmcnt(2)
	v_fma_f64 v[102:103], -v[142:143], v[192:193], v[102:103]
	s_waitcnt vmcnt(20)
	v_fma_f64 v[138:139], -v[142:143], v[194:195], v[138:139]
	s_waitcnt vmcnt(19) lgkmcnt(1)
	v_fma_f64 v[100:101], -v[142:143], v[196:197], v[100:101]
	ds_read2_b64 v[192:195], v235 offset0:23 offset1:24
	s_waitcnt vmcnt(18)
	v_fma_f64 v[136:137], -v[142:143], v[198:199], v[136:137]
	ds_read2_b64 v[196:199], v235 offset0:25 offset1:26
	s_waitcnt vmcnt(17) lgkmcnt(2)
	v_fma_f64 v[98:99], -v[142:143], v[188:189], v[98:99]
	s_waitcnt vmcnt(16)
	v_fma_f64 v[134:135], -v[142:143], v[190:191], v[134:135]
	s_waitcnt vmcnt(15) lgkmcnt(1)
	v_fma_f64 v[96:97], -v[142:143], v[192:193], v[96:97]
	ds_read2_b64 v[188:191], v235 offset0:27 offset1:28
	s_waitcnt vmcnt(14)
	v_fma_f64 v[132:133], -v[142:143], v[194:195], v[132:133]
	ds_read2_b64 v[192:195], v235 offset0:29 offset1:30
	s_waitcnt vmcnt(13) lgkmcnt(2)
	v_fma_f64 v[94:95], -v[142:143], v[196:197], v[94:95]
	s_waitcnt vmcnt(12)
	v_fma_f64 v[130:131], -v[142:143], v[198:199], v[130:131]
	ds_read2_b64 v[196:199], v235 offset0:31 offset1:32
	s_waitcnt vmcnt(11) lgkmcnt(2)
	v_fma_f64 v[92:93], -v[142:143], v[188:189], v[92:93]
	;; [unrolled: 5-line block ×3, first 2 shown]
	s_waitcnt vmcnt(8)
	v_fma_f64 v[126:127], -v[142:143], v[194:195], v[126:127]
	s_waitcnt vmcnt(7) lgkmcnt(1)
	v_fma_f64 v[88:89], -v[142:143], v[196:197], v[88:89]
	ds_read2_b64 v[192:195], v235 offset0:35 offset1:36
	s_waitcnt vmcnt(6)
	v_fma_f64 v[124:125], -v[142:143], v[198:199], v[124:125]
	ds_read2_b64 v[196:199], v235 offset0:37 offset1:38
	s_waitcnt vmcnt(5) lgkmcnt(2)
	v_fma_f64 v[86:87], -v[142:143], v[188:189], v[86:87]
	s_waitcnt vmcnt(4)
	v_fma_f64 v[122:123], -v[142:143], v[190:191], v[122:123]
	s_waitcnt vmcnt(3) lgkmcnt(1)
	v_fma_f64 v[84:85], -v[142:143], v[192:193], v[84:85]
	s_waitcnt vmcnt(2)
	v_fma_f64 v[120:121], -v[142:143], v[194:195], v[120:121]
	s_waitcnt vmcnt(1) lgkmcnt(0)
	v_fma_f64 v[82:83], -v[142:143], v[196:197], v[82:83]
	s_waitcnt vmcnt(0)
	v_fma_f64 v[156:157], -v[142:143], v[198:199], v[156:157]
.LBB77_76:
	s_or_b64 exec, exec, s[2:3]
	v_cmp_eq_u32_e32 vcc, 15, v236
	s_waitcnt lgkmcnt(0)
	s_barrier
	s_and_saveexec_b64 s[2:3], vcc
	s_cbranch_execz .LBB77_79
; %bb.77:
	s_waitcnt vmcnt(22)
	v_mov_b32_e32 v188, v140
	v_mov_b32_e32 v189, v141
	s_waitcnt vmcnt(21)
	v_mov_b32_e32 v190, v102
	v_mov_b32_e32 v191, v103
	ds_write_b64 v234, v[104:105]
	ds_write2_b64 v235, v[188:189], v[190:191] offset0:16 offset1:17
	s_waitcnt vmcnt(20)
	v_mov_b32_e32 v188, v138
	v_mov_b32_e32 v189, v139
	s_waitcnt vmcnt(19)
	v_mov_b32_e32 v190, v100
	v_mov_b32_e32 v191, v101
	ds_write2_b64 v235, v[188:189], v[190:191] offset0:18 offset1:19
	s_waitcnt vmcnt(18)
	v_mov_b32_e32 v188, v136
	v_mov_b32_e32 v189, v137
	s_waitcnt vmcnt(17)
	v_mov_b32_e32 v190, v98
	v_mov_b32_e32 v191, v99
	;; [unrolled: 7-line block ×10, first 2 shown]
	ds_write2_b64 v235, v[188:189], v[190:191] offset0:36 offset1:37
	s_waitcnt vmcnt(0)
	ds_write_b64 v235, v[156:157] offset:304
	ds_read_b64 v[188:189], v234
	s_waitcnt lgkmcnt(0)
	v_cmp_neq_f64_e32 vcc, 0, v[188:189]
	s_and_b64 exec, exec, vcc
	s_cbranch_execz .LBB77_79
; %bb.78:
	v_div_scale_f64 v[190:191], s[6:7], v[188:189], v[188:189], 1.0
	v_rcp_f64_e32 v[192:193], v[190:191]
	v_div_scale_f64 v[194:195], vcc, 1.0, v[188:189], 1.0
	v_fma_f64 v[196:197], -v[190:191], v[192:193], 1.0
	v_fmac_f64_e32 v[192:193], v[192:193], v[196:197]
	v_fma_f64 v[196:197], -v[190:191], v[192:193], 1.0
	v_fmac_f64_e32 v[192:193], v[192:193], v[196:197]
	v_mul_f64 v[196:197], v[194:195], v[192:193]
	v_fma_f64 v[190:191], -v[190:191], v[196:197], v[194:195]
	v_div_fmas_f64 v[190:191], v[190:191], v[192:193], v[196:197]
	v_div_fixup_f64 v[188:189], v[190:191], v[188:189], 1.0
	ds_write_b64 v234, v[188:189]
.LBB77_79:
	s_or_b64 exec, exec, s[2:3]
	s_waitcnt lgkmcnt(0)
	s_barrier
	ds_read_b64 v[188:189], v234
	v_cmp_lt_u32_e32 vcc, 15, v236
	s_and_saveexec_b64 s[2:3], vcc
	s_cbranch_execz .LBB77_81
; %bb.80:
	ds_read2_b64 v[190:193], v235 offset0:16 offset1:17
	ds_read2_b64 v[194:197], v235 offset0:18 offset1:19
	ds_read2_b64 v[198:201], v235 offset0:20 offset1:21
	s_waitcnt vmcnt(23) lgkmcnt(3)
	v_mul_f64 v[104:105], v[188:189], v[104:105]
	s_waitcnt vmcnt(22) lgkmcnt(2)
	v_fma_f64 v[140:141], -v[104:105], v[190:191], v[140:141]
	s_waitcnt vmcnt(21)
	v_fma_f64 v[102:103], -v[104:105], v[192:193], v[102:103]
	ds_read2_b64 v[190:193], v235 offset0:22 offset1:23
	s_waitcnt vmcnt(20) lgkmcnt(2)
	v_fma_f64 v[138:139], -v[104:105], v[194:195], v[138:139]
	s_waitcnt vmcnt(19)
	v_fma_f64 v[100:101], -v[104:105], v[196:197], v[100:101]
	s_waitcnt vmcnt(18) lgkmcnt(1)
	v_fma_f64 v[136:137], -v[104:105], v[198:199], v[136:137]
	ds_read2_b64 v[194:197], v235 offset0:24 offset1:25
	s_waitcnt vmcnt(17)
	v_fma_f64 v[98:99], -v[104:105], v[200:201], v[98:99]
	ds_read2_b64 v[198:201], v235 offset0:26 offset1:27
	s_waitcnt vmcnt(16) lgkmcnt(2)
	v_fma_f64 v[134:135], -v[104:105], v[190:191], v[134:135]
	s_waitcnt vmcnt(15)
	v_fma_f64 v[96:97], -v[104:105], v[192:193], v[96:97]
	s_waitcnt vmcnt(14) lgkmcnt(1)
	v_fma_f64 v[132:133], -v[104:105], v[194:195], v[132:133]
	ds_read2_b64 v[190:193], v235 offset0:28 offset1:29
	s_waitcnt vmcnt(13)
	v_fma_f64 v[94:95], -v[104:105], v[196:197], v[94:95]
	ds_read2_b64 v[194:197], v235 offset0:30 offset1:31
	s_waitcnt vmcnt(12) lgkmcnt(2)
	v_fma_f64 v[130:131], -v[104:105], v[198:199], v[130:131]
	s_waitcnt vmcnt(11)
	v_fma_f64 v[92:93], -v[104:105], v[200:201], v[92:93]
	ds_read2_b64 v[198:201], v235 offset0:32 offset1:33
	s_waitcnt vmcnt(10) lgkmcnt(2)
	v_fma_f64 v[128:129], -v[104:105], v[190:191], v[128:129]
	;; [unrolled: 5-line block ×3, first 2 shown]
	s_waitcnt vmcnt(7)
	v_fma_f64 v[88:89], -v[104:105], v[196:197], v[88:89]
	s_waitcnt vmcnt(6) lgkmcnt(1)
	v_fma_f64 v[124:125], -v[104:105], v[198:199], v[124:125]
	ds_read2_b64 v[194:197], v235 offset0:36 offset1:37
	ds_read_b64 v[198:199], v235 offset:304
	s_waitcnt vmcnt(5)
	v_fma_f64 v[86:87], -v[104:105], v[200:201], v[86:87]
	s_waitcnt vmcnt(4) lgkmcnt(2)
	v_fma_f64 v[122:123], -v[104:105], v[190:191], v[122:123]
	s_waitcnt vmcnt(3)
	v_fma_f64 v[84:85], -v[104:105], v[192:193], v[84:85]
	s_waitcnt vmcnt(2) lgkmcnt(1)
	v_fma_f64 v[120:121], -v[104:105], v[194:195], v[120:121]
	;; [unrolled: 4-line block ×3, first 2 shown]
.LBB77_81:
	s_or_b64 exec, exec, s[2:3]
	v_cmp_eq_u32_e32 vcc, 16, v236
	s_waitcnt lgkmcnt(0)
	s_barrier
	s_and_saveexec_b64 s[2:3], vcc
	s_cbranch_execz .LBB77_84
; %bb.82:
	s_waitcnt vmcnt(22)
	ds_write_b64 v234, v[140:141]
	s_waitcnt vmcnt(20)
	ds_write2_b64 v235, v[102:103], v[138:139] offset0:17 offset1:18
	s_waitcnt vmcnt(18)
	ds_write2_b64 v235, v[100:101], v[136:137] offset0:19 offset1:20
	;; [unrolled: 2-line block ×11, first 2 shown]
	ds_read_b64 v[190:191], v234
	s_waitcnt lgkmcnt(0)
	v_cmp_neq_f64_e32 vcc, 0, v[190:191]
	s_and_b64 exec, exec, vcc
	s_cbranch_execz .LBB77_84
; %bb.83:
	v_div_scale_f64 v[192:193], s[6:7], v[190:191], v[190:191], 1.0
	v_rcp_f64_e32 v[194:195], v[192:193]
	v_div_scale_f64 v[196:197], vcc, 1.0, v[190:191], 1.0
	v_fma_f64 v[198:199], -v[192:193], v[194:195], 1.0
	v_fmac_f64_e32 v[194:195], v[194:195], v[198:199]
	v_fma_f64 v[198:199], -v[192:193], v[194:195], 1.0
	v_fmac_f64_e32 v[194:195], v[194:195], v[198:199]
	v_mul_f64 v[198:199], v[196:197], v[194:195]
	v_fma_f64 v[192:193], -v[192:193], v[198:199], v[196:197]
	v_div_fmas_f64 v[192:193], v[192:193], v[194:195], v[198:199]
	v_div_fixup_f64 v[190:191], v[192:193], v[190:191], 1.0
	ds_write_b64 v234, v[190:191]
.LBB77_84:
	s_or_b64 exec, exec, s[2:3]
	s_waitcnt lgkmcnt(0)
	s_barrier
	ds_read_b64 v[190:191], v234
	v_cmp_lt_u32_e32 vcc, 16, v236
	s_and_saveexec_b64 s[2:3], vcc
	s_cbranch_execz .LBB77_86
; %bb.85:
	ds_read2_b64 v[192:195], v235 offset0:17 offset1:18
	ds_read2_b64 v[196:199], v235 offset0:19 offset1:20
	s_waitcnt vmcnt(22) lgkmcnt(2)
	v_mul_f64 v[140:141], v[190:191], v[140:141]
	ds_read2_b64 v[200:203], v235 offset0:21 offset1:22
	s_waitcnt vmcnt(21) lgkmcnt(2)
	v_fma_f64 v[102:103], -v[140:141], v[192:193], v[102:103]
	s_waitcnt vmcnt(20)
	v_fma_f64 v[138:139], -v[140:141], v[194:195], v[138:139]
	ds_read2_b64 v[192:195], v235 offset0:23 offset1:24
	s_waitcnt vmcnt(19) lgkmcnt(2)
	v_fma_f64 v[100:101], -v[140:141], v[196:197], v[100:101]
	s_waitcnt vmcnt(18)
	v_fma_f64 v[136:137], -v[140:141], v[198:199], v[136:137]
	;; [unrolled: 5-line block ×4, first 2 shown]
	s_waitcnt vmcnt(13) lgkmcnt(1)
	v_fma_f64 v[94:95], -v[140:141], v[196:197], v[94:95]
	ds_read2_b64 v[192:195], v235 offset0:29 offset1:30
	s_waitcnt vmcnt(12)
	v_fma_f64 v[130:131], -v[140:141], v[198:199], v[130:131]
	ds_read2_b64 v[196:199], v235 offset0:31 offset1:32
	s_waitcnt vmcnt(11) lgkmcnt(2)
	v_fma_f64 v[92:93], -v[140:141], v[200:201], v[92:93]
	s_waitcnt vmcnt(10)
	v_fma_f64 v[128:129], -v[140:141], v[202:203], v[128:129]
	s_waitcnt vmcnt(9) lgkmcnt(1)
	v_fma_f64 v[90:91], -v[140:141], v[192:193], v[90:91]
	s_waitcnt vmcnt(8)
	v_fma_f64 v[126:127], -v[140:141], v[194:195], v[126:127]
	ds_read2_b64 v[192:195], v235 offset0:33 offset1:34
	ds_read2_b64 v[200:203], v235 offset0:35 offset1:36
	s_waitcnt vmcnt(7) lgkmcnt(2)
	v_fma_f64 v[88:89], -v[140:141], v[196:197], v[88:89]
	s_waitcnt vmcnt(6)
	v_fma_f64 v[124:125], -v[140:141], v[198:199], v[124:125]
	ds_read2_b64 v[196:199], v235 offset0:37 offset1:38
	s_waitcnt vmcnt(5) lgkmcnt(2)
	v_fma_f64 v[86:87], -v[140:141], v[192:193], v[86:87]
	s_waitcnt vmcnt(4)
	v_fma_f64 v[122:123], -v[140:141], v[194:195], v[122:123]
	s_waitcnt vmcnt(3) lgkmcnt(1)
	v_fma_f64 v[84:85], -v[140:141], v[200:201], v[84:85]
	s_waitcnt vmcnt(2)
	v_fma_f64 v[120:121], -v[140:141], v[202:203], v[120:121]
	;; [unrolled: 4-line block ×3, first 2 shown]
.LBB77_86:
	s_or_b64 exec, exec, s[2:3]
	v_cmp_eq_u32_e32 vcc, 17, v236
	s_waitcnt lgkmcnt(0)
	s_barrier
	s_and_saveexec_b64 s[2:3], vcc
	s_cbranch_execz .LBB77_89
; %bb.87:
	s_waitcnt vmcnt(20)
	v_mov_b32_e32 v192, v138
	v_mov_b32_e32 v193, v139
	s_waitcnt vmcnt(19)
	v_mov_b32_e32 v194, v100
	v_mov_b32_e32 v195, v101
	ds_write_b64 v234, v[102:103]
	ds_write2_b64 v235, v[192:193], v[194:195] offset0:18 offset1:19
	s_waitcnt vmcnt(18)
	v_mov_b32_e32 v192, v136
	v_mov_b32_e32 v193, v137
	s_waitcnt vmcnt(17)
	v_mov_b32_e32 v194, v98
	v_mov_b32_e32 v195, v99
	ds_write2_b64 v235, v[192:193], v[194:195] offset0:20 offset1:21
	s_waitcnt vmcnt(16)
	v_mov_b32_e32 v192, v134
	v_mov_b32_e32 v193, v135
	s_waitcnt vmcnt(15)
	v_mov_b32_e32 v194, v96
	v_mov_b32_e32 v195, v97
	;; [unrolled: 7-line block ×9, first 2 shown]
	ds_write2_b64 v235, v[192:193], v[194:195] offset0:36 offset1:37
	s_waitcnt vmcnt(0)
	ds_write_b64 v235, v[156:157] offset:304
	ds_read_b64 v[192:193], v234
	s_waitcnt lgkmcnt(0)
	v_cmp_neq_f64_e32 vcc, 0, v[192:193]
	s_and_b64 exec, exec, vcc
	s_cbranch_execz .LBB77_89
; %bb.88:
	v_div_scale_f64 v[194:195], s[6:7], v[192:193], v[192:193], 1.0
	v_rcp_f64_e32 v[196:197], v[194:195]
	v_div_scale_f64 v[198:199], vcc, 1.0, v[192:193], 1.0
	v_fma_f64 v[200:201], -v[194:195], v[196:197], 1.0
	v_fmac_f64_e32 v[196:197], v[196:197], v[200:201]
	v_fma_f64 v[200:201], -v[194:195], v[196:197], 1.0
	v_fmac_f64_e32 v[196:197], v[196:197], v[200:201]
	v_mul_f64 v[200:201], v[198:199], v[196:197]
	v_fma_f64 v[194:195], -v[194:195], v[200:201], v[198:199]
	v_div_fmas_f64 v[194:195], v[194:195], v[196:197], v[200:201]
	v_div_fixup_f64 v[192:193], v[194:195], v[192:193], 1.0
	ds_write_b64 v234, v[192:193]
.LBB77_89:
	s_or_b64 exec, exec, s[2:3]
	s_waitcnt lgkmcnt(0)
	s_barrier
	ds_read_b64 v[192:193], v234
	v_cmp_lt_u32_e32 vcc, 17, v236
	s_and_saveexec_b64 s[2:3], vcc
	s_cbranch_execz .LBB77_91
; %bb.90:
	ds_read2_b64 v[194:197], v235 offset0:18 offset1:19
	ds_read2_b64 v[198:201], v235 offset0:20 offset1:21
	s_waitcnt vmcnt(21) lgkmcnt(2)
	v_mul_f64 v[102:103], v[192:193], v[102:103]
	ds_read2_b64 v[202:205], v235 offset0:22 offset1:23
	s_waitcnt vmcnt(20) lgkmcnt(2)
	v_fma_f64 v[138:139], -v[102:103], v[194:195], v[138:139]
	s_waitcnt vmcnt(19)
	v_fma_f64 v[100:101], -v[102:103], v[196:197], v[100:101]
	ds_read2_b64 v[194:197], v235 offset0:24 offset1:25
	s_waitcnt vmcnt(18) lgkmcnt(2)
	v_fma_f64 v[136:137], -v[102:103], v[198:199], v[136:137]
	s_waitcnt vmcnt(17)
	v_fma_f64 v[98:99], -v[102:103], v[200:201], v[98:99]
	;; [unrolled: 5-line block ×4, first 2 shown]
	s_waitcnt vmcnt(12) lgkmcnt(1)
	v_fma_f64 v[130:131], -v[102:103], v[198:199], v[130:131]
	ds_read2_b64 v[194:197], v235 offset0:30 offset1:31
	s_waitcnt vmcnt(11)
	v_fma_f64 v[92:93], -v[102:103], v[200:201], v[92:93]
	ds_read2_b64 v[198:201], v235 offset0:32 offset1:33
	s_waitcnt vmcnt(10) lgkmcnt(2)
	v_fma_f64 v[128:129], -v[102:103], v[202:203], v[128:129]
	s_waitcnt vmcnt(9)
	v_fma_f64 v[90:91], -v[102:103], v[204:205], v[90:91]
	s_waitcnt vmcnt(8) lgkmcnt(1)
	v_fma_f64 v[126:127], -v[102:103], v[194:195], v[126:127]
	s_waitcnt vmcnt(7)
	v_fma_f64 v[88:89], -v[102:103], v[196:197], v[88:89]
	ds_read2_b64 v[194:197], v235 offset0:34 offset1:35
	ds_read2_b64 v[202:205], v235 offset0:36 offset1:37
	s_waitcnt vmcnt(6) lgkmcnt(2)
	v_fma_f64 v[124:125], -v[102:103], v[198:199], v[124:125]
	ds_read_b64 v[198:199], v235 offset:304
	s_waitcnt vmcnt(5)
	v_fma_f64 v[86:87], -v[102:103], v[200:201], v[86:87]
	s_waitcnt vmcnt(4) lgkmcnt(2)
	v_fma_f64 v[122:123], -v[102:103], v[194:195], v[122:123]
	s_waitcnt vmcnt(3)
	v_fma_f64 v[84:85], -v[102:103], v[196:197], v[84:85]
	s_waitcnt vmcnt(2) lgkmcnt(1)
	v_fma_f64 v[120:121], -v[102:103], v[202:203], v[120:121]
	s_waitcnt vmcnt(1)
	v_fma_f64 v[82:83], -v[102:103], v[204:205], v[82:83]
	s_waitcnt vmcnt(0) lgkmcnt(0)
	v_fma_f64 v[156:157], -v[102:103], v[198:199], v[156:157]
.LBB77_91:
	s_or_b64 exec, exec, s[2:3]
	v_cmp_eq_u32_e32 vcc, 18, v236
	s_waitcnt lgkmcnt(0)
	s_barrier
	s_and_saveexec_b64 s[2:3], vcc
	s_cbranch_execz .LBB77_94
; %bb.92:
	s_waitcnt vmcnt(20)
	ds_write_b64 v234, v[138:139]
	s_waitcnt vmcnt(18)
	ds_write2_b64 v235, v[100:101], v[136:137] offset0:19 offset1:20
	s_waitcnt vmcnt(16)
	ds_write2_b64 v235, v[98:99], v[134:135] offset0:21 offset1:22
	;; [unrolled: 2-line block ×10, first 2 shown]
	ds_read_b64 v[194:195], v234
	s_waitcnt lgkmcnt(0)
	v_cmp_neq_f64_e32 vcc, 0, v[194:195]
	s_and_b64 exec, exec, vcc
	s_cbranch_execz .LBB77_94
; %bb.93:
	v_div_scale_f64 v[196:197], s[6:7], v[194:195], v[194:195], 1.0
	v_rcp_f64_e32 v[198:199], v[196:197]
	v_div_scale_f64 v[200:201], vcc, 1.0, v[194:195], 1.0
	v_fma_f64 v[202:203], -v[196:197], v[198:199], 1.0
	v_fmac_f64_e32 v[198:199], v[198:199], v[202:203]
	v_fma_f64 v[202:203], -v[196:197], v[198:199], 1.0
	v_fmac_f64_e32 v[198:199], v[198:199], v[202:203]
	v_mul_f64 v[202:203], v[200:201], v[198:199]
	v_fma_f64 v[196:197], -v[196:197], v[202:203], v[200:201]
	v_div_fmas_f64 v[196:197], v[196:197], v[198:199], v[202:203]
	v_div_fixup_f64 v[194:195], v[196:197], v[194:195], 1.0
	ds_write_b64 v234, v[194:195]
.LBB77_94:
	s_or_b64 exec, exec, s[2:3]
	s_waitcnt lgkmcnt(0)
	s_barrier
	ds_read_b64 v[194:195], v234
	v_cmp_lt_u32_e32 vcc, 18, v236
	s_and_saveexec_b64 s[2:3], vcc
	s_cbranch_execz .LBB77_96
; %bb.95:
	ds_read2_b64 v[196:199], v235 offset0:19 offset1:20
	ds_read2_b64 v[200:203], v235 offset0:21 offset1:22
	s_waitcnt vmcnt(20) lgkmcnt(2)
	v_mul_f64 v[138:139], v[194:195], v[138:139]
	ds_read2_b64 v[204:207], v235 offset0:23 offset1:24
	s_waitcnt vmcnt(19) lgkmcnt(2)
	v_fma_f64 v[100:101], -v[138:139], v[196:197], v[100:101]
	s_waitcnt vmcnt(18)
	v_fma_f64 v[136:137], -v[138:139], v[198:199], v[136:137]
	ds_read2_b64 v[196:199], v235 offset0:25 offset1:26
	s_waitcnt vmcnt(17) lgkmcnt(2)
	v_fma_f64 v[98:99], -v[138:139], v[200:201], v[98:99]
	s_waitcnt vmcnt(16)
	v_fma_f64 v[134:135], -v[138:139], v[202:203], v[134:135]
	s_waitcnt vmcnt(15) lgkmcnt(1)
	v_fma_f64 v[96:97], -v[138:139], v[204:205], v[96:97]
	ds_read2_b64 v[200:203], v235 offset0:27 offset1:28
	s_waitcnt vmcnt(14)
	v_fma_f64 v[132:133], -v[138:139], v[206:207], v[132:133]
	ds_read2_b64 v[204:207], v235 offset0:29 offset1:30
	s_waitcnt vmcnt(13) lgkmcnt(2)
	v_fma_f64 v[94:95], -v[138:139], v[196:197], v[94:95]
	s_waitcnt vmcnt(12)
	v_fma_f64 v[130:131], -v[138:139], v[198:199], v[130:131]
	ds_read2_b64 v[196:199], v235 offset0:31 offset1:32
	s_waitcnt vmcnt(11) lgkmcnt(2)
	v_fma_f64 v[92:93], -v[138:139], v[200:201], v[92:93]
	;; [unrolled: 5-line block ×3, first 2 shown]
	s_waitcnt vmcnt(8)
	v_fma_f64 v[126:127], -v[138:139], v[206:207], v[126:127]
	s_waitcnt vmcnt(7) lgkmcnt(1)
	v_fma_f64 v[88:89], -v[138:139], v[196:197], v[88:89]
	ds_read2_b64 v[204:207], v235 offset0:35 offset1:36
	s_waitcnt vmcnt(6)
	v_fma_f64 v[124:125], -v[138:139], v[198:199], v[124:125]
	ds_read2_b64 v[196:199], v235 offset0:37 offset1:38
	s_waitcnt vmcnt(5) lgkmcnt(2)
	v_fma_f64 v[86:87], -v[138:139], v[200:201], v[86:87]
	s_waitcnt vmcnt(4)
	v_fma_f64 v[122:123], -v[138:139], v[202:203], v[122:123]
	s_waitcnt vmcnt(3) lgkmcnt(1)
	v_fma_f64 v[84:85], -v[138:139], v[204:205], v[84:85]
	s_waitcnt vmcnt(2)
	v_fma_f64 v[120:121], -v[138:139], v[206:207], v[120:121]
	;; [unrolled: 4-line block ×3, first 2 shown]
.LBB77_96:
	s_or_b64 exec, exec, s[2:3]
	v_cmp_eq_u32_e32 vcc, 19, v236
	s_waitcnt lgkmcnt(0)
	s_barrier
	s_and_saveexec_b64 s[2:3], vcc
	s_cbranch_execz .LBB77_99
; %bb.97:
	s_waitcnt vmcnt(18)
	v_mov_b32_e32 v196, v136
	v_mov_b32_e32 v197, v137
	s_waitcnt vmcnt(17)
	v_mov_b32_e32 v198, v98
	v_mov_b32_e32 v199, v99
	ds_write_b64 v234, v[100:101]
	ds_write2_b64 v235, v[196:197], v[198:199] offset0:20 offset1:21
	s_waitcnt vmcnt(16)
	v_mov_b32_e32 v196, v134
	v_mov_b32_e32 v197, v135
	s_waitcnt vmcnt(15)
	v_mov_b32_e32 v198, v96
	v_mov_b32_e32 v199, v97
	ds_write2_b64 v235, v[196:197], v[198:199] offset0:22 offset1:23
	s_waitcnt vmcnt(14)
	v_mov_b32_e32 v196, v132
	v_mov_b32_e32 v197, v133
	s_waitcnt vmcnt(13)
	v_mov_b32_e32 v198, v94
	v_mov_b32_e32 v199, v95
	;; [unrolled: 7-line block ×8, first 2 shown]
	ds_write2_b64 v235, v[196:197], v[198:199] offset0:36 offset1:37
	s_waitcnt vmcnt(0)
	ds_write_b64 v235, v[156:157] offset:304
	ds_read_b64 v[196:197], v234
	s_waitcnt lgkmcnt(0)
	v_cmp_neq_f64_e32 vcc, 0, v[196:197]
	s_and_b64 exec, exec, vcc
	s_cbranch_execz .LBB77_99
; %bb.98:
	v_div_scale_f64 v[198:199], s[6:7], v[196:197], v[196:197], 1.0
	v_rcp_f64_e32 v[200:201], v[198:199]
	v_div_scale_f64 v[202:203], vcc, 1.0, v[196:197], 1.0
	v_fma_f64 v[204:205], -v[198:199], v[200:201], 1.0
	v_fmac_f64_e32 v[200:201], v[200:201], v[204:205]
	v_fma_f64 v[204:205], -v[198:199], v[200:201], 1.0
	v_fmac_f64_e32 v[200:201], v[200:201], v[204:205]
	v_mul_f64 v[204:205], v[202:203], v[200:201]
	v_fma_f64 v[198:199], -v[198:199], v[204:205], v[202:203]
	v_div_fmas_f64 v[198:199], v[198:199], v[200:201], v[204:205]
	v_div_fixup_f64 v[196:197], v[198:199], v[196:197], 1.0
	ds_write_b64 v234, v[196:197]
.LBB77_99:
	s_or_b64 exec, exec, s[2:3]
	s_waitcnt lgkmcnt(0)
	s_barrier
	ds_read_b64 v[196:197], v234
	v_cmp_lt_u32_e32 vcc, 19, v236
	s_and_saveexec_b64 s[2:3], vcc
	s_cbranch_execz .LBB77_101
; %bb.100:
	ds_read2_b64 v[198:201], v235 offset0:20 offset1:21
	ds_read2_b64 v[202:205], v235 offset0:22 offset1:23
	s_waitcnt vmcnt(19) lgkmcnt(2)
	v_mul_f64 v[100:101], v[196:197], v[100:101]
	ds_read2_b64 v[206:209], v235 offset0:24 offset1:25
	s_waitcnt vmcnt(18) lgkmcnt(2)
	v_fma_f64 v[136:137], -v[100:101], v[198:199], v[136:137]
	s_waitcnt vmcnt(17)
	v_fma_f64 v[98:99], -v[100:101], v[200:201], v[98:99]
	ds_read2_b64 v[198:201], v235 offset0:26 offset1:27
	s_waitcnt vmcnt(16) lgkmcnt(2)
	v_fma_f64 v[134:135], -v[100:101], v[202:203], v[134:135]
	s_waitcnt vmcnt(15)
	v_fma_f64 v[96:97], -v[100:101], v[204:205], v[96:97]
	s_waitcnt vmcnt(14) lgkmcnt(1)
	v_fma_f64 v[132:133], -v[100:101], v[206:207], v[132:133]
	ds_read2_b64 v[202:205], v235 offset0:28 offset1:29
	s_waitcnt vmcnt(13)
	v_fma_f64 v[94:95], -v[100:101], v[208:209], v[94:95]
	ds_read2_b64 v[206:209], v235 offset0:30 offset1:31
	s_waitcnt vmcnt(12) lgkmcnt(2)
	v_fma_f64 v[130:131], -v[100:101], v[198:199], v[130:131]
	s_waitcnt vmcnt(11)
	v_fma_f64 v[92:93], -v[100:101], v[200:201], v[92:93]
	ds_read2_b64 v[198:201], v235 offset0:32 offset1:33
	s_waitcnt vmcnt(10) lgkmcnt(2)
	v_fma_f64 v[128:129], -v[100:101], v[202:203], v[128:129]
	;; [unrolled: 5-line block ×3, first 2 shown]
	s_waitcnt vmcnt(7)
	v_fma_f64 v[88:89], -v[100:101], v[208:209], v[88:89]
	s_waitcnt vmcnt(6) lgkmcnt(1)
	v_fma_f64 v[124:125], -v[100:101], v[198:199], v[124:125]
	ds_read2_b64 v[206:209], v235 offset0:36 offset1:37
	ds_read_b64 v[198:199], v235 offset:304
	s_waitcnt vmcnt(5)
	v_fma_f64 v[86:87], -v[100:101], v[200:201], v[86:87]
	s_waitcnt vmcnt(4) lgkmcnt(2)
	v_fma_f64 v[122:123], -v[100:101], v[202:203], v[122:123]
	s_waitcnt vmcnt(3)
	v_fma_f64 v[84:85], -v[100:101], v[204:205], v[84:85]
	s_waitcnt vmcnt(2) lgkmcnt(1)
	v_fma_f64 v[120:121], -v[100:101], v[206:207], v[120:121]
	s_waitcnt vmcnt(1)
	v_fma_f64 v[82:83], -v[100:101], v[208:209], v[82:83]
	s_waitcnt vmcnt(0) lgkmcnt(0)
	v_fma_f64 v[156:157], -v[100:101], v[198:199], v[156:157]
.LBB77_101:
	s_or_b64 exec, exec, s[2:3]
	v_cmp_eq_u32_e32 vcc, 20, v236
	s_waitcnt lgkmcnt(0)
	s_barrier
	s_and_saveexec_b64 s[2:3], vcc
	s_cbranch_execz .LBB77_104
; %bb.102:
	s_waitcnt vmcnt(18)
	ds_write_b64 v234, v[136:137]
	s_waitcnt vmcnt(16)
	ds_write2_b64 v235, v[98:99], v[134:135] offset0:21 offset1:22
	s_waitcnt vmcnt(14)
	ds_write2_b64 v235, v[96:97], v[132:133] offset0:23 offset1:24
	s_waitcnt vmcnt(12)
	ds_write2_b64 v235, v[94:95], v[130:131] offset0:25 offset1:26
	s_waitcnt vmcnt(10)
	ds_write2_b64 v235, v[92:93], v[128:129] offset0:27 offset1:28
	s_waitcnt vmcnt(8)
	ds_write2_b64 v235, v[90:91], v[126:127] offset0:29 offset1:30
	s_waitcnt vmcnt(6)
	ds_write2_b64 v235, v[88:89], v[124:125] offset0:31 offset1:32
	s_waitcnt vmcnt(4)
	ds_write2_b64 v235, v[86:87], v[122:123] offset0:33 offset1:34
	s_waitcnt vmcnt(2)
	ds_write2_b64 v235, v[84:85], v[120:121] offset0:35 offset1:36
	s_waitcnt vmcnt(0)
	ds_write2_b64 v235, v[82:83], v[156:157] offset0:37 offset1:38
	ds_read_b64 v[198:199], v234
	s_waitcnt lgkmcnt(0)
	v_cmp_neq_f64_e32 vcc, 0, v[198:199]
	s_and_b64 exec, exec, vcc
	s_cbranch_execz .LBB77_104
; %bb.103:
	v_div_scale_f64 v[200:201], s[6:7], v[198:199], v[198:199], 1.0
	v_rcp_f64_e32 v[202:203], v[200:201]
	v_div_scale_f64 v[204:205], vcc, 1.0, v[198:199], 1.0
	v_fma_f64 v[206:207], -v[200:201], v[202:203], 1.0
	v_fmac_f64_e32 v[202:203], v[202:203], v[206:207]
	v_fma_f64 v[206:207], -v[200:201], v[202:203], 1.0
	v_fmac_f64_e32 v[202:203], v[202:203], v[206:207]
	v_mul_f64 v[206:207], v[204:205], v[202:203]
	v_fma_f64 v[200:201], -v[200:201], v[206:207], v[204:205]
	v_div_fmas_f64 v[200:201], v[200:201], v[202:203], v[206:207]
	v_div_fixup_f64 v[198:199], v[200:201], v[198:199], 1.0
	ds_write_b64 v234, v[198:199]
.LBB77_104:
	s_or_b64 exec, exec, s[2:3]
	s_waitcnt lgkmcnt(0)
	s_barrier
	ds_read_b64 v[198:199], v234
	v_cmp_lt_u32_e32 vcc, 20, v236
	s_and_saveexec_b64 s[2:3], vcc
	s_cbranch_execz .LBB77_106
; %bb.105:
	ds_read2_b64 v[200:203], v235 offset0:21 offset1:22
	ds_read2_b64 v[204:207], v235 offset0:23 offset1:24
	;; [unrolled: 1-line block ×3, first 2 shown]
	s_waitcnt vmcnt(18) lgkmcnt(3)
	v_mul_f64 v[136:137], v[198:199], v[136:137]
	s_waitcnt vmcnt(17) lgkmcnt(2)
	v_fma_f64 v[98:99], -v[136:137], v[200:201], v[98:99]
	s_waitcnt vmcnt(16)
	v_fma_f64 v[134:135], -v[136:137], v[202:203], v[134:135]
	ds_read2_b64 v[200:203], v235 offset0:27 offset1:28
	s_waitcnt vmcnt(15) lgkmcnt(2)
	v_fma_f64 v[96:97], -v[136:137], v[204:205], v[96:97]
	s_waitcnt vmcnt(14)
	v_fma_f64 v[132:133], -v[136:137], v[206:207], v[132:133]
	s_waitcnt vmcnt(13) lgkmcnt(1)
	v_fma_f64 v[94:95], -v[136:137], v[208:209], v[94:95]
	ds_read2_b64 v[204:207], v235 offset0:29 offset1:30
	s_waitcnt vmcnt(12)
	v_fma_f64 v[130:131], -v[136:137], v[210:211], v[130:131]
	ds_read2_b64 v[208:211], v235 offset0:31 offset1:32
	s_waitcnt vmcnt(11) lgkmcnt(2)
	v_fma_f64 v[92:93], -v[136:137], v[200:201], v[92:93]
	s_waitcnt vmcnt(10)
	v_fma_f64 v[128:129], -v[136:137], v[202:203], v[128:129]
	s_waitcnt vmcnt(9) lgkmcnt(1)
	v_fma_f64 v[90:91], -v[136:137], v[204:205], v[90:91]
	s_waitcnt vmcnt(8)
	v_fma_f64 v[126:127], -v[136:137], v[206:207], v[126:127]
	ds_read2_b64 v[200:203], v235 offset0:33 offset1:34
	ds_read2_b64 v[204:207], v235 offset0:35 offset1:36
	s_waitcnt vmcnt(7) lgkmcnt(2)
	v_fma_f64 v[88:89], -v[136:137], v[208:209], v[88:89]
	s_waitcnt vmcnt(6)
	v_fma_f64 v[124:125], -v[136:137], v[210:211], v[124:125]
	ds_read2_b64 v[208:211], v235 offset0:37 offset1:38
	s_waitcnt vmcnt(5) lgkmcnt(2)
	v_fma_f64 v[86:87], -v[136:137], v[200:201], v[86:87]
	s_waitcnt vmcnt(4)
	v_fma_f64 v[122:123], -v[136:137], v[202:203], v[122:123]
	s_waitcnt vmcnt(3) lgkmcnt(1)
	v_fma_f64 v[84:85], -v[136:137], v[204:205], v[84:85]
	s_waitcnt vmcnt(2)
	v_fma_f64 v[120:121], -v[136:137], v[206:207], v[120:121]
	;; [unrolled: 4-line block ×3, first 2 shown]
.LBB77_106:
	s_or_b64 exec, exec, s[2:3]
	v_cmp_eq_u32_e32 vcc, 21, v236
	s_waitcnt lgkmcnt(0)
	s_barrier
	s_and_saveexec_b64 s[2:3], vcc
	s_cbranch_execz .LBB77_109
; %bb.107:
	s_waitcnt vmcnt(16)
	v_mov_b32_e32 v200, v134
	v_mov_b32_e32 v201, v135
	s_waitcnt vmcnt(15)
	v_mov_b32_e32 v202, v96
	v_mov_b32_e32 v203, v97
	ds_write_b64 v234, v[98:99]
	ds_write2_b64 v235, v[200:201], v[202:203] offset0:22 offset1:23
	s_waitcnt vmcnt(14)
	v_mov_b32_e32 v200, v132
	v_mov_b32_e32 v201, v133
	s_waitcnt vmcnt(13)
	v_mov_b32_e32 v202, v94
	v_mov_b32_e32 v203, v95
	ds_write2_b64 v235, v[200:201], v[202:203] offset0:24 offset1:25
	s_waitcnt vmcnt(12)
	v_mov_b32_e32 v200, v130
	v_mov_b32_e32 v201, v131
	s_waitcnt vmcnt(11)
	v_mov_b32_e32 v202, v92
	v_mov_b32_e32 v203, v93
	;; [unrolled: 7-line block ×7, first 2 shown]
	ds_write2_b64 v235, v[200:201], v[202:203] offset0:36 offset1:37
	s_waitcnt vmcnt(0)
	ds_write_b64 v235, v[156:157] offset:304
	ds_read_b64 v[200:201], v234
	s_waitcnt lgkmcnt(0)
	v_cmp_neq_f64_e32 vcc, 0, v[200:201]
	s_and_b64 exec, exec, vcc
	s_cbranch_execz .LBB77_109
; %bb.108:
	v_div_scale_f64 v[202:203], s[6:7], v[200:201], v[200:201], 1.0
	v_rcp_f64_e32 v[204:205], v[202:203]
	v_div_scale_f64 v[206:207], vcc, 1.0, v[200:201], 1.0
	v_fma_f64 v[208:209], -v[202:203], v[204:205], 1.0
	v_fmac_f64_e32 v[204:205], v[204:205], v[208:209]
	v_fma_f64 v[208:209], -v[202:203], v[204:205], 1.0
	v_fmac_f64_e32 v[204:205], v[204:205], v[208:209]
	v_mul_f64 v[208:209], v[206:207], v[204:205]
	v_fma_f64 v[202:203], -v[202:203], v[208:209], v[206:207]
	v_div_fmas_f64 v[202:203], v[202:203], v[204:205], v[208:209]
	v_div_fixup_f64 v[200:201], v[202:203], v[200:201], 1.0
	ds_write_b64 v234, v[200:201]
.LBB77_109:
	s_or_b64 exec, exec, s[2:3]
	s_waitcnt lgkmcnt(0)
	s_barrier
	ds_read_b64 v[200:201], v234
	v_cmp_lt_u32_e32 vcc, 21, v236
	s_and_saveexec_b64 s[2:3], vcc
	s_cbranch_execz .LBB77_111
; %bb.110:
	ds_read2_b64 v[202:205], v235 offset0:22 offset1:23
	ds_read2_b64 v[206:209], v235 offset0:24 offset1:25
	;; [unrolled: 1-line block ×3, first 2 shown]
	s_waitcnt vmcnt(17) lgkmcnt(3)
	v_mul_f64 v[98:99], v[200:201], v[98:99]
	s_waitcnt vmcnt(16) lgkmcnt(2)
	v_fma_f64 v[134:135], -v[98:99], v[202:203], v[134:135]
	s_waitcnt vmcnt(15)
	v_fma_f64 v[96:97], -v[98:99], v[204:205], v[96:97]
	ds_read2_b64 v[202:205], v235 offset0:28 offset1:29
	s_waitcnt vmcnt(14) lgkmcnt(2)
	v_fma_f64 v[132:133], -v[98:99], v[206:207], v[132:133]
	s_waitcnt vmcnt(13)
	v_fma_f64 v[94:95], -v[98:99], v[208:209], v[94:95]
	s_waitcnt vmcnt(12) lgkmcnt(1)
	v_fma_f64 v[130:131], -v[98:99], v[210:211], v[130:131]
	ds_read2_b64 v[206:209], v235 offset0:30 offset1:31
	s_waitcnt vmcnt(11)
	v_fma_f64 v[92:93], -v[98:99], v[212:213], v[92:93]
	ds_read2_b64 v[210:213], v235 offset0:32 offset1:33
	s_waitcnt vmcnt(10) lgkmcnt(2)
	v_fma_f64 v[128:129], -v[98:99], v[202:203], v[128:129]
	s_waitcnt vmcnt(9)
	v_fma_f64 v[90:91], -v[98:99], v[204:205], v[90:91]
	s_waitcnt vmcnt(8) lgkmcnt(1)
	v_fma_f64 v[126:127], -v[98:99], v[206:207], v[126:127]
	s_waitcnt vmcnt(7)
	v_fma_f64 v[88:89], -v[98:99], v[208:209], v[88:89]
	ds_read2_b64 v[202:205], v235 offset0:34 offset1:35
	ds_read2_b64 v[206:209], v235 offset0:36 offset1:37
	s_waitcnt vmcnt(6) lgkmcnt(2)
	v_fma_f64 v[124:125], -v[98:99], v[210:211], v[124:125]
	ds_read_b64 v[210:211], v235 offset:304
	s_waitcnt vmcnt(5)
	v_fma_f64 v[86:87], -v[98:99], v[212:213], v[86:87]
	s_waitcnt vmcnt(4) lgkmcnt(2)
	v_fma_f64 v[122:123], -v[98:99], v[202:203], v[122:123]
	s_waitcnt vmcnt(3)
	v_fma_f64 v[84:85], -v[98:99], v[204:205], v[84:85]
	s_waitcnt vmcnt(2) lgkmcnt(1)
	v_fma_f64 v[120:121], -v[98:99], v[206:207], v[120:121]
	s_waitcnt vmcnt(1)
	v_fma_f64 v[82:83], -v[98:99], v[208:209], v[82:83]
	s_waitcnt vmcnt(0) lgkmcnt(0)
	v_fma_f64 v[156:157], -v[98:99], v[210:211], v[156:157]
.LBB77_111:
	s_or_b64 exec, exec, s[2:3]
	v_cmp_eq_u32_e32 vcc, 22, v236
	s_waitcnt lgkmcnt(0)
	s_barrier
	s_and_saveexec_b64 s[2:3], vcc
	s_cbranch_execz .LBB77_114
; %bb.112:
	s_waitcnt vmcnt(16)
	ds_write_b64 v234, v[134:135]
	s_waitcnt vmcnt(14)
	ds_write2_b64 v235, v[96:97], v[132:133] offset0:23 offset1:24
	s_waitcnt vmcnt(12)
	ds_write2_b64 v235, v[94:95], v[130:131] offset0:25 offset1:26
	s_waitcnt vmcnt(10)
	ds_write2_b64 v235, v[92:93], v[128:129] offset0:27 offset1:28
	s_waitcnt vmcnt(8)
	ds_write2_b64 v235, v[90:91], v[126:127] offset0:29 offset1:30
	s_waitcnt vmcnt(6)
	ds_write2_b64 v235, v[88:89], v[124:125] offset0:31 offset1:32
	s_waitcnt vmcnt(4)
	ds_write2_b64 v235, v[86:87], v[122:123] offset0:33 offset1:34
	s_waitcnt vmcnt(2)
	ds_write2_b64 v235, v[84:85], v[120:121] offset0:35 offset1:36
	s_waitcnt vmcnt(0)
	ds_write2_b64 v235, v[82:83], v[156:157] offset0:37 offset1:38
	ds_read_b64 v[202:203], v234
	s_waitcnt lgkmcnt(0)
	v_cmp_neq_f64_e32 vcc, 0, v[202:203]
	s_and_b64 exec, exec, vcc
	s_cbranch_execz .LBB77_114
; %bb.113:
	v_div_scale_f64 v[204:205], s[6:7], v[202:203], v[202:203], 1.0
	v_rcp_f64_e32 v[206:207], v[204:205]
	v_div_scale_f64 v[208:209], vcc, 1.0, v[202:203], 1.0
	v_fma_f64 v[210:211], -v[204:205], v[206:207], 1.0
	v_fmac_f64_e32 v[206:207], v[206:207], v[210:211]
	v_fma_f64 v[210:211], -v[204:205], v[206:207], 1.0
	v_fmac_f64_e32 v[206:207], v[206:207], v[210:211]
	v_mul_f64 v[210:211], v[208:209], v[206:207]
	v_fma_f64 v[204:205], -v[204:205], v[210:211], v[208:209]
	v_div_fmas_f64 v[204:205], v[204:205], v[206:207], v[210:211]
	v_div_fixup_f64 v[202:203], v[204:205], v[202:203], 1.0
	ds_write_b64 v234, v[202:203]
.LBB77_114:
	s_or_b64 exec, exec, s[2:3]
	s_waitcnt lgkmcnt(0)
	s_barrier
	ds_read_b64 v[202:203], v234
	v_cmp_lt_u32_e32 vcc, 22, v236
	s_and_saveexec_b64 s[2:3], vcc
	s_cbranch_execz .LBB77_116
; %bb.115:
	ds_read2_b64 v[204:207], v235 offset0:23 offset1:24
	ds_read2_b64 v[208:211], v235 offset0:25 offset1:26
	s_waitcnt vmcnt(16) lgkmcnt(2)
	v_mul_f64 v[134:135], v[202:203], v[134:135]
	ds_read2_b64 v[212:215], v235 offset0:27 offset1:28
	s_waitcnt vmcnt(15) lgkmcnt(2)
	v_fma_f64 v[96:97], -v[134:135], v[204:205], v[96:97]
	s_waitcnt vmcnt(14)
	v_fma_f64 v[132:133], -v[134:135], v[206:207], v[132:133]
	ds_read2_b64 v[204:207], v235 offset0:29 offset1:30
	s_waitcnt vmcnt(13) lgkmcnt(2)
	v_fma_f64 v[94:95], -v[134:135], v[208:209], v[94:95]
	s_waitcnt vmcnt(12)
	v_fma_f64 v[130:131], -v[134:135], v[210:211], v[130:131]
	;; [unrolled: 5-line block ×3, first 2 shown]
	s_waitcnt vmcnt(9) lgkmcnt(1)
	v_fma_f64 v[90:91], -v[134:135], v[204:205], v[90:91]
	s_waitcnt vmcnt(8)
	v_fma_f64 v[126:127], -v[134:135], v[206:207], v[126:127]
	ds_read2_b64 v[204:207], v235 offset0:33 offset1:34
	s_waitcnt vmcnt(7) lgkmcnt(1)
	v_fma_f64 v[88:89], -v[134:135], v[208:209], v[88:89]
	ds_read2_b64 v[212:215], v235 offset0:35 offset1:36
	s_waitcnt vmcnt(6)
	v_fma_f64 v[124:125], -v[134:135], v[210:211], v[124:125]
	ds_read2_b64 v[208:211], v235 offset0:37 offset1:38
	s_waitcnt vmcnt(5) lgkmcnt(2)
	v_fma_f64 v[86:87], -v[134:135], v[204:205], v[86:87]
	s_waitcnt vmcnt(4)
	v_fma_f64 v[122:123], -v[134:135], v[206:207], v[122:123]
	s_waitcnt vmcnt(3) lgkmcnt(1)
	v_fma_f64 v[84:85], -v[134:135], v[212:213], v[84:85]
	s_waitcnt vmcnt(2)
	v_fma_f64 v[120:121], -v[134:135], v[214:215], v[120:121]
	;; [unrolled: 4-line block ×3, first 2 shown]
.LBB77_116:
	s_or_b64 exec, exec, s[2:3]
	v_cmp_eq_u32_e32 vcc, 23, v236
	s_waitcnt lgkmcnt(0)
	s_barrier
	s_and_saveexec_b64 s[2:3], vcc
	s_cbranch_execz .LBB77_119
; %bb.117:
	s_waitcnt vmcnt(14)
	v_mov_b32_e32 v204, v132
	v_mov_b32_e32 v205, v133
	s_waitcnt vmcnt(13)
	v_mov_b32_e32 v206, v94
	v_mov_b32_e32 v207, v95
	ds_write_b64 v234, v[96:97]
	ds_write2_b64 v235, v[204:205], v[206:207] offset0:24 offset1:25
	s_waitcnt vmcnt(12)
	v_mov_b32_e32 v204, v130
	v_mov_b32_e32 v205, v131
	s_waitcnt vmcnt(11)
	v_mov_b32_e32 v206, v92
	v_mov_b32_e32 v207, v93
	ds_write2_b64 v235, v[204:205], v[206:207] offset0:26 offset1:27
	s_waitcnt vmcnt(10)
	v_mov_b32_e32 v204, v128
	v_mov_b32_e32 v205, v129
	s_waitcnt vmcnt(9)
	v_mov_b32_e32 v206, v90
	v_mov_b32_e32 v207, v91
	;; [unrolled: 7-line block ×6, first 2 shown]
	ds_write2_b64 v235, v[204:205], v[206:207] offset0:36 offset1:37
	s_waitcnt vmcnt(0)
	ds_write_b64 v235, v[156:157] offset:304
	ds_read_b64 v[204:205], v234
	s_waitcnt lgkmcnt(0)
	v_cmp_neq_f64_e32 vcc, 0, v[204:205]
	s_and_b64 exec, exec, vcc
	s_cbranch_execz .LBB77_119
; %bb.118:
	v_div_scale_f64 v[206:207], s[6:7], v[204:205], v[204:205], 1.0
	v_rcp_f64_e32 v[208:209], v[206:207]
	v_div_scale_f64 v[210:211], vcc, 1.0, v[204:205], 1.0
	v_fma_f64 v[212:213], -v[206:207], v[208:209], 1.0
	v_fmac_f64_e32 v[208:209], v[208:209], v[212:213]
	v_fma_f64 v[212:213], -v[206:207], v[208:209], 1.0
	v_fmac_f64_e32 v[208:209], v[208:209], v[212:213]
	v_mul_f64 v[212:213], v[210:211], v[208:209]
	v_fma_f64 v[206:207], -v[206:207], v[212:213], v[210:211]
	v_div_fmas_f64 v[206:207], v[206:207], v[208:209], v[212:213]
	v_div_fixup_f64 v[204:205], v[206:207], v[204:205], 1.0
	ds_write_b64 v234, v[204:205]
.LBB77_119:
	s_or_b64 exec, exec, s[2:3]
	s_waitcnt lgkmcnt(0)
	s_barrier
	ds_read_b64 v[204:205], v234
	v_cmp_lt_u32_e32 vcc, 23, v236
	s_and_saveexec_b64 s[2:3], vcc
	s_cbranch_execz .LBB77_121
; %bb.120:
	ds_read2_b64 v[206:209], v235 offset0:24 offset1:25
	ds_read2_b64 v[210:213], v235 offset0:26 offset1:27
	s_waitcnt vmcnt(15) lgkmcnt(2)
	v_mul_f64 v[96:97], v[204:205], v[96:97]
	ds_read2_b64 v[214:217], v235 offset0:28 offset1:29
	s_waitcnt vmcnt(14) lgkmcnt(2)
	v_fma_f64 v[132:133], -v[96:97], v[206:207], v[132:133]
	s_waitcnt vmcnt(13)
	v_fma_f64 v[94:95], -v[96:97], v[208:209], v[94:95]
	ds_read2_b64 v[206:209], v235 offset0:30 offset1:31
	s_waitcnt vmcnt(12) lgkmcnt(2)
	v_fma_f64 v[130:131], -v[96:97], v[210:211], v[130:131]
	s_waitcnt vmcnt(11)
	v_fma_f64 v[92:93], -v[96:97], v[212:213], v[92:93]
	;; [unrolled: 5-line block ×3, first 2 shown]
	s_waitcnt vmcnt(8) lgkmcnt(1)
	v_fma_f64 v[126:127], -v[96:97], v[206:207], v[126:127]
	s_waitcnt vmcnt(7)
	v_fma_f64 v[88:89], -v[96:97], v[208:209], v[88:89]
	ds_read2_b64 v[206:209], v235 offset0:34 offset1:35
	s_waitcnt vmcnt(6) lgkmcnt(1)
	v_fma_f64 v[124:125], -v[96:97], v[210:211], v[124:125]
	ds_read2_b64 v[214:217], v235 offset0:36 offset1:37
	ds_read_b64 v[210:211], v235 offset:304
	s_waitcnt vmcnt(5)
	v_fma_f64 v[86:87], -v[96:97], v[212:213], v[86:87]
	s_waitcnt vmcnt(4) lgkmcnt(2)
	v_fma_f64 v[122:123], -v[96:97], v[206:207], v[122:123]
	s_waitcnt vmcnt(3)
	v_fma_f64 v[84:85], -v[96:97], v[208:209], v[84:85]
	s_waitcnt vmcnt(2) lgkmcnt(1)
	v_fma_f64 v[120:121], -v[96:97], v[214:215], v[120:121]
	;; [unrolled: 4-line block ×3, first 2 shown]
.LBB77_121:
	s_or_b64 exec, exec, s[2:3]
	v_cmp_eq_u32_e32 vcc, 24, v236
	s_waitcnt lgkmcnt(0)
	s_barrier
	s_and_saveexec_b64 s[2:3], vcc
	s_cbranch_execz .LBB77_124
; %bb.122:
	s_waitcnt vmcnt(14)
	ds_write_b64 v234, v[132:133]
	s_waitcnt vmcnt(12)
	ds_write2_b64 v235, v[94:95], v[130:131] offset0:25 offset1:26
	s_waitcnt vmcnt(10)
	ds_write2_b64 v235, v[92:93], v[128:129] offset0:27 offset1:28
	;; [unrolled: 2-line block ×7, first 2 shown]
	ds_read_b64 v[206:207], v234
	s_waitcnt lgkmcnt(0)
	v_cmp_neq_f64_e32 vcc, 0, v[206:207]
	s_and_b64 exec, exec, vcc
	s_cbranch_execz .LBB77_124
; %bb.123:
	v_div_scale_f64 v[208:209], s[6:7], v[206:207], v[206:207], 1.0
	v_rcp_f64_e32 v[210:211], v[208:209]
	v_div_scale_f64 v[212:213], vcc, 1.0, v[206:207], 1.0
	v_fma_f64 v[214:215], -v[208:209], v[210:211], 1.0
	v_fmac_f64_e32 v[210:211], v[210:211], v[214:215]
	v_fma_f64 v[214:215], -v[208:209], v[210:211], 1.0
	v_fmac_f64_e32 v[210:211], v[210:211], v[214:215]
	v_mul_f64 v[214:215], v[212:213], v[210:211]
	v_fma_f64 v[208:209], -v[208:209], v[214:215], v[212:213]
	v_div_fmas_f64 v[208:209], v[208:209], v[210:211], v[214:215]
	v_div_fixup_f64 v[206:207], v[208:209], v[206:207], 1.0
	ds_write_b64 v234, v[206:207]
.LBB77_124:
	s_or_b64 exec, exec, s[2:3]
	s_waitcnt lgkmcnt(0)
	s_barrier
	ds_read_b64 v[206:207], v234
	v_cmp_lt_u32_e32 vcc, 24, v236
	s_and_saveexec_b64 s[2:3], vcc
	s_cbranch_execz .LBB77_126
; %bb.125:
	ds_read2_b64 v[208:211], v235 offset0:25 offset1:26
	ds_read2_b64 v[212:215], v235 offset0:27 offset1:28
	s_waitcnt vmcnt(14) lgkmcnt(2)
	v_mul_f64 v[132:133], v[206:207], v[132:133]
	ds_read2_b64 v[216:219], v235 offset0:29 offset1:30
	s_waitcnt vmcnt(13) lgkmcnt(2)
	v_fma_f64 v[94:95], -v[132:133], v[208:209], v[94:95]
	s_waitcnt vmcnt(12)
	v_fma_f64 v[130:131], -v[132:133], v[210:211], v[130:131]
	ds_read2_b64 v[208:211], v235 offset0:31 offset1:32
	s_waitcnt vmcnt(11) lgkmcnt(2)
	v_fma_f64 v[92:93], -v[132:133], v[212:213], v[92:93]
	s_waitcnt vmcnt(10)
	v_fma_f64 v[128:129], -v[132:133], v[214:215], v[128:129]
	s_waitcnt vmcnt(9) lgkmcnt(1)
	v_fma_f64 v[90:91], -v[132:133], v[216:217], v[90:91]
	s_waitcnt vmcnt(8)
	v_fma_f64 v[126:127], -v[132:133], v[218:219], v[126:127]
	ds_read2_b64 v[212:215], v235 offset0:33 offset1:34
	ds_read2_b64 v[216:219], v235 offset0:35 offset1:36
	s_waitcnt vmcnt(7) lgkmcnt(2)
	v_fma_f64 v[88:89], -v[132:133], v[208:209], v[88:89]
	s_waitcnt vmcnt(6)
	v_fma_f64 v[124:125], -v[132:133], v[210:211], v[124:125]
	ds_read2_b64 v[208:211], v235 offset0:37 offset1:38
	s_waitcnt vmcnt(5) lgkmcnt(2)
	v_fma_f64 v[86:87], -v[132:133], v[212:213], v[86:87]
	s_waitcnt vmcnt(4)
	v_fma_f64 v[122:123], -v[132:133], v[214:215], v[122:123]
	s_waitcnt vmcnt(3) lgkmcnt(1)
	v_fma_f64 v[84:85], -v[132:133], v[216:217], v[84:85]
	s_waitcnt vmcnt(2)
	v_fma_f64 v[120:121], -v[132:133], v[218:219], v[120:121]
	;; [unrolled: 4-line block ×3, first 2 shown]
.LBB77_126:
	s_or_b64 exec, exec, s[2:3]
	v_cmp_eq_u32_e32 vcc, 25, v236
	s_waitcnt lgkmcnt(0)
	s_barrier
	s_and_saveexec_b64 s[2:3], vcc
	s_cbranch_execz .LBB77_129
; %bb.127:
	s_waitcnt vmcnt(12)
	v_mov_b32_e32 v208, v130
	v_mov_b32_e32 v209, v131
	s_waitcnt vmcnt(11)
	v_mov_b32_e32 v210, v92
	v_mov_b32_e32 v211, v93
	ds_write_b64 v234, v[94:95]
	ds_write2_b64 v235, v[208:209], v[210:211] offset0:26 offset1:27
	s_waitcnt vmcnt(10)
	v_mov_b32_e32 v208, v128
	v_mov_b32_e32 v209, v129
	s_waitcnt vmcnt(9)
	v_mov_b32_e32 v210, v90
	v_mov_b32_e32 v211, v91
	ds_write2_b64 v235, v[208:209], v[210:211] offset0:28 offset1:29
	s_waitcnt vmcnt(8)
	v_mov_b32_e32 v208, v126
	v_mov_b32_e32 v209, v127
	s_waitcnt vmcnt(7)
	v_mov_b32_e32 v210, v88
	v_mov_b32_e32 v211, v89
	;; [unrolled: 7-line block ×5, first 2 shown]
	ds_write2_b64 v235, v[208:209], v[210:211] offset0:36 offset1:37
	s_waitcnt vmcnt(0)
	ds_write_b64 v235, v[156:157] offset:304
	ds_read_b64 v[208:209], v234
	s_waitcnt lgkmcnt(0)
	v_cmp_neq_f64_e32 vcc, 0, v[208:209]
	s_and_b64 exec, exec, vcc
	s_cbranch_execz .LBB77_129
; %bb.128:
	v_div_scale_f64 v[210:211], s[6:7], v[208:209], v[208:209], 1.0
	v_rcp_f64_e32 v[212:213], v[210:211]
	v_div_scale_f64 v[214:215], vcc, 1.0, v[208:209], 1.0
	v_fma_f64 v[216:217], -v[210:211], v[212:213], 1.0
	v_fmac_f64_e32 v[212:213], v[212:213], v[216:217]
	v_fma_f64 v[216:217], -v[210:211], v[212:213], 1.0
	v_fmac_f64_e32 v[212:213], v[212:213], v[216:217]
	v_mul_f64 v[216:217], v[214:215], v[212:213]
	v_fma_f64 v[210:211], -v[210:211], v[216:217], v[214:215]
	v_div_fmas_f64 v[210:211], v[210:211], v[212:213], v[216:217]
	v_div_fixup_f64 v[208:209], v[210:211], v[208:209], 1.0
	ds_write_b64 v234, v[208:209]
.LBB77_129:
	s_or_b64 exec, exec, s[2:3]
	s_waitcnt lgkmcnt(0)
	s_barrier
	ds_read_b64 v[208:209], v234
	v_cmp_lt_u32_e32 vcc, 25, v236
	s_and_saveexec_b64 s[2:3], vcc
	s_cbranch_execz .LBB77_131
; %bb.130:
	ds_read2_b64 v[210:213], v235 offset0:26 offset1:27
	ds_read2_b64 v[214:217], v235 offset0:28 offset1:29
	s_waitcnt vmcnt(13) lgkmcnt(2)
	v_mul_f64 v[94:95], v[208:209], v[94:95]
	ds_read2_b64 v[218:221], v235 offset0:30 offset1:31
	s_waitcnt vmcnt(12) lgkmcnt(2)
	v_fma_f64 v[130:131], -v[94:95], v[210:211], v[130:131]
	s_waitcnt vmcnt(11)
	v_fma_f64 v[92:93], -v[94:95], v[212:213], v[92:93]
	ds_read2_b64 v[210:213], v235 offset0:32 offset1:33
	s_waitcnt vmcnt(10) lgkmcnt(2)
	v_fma_f64 v[128:129], -v[94:95], v[214:215], v[128:129]
	s_waitcnt vmcnt(9)
	v_fma_f64 v[90:91], -v[94:95], v[216:217], v[90:91]
	s_waitcnt vmcnt(8) lgkmcnt(1)
	v_fma_f64 v[126:127], -v[94:95], v[218:219], v[126:127]
	s_waitcnt vmcnt(7)
	v_fma_f64 v[88:89], -v[94:95], v[220:221], v[88:89]
	ds_read2_b64 v[214:217], v235 offset0:34 offset1:35
	ds_read2_b64 v[218:221], v235 offset0:36 offset1:37
	s_waitcnt vmcnt(6) lgkmcnt(2)
	v_fma_f64 v[124:125], -v[94:95], v[210:211], v[124:125]
	ds_read_b64 v[210:211], v235 offset:304
	s_waitcnt vmcnt(5)
	v_fma_f64 v[86:87], -v[94:95], v[212:213], v[86:87]
	s_waitcnt vmcnt(4) lgkmcnt(2)
	v_fma_f64 v[122:123], -v[94:95], v[214:215], v[122:123]
	s_waitcnt vmcnt(3)
	v_fma_f64 v[84:85], -v[94:95], v[216:217], v[84:85]
	s_waitcnt vmcnt(2) lgkmcnt(1)
	v_fma_f64 v[120:121], -v[94:95], v[218:219], v[120:121]
	;; [unrolled: 4-line block ×3, first 2 shown]
.LBB77_131:
	s_or_b64 exec, exec, s[2:3]
	v_cmp_eq_u32_e32 vcc, 26, v236
	s_waitcnt lgkmcnt(0)
	s_barrier
	s_and_saveexec_b64 s[2:3], vcc
	s_cbranch_execz .LBB77_134
; %bb.132:
	s_waitcnt vmcnt(12)
	ds_write_b64 v234, v[130:131]
	s_waitcnt vmcnt(10)
	ds_write2_b64 v235, v[92:93], v[128:129] offset0:27 offset1:28
	s_waitcnt vmcnt(8)
	ds_write2_b64 v235, v[90:91], v[126:127] offset0:29 offset1:30
	;; [unrolled: 2-line block ×6, first 2 shown]
	ds_read_b64 v[210:211], v234
	s_waitcnt lgkmcnt(0)
	v_cmp_neq_f64_e32 vcc, 0, v[210:211]
	s_and_b64 exec, exec, vcc
	s_cbranch_execz .LBB77_134
; %bb.133:
	v_div_scale_f64 v[212:213], s[6:7], v[210:211], v[210:211], 1.0
	v_rcp_f64_e32 v[214:215], v[212:213]
	v_div_scale_f64 v[216:217], vcc, 1.0, v[210:211], 1.0
	v_fma_f64 v[218:219], -v[212:213], v[214:215], 1.0
	v_fmac_f64_e32 v[214:215], v[214:215], v[218:219]
	v_fma_f64 v[218:219], -v[212:213], v[214:215], 1.0
	v_fmac_f64_e32 v[214:215], v[214:215], v[218:219]
	v_mul_f64 v[218:219], v[216:217], v[214:215]
	v_fma_f64 v[212:213], -v[212:213], v[218:219], v[216:217]
	v_div_fmas_f64 v[212:213], v[212:213], v[214:215], v[218:219]
	v_div_fixup_f64 v[210:211], v[212:213], v[210:211], 1.0
	ds_write_b64 v234, v[210:211]
.LBB77_134:
	s_or_b64 exec, exec, s[2:3]
	s_waitcnt lgkmcnt(0)
	s_barrier
	ds_read_b64 v[210:211], v234
	v_cmp_lt_u32_e32 vcc, 26, v236
	s_and_saveexec_b64 s[2:3], vcc
	s_cbranch_execz .LBB77_136
; %bb.135:
	ds_read2_b64 v[212:215], v235 offset0:27 offset1:28
	ds_read2_b64 v[216:219], v235 offset0:29 offset1:30
	;; [unrolled: 1-line block ×3, first 2 shown]
	s_waitcnt vmcnt(12) lgkmcnt(3)
	v_mul_f64 v[130:131], v[210:211], v[130:131]
	s_waitcnt vmcnt(11) lgkmcnt(2)
	v_fma_f64 v[92:93], -v[130:131], v[212:213], v[92:93]
	s_waitcnt vmcnt(10)
	v_fma_f64 v[128:129], -v[130:131], v[214:215], v[128:129]
	ds_read2_b64 v[212:215], v235 offset0:33 offset1:34
	s_waitcnt vmcnt(9) lgkmcnt(2)
	v_fma_f64 v[90:91], -v[130:131], v[216:217], v[90:91]
	s_waitcnt vmcnt(8)
	v_fma_f64 v[126:127], -v[130:131], v[218:219], v[126:127]
	s_waitcnt vmcnt(7) lgkmcnt(1)
	v_fma_f64 v[88:89], -v[130:131], v[220:221], v[88:89]
	ds_read2_b64 v[216:219], v235 offset0:35 offset1:36
	s_waitcnt vmcnt(6)
	v_fma_f64 v[124:125], -v[130:131], v[222:223], v[124:125]
	ds_read2_b64 v[220:223], v235 offset0:37 offset1:38
	s_waitcnt vmcnt(5) lgkmcnt(2)
	v_fma_f64 v[86:87], -v[130:131], v[212:213], v[86:87]
	s_waitcnt vmcnt(4)
	v_fma_f64 v[122:123], -v[130:131], v[214:215], v[122:123]
	s_waitcnt vmcnt(3) lgkmcnt(1)
	v_fma_f64 v[84:85], -v[130:131], v[216:217], v[84:85]
	s_waitcnt vmcnt(2)
	v_fma_f64 v[120:121], -v[130:131], v[218:219], v[120:121]
	;; [unrolled: 4-line block ×3, first 2 shown]
.LBB77_136:
	s_or_b64 exec, exec, s[2:3]
	v_cmp_eq_u32_e32 vcc, 27, v236
	s_waitcnt lgkmcnt(0)
	s_barrier
	s_and_saveexec_b64 s[2:3], vcc
	s_cbranch_execz .LBB77_139
; %bb.137:
	s_waitcnt vmcnt(10)
	v_mov_b32_e32 v212, v128
	v_mov_b32_e32 v213, v129
	s_waitcnt vmcnt(9)
	v_mov_b32_e32 v214, v90
	v_mov_b32_e32 v215, v91
	ds_write_b64 v234, v[92:93]
	ds_write2_b64 v235, v[212:213], v[214:215] offset0:28 offset1:29
	s_waitcnt vmcnt(8)
	v_mov_b32_e32 v212, v126
	v_mov_b32_e32 v213, v127
	s_waitcnt vmcnt(7)
	v_mov_b32_e32 v214, v88
	v_mov_b32_e32 v215, v89
	ds_write2_b64 v235, v[212:213], v[214:215] offset0:30 offset1:31
	s_waitcnt vmcnt(6)
	v_mov_b32_e32 v212, v124
	v_mov_b32_e32 v213, v125
	s_waitcnt vmcnt(5)
	v_mov_b32_e32 v214, v86
	v_mov_b32_e32 v215, v87
	;; [unrolled: 7-line block ×4, first 2 shown]
	ds_write2_b64 v235, v[212:213], v[214:215] offset0:36 offset1:37
	s_waitcnt vmcnt(0)
	ds_write_b64 v235, v[156:157] offset:304
	ds_read_b64 v[212:213], v234
	s_waitcnt lgkmcnt(0)
	v_cmp_neq_f64_e32 vcc, 0, v[212:213]
	s_and_b64 exec, exec, vcc
	s_cbranch_execz .LBB77_139
; %bb.138:
	v_div_scale_f64 v[214:215], s[6:7], v[212:213], v[212:213], 1.0
	v_rcp_f64_e32 v[216:217], v[214:215]
	v_div_scale_f64 v[218:219], vcc, 1.0, v[212:213], 1.0
	v_fma_f64 v[220:221], -v[214:215], v[216:217], 1.0
	v_fmac_f64_e32 v[216:217], v[216:217], v[220:221]
	v_fma_f64 v[220:221], -v[214:215], v[216:217], 1.0
	v_fmac_f64_e32 v[216:217], v[216:217], v[220:221]
	v_mul_f64 v[220:221], v[218:219], v[216:217]
	v_fma_f64 v[214:215], -v[214:215], v[220:221], v[218:219]
	v_div_fmas_f64 v[214:215], v[214:215], v[216:217], v[220:221]
	v_div_fixup_f64 v[212:213], v[214:215], v[212:213], 1.0
	ds_write_b64 v234, v[212:213]
.LBB77_139:
	s_or_b64 exec, exec, s[2:3]
	s_waitcnt lgkmcnt(0)
	s_barrier
	ds_read_b64 v[212:213], v234
	v_cmp_lt_u32_e32 vcc, 27, v236
	s_and_saveexec_b64 s[2:3], vcc
	s_cbranch_execz .LBB77_141
; %bb.140:
	ds_read2_b64 v[214:217], v235 offset0:28 offset1:29
	ds_read2_b64 v[218:221], v235 offset0:30 offset1:31
	;; [unrolled: 1-line block ×3, first 2 shown]
	s_waitcnt vmcnt(11) lgkmcnt(3)
	v_mul_f64 v[92:93], v[212:213], v[92:93]
	s_waitcnt vmcnt(10) lgkmcnt(2)
	v_fma_f64 v[128:129], -v[92:93], v[214:215], v[128:129]
	s_waitcnt vmcnt(9)
	v_fma_f64 v[90:91], -v[92:93], v[216:217], v[90:91]
	ds_read2_b64 v[214:217], v235 offset0:34 offset1:35
	s_waitcnt vmcnt(8) lgkmcnt(2)
	v_fma_f64 v[126:127], -v[92:93], v[218:219], v[126:127]
	s_waitcnt vmcnt(7)
	v_fma_f64 v[88:89], -v[92:93], v[220:221], v[88:89]
	s_waitcnt vmcnt(6) lgkmcnt(1)
	v_fma_f64 v[124:125], -v[92:93], v[222:223], v[124:125]
	ds_read2_b64 v[218:221], v235 offset0:36 offset1:37
	ds_read_b64 v[222:223], v235 offset:304
	s_waitcnt vmcnt(5)
	v_fma_f64 v[86:87], -v[92:93], v[224:225], v[86:87]
	s_waitcnt vmcnt(4) lgkmcnt(2)
	v_fma_f64 v[122:123], -v[92:93], v[214:215], v[122:123]
	s_waitcnt vmcnt(3)
	v_fma_f64 v[84:85], -v[92:93], v[216:217], v[84:85]
	s_waitcnt vmcnt(2) lgkmcnt(1)
	v_fma_f64 v[120:121], -v[92:93], v[218:219], v[120:121]
	;; [unrolled: 4-line block ×3, first 2 shown]
.LBB77_141:
	s_or_b64 exec, exec, s[2:3]
	v_cmp_eq_u32_e32 vcc, 28, v236
	s_waitcnt lgkmcnt(0)
	s_barrier
	s_and_saveexec_b64 s[2:3], vcc
	s_cbranch_execz .LBB77_144
; %bb.142:
	s_waitcnt vmcnt(10)
	ds_write_b64 v234, v[128:129]
	s_waitcnt vmcnt(8)
	ds_write2_b64 v235, v[90:91], v[126:127] offset0:29 offset1:30
	s_waitcnt vmcnt(6)
	ds_write2_b64 v235, v[88:89], v[124:125] offset0:31 offset1:32
	;; [unrolled: 2-line block ×5, first 2 shown]
	ds_read_b64 v[214:215], v234
	s_waitcnt lgkmcnt(0)
	v_cmp_neq_f64_e32 vcc, 0, v[214:215]
	s_and_b64 exec, exec, vcc
	s_cbranch_execz .LBB77_144
; %bb.143:
	v_div_scale_f64 v[216:217], s[6:7], v[214:215], v[214:215], 1.0
	v_rcp_f64_e32 v[218:219], v[216:217]
	v_div_scale_f64 v[220:221], vcc, 1.0, v[214:215], 1.0
	v_fma_f64 v[222:223], -v[216:217], v[218:219], 1.0
	v_fmac_f64_e32 v[218:219], v[218:219], v[222:223]
	v_fma_f64 v[222:223], -v[216:217], v[218:219], 1.0
	v_fmac_f64_e32 v[218:219], v[218:219], v[222:223]
	v_mul_f64 v[222:223], v[220:221], v[218:219]
	v_fma_f64 v[216:217], -v[216:217], v[222:223], v[220:221]
	v_div_fmas_f64 v[216:217], v[216:217], v[218:219], v[222:223]
	v_div_fixup_f64 v[214:215], v[216:217], v[214:215], 1.0
	ds_write_b64 v234, v[214:215]
.LBB77_144:
	s_or_b64 exec, exec, s[2:3]
	s_waitcnt lgkmcnt(0)
	s_barrier
	ds_read_b64 v[214:215], v234
	v_cmp_lt_u32_e32 vcc, 28, v236
	s_and_saveexec_b64 s[2:3], vcc
	s_cbranch_execz .LBB77_146
; %bb.145:
	ds_read2_b64 v[216:219], v235 offset0:29 offset1:30
	ds_read2_b64 v[220:223], v235 offset0:31 offset1:32
	s_waitcnt vmcnt(10) lgkmcnt(2)
	v_mul_f64 v[128:129], v[214:215], v[128:129]
	ds_read2_b64 v[224:227], v235 offset0:35 offset1:36
	s_waitcnt vmcnt(9) lgkmcnt(2)
	v_fma_f64 v[90:91], -v[128:129], v[216:217], v[90:91]
	s_waitcnt vmcnt(8)
	v_fma_f64 v[126:127], -v[128:129], v[218:219], v[126:127]
	ds_read2_b64 v[216:219], v235 offset0:33 offset1:34
	s_waitcnt vmcnt(7) lgkmcnt(2)
	v_fma_f64 v[88:89], -v[128:129], v[220:221], v[88:89]
	s_waitcnt vmcnt(6)
	v_fma_f64 v[124:125], -v[128:129], v[222:223], v[124:125]
	ds_read2_b64 v[220:223], v235 offset0:37 offset1:38
	s_waitcnt vmcnt(3) lgkmcnt(2)
	v_fma_f64 v[84:85], -v[128:129], v[224:225], v[84:85]
	s_waitcnt lgkmcnt(1)
	v_fma_f64 v[86:87], -v[128:129], v[216:217], v[86:87]
	v_fma_f64 v[122:123], -v[128:129], v[218:219], v[122:123]
	s_waitcnt vmcnt(2)
	v_fma_f64 v[120:121], -v[128:129], v[226:227], v[120:121]
	s_waitcnt vmcnt(1) lgkmcnt(0)
	v_fma_f64 v[82:83], -v[128:129], v[220:221], v[82:83]
	s_waitcnt vmcnt(0)
	v_fma_f64 v[156:157], -v[128:129], v[222:223], v[156:157]
.LBB77_146:
	s_or_b64 exec, exec, s[2:3]
	v_cmp_eq_u32_e32 vcc, 29, v236
	s_waitcnt lgkmcnt(0)
	s_barrier
	s_and_saveexec_b64 s[2:3], vcc
	s_cbranch_execz .LBB77_149
; %bb.147:
	s_waitcnt vmcnt(8)
	v_mov_b32_e32 v216, v126
	v_mov_b32_e32 v217, v127
	s_waitcnt vmcnt(7)
	v_mov_b32_e32 v218, v88
	v_mov_b32_e32 v219, v89
	ds_write_b64 v234, v[90:91]
	ds_write2_b64 v235, v[216:217], v[218:219] offset0:30 offset1:31
	s_waitcnt vmcnt(6)
	v_mov_b32_e32 v216, v124
	v_mov_b32_e32 v217, v125
	s_waitcnt vmcnt(5)
	v_mov_b32_e32 v218, v86
	v_mov_b32_e32 v219, v87
	ds_write2_b64 v235, v[216:217], v[218:219] offset0:32 offset1:33
	s_waitcnt vmcnt(4)
	v_mov_b32_e32 v216, v122
	v_mov_b32_e32 v217, v123
	s_waitcnt vmcnt(3)
	v_mov_b32_e32 v218, v84
	v_mov_b32_e32 v219, v85
	ds_write2_b64 v235, v[216:217], v[218:219] offset0:34 offset1:35
	s_waitcnt vmcnt(2)
	v_mov_b32_e32 v216, v120
	v_mov_b32_e32 v217, v121
	s_waitcnt vmcnt(1)
	v_mov_b32_e32 v218, v82
	v_mov_b32_e32 v219, v83
	ds_write2_b64 v235, v[216:217], v[218:219] offset0:36 offset1:37
	s_waitcnt vmcnt(0)
	ds_write_b64 v235, v[156:157] offset:304
	ds_read_b64 v[216:217], v234
	s_waitcnt lgkmcnt(0)
	v_cmp_neq_f64_e32 vcc, 0, v[216:217]
	s_and_b64 exec, exec, vcc
	s_cbranch_execz .LBB77_149
; %bb.148:
	v_div_scale_f64 v[218:219], s[6:7], v[216:217], v[216:217], 1.0
	v_rcp_f64_e32 v[220:221], v[218:219]
	v_div_scale_f64 v[222:223], vcc, 1.0, v[216:217], 1.0
	v_fma_f64 v[224:225], -v[218:219], v[220:221], 1.0
	v_fmac_f64_e32 v[220:221], v[220:221], v[224:225]
	v_fma_f64 v[224:225], -v[218:219], v[220:221], 1.0
	v_fmac_f64_e32 v[220:221], v[220:221], v[224:225]
	v_mul_f64 v[224:225], v[222:223], v[220:221]
	v_fma_f64 v[218:219], -v[218:219], v[224:225], v[222:223]
	v_div_fmas_f64 v[218:219], v[218:219], v[220:221], v[224:225]
	v_div_fixup_f64 v[216:217], v[218:219], v[216:217], 1.0
	ds_write_b64 v234, v[216:217]
.LBB77_149:
	s_or_b64 exec, exec, s[2:3]
	s_waitcnt lgkmcnt(0)
	s_barrier
	ds_read_b64 v[216:217], v234
	v_cmp_lt_u32_e32 vcc, 29, v236
	s_and_saveexec_b64 s[2:3], vcc
	s_cbranch_execz .LBB77_151
; %bb.150:
	ds_read2_b64 v[218:221], v235 offset0:30 offset1:31
	ds_read2_b64 v[222:225], v235 offset0:32 offset1:33
	s_waitcnt vmcnt(9) lgkmcnt(2)
	v_mul_f64 v[90:91], v[216:217], v[90:91]
	ds_read2_b64 v[226:229], v235 offset0:36 offset1:37
	s_waitcnt vmcnt(8) lgkmcnt(2)
	v_fma_f64 v[126:127], -v[90:91], v[218:219], v[126:127]
	s_waitcnt vmcnt(7)
	v_fma_f64 v[88:89], -v[90:91], v[220:221], v[88:89]
	ds_read2_b64 v[218:221], v235 offset0:34 offset1:35
	s_waitcnt vmcnt(6) lgkmcnt(2)
	v_fma_f64 v[124:125], -v[90:91], v[222:223], v[124:125]
	ds_read_b64 v[222:223], v235 offset:304
	s_waitcnt vmcnt(5)
	v_fma_f64 v[86:87], -v[90:91], v[224:225], v[86:87]
	s_waitcnt vmcnt(2) lgkmcnt(2)
	v_fma_f64 v[120:121], -v[90:91], v[226:227], v[120:121]
	s_waitcnt lgkmcnt(1)
	v_fma_f64 v[122:123], -v[90:91], v[218:219], v[122:123]
	v_fma_f64 v[84:85], -v[90:91], v[220:221], v[84:85]
	s_waitcnt vmcnt(1)
	v_fma_f64 v[82:83], -v[90:91], v[228:229], v[82:83]
	s_waitcnt vmcnt(0) lgkmcnt(0)
	v_fma_f64 v[156:157], -v[90:91], v[222:223], v[156:157]
.LBB77_151:
	s_or_b64 exec, exec, s[2:3]
	v_cmp_eq_u32_e32 vcc, 30, v236
	s_waitcnt lgkmcnt(0)
	s_barrier
	s_and_saveexec_b64 s[2:3], vcc
	s_cbranch_execz .LBB77_154
; %bb.152:
	s_waitcnt vmcnt(8)
	ds_write_b64 v234, v[126:127]
	s_waitcnt vmcnt(6)
	ds_write2_b64 v235, v[88:89], v[124:125] offset0:31 offset1:32
	s_waitcnt vmcnt(4)
	ds_write2_b64 v235, v[86:87], v[122:123] offset0:33 offset1:34
	;; [unrolled: 2-line block ×4, first 2 shown]
	ds_read_b64 v[218:219], v234
	s_waitcnt lgkmcnt(0)
	v_cmp_neq_f64_e32 vcc, 0, v[218:219]
	s_and_b64 exec, exec, vcc
	s_cbranch_execz .LBB77_154
; %bb.153:
	v_div_scale_f64 v[220:221], s[6:7], v[218:219], v[218:219], 1.0
	v_rcp_f64_e32 v[222:223], v[220:221]
	v_div_scale_f64 v[224:225], vcc, 1.0, v[218:219], 1.0
	v_fma_f64 v[226:227], -v[220:221], v[222:223], 1.0
	v_fmac_f64_e32 v[222:223], v[222:223], v[226:227]
	v_fma_f64 v[226:227], -v[220:221], v[222:223], 1.0
	v_fmac_f64_e32 v[222:223], v[222:223], v[226:227]
	v_mul_f64 v[226:227], v[224:225], v[222:223]
	v_fma_f64 v[220:221], -v[220:221], v[226:227], v[224:225]
	v_div_fmas_f64 v[220:221], v[220:221], v[222:223], v[226:227]
	v_div_fixup_f64 v[218:219], v[220:221], v[218:219], 1.0
	ds_write_b64 v234, v[218:219]
.LBB77_154:
	s_or_b64 exec, exec, s[2:3]
	s_waitcnt lgkmcnt(0)
	s_barrier
	ds_read_b64 v[218:219], v234
	v_cmp_lt_u32_e32 vcc, 30, v236
	s_and_saveexec_b64 s[2:3], vcc
	s_cbranch_execz .LBB77_156
; %bb.155:
	ds_read2_b64 v[220:223], v235 offset0:31 offset1:32
	ds_read2_b64 v[224:227], v235 offset0:33 offset1:34
	s_waitcnt vmcnt(8) lgkmcnt(2)
	v_mul_f64 v[126:127], v[218:219], v[126:127]
	ds_read2_b64 v[228:231], v235 offset0:35 offset1:36
	s_waitcnt vmcnt(7) lgkmcnt(2)
	v_fma_f64 v[88:89], -v[126:127], v[220:221], v[88:89]
	s_waitcnt vmcnt(6)
	v_fma_f64 v[124:125], -v[126:127], v[222:223], v[124:125]
	ds_read2_b64 v[220:223], v235 offset0:37 offset1:38
	s_waitcnt vmcnt(5) lgkmcnt(2)
	v_fma_f64 v[86:87], -v[126:127], v[224:225], v[86:87]
	s_waitcnt vmcnt(4)
	v_fma_f64 v[122:123], -v[126:127], v[226:227], v[122:123]
	s_waitcnt vmcnt(3) lgkmcnt(1)
	v_fma_f64 v[84:85], -v[126:127], v[228:229], v[84:85]
	s_waitcnt vmcnt(2)
	v_fma_f64 v[120:121], -v[126:127], v[230:231], v[120:121]
	;; [unrolled: 4-line block ×3, first 2 shown]
.LBB77_156:
	s_or_b64 exec, exec, s[2:3]
	v_cmp_eq_u32_e32 vcc, 31, v236
	s_waitcnt lgkmcnt(0)
	s_barrier
	s_and_saveexec_b64 s[2:3], vcc
	s_cbranch_execz .LBB77_159
; %bb.157:
	s_waitcnt vmcnt(6)
	v_mov_b32_e32 v220, v124
	v_mov_b32_e32 v221, v125
	s_waitcnt vmcnt(5)
	v_mov_b32_e32 v222, v86
	v_mov_b32_e32 v223, v87
	ds_write_b64 v234, v[88:89]
	ds_write2_b64 v235, v[220:221], v[222:223] offset0:32 offset1:33
	s_waitcnt vmcnt(4)
	v_mov_b32_e32 v220, v122
	v_mov_b32_e32 v221, v123
	s_waitcnt vmcnt(3)
	v_mov_b32_e32 v222, v84
	v_mov_b32_e32 v223, v85
	ds_write2_b64 v235, v[220:221], v[222:223] offset0:34 offset1:35
	s_waitcnt vmcnt(2)
	v_mov_b32_e32 v220, v120
	v_mov_b32_e32 v221, v121
	s_waitcnt vmcnt(1)
	v_mov_b32_e32 v222, v82
	v_mov_b32_e32 v223, v83
	ds_write2_b64 v235, v[220:221], v[222:223] offset0:36 offset1:37
	s_waitcnt vmcnt(0)
	ds_write_b64 v235, v[156:157] offset:304
	ds_read_b64 v[220:221], v234
	s_waitcnt lgkmcnt(0)
	v_cmp_neq_f64_e32 vcc, 0, v[220:221]
	s_and_b64 exec, exec, vcc
	s_cbranch_execz .LBB77_159
; %bb.158:
	v_div_scale_f64 v[222:223], s[6:7], v[220:221], v[220:221], 1.0
	v_rcp_f64_e32 v[224:225], v[222:223]
	v_div_scale_f64 v[226:227], vcc, 1.0, v[220:221], 1.0
	v_fma_f64 v[228:229], -v[222:223], v[224:225], 1.0
	v_fmac_f64_e32 v[224:225], v[224:225], v[228:229]
	v_fma_f64 v[228:229], -v[222:223], v[224:225], 1.0
	v_fmac_f64_e32 v[224:225], v[224:225], v[228:229]
	v_mul_f64 v[228:229], v[226:227], v[224:225]
	v_fma_f64 v[222:223], -v[222:223], v[228:229], v[226:227]
	v_div_fmas_f64 v[222:223], v[222:223], v[224:225], v[228:229]
	v_div_fixup_f64 v[220:221], v[222:223], v[220:221], 1.0
	ds_write_b64 v234, v[220:221]
.LBB77_159:
	s_or_b64 exec, exec, s[2:3]
	s_waitcnt lgkmcnt(0)
	s_barrier
	ds_read_b64 v[220:221], v234
	v_cmp_lt_u32_e32 vcc, 31, v236
	s_and_saveexec_b64 s[2:3], vcc
	s_cbranch_execz .LBB77_161
; %bb.160:
	ds_read2_b64 v[222:225], v235 offset0:32 offset1:33
	ds_read2_b64 v[226:229], v235 offset0:34 offset1:35
	s_waitcnt vmcnt(7) lgkmcnt(2)
	v_mul_f64 v[88:89], v[220:221], v[88:89]
	ds_read2_b64 v[230:233], v235 offset0:36 offset1:37
	s_waitcnt vmcnt(6) lgkmcnt(2)
	v_fma_f64 v[124:125], -v[88:89], v[222:223], v[124:125]
	ds_read_b64 v[222:223], v235 offset:304
	s_waitcnt vmcnt(5)
	v_fma_f64 v[86:87], -v[88:89], v[224:225], v[86:87]
	s_waitcnt vmcnt(4) lgkmcnt(2)
	v_fma_f64 v[122:123], -v[88:89], v[226:227], v[122:123]
	s_waitcnt vmcnt(3)
	v_fma_f64 v[84:85], -v[88:89], v[228:229], v[84:85]
	s_waitcnt vmcnt(2) lgkmcnt(1)
	v_fma_f64 v[120:121], -v[88:89], v[230:231], v[120:121]
	;; [unrolled: 4-line block ×3, first 2 shown]
.LBB77_161:
	s_or_b64 exec, exec, s[2:3]
	v_cmp_eq_u32_e32 vcc, 32, v236
	s_waitcnt lgkmcnt(0)
	s_barrier
	s_and_saveexec_b64 s[2:3], vcc
	s_cbranch_execz .LBB77_164
; %bb.162:
	s_waitcnt vmcnt(6)
	ds_write_b64 v234, v[124:125]
	s_waitcnt vmcnt(4)
	ds_write2_b64 v235, v[86:87], v[122:123] offset0:33 offset1:34
	s_waitcnt vmcnt(2)
	ds_write2_b64 v235, v[84:85], v[120:121] offset0:35 offset1:36
	;; [unrolled: 2-line block ×3, first 2 shown]
	ds_read_b64 v[222:223], v234
	s_waitcnt lgkmcnt(0)
	v_cmp_neq_f64_e32 vcc, 0, v[222:223]
	s_and_b64 exec, exec, vcc
	s_cbranch_execz .LBB77_164
; %bb.163:
	v_div_scale_f64 v[224:225], s[6:7], v[222:223], v[222:223], 1.0
	v_rcp_f64_e32 v[226:227], v[224:225]
	v_div_scale_f64 v[228:229], vcc, 1.0, v[222:223], 1.0
	v_fma_f64 v[230:231], -v[224:225], v[226:227], 1.0
	v_fmac_f64_e32 v[226:227], v[226:227], v[230:231]
	v_fma_f64 v[230:231], -v[224:225], v[226:227], 1.0
	v_fmac_f64_e32 v[226:227], v[226:227], v[230:231]
	v_mul_f64 v[230:231], v[228:229], v[226:227]
	v_fma_f64 v[224:225], -v[224:225], v[230:231], v[228:229]
	v_div_fmas_f64 v[224:225], v[224:225], v[226:227], v[230:231]
	v_div_fixup_f64 v[222:223], v[224:225], v[222:223], 1.0
	ds_write_b64 v234, v[222:223]
.LBB77_164:
	s_or_b64 exec, exec, s[2:3]
	s_waitcnt lgkmcnt(0)
	s_barrier
	ds_read_b64 v[222:223], v234
	v_cmp_lt_u32_e32 vcc, 32, v236
	s_and_saveexec_b64 s[2:3], vcc
	s_cbranch_execz .LBB77_166
; %bb.165:
	ds_read2_b64 v[224:227], v235 offset0:33 offset1:34
	ds_read2_b64 v[228:231], v235 offset0:35 offset1:36
	;; [unrolled: 1-line block ×3, first 2 shown]
	s_waitcnt vmcnt(6) lgkmcnt(3)
	v_mul_f64 v[124:125], v[222:223], v[124:125]
	s_waitcnt vmcnt(5) lgkmcnt(2)
	v_fma_f64 v[86:87], -v[124:125], v[224:225], v[86:87]
	s_waitcnt vmcnt(4)
	v_fma_f64 v[122:123], -v[124:125], v[226:227], v[122:123]
	s_waitcnt vmcnt(3) lgkmcnt(1)
	v_fma_f64 v[84:85], -v[124:125], v[228:229], v[84:85]
	s_waitcnt vmcnt(2)
	v_fma_f64 v[120:121], -v[124:125], v[230:231], v[120:121]
	;; [unrolled: 4-line block ×3, first 2 shown]
.LBB77_166:
	s_or_b64 exec, exec, s[2:3]
	v_cmp_eq_u32_e32 vcc, 33, v236
	s_waitcnt lgkmcnt(0)
	s_barrier
	s_and_saveexec_b64 s[2:3], vcc
	s_cbranch_execz .LBB77_169
; %bb.167:
	s_waitcnt vmcnt(4)
	v_mov_b32_e32 v224, v122
	v_mov_b32_e32 v225, v123
	s_waitcnt vmcnt(3)
	v_mov_b32_e32 v226, v84
	v_mov_b32_e32 v227, v85
	ds_write_b64 v234, v[86:87]
	ds_write2_b64 v235, v[224:225], v[226:227] offset0:34 offset1:35
	s_waitcnt vmcnt(2)
	v_mov_b32_e32 v224, v120
	v_mov_b32_e32 v225, v121
	s_waitcnt vmcnt(1)
	v_mov_b32_e32 v226, v82
	v_mov_b32_e32 v227, v83
	ds_write2_b64 v235, v[224:225], v[226:227] offset0:36 offset1:37
	s_waitcnt vmcnt(0)
	ds_write_b64 v235, v[156:157] offset:304
	ds_read_b64 v[224:225], v234
	s_waitcnt lgkmcnt(0)
	v_cmp_neq_f64_e32 vcc, 0, v[224:225]
	s_and_b64 exec, exec, vcc
	s_cbranch_execz .LBB77_169
; %bb.168:
	v_div_scale_f64 v[226:227], s[6:7], v[224:225], v[224:225], 1.0
	v_rcp_f64_e32 v[228:229], v[226:227]
	v_div_scale_f64 v[230:231], vcc, 1.0, v[224:225], 1.0
	v_fma_f64 v[232:233], -v[226:227], v[228:229], 1.0
	v_fmac_f64_e32 v[228:229], v[228:229], v[232:233]
	v_fma_f64 v[232:233], -v[226:227], v[228:229], 1.0
	v_fmac_f64_e32 v[228:229], v[228:229], v[232:233]
	v_mul_f64 v[232:233], v[230:231], v[228:229]
	v_fma_f64 v[226:227], -v[226:227], v[232:233], v[230:231]
	v_div_fmas_f64 v[226:227], v[226:227], v[228:229], v[232:233]
	v_div_fixup_f64 v[224:225], v[226:227], v[224:225], 1.0
	ds_write_b64 v234, v[224:225]
.LBB77_169:
	s_or_b64 exec, exec, s[2:3]
	s_waitcnt lgkmcnt(0)
	s_barrier
	ds_read_b64 v[224:225], v234
	v_cmp_lt_u32_e32 vcc, 33, v236
	s_and_saveexec_b64 s[2:3], vcc
	s_cbranch_execz .LBB77_171
; %bb.170:
	ds_read2_b64 v[226:229], v235 offset0:34 offset1:35
	ds_read2_b64 v[230:233], v235 offset0:36 offset1:37
	ds_read_b64 v[238:239], v235 offset:304
	s_waitcnt vmcnt(5) lgkmcnt(3)
	v_mul_f64 v[86:87], v[224:225], v[86:87]
	s_waitcnt vmcnt(4) lgkmcnt(2)
	v_fma_f64 v[122:123], -v[86:87], v[226:227], v[122:123]
	s_waitcnt vmcnt(3)
	v_fma_f64 v[84:85], -v[86:87], v[228:229], v[84:85]
	s_waitcnt vmcnt(2) lgkmcnt(1)
	v_fma_f64 v[120:121], -v[86:87], v[230:231], v[120:121]
	s_waitcnt vmcnt(1)
	v_fma_f64 v[82:83], -v[86:87], v[232:233], v[82:83]
	s_waitcnt vmcnt(0) lgkmcnt(0)
	v_fma_f64 v[156:157], -v[86:87], v[238:239], v[156:157]
.LBB77_171:
	s_or_b64 exec, exec, s[2:3]
	v_cmp_eq_u32_e32 vcc, 34, v236
	s_waitcnt lgkmcnt(0)
	s_barrier
	s_and_saveexec_b64 s[2:3], vcc
	s_cbranch_execz .LBB77_174
; %bb.172:
	s_waitcnt vmcnt(4)
	ds_write_b64 v234, v[122:123]
	s_waitcnt vmcnt(2)
	ds_write2_b64 v235, v[84:85], v[120:121] offset0:35 offset1:36
	s_waitcnt vmcnt(0)
	ds_write2_b64 v235, v[82:83], v[156:157] offset0:37 offset1:38
	ds_read_b64 v[226:227], v234
	s_waitcnt lgkmcnt(0)
	v_cmp_neq_f64_e32 vcc, 0, v[226:227]
	s_and_b64 exec, exec, vcc
	s_cbranch_execz .LBB77_174
; %bb.173:
	v_div_scale_f64 v[228:229], s[6:7], v[226:227], v[226:227], 1.0
	v_rcp_f64_e32 v[230:231], v[228:229]
	v_div_scale_f64 v[232:233], vcc, 1.0, v[226:227], 1.0
	v_fma_f64 v[238:239], -v[228:229], v[230:231], 1.0
	v_fmac_f64_e32 v[230:231], v[230:231], v[238:239]
	v_fma_f64 v[238:239], -v[228:229], v[230:231], 1.0
	v_fmac_f64_e32 v[230:231], v[230:231], v[238:239]
	v_mul_f64 v[238:239], v[232:233], v[230:231]
	v_fma_f64 v[228:229], -v[228:229], v[238:239], v[232:233]
	v_div_fmas_f64 v[228:229], v[228:229], v[230:231], v[238:239]
	v_div_fixup_f64 v[226:227], v[228:229], v[226:227], 1.0
	ds_write_b64 v234, v[226:227]
.LBB77_174:
	s_or_b64 exec, exec, s[2:3]
	s_waitcnt lgkmcnt(0)
	s_barrier
	ds_read_b64 v[226:227], v234
	v_cmp_lt_u32_e32 vcc, 34, v236
	s_and_saveexec_b64 s[2:3], vcc
	s_cbranch_execz .LBB77_176
; %bb.175:
	ds_read2_b64 v[228:231], v235 offset0:35 offset1:36
	ds_read2_b64 v[238:241], v235 offset0:37 offset1:38
	s_waitcnt vmcnt(4) lgkmcnt(2)
	v_mul_f64 v[122:123], v[226:227], v[122:123]
	s_waitcnt vmcnt(3) lgkmcnt(1)
	v_fma_f64 v[84:85], -v[122:123], v[228:229], v[84:85]
	s_waitcnt vmcnt(2)
	v_fma_f64 v[120:121], -v[122:123], v[230:231], v[120:121]
	s_waitcnt vmcnt(1) lgkmcnt(0)
	v_fma_f64 v[82:83], -v[122:123], v[238:239], v[82:83]
	s_waitcnt vmcnt(0)
	v_fma_f64 v[156:157], -v[122:123], v[240:241], v[156:157]
.LBB77_176:
	s_or_b64 exec, exec, s[2:3]
	v_cmp_eq_u32_e32 vcc, 35, v236
	s_waitcnt lgkmcnt(0)
	s_barrier
	s_and_saveexec_b64 s[2:3], vcc
	s_cbranch_execz .LBB77_179
; %bb.177:
	s_waitcnt vmcnt(2)
	v_mov_b32_e32 v228, v120
	v_mov_b32_e32 v229, v121
	s_waitcnt vmcnt(1)
	v_mov_b32_e32 v230, v82
	v_mov_b32_e32 v231, v83
	ds_write_b64 v234, v[84:85]
	ds_write2_b64 v235, v[228:229], v[230:231] offset0:36 offset1:37
	s_waitcnt vmcnt(0)
	ds_write_b64 v235, v[156:157] offset:304
	ds_read_b64 v[228:229], v234
	s_waitcnt lgkmcnt(0)
	v_cmp_neq_f64_e32 vcc, 0, v[228:229]
	s_and_b64 exec, exec, vcc
	s_cbranch_execz .LBB77_179
; %bb.178:
	v_div_scale_f64 v[230:231], s[6:7], v[228:229], v[228:229], 1.0
	v_rcp_f64_e32 v[232:233], v[230:231]
	v_div_scale_f64 v[238:239], vcc, 1.0, v[228:229], 1.0
	v_fma_f64 v[240:241], -v[230:231], v[232:233], 1.0
	v_fmac_f64_e32 v[232:233], v[232:233], v[240:241]
	v_fma_f64 v[240:241], -v[230:231], v[232:233], 1.0
	v_fmac_f64_e32 v[232:233], v[232:233], v[240:241]
	v_mul_f64 v[240:241], v[238:239], v[232:233]
	v_fma_f64 v[230:231], -v[230:231], v[240:241], v[238:239]
	v_div_fmas_f64 v[230:231], v[230:231], v[232:233], v[240:241]
	v_div_fixup_f64 v[228:229], v[230:231], v[228:229], 1.0
	ds_write_b64 v234, v[228:229]
.LBB77_179:
	s_or_b64 exec, exec, s[2:3]
	s_waitcnt lgkmcnt(0)
	s_barrier
	ds_read_b64 v[228:229], v234
	v_cmp_lt_u32_e32 vcc, 35, v236
	s_and_saveexec_b64 s[2:3], vcc
	s_cbranch_execz .LBB77_181
; %bb.180:
	ds_read2_b64 v[230:233], v235 offset0:36 offset1:37
	ds_read_b64 v[238:239], v235 offset:304
	s_waitcnt vmcnt(3) lgkmcnt(2)
	v_mul_f64 v[84:85], v[228:229], v[84:85]
	s_waitcnt vmcnt(2) lgkmcnt(1)
	v_fma_f64 v[120:121], -v[84:85], v[230:231], v[120:121]
	s_waitcnt vmcnt(1)
	v_fma_f64 v[82:83], -v[84:85], v[232:233], v[82:83]
	s_waitcnt vmcnt(0) lgkmcnt(0)
	v_fma_f64 v[156:157], -v[84:85], v[238:239], v[156:157]
.LBB77_181:
	s_or_b64 exec, exec, s[2:3]
	v_cmp_eq_u32_e32 vcc, 36, v236
	s_waitcnt lgkmcnt(0)
	s_barrier
	s_and_saveexec_b64 s[2:3], vcc
	s_cbranch_execz .LBB77_184
; %bb.182:
	s_waitcnt vmcnt(2)
	ds_write_b64 v234, v[120:121]
	s_waitcnt vmcnt(0)
	ds_write2_b64 v235, v[82:83], v[156:157] offset0:37 offset1:38
	ds_read_b64 v[230:231], v234
	s_waitcnt lgkmcnt(0)
	v_cmp_neq_f64_e32 vcc, 0, v[230:231]
	s_and_b64 exec, exec, vcc
	s_cbranch_execz .LBB77_184
; %bb.183:
	v_div_scale_f64 v[232:233], s[6:7], v[230:231], v[230:231], 1.0
	v_rcp_f64_e32 v[238:239], v[232:233]
	v_div_scale_f64 v[240:241], vcc, 1.0, v[230:231], 1.0
	v_fma_f64 v[242:243], -v[232:233], v[238:239], 1.0
	v_fmac_f64_e32 v[238:239], v[238:239], v[242:243]
	v_fma_f64 v[242:243], -v[232:233], v[238:239], 1.0
	v_fmac_f64_e32 v[238:239], v[238:239], v[242:243]
	v_mul_f64 v[242:243], v[240:241], v[238:239]
	v_fma_f64 v[232:233], -v[232:233], v[242:243], v[240:241]
	v_div_fmas_f64 v[232:233], v[232:233], v[238:239], v[242:243]
	v_div_fixup_f64 v[230:231], v[232:233], v[230:231], 1.0
	ds_write_b64 v234, v[230:231]
.LBB77_184:
	s_or_b64 exec, exec, s[2:3]
	s_waitcnt lgkmcnt(0)
	s_barrier
	ds_read_b64 v[230:231], v234
	v_cmp_lt_u32_e32 vcc, 36, v236
	s_and_saveexec_b64 s[2:3], vcc
	s_cbranch_execz .LBB77_186
; %bb.185:
	ds_read2_b64 v[238:241], v235 offset0:37 offset1:38
	s_waitcnt vmcnt(2) lgkmcnt(1)
	v_mul_f64 v[120:121], v[230:231], v[120:121]
	s_waitcnt vmcnt(1) lgkmcnt(0)
	v_fma_f64 v[82:83], -v[120:121], v[238:239], v[82:83]
	s_waitcnt vmcnt(0)
	v_fma_f64 v[156:157], -v[120:121], v[240:241], v[156:157]
.LBB77_186:
	s_or_b64 exec, exec, s[2:3]
	v_cmp_eq_u32_e32 vcc, 37, v236
	s_waitcnt lgkmcnt(0)
	s_barrier
	s_and_saveexec_b64 s[2:3], vcc
	s_cbranch_execz .LBB77_189
; %bb.187:
	s_waitcnt vmcnt(1)
	ds_write_b64 v234, v[82:83]
	s_waitcnt vmcnt(0)
	ds_write_b64 v235, v[156:157] offset:304
	ds_read_b64 v[232:233], v234
	s_waitcnt lgkmcnt(0)
	v_cmp_neq_f64_e32 vcc, 0, v[232:233]
	s_and_b64 exec, exec, vcc
	s_cbranch_execz .LBB77_189
; %bb.188:
	v_div_scale_f64 v[238:239], s[6:7], v[232:233], v[232:233], 1.0
	v_rcp_f64_e32 v[240:241], v[238:239]
	v_div_scale_f64 v[242:243], vcc, 1.0, v[232:233], 1.0
	v_fma_f64 v[244:245], -v[238:239], v[240:241], 1.0
	v_fmac_f64_e32 v[240:241], v[240:241], v[244:245]
	v_fma_f64 v[244:245], -v[238:239], v[240:241], 1.0
	v_fmac_f64_e32 v[240:241], v[240:241], v[244:245]
	v_mul_f64 v[244:245], v[242:243], v[240:241]
	v_fma_f64 v[238:239], -v[238:239], v[244:245], v[242:243]
	v_div_fmas_f64 v[238:239], v[238:239], v[240:241], v[244:245]
	v_div_fixup_f64 v[232:233], v[238:239], v[232:233], 1.0
	ds_write_b64 v234, v[232:233]
.LBB77_189:
	s_or_b64 exec, exec, s[2:3]
	s_waitcnt lgkmcnt(0)
	s_barrier
	ds_read_b64 v[232:233], v234
	v_cmp_lt_u32_e32 vcc, 37, v236
	s_and_saveexec_b64 s[2:3], vcc
	s_cbranch_execz .LBB77_191
; %bb.190:
	ds_read_b64 v[238:239], v235 offset:304
	s_waitcnt vmcnt(1) lgkmcnt(1)
	v_mul_f64 v[82:83], v[232:233], v[82:83]
	s_waitcnt vmcnt(0) lgkmcnt(0)
	v_fma_f64 v[156:157], -v[82:83], v[238:239], v[156:157]
.LBB77_191:
	s_or_b64 exec, exec, s[2:3]
	v_cmp_eq_u32_e32 vcc, 38, v236
	s_waitcnt lgkmcnt(0)
	s_barrier
	s_and_saveexec_b64 s[2:3], vcc
	s_cbranch_execz .LBB77_194
; %bb.192:
	s_waitcnt vmcnt(0)
	v_cmp_neq_f64_e32 vcc, 0, v[156:157]
	ds_write_b64 v234, v[156:157]
	s_and_b64 exec, exec, vcc
	s_cbranch_execz .LBB77_194
; %bb.193:
	v_div_scale_f64 v[238:239], s[6:7], v[156:157], v[156:157], 1.0
	v_rcp_f64_e32 v[240:241], v[238:239]
	v_div_scale_f64 v[242:243], vcc, 1.0, v[156:157], 1.0
	v_fma_f64 v[244:245], -v[238:239], v[240:241], 1.0
	v_fmac_f64_e32 v[240:241], v[240:241], v[244:245]
	v_fma_f64 v[244:245], -v[238:239], v[240:241], 1.0
	v_fmac_f64_e32 v[240:241], v[240:241], v[244:245]
	v_mul_f64 v[244:245], v[242:243], v[240:241]
	v_fma_f64 v[238:239], -v[238:239], v[244:245], v[242:243]
	v_div_fmas_f64 v[238:239], v[238:239], v[240:241], v[244:245]
	v_div_fixup_f64 v[238:239], v[238:239], v[156:157], 1.0
	ds_write_b64 v234, v[238:239]
.LBB77_194:
	s_or_b64 exec, exec, s[2:3]
	s_waitcnt lgkmcnt(0)
	s_barrier
	ds_read_b64 v[234:235], v234
	s_waitcnt lgkmcnt(0)
	s_barrier
	s_and_saveexec_b64 s[2:3], s[0:1]
	s_cbranch_execz .LBB77_197
; %bb.195:
	v_cmp_eq_f64_e32 vcc, 0, v[158:159]
	v_cmp_neq_f64_e64 s[0:1], 0, v[160:161]
	v_cndmask_b32_e64 v158, 0, 1, vcc
	s_or_b64 vcc, s[0:1], vcc
	v_cndmask_b32_e32 v158, 2, v158, vcc
	v_cmp_eq_f64_e32 vcc, 0, v[162:163]
	v_cmp_eq_u32_e64 s[0:1], 0, v158
	s_and_b64 s[0:1], vcc, s[0:1]
	v_cndmask_b32_e64 v158, v158, 3, s[0:1]
	v_cmp_eq_f64_e32 vcc, 0, v[164:165]
	v_cmp_eq_u32_e64 s[0:1], 0, v158
	s_and_b64 s[0:1], vcc, s[0:1]
	v_cndmask_b32_e64 v158, v158, 4, s[0:1]
	;; [unrolled: 4-line block ×15, first 2 shown]
	v_cmp_eq_f64_e32 vcc, 0, v[192:193]
	v_cmp_eq_u32_e64 s[0:1], 0, v158
	s_load_dwordx2 s[4:5], s[4:5], 0x28
	s_and_b64 s[0:1], vcc, s[0:1]
	v_cndmask_b32_e64 v158, v158, 18, s[0:1]
	v_cmp_eq_f64_e32 vcc, 0, v[194:195]
	v_cmp_eq_u32_e64 s[0:1], 0, v158
	s_and_b64 s[0:1], vcc, s[0:1]
	v_lshlrev_b64 v[2:3], 2, v[2:3]
	v_cndmask_b32_e64 v158, v158, 19, s[0:1]
	s_waitcnt lgkmcnt(0)
	v_mov_b32_e32 v159, s5
	v_add_co_u32_e64 v2, s[0:1], s4, v2
	v_addc_co_u32_e64 v3, s[0:1], v159, v3, s[0:1]
	global_load_dword v159, v[2:3], off
	v_cmp_eq_f64_e32 vcc, 0, v[196:197]
	v_cmp_eq_u32_e64 s[0:1], 0, v158
	s_and_b64 s[0:1], vcc, s[0:1]
	v_cndmask_b32_e64 v158, v158, 20, s[0:1]
	v_cmp_eq_f64_e32 vcc, 0, v[198:199]
	v_cmp_eq_u32_e64 s[0:1], 0, v158
	s_and_b64 s[0:1], vcc, s[0:1]
	v_cndmask_b32_e64 v158, v158, 21, s[0:1]
	;; [unrolled: 4-line block ×20, first 2 shown]
	s_waitcnt vmcnt(0)
	v_cmp_eq_u32_e32 vcc, 0, v159
	v_cmp_ne_u32_e64 s[0:1], 0, v158
	s_and_b64 s[0:1], vcc, s[0:1]
	s_and_b64 exec, exec, s[0:1]
	s_cbranch_execz .LBB77_197
; %bb.196:
	v_add_u32_e32 v158, s9, v158
	global_store_dword v[2:3], v158, off
.LBB77_197:
	s_or_b64 exec, exec, s[2:3]
	s_waitcnt vmcnt(0)
	v_mul_f64 v[2:3], v[234:235], v[156:157]
	v_cmp_lt_u32_e32 vcc, 38, v236
	v_cndmask_b32_e32 v3, v157, v3, vcc
	v_cndmask_b32_e32 v2, v156, v2, vcc
	global_store_dwordx2 v[76:77], v[80:81], off
	global_store_dwordx2 v[78:79], v[118:119], off
	;; [unrolled: 1-line block ×39, first 2 shown]
.LBB77_198:
	s_endpgm
	.section	.rodata,"a",@progbits
	.p2align	6, 0x0
	.amdhsa_kernel _ZN9rocsolver6v33100L23getf2_npvt_small_kernelILi39EdiiPKPdEEvT1_T3_lS5_lPT2_S5_S5_
		.amdhsa_group_segment_fixed_size 0
		.amdhsa_private_segment_fixed_size 0
		.amdhsa_kernarg_size 312
		.amdhsa_user_sgpr_count 6
		.amdhsa_user_sgpr_private_segment_buffer 1
		.amdhsa_user_sgpr_dispatch_ptr 0
		.amdhsa_user_sgpr_queue_ptr 0
		.amdhsa_user_sgpr_kernarg_segment_ptr 1
		.amdhsa_user_sgpr_dispatch_id 0
		.amdhsa_user_sgpr_flat_scratch_init 0
		.amdhsa_user_sgpr_kernarg_preload_length 0
		.amdhsa_user_sgpr_kernarg_preload_offset 0
		.amdhsa_user_sgpr_private_segment_size 0
		.amdhsa_uses_dynamic_stack 0
		.amdhsa_system_sgpr_private_segment_wavefront_offset 0
		.amdhsa_system_sgpr_workgroup_id_x 1
		.amdhsa_system_sgpr_workgroup_id_y 1
		.amdhsa_system_sgpr_workgroup_id_z 0
		.amdhsa_system_sgpr_workgroup_info 0
		.amdhsa_system_vgpr_workitem_id 1
		.amdhsa_next_free_vgpr 246
		.amdhsa_next_free_sgpr 16
		.amdhsa_accum_offset 248
		.amdhsa_reserve_vcc 1
		.amdhsa_reserve_flat_scratch 0
		.amdhsa_float_round_mode_32 0
		.amdhsa_float_round_mode_16_64 0
		.amdhsa_float_denorm_mode_32 3
		.amdhsa_float_denorm_mode_16_64 3
		.amdhsa_dx10_clamp 1
		.amdhsa_ieee_mode 1
		.amdhsa_fp16_overflow 0
		.amdhsa_tg_split 0
		.amdhsa_exception_fp_ieee_invalid_op 0
		.amdhsa_exception_fp_denorm_src 0
		.amdhsa_exception_fp_ieee_div_zero 0
		.amdhsa_exception_fp_ieee_overflow 0
		.amdhsa_exception_fp_ieee_underflow 0
		.amdhsa_exception_fp_ieee_inexact 0
		.amdhsa_exception_int_div_zero 0
	.end_amdhsa_kernel
	.section	.text._ZN9rocsolver6v33100L23getf2_npvt_small_kernelILi39EdiiPKPdEEvT1_T3_lS5_lPT2_S5_S5_,"axG",@progbits,_ZN9rocsolver6v33100L23getf2_npvt_small_kernelILi39EdiiPKPdEEvT1_T3_lS5_lPT2_S5_S5_,comdat
.Lfunc_end77:
	.size	_ZN9rocsolver6v33100L23getf2_npvt_small_kernelILi39EdiiPKPdEEvT1_T3_lS5_lPT2_S5_S5_, .Lfunc_end77-_ZN9rocsolver6v33100L23getf2_npvt_small_kernelILi39EdiiPKPdEEvT1_T3_lS5_lPT2_S5_S5_
                                        ; -- End function
	.section	.AMDGPU.csdata,"",@progbits
; Kernel info:
; codeLenInByte = 29884
; NumSgprs: 20
; NumVgprs: 246
; NumAgprs: 0
; TotalNumVgprs: 246
; ScratchSize: 0
; MemoryBound: 0
; FloatMode: 240
; IeeeMode: 1
; LDSByteSize: 0 bytes/workgroup (compile time only)
; SGPRBlocks: 2
; VGPRBlocks: 30
; NumSGPRsForWavesPerEU: 20
; NumVGPRsForWavesPerEU: 246
; AccumOffset: 248
; Occupancy: 2
; WaveLimiterHint : 1
; COMPUTE_PGM_RSRC2:SCRATCH_EN: 0
; COMPUTE_PGM_RSRC2:USER_SGPR: 6
; COMPUTE_PGM_RSRC2:TRAP_HANDLER: 0
; COMPUTE_PGM_RSRC2:TGID_X_EN: 1
; COMPUTE_PGM_RSRC2:TGID_Y_EN: 1
; COMPUTE_PGM_RSRC2:TGID_Z_EN: 0
; COMPUTE_PGM_RSRC2:TIDIG_COMP_CNT: 1
; COMPUTE_PGM_RSRC3_GFX90A:ACCUM_OFFSET: 61
; COMPUTE_PGM_RSRC3_GFX90A:TG_SPLIT: 0
	.section	.text._ZN9rocsolver6v33100L18getf2_small_kernelILi40EdiiPKPdEEvT1_T3_lS5_lPS5_llPT2_S5_S5_S7_l,"axG",@progbits,_ZN9rocsolver6v33100L18getf2_small_kernelILi40EdiiPKPdEEvT1_T3_lS5_lPS5_llPT2_S5_S5_S7_l,comdat
	.globl	_ZN9rocsolver6v33100L18getf2_small_kernelILi40EdiiPKPdEEvT1_T3_lS5_lPS5_llPT2_S5_S5_S7_l ; -- Begin function _ZN9rocsolver6v33100L18getf2_small_kernelILi40EdiiPKPdEEvT1_T3_lS5_lPS5_llPT2_S5_S5_S7_l
	.p2align	8
	.type	_ZN9rocsolver6v33100L18getf2_small_kernelILi40EdiiPKPdEEvT1_T3_lS5_lPS5_llPT2_S5_S5_S7_l,@function
_ZN9rocsolver6v33100L18getf2_small_kernelILi40EdiiPKPdEEvT1_T3_lS5_lPS5_llPT2_S5_S5_S7_l: ; @_ZN9rocsolver6v33100L18getf2_small_kernelILi40EdiiPKPdEEvT1_T3_lS5_lPS5_llPT2_S5_S5_S7_l
; %bb.0:
	s_load_dword s0, s[4:5], 0x6c
	s_load_dwordx2 s[12:13], s[4:5], 0x48
	v_bfe_u32 v84, v0, 10, 10
	s_waitcnt lgkmcnt(0)
	s_lshr_b32 s0, s0, 16
	s_mul_i32 s7, s7, s0
	v_add_u32_e32 v2, s7, v84
	v_cmp_gt_i32_e32 vcc, s12, v2
	s_and_saveexec_b64 s[0:1], vcc
	s_cbranch_execz .LBB78_677
; %bb.1:
	s_load_dwordx4 s[0:3], s[4:5], 0x8
	s_load_dwordx4 s[8:11], s[4:5], 0x50
	v_ashrrev_i32_e32 v3, 31, v2
	v_lshlrev_b64 v[4:5], 3, v[2:3]
	s_waitcnt lgkmcnt(0)
	v_mov_b32_e32 v1, s1
	v_add_co_u32_e32 v4, vcc, s0, v4
	v_addc_co_u32_e32 v5, vcc, v1, v5, vcc
	global_load_dwordx2 v[6:7], v[4:5], off
	s_cmp_eq_u64 s[8:9], 0
	s_cselect_b64 s[6:7], -1, 0
	s_and_b64 vcc, exec, s[6:7]
	v_pk_mov_b32 v[4:5], 0, 0
	s_cbranch_vccnz .LBB78_3
; %bb.2:
	v_mul_lo_u32 v1, v3, s10
	v_mul_lo_u32 v8, v2, s11
	v_mad_u64_u32 v[4:5], s[0:1], v2, s10, 0
	v_add3_u32 v5, v5, v8, v1
	v_lshlrev_b64 v[4:5], 2, v[4:5]
	v_mov_b32_e32 v1, s9
	v_add_co_u32_e32 v4, vcc, s8, v4
	v_addc_co_u32_e32 v5, vcc, v1, v5, vcc
.LBB78_3:
	s_load_dword s8, s[4:5], 0x18
	s_load_dword s18, s[4:5], 0x0
	s_lshl_b64 s[0:1], s[2:3], 3
	v_and_b32_e32 v92, 0x3ff, v0
	v_mov_b32_e32 v1, s1
	s_waitcnt lgkmcnt(0)
	s_add_i32 s12, s8, s8
	s_waitcnt vmcnt(0)
	v_add_co_u32_e32 v90, vcc, s0, v6
	v_add_u32_e32 v0, s12, v92
	v_addc_co_u32_e32 v91, vcc, v7, v1, vcc
	v_ashrrev_i32_e32 v1, 31, v0
	v_lshlrev_b64 v[6:7], 3, v[0:1]
	v_add_u32_e32 v0, s8, v0
	v_add_co_u32_e32 v6, vcc, v90, v6
	v_ashrrev_i32_e32 v1, 31, v0
	v_addc_co_u32_e32 v7, vcc, v91, v7, vcc
	v_lshlrev_b64 v[8:9], 3, v[0:1]
	v_add_u32_e32 v0, s8, v0
	v_add_co_u32_e32 v8, vcc, v90, v8
	v_ashrrev_i32_e32 v1, 31, v0
	v_addc_co_u32_e32 v9, vcc, v91, v9, vcc
	v_lshlrev_b64 v[10:11], 3, v[0:1]
	v_add_u32_e32 v0, s8, v0
	v_add_co_u32_e32 v10, vcc, v90, v10
	v_ashrrev_i32_e32 v1, 31, v0
	v_addc_co_u32_e32 v11, vcc, v91, v11, vcc
	v_lshlrev_b64 v[12:13], 3, v[0:1]
	v_add_u32_e32 v0, s8, v0
	v_add_co_u32_e32 v12, vcc, v90, v12
	v_ashrrev_i32_e32 v1, 31, v0
	v_addc_co_u32_e32 v13, vcc, v91, v13, vcc
	v_lshlrev_b64 v[14:15], 3, v[0:1]
	v_add_u32_e32 v0, s8, v0
	v_add_co_u32_e32 v14, vcc, v90, v14
	v_ashrrev_i32_e32 v1, 31, v0
	v_addc_co_u32_e32 v15, vcc, v91, v15, vcc
	v_lshlrev_b64 v[16:17], 3, v[0:1]
	v_add_u32_e32 v0, s8, v0
	v_add_co_u32_e32 v16, vcc, v90, v16
	v_ashrrev_i32_e32 v1, 31, v0
	v_addc_co_u32_e32 v17, vcc, v91, v17, vcc
	v_lshlrev_b64 v[18:19], 3, v[0:1]
	v_add_u32_e32 v0, s8, v0
	v_add_co_u32_e32 v18, vcc, v90, v18
	v_ashrrev_i32_e32 v1, 31, v0
	v_addc_co_u32_e32 v19, vcc, v91, v19, vcc
	v_lshlrev_b64 v[20:21], 3, v[0:1]
	v_add_u32_e32 v0, s8, v0
	v_add_co_u32_e32 v20, vcc, v90, v20
	v_ashrrev_i32_e32 v1, 31, v0
	v_addc_co_u32_e32 v21, vcc, v91, v21, vcc
	v_lshlrev_b64 v[22:23], 3, v[0:1]
	v_add_u32_e32 v0, s8, v0
	v_add_co_u32_e32 v22, vcc, v90, v22
	v_ashrrev_i32_e32 v1, 31, v0
	v_addc_co_u32_e32 v23, vcc, v91, v23, vcc
	v_lshlrev_b64 v[24:25], 3, v[0:1]
	v_add_u32_e32 v0, s8, v0
	v_add_co_u32_e32 v24, vcc, v90, v24
	v_ashrrev_i32_e32 v1, 31, v0
	v_addc_co_u32_e32 v25, vcc, v91, v25, vcc
	v_lshlrev_b64 v[26:27], 3, v[0:1]
	v_add_u32_e32 v0, s8, v0
	v_add_co_u32_e32 v26, vcc, v90, v26
	v_ashrrev_i32_e32 v1, 31, v0
	v_addc_co_u32_e32 v27, vcc, v91, v27, vcc
	v_lshlrev_b64 v[28:29], 3, v[0:1]
	v_add_u32_e32 v0, s8, v0
	v_add_co_u32_e32 v28, vcc, v90, v28
	v_ashrrev_i32_e32 v1, 31, v0
	v_addc_co_u32_e32 v29, vcc, v91, v29, vcc
	v_lshlrev_b64 v[30:31], 3, v[0:1]
	v_add_u32_e32 v0, s8, v0
	v_add_co_u32_e32 v30, vcc, v90, v30
	v_ashrrev_i32_e32 v1, 31, v0
	v_addc_co_u32_e32 v31, vcc, v91, v31, vcc
	v_lshlrev_b64 v[32:33], 3, v[0:1]
	v_add_u32_e32 v0, s8, v0
	v_add_co_u32_e32 v82, vcc, v90, v32
	v_ashrrev_i32_e32 v1, 31, v0
	v_addc_co_u32_e32 v83, vcc, v91, v33, vcc
	v_lshlrev_b64 v[32:33], 3, v[0:1]
	v_add_u32_e32 v0, s8, v0
	v_add_co_u32_e32 v86, vcc, v90, v32
	v_ashrrev_i32_e32 v1, 31, v0
	v_addc_co_u32_e32 v87, vcc, v91, v33, vcc
	v_lshlrev_b64 v[32:33], 3, v[0:1]
	v_add_u32_e32 v0, s8, v0
	v_add_co_u32_e32 v88, vcc, v90, v32
	v_ashrrev_i32_e32 v1, 31, v0
	v_addc_co_u32_e32 v89, vcc, v91, v33, vcc
	v_lshlrev_b64 v[32:33], 3, v[0:1]
	v_add_u32_e32 v0, s8, v0
	v_add_co_u32_e32 v94, vcc, v90, v32
	v_ashrrev_i32_e32 v1, 31, v0
	v_addc_co_u32_e32 v95, vcc, v91, v33, vcc
	v_lshlrev_b64 v[32:33], 3, v[0:1]
	v_add_u32_e32 v0, s8, v0
	v_add_co_u32_e32 v96, vcc, v90, v32
	v_ashrrev_i32_e32 v1, 31, v0
	v_addc_co_u32_e32 v97, vcc, v91, v33, vcc
	v_lshlrev_b64 v[32:33], 3, v[0:1]
	v_add_u32_e32 v0, s8, v0
	v_add_co_u32_e32 v98, vcc, v90, v32
	v_ashrrev_i32_e32 v1, 31, v0
	v_addc_co_u32_e32 v99, vcc, v91, v33, vcc
	v_lshlrev_b64 v[32:33], 3, v[0:1]
	v_add_u32_e32 v0, s8, v0
	v_add_co_u32_e32 v100, vcc, v90, v32
	v_ashrrev_i32_e32 v1, 31, v0
	v_addc_co_u32_e32 v101, vcc, v91, v33, vcc
	v_lshlrev_b64 v[32:33], 3, v[0:1]
	v_add_u32_e32 v0, s8, v0
	v_add_co_u32_e32 v102, vcc, v90, v32
	v_ashrrev_i32_e32 v1, 31, v0
	v_addc_co_u32_e32 v103, vcc, v91, v33, vcc
	v_lshlrev_b64 v[32:33], 3, v[0:1]
	v_add_u32_e32 v0, s8, v0
	v_add_co_u32_e32 v104, vcc, v90, v32
	v_ashrrev_i32_e32 v1, 31, v0
	v_addc_co_u32_e32 v105, vcc, v91, v33, vcc
	v_lshlrev_b64 v[32:33], 3, v[0:1]
	v_add_u32_e32 v0, s8, v0
	v_add_co_u32_e32 v106, vcc, v90, v32
	v_ashrrev_i32_e32 v1, 31, v0
	v_addc_co_u32_e32 v107, vcc, v91, v33, vcc
	v_lshlrev_b64 v[32:33], 3, v[0:1]
	v_add_u32_e32 v0, s8, v0
	v_add_co_u32_e32 v108, vcc, v90, v32
	v_ashrrev_i32_e32 v1, 31, v0
	v_addc_co_u32_e32 v109, vcc, v91, v33, vcc
	v_lshlrev_b64 v[32:33], 3, v[0:1]
	v_add_u32_e32 v0, s8, v0
	v_add_co_u32_e32 v110, vcc, v90, v32
	v_ashrrev_i32_e32 v1, 31, v0
	v_addc_co_u32_e32 v111, vcc, v91, v33, vcc
	v_lshlrev_b64 v[32:33], 3, v[0:1]
	v_add_u32_e32 v0, s8, v0
	v_add_co_u32_e32 v112, vcc, v90, v32
	v_ashrrev_i32_e32 v1, 31, v0
	v_addc_co_u32_e32 v113, vcc, v91, v33, vcc
	v_lshlrev_b64 v[32:33], 3, v[0:1]
	v_add_u32_e32 v0, s8, v0
	v_add_co_u32_e32 v114, vcc, v90, v32
	v_ashrrev_i32_e32 v1, 31, v0
	v_addc_co_u32_e32 v115, vcc, v91, v33, vcc
	v_lshlrev_b64 v[32:33], 3, v[0:1]
	v_add_u32_e32 v0, s8, v0
	v_add_co_u32_e32 v116, vcc, v90, v32
	v_ashrrev_i32_e32 v1, 31, v0
	v_addc_co_u32_e32 v117, vcc, v91, v33, vcc
	v_lshlrev_b64 v[32:33], 3, v[0:1]
	v_add_u32_e32 v0, s8, v0
	v_add_co_u32_e32 v118, vcc, v90, v32
	v_ashrrev_i32_e32 v1, 31, v0
	v_addc_co_u32_e32 v119, vcc, v91, v33, vcc
	v_lshlrev_b64 v[32:33], 3, v[0:1]
	v_add_u32_e32 v0, s8, v0
	v_add_co_u32_e32 v120, vcc, v90, v32
	v_ashrrev_i32_e32 v1, 31, v0
	v_addc_co_u32_e32 v121, vcc, v91, v33, vcc
	v_lshlrev_b64 v[32:33], 3, v[0:1]
	v_add_u32_e32 v0, s8, v0
	v_add_co_u32_e32 v122, vcc, v90, v32
	v_ashrrev_i32_e32 v1, 31, v0
	v_addc_co_u32_e32 v123, vcc, v91, v33, vcc
	v_lshlrev_b64 v[32:33], 3, v[0:1]
	v_add_u32_e32 v0, s8, v0
	v_add_co_u32_e32 v124, vcc, v90, v32
	v_ashrrev_i32_e32 v1, 31, v0
	v_addc_co_u32_e32 v125, vcc, v91, v33, vcc
	v_lshlrev_b64 v[32:33], 3, v[0:1]
	v_add_u32_e32 v0, s8, v0
	v_add_co_u32_e32 v126, vcc, v90, v32
	v_ashrrev_i32_e32 v1, 31, v0
	v_addc_co_u32_e32 v127, vcc, v91, v33, vcc
	v_lshlrev_b64 v[32:33], 3, v[0:1]
	v_add_u32_e32 v0, s8, v0
	v_add_co_u32_e32 v128, vcc, v90, v32
	v_ashrrev_i32_e32 v1, 31, v0
	v_addc_co_u32_e32 v129, vcc, v91, v33, vcc
	v_lshlrev_b64 v[32:33], 3, v[0:1]
	v_add_u32_e32 v0, s8, v0
	v_add_co_u32_e32 v130, vcc, v90, v32
	v_ashrrev_i32_e32 v1, 31, v0
	v_addc_co_u32_e32 v131, vcc, v91, v33, vcc
	v_lshlrev_b64 v[32:33], 3, v[0:1]
	v_add_u32_e32 v0, s8, v0
	v_add_co_u32_e32 v132, vcc, v90, v32
	v_ashrrev_i32_e32 v1, 31, v0
	v_addc_co_u32_e32 v133, vcc, v91, v33, vcc
	v_lshlrev_b64 v[32:33], 3, v[0:1]
	v_add_u32_e32 v0, s8, v0
	v_add_co_u32_e32 v134, vcc, v90, v32
	v_ashrrev_i32_e32 v1, 31, v0
	v_addc_co_u32_e32 v135, vcc, v91, v33, vcc
	v_lshlrev_b64 v[0:1], 3, v[0:1]
	v_add_co_u32_e32 v136, vcc, v90, v0
	v_addc_co_u32_e32 v137, vcc, v91, v1, vcc
	v_lshlrev_b32_e32 v85, 3, v92
	v_add_co_u32_e32 v0, vcc, v90, v85
	s_ashr_i32 s9, s8, 31
	v_addc_co_u32_e32 v1, vcc, 0, v91, vcc
	s_lshl_b64 s[10:11], s[8:9], 3
	v_mov_b32_e32 v33, s11
	v_add_co_u32_e32 v32, vcc, s10, v0
	v_addc_co_u32_e32 v33, vcc, v1, v33, vcc
	global_load_dwordx2 v[80:81], v[0:1], off
	global_load_dwordx2 v[78:79], v[32:33], off
	;; [unrolled: 1-line block ×15, first 2 shown]
                                        ; kill: killed $vgpr30 killed $vgpr31
                                        ; kill: killed $vgpr8 killed $vgpr9
                                        ; kill: killed $vgpr12 killed $vgpr13
                                        ; kill: killed $vgpr16 killed $vgpr17
                                        ; kill: killed $vgpr20 killed $vgpr21
                                        ; kill: killed $vgpr24 killed $vgpr25
                                        ; kill: killed $vgpr28 killed $vgpr29
                                        ; kill: killed $vgpr0 killed $vgpr1
                                        ; kill: killed $vgpr6 killed $vgpr7
                                        ; kill: killed $vgpr32 killed $vgpr33
                                        ; kill: killed $vgpr10 killed $vgpr11
                                        ; kill: killed $vgpr14 killed $vgpr15
                                        ; kill: killed $vgpr18 killed $vgpr19
                                        ; kill: killed $vgpr22 killed $vgpr23
                                        ; kill: killed $vgpr26 killed $vgpr27
	global_load_dwordx2 v[52:53], v[82:83], off
	global_load_dwordx2 v[48:49], v[86:87], off
	;; [unrolled: 1-line block ×15, first 2 shown]
                                        ; kill: killed $vgpr116 killed $vgpr117
                                        ; kill: killed $vgpr86 killed $vgpr87
                                        ; kill: killed $vgpr94 killed $vgpr95
                                        ; kill: killed $vgpr98 killed $vgpr99
                                        ; kill: killed $vgpr102 killed $vgpr103
                                        ; kill: killed $vgpr106 killed $vgpr107
                                        ; kill: killed $vgpr110 killed $vgpr111
                                        ; kill: killed $vgpr114 killed $vgpr115
                                        ; kill: killed $vgpr82 killed $vgpr83
                                        ; kill: killed $vgpr88 killed $vgpr89
                                        ; kill: killed $vgpr96 killed $vgpr97
                                        ; kill: killed $vgpr100 killed $vgpr101
                                        ; kill: killed $vgpr104 killed $vgpr105
                                        ; kill: killed $vgpr108 killed $vgpr109
                                        ; kill: killed $vgpr112 killed $vgpr113
	global_load_dwordx2 v[22:23], v[118:119], off
	global_load_dwordx2 v[18:19], v[120:121], off
	;; [unrolled: 1-line block ×10, first 2 shown]
	s_max_i32 s0, s18, 40
	v_mul_lo_u32 v86, s0, v84
	v_lshl_add_u32 v88, v86, 3, 0
	v_add_u32_e32 v84, v88, v85
	s_cmp_lt_i32 s18, 2
	v_lshlrev_b32_e32 v93, 3, v86
	v_mov_b32_e32 v86, 0
	s_waitcnt vmcnt(39)
	ds_write_b64 v84, v[80:81]
	s_waitcnt lgkmcnt(0)
	s_barrier
	ds_read_b64 v[84:85], v88
	s_cbranch_scc1 .LBB78_6
; %bb.4:
	v_add3_u32 v87, v93, 0, 8
	s_mov_b32 s0, 1
	v_mov_b32_e32 v86, 0
.LBB78_5:                               ; =>This Inner Loop Header: Depth=1
	ds_read_b64 v[94:95], v87
	v_mov_b32_e32 v89, s0
	s_add_i32 s0, s0, 1
	v_add_u32_e32 v87, 8, v87
	s_cmp_eq_u32 s18, s0
	s_waitcnt lgkmcnt(0)
	v_cmp_lt_f64_e64 vcc, |v[84:85]|, |v[94:95]|
	v_cndmask_b32_e32 v85, v85, v95, vcc
	v_cndmask_b32_e32 v84, v84, v94, vcc
	;; [unrolled: 1-line block ×3, first 2 shown]
	s_cbranch_scc0 .LBB78_5
.LBB78_6:
	v_cmp_ne_u32_e32 vcc, v92, v86
                                        ; implicit-def: $vgpr89
	s_and_saveexec_b64 s[0:1], vcc
	s_xor_b64 s[0:1], exec, s[0:1]
	s_cbranch_execz .LBB78_12
; %bb.7:
	v_cmp_eq_u32_e32 vcc, 0, v92
	s_and_saveexec_b64 s[2:3], vcc
	s_cbranch_execz .LBB78_11
; %bb.8:
	v_cmp_ne_u32_e32 vcc, 0, v86
	s_xor_b64 s[14:15], s[6:7], -1
	s_and_b64 s[16:17], s[14:15], vcc
	s_and_saveexec_b64 s[14:15], s[16:17]
	s_cbranch_execz .LBB78_10
; %bb.9:
	v_ashrrev_i32_e32 v87, 31, v86
	v_lshlrev_b64 v[94:95], 2, v[86:87]
	v_add_co_u32_e32 v94, vcc, v4, v94
	v_addc_co_u32_e32 v95, vcc, v5, v95, vcc
	flat_load_dword v87, v[94:95]
	flat_load_dword v89, v[4:5]
	s_waitcnt vmcnt(0) lgkmcnt(0)
	flat_store_dword v[4:5], v87
	flat_store_dword v[94:95], v89
.LBB78_10:
	s_or_b64 exec, exec, s[14:15]
	v_mov_b32_e32 v92, v86
.LBB78_11:
	s_or_b64 exec, exec, s[2:3]
	v_mov_b32_e32 v89, v92
                                        ; implicit-def: $vgpr92
.LBB78_12:
	s_or_saveexec_b64 s[0:1], s[0:1]
	v_mov_b32_e32 v87, v89
	s_xor_b64 exec, exec, s[0:1]
	s_cbranch_execz .LBB78_14
; %bb.13:
	v_mov_b32_e32 v89, 0
	v_mov_b32_e32 v87, v92
	s_waitcnt vmcnt(0)
	ds_write2_b64 v88, v[78:79], v[76:77] offset0:1 offset1:2
	ds_write2_b64 v88, v[74:75], v[72:73] offset0:3 offset1:4
	;; [unrolled: 1-line block ×19, first 2 shown]
	ds_write_b64 v88, v[82:83] offset:312
.LBB78_14:
	s_or_b64 exec, exec, s[0:1]
	s_waitcnt lgkmcnt(0)
	v_cmp_eq_f64_e64 s[0:1], 0, v[84:85]
	v_cmp_lt_i32_e32 vcc, 0, v89
	s_barrier
	s_and_saveexec_b64 s[2:3], vcc
	s_cbranch_execz .LBB78_16
; %bb.15:
	v_div_scale_f64 v[94:95], s[14:15], v[84:85], v[84:85], 1.0
	v_rcp_f64_e32 v[96:97], v[94:95]
	v_div_scale_f64 v[98:99], vcc, 1.0, v[84:85], 1.0
	ds_read2_b64 v[102:105], v88 offset0:5 offset1:6
	v_fma_f64 v[100:101], -v[94:95], v[96:97], 1.0
	v_fmac_f64_e32 v[96:97], v[96:97], v[100:101]
	v_fma_f64 v[100:101], -v[94:95], v[96:97], 1.0
	v_fmac_f64_e32 v[96:97], v[96:97], v[100:101]
	v_mul_f64 v[100:101], v[98:99], v[96:97]
	v_fma_f64 v[94:95], -v[94:95], v[100:101], v[98:99]
	v_div_fmas_f64 v[94:95], v[94:95], v[96:97], v[100:101]
	v_div_fixup_f64 v[98:99], v[94:95], v[84:85], 1.0
	ds_read2_b64 v[94:97], v88 offset0:1 offset1:2
	v_cndmask_b32_e64 v85, v99, v85, s[0:1]
	v_cndmask_b32_e64 v84, v98, v84, s[0:1]
	ds_read2_b64 v[98:101], v88 offset0:3 offset1:4
	v_mul_f64 v[80:81], v[84:85], v[80:81]
	s_waitcnt vmcnt(0) lgkmcnt(0)
	v_fma_f64 v[78:79], -v[80:81], v[94:95], v[78:79]
	v_fma_f64 v[76:77], -v[80:81], v[96:97], v[76:77]
	ds_read2_b64 v[94:97], v88 offset0:7 offset1:8
	v_fma_f64 v[74:75], -v[80:81], v[98:99], v[74:75]
	v_fma_f64 v[72:73], -v[80:81], v[100:101], v[72:73]
	;; [unrolled: 1-line block ×3, first 2 shown]
	ds_read2_b64 v[98:101], v88 offset0:9 offset1:10
	v_fma_f64 v[68:69], -v[80:81], v[104:105], v[68:69]
	ds_read2_b64 v[102:105], v88 offset0:11 offset1:12
	s_waitcnt lgkmcnt(2)
	v_fma_f64 v[66:67], -v[80:81], v[94:95], v[66:67]
	v_fma_f64 v[64:65], -v[80:81], v[96:97], v[64:65]
	ds_read2_b64 v[94:97], v88 offset0:13 offset1:14
	s_waitcnt lgkmcnt(2)
	v_fma_f64 v[62:63], -v[80:81], v[98:99], v[62:63]
	;; [unrolled: 4-line block ×3, first 2 shown]
	v_fma_f64 v[56:57], -v[80:81], v[104:105], v[56:57]
	s_waitcnt lgkmcnt(1)
	v_fma_f64 v[54:55], -v[80:81], v[94:95], v[54:55]
	ds_read2_b64 v[102:105], v88 offset0:17 offset1:18
	v_fma_f64 v[50:51], -v[80:81], v[96:97], v[50:51]
	ds_read2_b64 v[94:97], v88 offset0:19 offset1:20
	s_waitcnt lgkmcnt(2)
	v_fma_f64 v[52:53], -v[80:81], v[98:99], v[52:53]
	v_fma_f64 v[48:49], -v[80:81], v[100:101], v[48:49]
	s_waitcnt lgkmcnt(1)
	v_fma_f64 v[46:47], -v[80:81], v[102:103], v[46:47]
	ds_read2_b64 v[98:101], v88 offset0:21 offset1:22
	v_fma_f64 v[44:45], -v[80:81], v[104:105], v[44:45]
	ds_read2_b64 v[102:105], v88 offset0:23 offset1:24
	s_waitcnt lgkmcnt(2)
	v_fma_f64 v[42:43], -v[80:81], v[94:95], v[42:43]
	v_fma_f64 v[40:41], -v[80:81], v[96:97], v[40:41]
	ds_read2_b64 v[94:97], v88 offset0:25 offset1:26
	s_waitcnt lgkmcnt(2)
	v_fma_f64 v[38:39], -v[80:81], v[98:99], v[38:39]
	;; [unrolled: 4-line block ×3, first 2 shown]
	v_fma_f64 v[32:33], -v[80:81], v[104:105], v[32:33]
	s_waitcnt lgkmcnt(1)
	v_fma_f64 v[30:31], -v[80:81], v[94:95], v[30:31]
	ds_read2_b64 v[102:105], v88 offset0:29 offset1:30
	v_fma_f64 v[28:29], -v[80:81], v[96:97], v[28:29]
	ds_read2_b64 v[94:97], v88 offset0:31 offset1:32
	s_waitcnt lgkmcnt(2)
	v_fma_f64 v[26:27], -v[80:81], v[98:99], v[26:27]
	v_fma_f64 v[24:25], -v[80:81], v[100:101], v[24:25]
	s_waitcnt lgkmcnt(1)
	v_fma_f64 v[20:21], -v[80:81], v[102:103], v[20:21]
	ds_read2_b64 v[98:101], v88 offset0:33 offset1:34
	v_fma_f64 v[22:23], -v[80:81], v[104:105], v[22:23]
	s_waitcnt lgkmcnt(1)
	v_fma_f64 v[18:19], -v[80:81], v[94:95], v[18:19]
	v_fma_f64 v[16:17], -v[80:81], v[96:97], v[16:17]
	ds_read2_b64 v[94:97], v88 offset0:35 offset1:36
	ds_read2_b64 v[102:105], v88 offset0:37 offset1:38
	ds_read_b64 v[84:85], v88 offset:312
	s_waitcnt lgkmcnt(3)
	v_fma_f64 v[14:15], -v[80:81], v[98:99], v[14:15]
	v_fma_f64 v[12:13], -v[80:81], v[100:101], v[12:13]
	s_waitcnt lgkmcnt(2)
	v_fma_f64 v[10:11], -v[80:81], v[94:95], v[10:11]
	v_fma_f64 v[8:9], -v[80:81], v[96:97], v[8:9]
	;; [unrolled: 3-line block ×3, first 2 shown]
	s_waitcnt lgkmcnt(0)
	v_fma_f64 v[82:83], -v[80:81], v[84:85], v[82:83]
.LBB78_16:
	s_or_b64 exec, exec, s[2:3]
	v_lshl_add_u32 v84, v89, 3, v88
	s_barrier
	s_waitcnt vmcnt(0)
	ds_write_b64 v84, v[78:79]
	s_waitcnt lgkmcnt(0)
	s_barrier
	ds_read_b64 v[84:85], v88 offset:8
	s_cmp_lt_i32 s18, 3
	v_mov_b32_e32 v86, 1
	s_cbranch_scc1 .LBB78_19
; %bb.17:
	v_add3_u32 v92, v93, 0, 16
	s_mov_b32 s2, 2
	v_mov_b32_e32 v86, 1
.LBB78_18:                              ; =>This Inner Loop Header: Depth=1
	ds_read_b64 v[94:95], v92
	v_mov_b32_e32 v96, s2
	s_add_i32 s2, s2, 1
	v_add_u32_e32 v92, 8, v92
	s_cmp_lg_u32 s18, s2
	s_waitcnt lgkmcnt(0)
	v_cmp_lt_f64_e64 vcc, |v[84:85]|, |v[94:95]|
	v_cndmask_b32_e32 v85, v85, v95, vcc
	v_cndmask_b32_e32 v84, v84, v94, vcc
	;; [unrolled: 1-line block ×3, first 2 shown]
	s_cbranch_scc1 .LBB78_18
.LBB78_19:
	v_cmp_ne_u32_e32 vcc, v89, v86
	s_and_saveexec_b64 s[2:3], vcc
	s_xor_b64 s[2:3], exec, s[2:3]
	s_cbranch_execz .LBB78_25
; %bb.20:
	v_cmp_eq_u32_e32 vcc, 1, v89
	s_and_saveexec_b64 s[14:15], vcc
	s_cbranch_execz .LBB78_24
; %bb.21:
	v_cmp_ne_u32_e32 vcc, 1, v86
	s_xor_b64 s[16:17], s[6:7], -1
	s_and_b64 s[20:21], s[16:17], vcc
	s_and_saveexec_b64 s[16:17], s[20:21]
	s_cbranch_execz .LBB78_23
; %bb.22:
	v_ashrrev_i32_e32 v87, 31, v86
	v_lshlrev_b64 v[94:95], 2, v[86:87]
	v_add_co_u32_e32 v94, vcc, v4, v94
	v_addc_co_u32_e32 v95, vcc, v5, v95, vcc
	flat_load_dword v87, v[94:95]
	flat_load_dword v89, v[4:5] offset:4
	s_waitcnt vmcnt(0) lgkmcnt(0)
	flat_store_dword v[4:5], v87 offset:4
	flat_store_dword v[94:95], v89
.LBB78_23:
	s_or_b64 exec, exec, s[16:17]
	v_mov_b32_e32 v87, v86
	v_mov_b32_e32 v89, v86
.LBB78_24:
	s_or_b64 exec, exec, s[14:15]
.LBB78_25:
	s_andn2_saveexec_b64 s[2:3], s[2:3]
	s_cbranch_execz .LBB78_27
; %bb.26:
	v_mov_b32_e32 v94, v76
	v_mov_b32_e32 v95, v77
	v_mov_b32_e32 v96, v74
	v_mov_b32_e32 v97, v75
	ds_write2_b64 v88, v[94:95], v[96:97] offset0:2 offset1:3
	v_mov_b32_e32 v94, v72
	v_mov_b32_e32 v95, v73
	v_mov_b32_e32 v96, v70
	v_mov_b32_e32 v97, v71
	ds_write2_b64 v88, v[94:95], v[96:97] offset0:4 offset1:5
	;; [unrolled: 5-line block ×18, first 2 shown]
	v_mov_b32_e32 v94, v0
	v_mov_b32_e32 v95, v1
	;; [unrolled: 1-line block ×3, first 2 shown]
	ds_write2_b64 v88, v[94:95], v[82:83] offset0:38 offset1:39
.LBB78_27:
	s_or_b64 exec, exec, s[2:3]
	s_waitcnt lgkmcnt(0)
	v_cmp_neq_f64_e64 s[2:3], 0, v[84:85]
	v_cmp_lt_i32_e32 vcc, 1, v89
	s_barrier
	s_and_saveexec_b64 s[14:15], vcc
	s_cbranch_execz .LBB78_29
; %bb.28:
	v_div_scale_f64 v[94:95], s[16:17], v[84:85], v[84:85], 1.0
	v_rcp_f64_e32 v[96:97], v[94:95]
	v_div_scale_f64 v[98:99], vcc, 1.0, v[84:85], 1.0
	ds_read2_b64 v[102:105], v88 offset0:6 offset1:7
	v_fma_f64 v[100:101], -v[94:95], v[96:97], 1.0
	v_fmac_f64_e32 v[96:97], v[96:97], v[100:101]
	v_fma_f64 v[100:101], -v[94:95], v[96:97], 1.0
	v_fmac_f64_e32 v[96:97], v[96:97], v[100:101]
	v_mul_f64 v[100:101], v[98:99], v[96:97]
	v_fma_f64 v[94:95], -v[94:95], v[100:101], v[98:99]
	v_div_fmas_f64 v[94:95], v[94:95], v[96:97], v[100:101]
	v_div_fixup_f64 v[98:99], v[94:95], v[84:85], 1.0
	ds_read2_b64 v[94:97], v88 offset0:2 offset1:3
	v_cndmask_b32_e64 v85, v85, v99, s[2:3]
	v_cndmask_b32_e64 v84, v84, v98, s[2:3]
	ds_read2_b64 v[98:101], v88 offset0:4 offset1:5
	v_mul_f64 v[78:79], v[84:85], v[78:79]
	s_waitcnt lgkmcnt(0)
	v_fma_f64 v[76:77], -v[78:79], v[94:95], v[76:77]
	v_fma_f64 v[74:75], -v[78:79], v[96:97], v[74:75]
	ds_read2_b64 v[94:97], v88 offset0:8 offset1:9
	v_fma_f64 v[72:73], -v[78:79], v[98:99], v[72:73]
	v_fma_f64 v[70:71], -v[78:79], v[100:101], v[70:71]
	;; [unrolled: 1-line block ×3, first 2 shown]
	ds_read2_b64 v[98:101], v88 offset0:10 offset1:11
	v_fma_f64 v[66:67], -v[78:79], v[104:105], v[66:67]
	ds_read2_b64 v[102:105], v88 offset0:12 offset1:13
	s_waitcnt lgkmcnt(0)
	v_fma_f64 v[64:65], -v[78:79], v[94:95], v[64:65]
	v_fma_f64 v[62:63], -v[78:79], v[96:97], v[62:63]
	ds_read2_b64 v[94:97], v88 offset0:14 offset1:15
	v_fma_f64 v[60:61], -v[78:79], v[98:99], v[60:61]
	v_fma_f64 v[58:59], -v[78:79], v[100:101], v[58:59]
	ds_read2_b64 v[98:101], v88 offset0:16 offset1:17
	v_fma_f64 v[56:57], -v[78:79], v[102:103], v[56:57]
	v_fma_f64 v[54:55], -v[78:79], v[104:105], v[54:55]
	s_waitcnt lgkmcnt(0)
	v_fma_f64 v[50:51], -v[78:79], v[94:95], v[50:51]
	ds_read2_b64 v[102:105], v88 offset0:18 offset1:19
	v_fma_f64 v[52:53], -v[78:79], v[96:97], v[52:53]
	ds_read2_b64 v[94:97], v88 offset0:20 offset1:21
	v_fma_f64 v[48:49], -v[78:79], v[98:99], v[48:49]
	v_fma_f64 v[46:47], -v[78:79], v[100:101], v[46:47]
	s_waitcnt lgkmcnt(0)
	v_fma_f64 v[44:45], -v[78:79], v[102:103], v[44:45]
	ds_read2_b64 v[98:101], v88 offset0:22 offset1:23
	v_fma_f64 v[42:43], -v[78:79], v[104:105], v[42:43]
	ds_read2_b64 v[102:105], v88 offset0:24 offset1:25
	v_fma_f64 v[40:41], -v[78:79], v[94:95], v[40:41]
	v_fma_f64 v[38:39], -v[78:79], v[96:97], v[38:39]
	ds_read2_b64 v[94:97], v88 offset0:26 offset1:27
	s_waitcnt lgkmcnt(0)
	v_fma_f64 v[36:37], -v[78:79], v[98:99], v[36:37]
	v_fma_f64 v[34:35], -v[78:79], v[100:101], v[34:35]
	ds_read2_b64 v[98:101], v88 offset0:28 offset1:29
	v_fma_f64 v[32:33], -v[78:79], v[102:103], v[32:33]
	v_fma_f64 v[30:31], -v[78:79], v[104:105], v[30:31]
	;; [unrolled: 1-line block ×3, first 2 shown]
	ds_read2_b64 v[102:105], v88 offset0:30 offset1:31
	v_fma_f64 v[26:27], -v[78:79], v[96:97], v[26:27]
	ds_read2_b64 v[94:97], v88 offset0:32 offset1:33
	s_waitcnt lgkmcnt(0)
	v_fma_f64 v[24:25], -v[78:79], v[98:99], v[24:25]
	v_fma_f64 v[20:21], -v[78:79], v[100:101], v[20:21]
	v_fma_f64 v[22:23], -v[78:79], v[102:103], v[22:23]
	v_fma_f64 v[18:19], -v[78:79], v[104:105], v[18:19]
	ds_read2_b64 v[98:101], v88 offset0:34 offset1:35
	ds_read2_b64 v[102:105], v88 offset0:36 offset1:37
	v_fma_f64 v[16:17], -v[78:79], v[94:95], v[16:17]
	v_fma_f64 v[14:15], -v[78:79], v[96:97], v[14:15]
	ds_read2_b64 v[94:97], v88 offset0:38 offset1:39
	s_waitcnt lgkmcnt(0)
	v_fma_f64 v[12:13], -v[78:79], v[98:99], v[12:13]
	v_fma_f64 v[10:11], -v[78:79], v[100:101], v[10:11]
	;; [unrolled: 1-line block ×6, first 2 shown]
.LBB78_29:
	s_or_b64 exec, exec, s[14:15]
	v_lshl_add_u32 v84, v89, 3, v88
	s_barrier
	ds_write_b64 v84, v[76:77]
	s_waitcnt lgkmcnt(0)
	s_barrier
	ds_read_b64 v[84:85], v88 offset:16
	s_mov_b32 s9, 3
	s_cmp_lt_i32 s18, 4
	v_mov_b32_e32 v86, 2
	s_cbranch_scc1 .LBB78_32
; %bb.30:
	v_add3_u32 v92, v93, 0, 24
	v_mov_b32_e32 v86, 2
.LBB78_31:                              ; =>This Inner Loop Header: Depth=1
	ds_read_b64 v[94:95], v92
	v_mov_b32_e32 v96, s9
	s_add_i32 s9, s9, 1
	v_add_u32_e32 v92, 8, v92
	s_cmp_lg_u32 s18, s9
	s_waitcnt lgkmcnt(0)
	v_cmp_lt_f64_e64 vcc, |v[84:85]|, |v[94:95]|
	v_cndmask_b32_e32 v85, v85, v95, vcc
	v_cndmask_b32_e32 v84, v84, v94, vcc
	;; [unrolled: 1-line block ×3, first 2 shown]
	s_cbranch_scc1 .LBB78_31
.LBB78_32:
	v_cndmask_b32_e64 v92, 2, 1, s[0:1]
	v_cndmask_b32_e64 v94, 0, 1, s[0:1]
	;; [unrolled: 1-line block ×3, first 2 shown]
	s_waitcnt lgkmcnt(0)
	v_cmp_eq_f64_e32 vcc, 0, v[84:85]
	s_and_saveexec_b64 s[0:1], vcc
	s_xor_b64 s[0:1], exec, s[0:1]
; %bb.33:
	v_cmp_ne_u32_e32 vcc, 0, v92
	v_cndmask_b32_e32 v92, 3, v92, vcc
; %bb.34:
	s_andn2_saveexec_b64 s[0:1], s[0:1]
; %bb.35:
	v_div_scale_f64 v[94:95], s[2:3], v[84:85], v[84:85], 1.0
	v_rcp_f64_e32 v[96:97], v[94:95]
	v_div_scale_f64 v[98:99], vcc, 1.0, v[84:85], 1.0
	v_fma_f64 v[100:101], -v[94:95], v[96:97], 1.0
	v_fmac_f64_e32 v[96:97], v[96:97], v[100:101]
	v_fma_f64 v[100:101], -v[94:95], v[96:97], 1.0
	v_fmac_f64_e32 v[96:97], v[96:97], v[100:101]
	v_mul_f64 v[100:101], v[98:99], v[96:97]
	v_fma_f64 v[94:95], -v[94:95], v[100:101], v[98:99]
	v_div_fmas_f64 v[94:95], v[94:95], v[96:97], v[100:101]
	v_div_fixup_f64 v[84:85], v[94:95], v[84:85], 1.0
; %bb.36:
	s_or_b64 exec, exec, s[0:1]
	v_cmp_ne_u32_e32 vcc, v89, v86
	s_and_saveexec_b64 s[0:1], vcc
	s_xor_b64 s[0:1], exec, s[0:1]
	s_cbranch_execz .LBB78_42
; %bb.37:
	v_cmp_eq_u32_e32 vcc, 2, v89
	s_and_saveexec_b64 s[2:3], vcc
	s_cbranch_execz .LBB78_41
; %bb.38:
	v_cmp_ne_u32_e32 vcc, 2, v86
	s_xor_b64 s[14:15], s[6:7], -1
	s_and_b64 s[16:17], s[14:15], vcc
	s_and_saveexec_b64 s[14:15], s[16:17]
	s_cbranch_execz .LBB78_40
; %bb.39:
	v_ashrrev_i32_e32 v87, 31, v86
	v_lshlrev_b64 v[94:95], 2, v[86:87]
	v_add_co_u32_e32 v94, vcc, v4, v94
	v_addc_co_u32_e32 v95, vcc, v5, v95, vcc
	flat_load_dword v87, v[94:95]
	flat_load_dword v89, v[4:5] offset:8
	s_waitcnt vmcnt(0) lgkmcnt(0)
	flat_store_dword v[4:5], v87 offset:8
	flat_store_dword v[94:95], v89
.LBB78_40:
	s_or_b64 exec, exec, s[14:15]
	v_mov_b32_e32 v87, v86
	v_mov_b32_e32 v89, v86
.LBB78_41:
	s_or_b64 exec, exec, s[2:3]
.LBB78_42:
	s_andn2_saveexec_b64 s[0:1], s[0:1]
	s_cbranch_execz .LBB78_44
; %bb.43:
	v_mov_b32_e32 v89, 2
	ds_write2_b64 v88, v[74:75], v[72:73] offset0:3 offset1:4
	ds_write2_b64 v88, v[70:71], v[68:69] offset0:5 offset1:6
	;; [unrolled: 1-line block ×18, first 2 shown]
	ds_write_b64 v88, v[82:83] offset:312
.LBB78_44:
	s_or_b64 exec, exec, s[0:1]
	v_cmp_lt_i32_e32 vcc, 2, v89
	s_waitcnt lgkmcnt(0)
	s_barrier
	s_and_saveexec_b64 s[0:1], vcc
	s_cbranch_execz .LBB78_46
; %bb.45:
	ds_read2_b64 v[94:97], v88 offset0:3 offset1:4
	ds_read2_b64 v[98:101], v88 offset0:5 offset1:6
	;; [unrolled: 1-line block ×3, first 2 shown]
	v_mul_f64 v[76:77], v[84:85], v[76:77]
	ds_read_b64 v[84:85], v88 offset:312
	s_waitcnt lgkmcnt(0)
	v_fma_f64 v[74:75], -v[76:77], v[94:95], v[74:75]
	v_fma_f64 v[72:73], -v[76:77], v[96:97], v[72:73]
	ds_read2_b64 v[94:97], v88 offset0:9 offset1:10
	v_fma_f64 v[70:71], -v[76:77], v[98:99], v[70:71]
	v_fma_f64 v[68:69], -v[76:77], v[100:101], v[68:69]
	;; [unrolled: 1-line block ×3, first 2 shown]
	ds_read2_b64 v[98:101], v88 offset0:11 offset1:12
	v_fma_f64 v[64:65], -v[76:77], v[104:105], v[64:65]
	ds_read2_b64 v[102:105], v88 offset0:13 offset1:14
	s_waitcnt lgkmcnt(0)
	v_fma_f64 v[62:63], -v[76:77], v[94:95], v[62:63]
	v_fma_f64 v[60:61], -v[76:77], v[96:97], v[60:61]
	;; [unrolled: 1-line block ×3, first 2 shown]
	ds_read2_b64 v[94:97], v88 offset0:15 offset1:16
	v_fma_f64 v[56:57], -v[76:77], v[100:101], v[56:57]
	ds_read2_b64 v[98:101], v88 offset0:17 offset1:18
	v_fma_f64 v[54:55], -v[76:77], v[102:103], v[54:55]
	v_fma_f64 v[50:51], -v[76:77], v[104:105], v[50:51]
	ds_read2_b64 v[102:105], v88 offset0:19 offset1:20
	s_waitcnt lgkmcnt(0)
	v_fma_f64 v[52:53], -v[76:77], v[94:95], v[52:53]
	v_fma_f64 v[48:49], -v[76:77], v[96:97], v[48:49]
	ds_read2_b64 v[94:97], v88 offset0:21 offset1:22
	v_fma_f64 v[46:47], -v[76:77], v[98:99], v[46:47]
	v_fma_f64 v[44:45], -v[76:77], v[100:101], v[44:45]
	v_fma_f64 v[42:43], -v[76:77], v[102:103], v[42:43]
	ds_read2_b64 v[98:101], v88 offset0:23 offset1:24
	v_fma_f64 v[40:41], -v[76:77], v[104:105], v[40:41]
	ds_read2_b64 v[102:105], v88 offset0:25 offset1:26
	s_waitcnt lgkmcnt(0)
	v_fma_f64 v[38:39], -v[76:77], v[94:95], v[38:39]
	v_fma_f64 v[36:37], -v[76:77], v[96:97], v[36:37]
	;; [unrolled: 1-line block ×3, first 2 shown]
	ds_read2_b64 v[94:97], v88 offset0:27 offset1:28
	v_fma_f64 v[32:33], -v[76:77], v[100:101], v[32:33]
	ds_read2_b64 v[98:101], v88 offset0:29 offset1:30
	v_fma_f64 v[30:31], -v[76:77], v[102:103], v[30:31]
	v_fma_f64 v[28:29], -v[76:77], v[104:105], v[28:29]
	ds_read2_b64 v[102:105], v88 offset0:31 offset1:32
	s_waitcnt lgkmcnt(0)
	v_fma_f64 v[26:27], -v[76:77], v[94:95], v[26:27]
	v_fma_f64 v[24:25], -v[76:77], v[96:97], v[24:25]
	ds_read2_b64 v[94:97], v88 offset0:33 offset1:34
	v_fma_f64 v[20:21], -v[76:77], v[98:99], v[20:21]
	v_fma_f64 v[22:23], -v[76:77], v[100:101], v[22:23]
	;; [unrolled: 1-line block ×4, first 2 shown]
	ds_read2_b64 v[98:101], v88 offset0:35 offset1:36
	ds_read2_b64 v[102:105], v88 offset0:37 offset1:38
	s_waitcnt lgkmcnt(0)
	v_fma_f64 v[14:15], -v[76:77], v[94:95], v[14:15]
	v_fma_f64 v[12:13], -v[76:77], v[96:97], v[12:13]
	;; [unrolled: 1-line block ×7, first 2 shown]
.LBB78_46:
	s_or_b64 exec, exec, s[0:1]
	v_lshl_add_u32 v84, v89, 3, v88
	s_barrier
	ds_write_b64 v84, v[74:75]
	s_waitcnt lgkmcnt(0)
	s_barrier
	ds_read_b64 v[84:85], v88 offset:24
	s_cmp_lt_i32 s18, 5
	v_mov_b32_e32 v86, 3
	s_cbranch_scc1 .LBB78_49
; %bb.47:
	v_add3_u32 v94, v93, 0, 32
	s_mov_b32 s0, 4
	v_mov_b32_e32 v86, 3
.LBB78_48:                              ; =>This Inner Loop Header: Depth=1
	ds_read_b64 v[96:97], v94
	v_mov_b32_e32 v95, s0
	s_add_i32 s0, s0, 1
	v_add_u32_e32 v94, 8, v94
	s_cmp_lg_u32 s18, s0
	s_waitcnt lgkmcnt(0)
	v_cmp_lt_f64_e64 vcc, |v[84:85]|, |v[96:97]|
	v_cndmask_b32_e32 v85, v85, v97, vcc
	v_cndmask_b32_e32 v84, v84, v96, vcc
	;; [unrolled: 1-line block ×3, first 2 shown]
	s_cbranch_scc1 .LBB78_48
.LBB78_49:
	s_waitcnt lgkmcnt(0)
	v_cmp_eq_f64_e32 vcc, 0, v[84:85]
	s_and_saveexec_b64 s[0:1], vcc
	s_xor_b64 s[0:1], exec, s[0:1]
; %bb.50:
	v_cmp_ne_u32_e32 vcc, 0, v92
	v_cndmask_b32_e32 v92, 4, v92, vcc
; %bb.51:
	s_andn2_saveexec_b64 s[0:1], s[0:1]
; %bb.52:
	v_div_scale_f64 v[94:95], s[2:3], v[84:85], v[84:85], 1.0
	v_rcp_f64_e32 v[96:97], v[94:95]
	v_div_scale_f64 v[98:99], vcc, 1.0, v[84:85], 1.0
	v_fma_f64 v[100:101], -v[94:95], v[96:97], 1.0
	v_fmac_f64_e32 v[96:97], v[96:97], v[100:101]
	v_fma_f64 v[100:101], -v[94:95], v[96:97], 1.0
	v_fmac_f64_e32 v[96:97], v[96:97], v[100:101]
	v_mul_f64 v[100:101], v[98:99], v[96:97]
	v_fma_f64 v[94:95], -v[94:95], v[100:101], v[98:99]
	v_div_fmas_f64 v[94:95], v[94:95], v[96:97], v[100:101]
	v_div_fixup_f64 v[84:85], v[94:95], v[84:85], 1.0
; %bb.53:
	s_or_b64 exec, exec, s[0:1]
	v_cmp_ne_u32_e32 vcc, v89, v86
	s_and_saveexec_b64 s[0:1], vcc
	s_xor_b64 s[0:1], exec, s[0:1]
	s_cbranch_execz .LBB78_59
; %bb.54:
	v_cmp_eq_u32_e32 vcc, 3, v89
	s_and_saveexec_b64 s[2:3], vcc
	s_cbranch_execz .LBB78_58
; %bb.55:
	v_cmp_ne_u32_e32 vcc, 3, v86
	s_xor_b64 s[14:15], s[6:7], -1
	s_and_b64 s[16:17], s[14:15], vcc
	s_and_saveexec_b64 s[14:15], s[16:17]
	s_cbranch_execz .LBB78_57
; %bb.56:
	v_ashrrev_i32_e32 v87, 31, v86
	v_lshlrev_b64 v[94:95], 2, v[86:87]
	v_add_co_u32_e32 v94, vcc, v4, v94
	v_addc_co_u32_e32 v95, vcc, v5, v95, vcc
	flat_load_dword v87, v[94:95]
	flat_load_dword v89, v[4:5] offset:12
	s_waitcnt vmcnt(0) lgkmcnt(0)
	flat_store_dword v[4:5], v87 offset:12
	flat_store_dword v[94:95], v89
.LBB78_57:
	s_or_b64 exec, exec, s[14:15]
	v_mov_b32_e32 v87, v86
	v_mov_b32_e32 v89, v86
.LBB78_58:
	s_or_b64 exec, exec, s[2:3]
.LBB78_59:
	s_andn2_saveexec_b64 s[0:1], s[0:1]
	s_cbranch_execz .LBB78_61
; %bb.60:
	v_mov_b32_e32 v94, v72
	v_mov_b32_e32 v95, v73
	v_mov_b32_e32 v96, v70
	v_mov_b32_e32 v97, v71
	ds_write2_b64 v88, v[94:95], v[96:97] offset0:4 offset1:5
	v_mov_b32_e32 v94, v68
	v_mov_b32_e32 v95, v69
	v_mov_b32_e32 v96, v66
	v_mov_b32_e32 v97, v67
	ds_write2_b64 v88, v[94:95], v[96:97] offset0:6 offset1:7
	;; [unrolled: 5-line block ×17, first 2 shown]
	v_mov_b32_e32 v94, v0
	v_mov_b32_e32 v95, v1
	v_mov_b32_e32 v89, 3
	ds_write2_b64 v88, v[94:95], v[82:83] offset0:38 offset1:39
.LBB78_61:
	s_or_b64 exec, exec, s[0:1]
	v_cmp_lt_i32_e32 vcc, 3, v89
	s_waitcnt lgkmcnt(0)
	s_barrier
	s_and_saveexec_b64 s[0:1], vcc
	s_cbranch_execz .LBB78_63
; %bb.62:
	ds_read2_b64 v[94:97], v88 offset0:4 offset1:5
	ds_read2_b64 v[98:101], v88 offset0:6 offset1:7
	;; [unrolled: 1-line block ×3, first 2 shown]
	v_mul_f64 v[74:75], v[84:85], v[74:75]
	s_waitcnt lgkmcnt(0)
	v_fma_f64 v[72:73], -v[74:75], v[94:95], v[72:73]
	v_fma_f64 v[70:71], -v[74:75], v[96:97], v[70:71]
	ds_read2_b64 v[94:97], v88 offset0:10 offset1:11
	v_fma_f64 v[68:69], -v[74:75], v[98:99], v[68:69]
	v_fma_f64 v[66:67], -v[74:75], v[100:101], v[66:67]
	;; [unrolled: 1-line block ×3, first 2 shown]
	ds_read2_b64 v[98:101], v88 offset0:12 offset1:13
	v_fma_f64 v[62:63], -v[74:75], v[104:105], v[62:63]
	ds_read2_b64 v[102:105], v88 offset0:14 offset1:15
	s_waitcnt lgkmcnt(0)
	v_fma_f64 v[60:61], -v[74:75], v[94:95], v[60:61]
	v_fma_f64 v[58:59], -v[74:75], v[96:97], v[58:59]
	;; [unrolled: 1-line block ×3, first 2 shown]
	ds_read2_b64 v[94:97], v88 offset0:16 offset1:17
	v_fma_f64 v[54:55], -v[74:75], v[100:101], v[54:55]
	ds_read2_b64 v[98:101], v88 offset0:18 offset1:19
	v_fma_f64 v[50:51], -v[74:75], v[102:103], v[50:51]
	v_fma_f64 v[52:53], -v[74:75], v[104:105], v[52:53]
	ds_read2_b64 v[102:105], v88 offset0:20 offset1:21
	s_waitcnt lgkmcnt(0)
	v_fma_f64 v[48:49], -v[74:75], v[94:95], v[48:49]
	v_fma_f64 v[46:47], -v[74:75], v[96:97], v[46:47]
	ds_read2_b64 v[94:97], v88 offset0:22 offset1:23
	v_fma_f64 v[44:45], -v[74:75], v[98:99], v[44:45]
	v_fma_f64 v[42:43], -v[74:75], v[100:101], v[42:43]
	;; [unrolled: 1-line block ×3, first 2 shown]
	ds_read2_b64 v[98:101], v88 offset0:24 offset1:25
	v_fma_f64 v[38:39], -v[74:75], v[104:105], v[38:39]
	ds_read2_b64 v[102:105], v88 offset0:26 offset1:27
	s_waitcnt lgkmcnt(0)
	v_fma_f64 v[36:37], -v[74:75], v[94:95], v[36:37]
	v_fma_f64 v[34:35], -v[74:75], v[96:97], v[34:35]
	;; [unrolled: 1-line block ×3, first 2 shown]
	ds_read2_b64 v[94:97], v88 offset0:28 offset1:29
	v_fma_f64 v[30:31], -v[74:75], v[100:101], v[30:31]
	ds_read2_b64 v[98:101], v88 offset0:30 offset1:31
	v_fma_f64 v[28:29], -v[74:75], v[102:103], v[28:29]
	v_fma_f64 v[26:27], -v[74:75], v[104:105], v[26:27]
	ds_read2_b64 v[102:105], v88 offset0:32 offset1:33
	s_waitcnt lgkmcnt(0)
	v_fma_f64 v[24:25], -v[74:75], v[94:95], v[24:25]
	v_fma_f64 v[20:21], -v[74:75], v[96:97], v[20:21]
	ds_read2_b64 v[94:97], v88 offset0:34 offset1:35
	v_fma_f64 v[22:23], -v[74:75], v[98:99], v[22:23]
	v_fma_f64 v[18:19], -v[74:75], v[100:101], v[18:19]
	;; [unrolled: 1-line block ×3, first 2 shown]
	ds_read2_b64 v[98:101], v88 offset0:36 offset1:37
	v_fma_f64 v[14:15], -v[74:75], v[104:105], v[14:15]
	ds_read2_b64 v[102:105], v88 offset0:38 offset1:39
	s_waitcnt lgkmcnt(0)
	v_fma_f64 v[12:13], -v[74:75], v[94:95], v[12:13]
	v_fma_f64 v[10:11], -v[74:75], v[96:97], v[10:11]
	;; [unrolled: 1-line block ×6, first 2 shown]
.LBB78_63:
	s_or_b64 exec, exec, s[0:1]
	v_lshl_add_u32 v84, v89, 3, v88
	s_barrier
	ds_write_b64 v84, v[72:73]
	s_waitcnt lgkmcnt(0)
	s_barrier
	ds_read_b64 v[84:85], v88 offset:32
	s_cmp_lt_i32 s18, 6
	v_mov_b32_e32 v86, 4
	s_cbranch_scc1 .LBB78_66
; %bb.64:
	v_add3_u32 v94, v93, 0, 40
	s_mov_b32 s0, 5
	v_mov_b32_e32 v86, 4
.LBB78_65:                              ; =>This Inner Loop Header: Depth=1
	ds_read_b64 v[96:97], v94
	v_mov_b32_e32 v95, s0
	s_add_i32 s0, s0, 1
	v_add_u32_e32 v94, 8, v94
	s_cmp_lg_u32 s18, s0
	s_waitcnt lgkmcnt(0)
	v_cmp_lt_f64_e64 vcc, |v[84:85]|, |v[96:97]|
	v_cndmask_b32_e32 v85, v85, v97, vcc
	v_cndmask_b32_e32 v84, v84, v96, vcc
	;; [unrolled: 1-line block ×3, first 2 shown]
	s_cbranch_scc1 .LBB78_65
.LBB78_66:
	s_waitcnt lgkmcnt(0)
	v_cmp_eq_f64_e32 vcc, 0, v[84:85]
	s_and_saveexec_b64 s[0:1], vcc
	s_xor_b64 s[0:1], exec, s[0:1]
; %bb.67:
	v_cmp_ne_u32_e32 vcc, 0, v92
	v_cndmask_b32_e32 v92, 5, v92, vcc
; %bb.68:
	s_andn2_saveexec_b64 s[0:1], s[0:1]
; %bb.69:
	v_div_scale_f64 v[94:95], s[2:3], v[84:85], v[84:85], 1.0
	v_rcp_f64_e32 v[96:97], v[94:95]
	v_div_scale_f64 v[98:99], vcc, 1.0, v[84:85], 1.0
	v_fma_f64 v[100:101], -v[94:95], v[96:97], 1.0
	v_fmac_f64_e32 v[96:97], v[96:97], v[100:101]
	v_fma_f64 v[100:101], -v[94:95], v[96:97], 1.0
	v_fmac_f64_e32 v[96:97], v[96:97], v[100:101]
	v_mul_f64 v[100:101], v[98:99], v[96:97]
	v_fma_f64 v[94:95], -v[94:95], v[100:101], v[98:99]
	v_div_fmas_f64 v[94:95], v[94:95], v[96:97], v[100:101]
	v_div_fixup_f64 v[84:85], v[94:95], v[84:85], 1.0
; %bb.70:
	s_or_b64 exec, exec, s[0:1]
	v_cmp_ne_u32_e32 vcc, v89, v86
	s_and_saveexec_b64 s[0:1], vcc
	s_xor_b64 s[0:1], exec, s[0:1]
	s_cbranch_execz .LBB78_76
; %bb.71:
	v_cmp_eq_u32_e32 vcc, 4, v89
	s_and_saveexec_b64 s[2:3], vcc
	s_cbranch_execz .LBB78_75
; %bb.72:
	v_cmp_ne_u32_e32 vcc, 4, v86
	s_xor_b64 s[14:15], s[6:7], -1
	s_and_b64 s[16:17], s[14:15], vcc
	s_and_saveexec_b64 s[14:15], s[16:17]
	s_cbranch_execz .LBB78_74
; %bb.73:
	v_ashrrev_i32_e32 v87, 31, v86
	v_lshlrev_b64 v[94:95], 2, v[86:87]
	v_add_co_u32_e32 v94, vcc, v4, v94
	v_addc_co_u32_e32 v95, vcc, v5, v95, vcc
	flat_load_dword v87, v[94:95]
	flat_load_dword v89, v[4:5] offset:16
	s_waitcnt vmcnt(0) lgkmcnt(0)
	flat_store_dword v[4:5], v87 offset:16
	flat_store_dword v[94:95], v89
.LBB78_74:
	s_or_b64 exec, exec, s[14:15]
	v_mov_b32_e32 v87, v86
	v_mov_b32_e32 v89, v86
.LBB78_75:
	s_or_b64 exec, exec, s[2:3]
.LBB78_76:
	s_andn2_saveexec_b64 s[0:1], s[0:1]
	s_cbranch_execz .LBB78_78
; %bb.77:
	v_mov_b32_e32 v89, 4
	ds_write2_b64 v88, v[70:71], v[68:69] offset0:5 offset1:6
	ds_write2_b64 v88, v[66:67], v[64:65] offset0:7 offset1:8
	;; [unrolled: 1-line block ×17, first 2 shown]
	ds_write_b64 v88, v[82:83] offset:312
.LBB78_78:
	s_or_b64 exec, exec, s[0:1]
	v_cmp_lt_i32_e32 vcc, 4, v89
	s_waitcnt lgkmcnt(0)
	s_barrier
	s_and_saveexec_b64 s[0:1], vcc
	s_cbranch_execz .LBB78_80
; %bb.79:
	ds_read2_b64 v[94:97], v88 offset0:5 offset1:6
	ds_read2_b64 v[98:101], v88 offset0:7 offset1:8
	v_mul_f64 v[72:73], v[84:85], v[72:73]
	ds_read2_b64 v[102:105], v88 offset0:9 offset1:10
	ds_read_b64 v[84:85], v88 offset:312
	s_waitcnt lgkmcnt(0)
	v_fma_f64 v[70:71], -v[72:73], v[94:95], v[70:71]
	v_fma_f64 v[68:69], -v[72:73], v[96:97], v[68:69]
	ds_read2_b64 v[94:97], v88 offset0:11 offset1:12
	v_fma_f64 v[66:67], -v[72:73], v[98:99], v[66:67]
	v_fma_f64 v[64:65], -v[72:73], v[100:101], v[64:65]
	ds_read2_b64 v[98:101], v88 offset0:13 offset1:14
	;; [unrolled: 3-line block ×3, first 2 shown]
	s_waitcnt lgkmcnt(0)
	v_fma_f64 v[58:59], -v[72:73], v[94:95], v[58:59]
	v_fma_f64 v[56:57], -v[72:73], v[96:97], v[56:57]
	;; [unrolled: 1-line block ×3, first 2 shown]
	ds_read2_b64 v[94:97], v88 offset0:17 offset1:18
	v_fma_f64 v[50:51], -v[72:73], v[100:101], v[50:51]
	ds_read2_b64 v[98:101], v88 offset0:19 offset1:20
	v_fma_f64 v[52:53], -v[72:73], v[102:103], v[52:53]
	v_fma_f64 v[48:49], -v[72:73], v[104:105], v[48:49]
	s_waitcnt lgkmcnt(0)
	v_fma_f64 v[46:47], -v[72:73], v[94:95], v[46:47]
	ds_read2_b64 v[102:105], v88 offset0:21 offset1:22
	v_fma_f64 v[44:45], -v[72:73], v[96:97], v[44:45]
	ds_read2_b64 v[94:97], v88 offset0:23 offset1:24
	v_fma_f64 v[42:43], -v[72:73], v[98:99], v[42:43]
	v_fma_f64 v[40:41], -v[72:73], v[100:101], v[40:41]
	ds_read2_b64 v[98:101], v88 offset0:25 offset1:26
	s_waitcnt lgkmcnt(0)
	v_fma_f64 v[38:39], -v[72:73], v[102:103], v[38:39]
	v_fma_f64 v[36:37], -v[72:73], v[104:105], v[36:37]
	ds_read2_b64 v[102:105], v88 offset0:27 offset1:28
	v_fma_f64 v[34:35], -v[72:73], v[94:95], v[34:35]
	v_fma_f64 v[32:33], -v[72:73], v[96:97], v[32:33]
	;; [unrolled: 1-line block ×3, first 2 shown]
	ds_read2_b64 v[94:97], v88 offset0:29 offset1:30
	v_fma_f64 v[28:29], -v[72:73], v[100:101], v[28:29]
	ds_read2_b64 v[98:101], v88 offset0:31 offset1:32
	s_waitcnt lgkmcnt(0)
	v_fma_f64 v[26:27], -v[72:73], v[102:103], v[26:27]
	v_fma_f64 v[24:25], -v[72:73], v[104:105], v[24:25]
	v_fma_f64 v[20:21], -v[72:73], v[94:95], v[20:21]
	ds_read2_b64 v[102:105], v88 offset0:33 offset1:34
	v_fma_f64 v[22:23], -v[72:73], v[96:97], v[22:23]
	ds_read2_b64 v[94:97], v88 offset0:35 offset1:36
	v_fma_f64 v[18:19], -v[72:73], v[98:99], v[18:19]
	v_fma_f64 v[16:17], -v[72:73], v[100:101], v[16:17]
	ds_read2_b64 v[98:101], v88 offset0:37 offset1:38
	s_waitcnt lgkmcnt(0)
	v_fma_f64 v[14:15], -v[72:73], v[102:103], v[14:15]
	v_fma_f64 v[12:13], -v[72:73], v[104:105], v[12:13]
	v_fma_f64 v[10:11], -v[72:73], v[94:95], v[10:11]
	v_fma_f64 v[8:9], -v[72:73], v[96:97], v[8:9]
	v_fma_f64 v[6:7], -v[72:73], v[98:99], v[6:7]
	v_fma_f64 v[0:1], -v[72:73], v[100:101], v[0:1]
	v_fma_f64 v[82:83], -v[72:73], v[84:85], v[82:83]
.LBB78_80:
	s_or_b64 exec, exec, s[0:1]
	v_lshl_add_u32 v84, v89, 3, v88
	s_barrier
	ds_write_b64 v84, v[70:71]
	s_waitcnt lgkmcnt(0)
	s_barrier
	ds_read_b64 v[84:85], v88 offset:40
	s_cmp_lt_i32 s18, 7
	v_mov_b32_e32 v86, 5
	s_cbranch_scc1 .LBB78_83
; %bb.81:
	v_add3_u32 v94, v93, 0, 48
	s_mov_b32 s0, 6
	v_mov_b32_e32 v86, 5
.LBB78_82:                              ; =>This Inner Loop Header: Depth=1
	ds_read_b64 v[96:97], v94
	v_mov_b32_e32 v95, s0
	s_add_i32 s0, s0, 1
	v_add_u32_e32 v94, 8, v94
	s_cmp_lg_u32 s18, s0
	s_waitcnt lgkmcnt(0)
	v_cmp_lt_f64_e64 vcc, |v[84:85]|, |v[96:97]|
	v_cndmask_b32_e32 v85, v85, v97, vcc
	v_cndmask_b32_e32 v84, v84, v96, vcc
	;; [unrolled: 1-line block ×3, first 2 shown]
	s_cbranch_scc1 .LBB78_82
.LBB78_83:
	s_waitcnt lgkmcnt(0)
	v_cmp_eq_f64_e32 vcc, 0, v[84:85]
	s_and_saveexec_b64 s[0:1], vcc
	s_xor_b64 s[0:1], exec, s[0:1]
; %bb.84:
	v_cmp_ne_u32_e32 vcc, 0, v92
	v_cndmask_b32_e32 v92, 6, v92, vcc
; %bb.85:
	s_andn2_saveexec_b64 s[0:1], s[0:1]
; %bb.86:
	v_div_scale_f64 v[94:95], s[2:3], v[84:85], v[84:85], 1.0
	v_rcp_f64_e32 v[96:97], v[94:95]
	v_div_scale_f64 v[98:99], vcc, 1.0, v[84:85], 1.0
	v_fma_f64 v[100:101], -v[94:95], v[96:97], 1.0
	v_fmac_f64_e32 v[96:97], v[96:97], v[100:101]
	v_fma_f64 v[100:101], -v[94:95], v[96:97], 1.0
	v_fmac_f64_e32 v[96:97], v[96:97], v[100:101]
	v_mul_f64 v[100:101], v[98:99], v[96:97]
	v_fma_f64 v[94:95], -v[94:95], v[100:101], v[98:99]
	v_div_fmas_f64 v[94:95], v[94:95], v[96:97], v[100:101]
	v_div_fixup_f64 v[84:85], v[94:95], v[84:85], 1.0
; %bb.87:
	s_or_b64 exec, exec, s[0:1]
	v_cmp_ne_u32_e32 vcc, v89, v86
	s_and_saveexec_b64 s[0:1], vcc
	s_xor_b64 s[0:1], exec, s[0:1]
	s_cbranch_execz .LBB78_93
; %bb.88:
	v_cmp_eq_u32_e32 vcc, 5, v89
	s_and_saveexec_b64 s[2:3], vcc
	s_cbranch_execz .LBB78_92
; %bb.89:
	v_cmp_ne_u32_e32 vcc, 5, v86
	s_xor_b64 s[14:15], s[6:7], -1
	s_and_b64 s[16:17], s[14:15], vcc
	s_and_saveexec_b64 s[14:15], s[16:17]
	s_cbranch_execz .LBB78_91
; %bb.90:
	v_ashrrev_i32_e32 v87, 31, v86
	v_lshlrev_b64 v[94:95], 2, v[86:87]
	v_add_co_u32_e32 v94, vcc, v4, v94
	v_addc_co_u32_e32 v95, vcc, v5, v95, vcc
	flat_load_dword v87, v[94:95]
	flat_load_dword v89, v[4:5] offset:20
	s_waitcnt vmcnt(0) lgkmcnt(0)
	flat_store_dword v[4:5], v87 offset:20
	flat_store_dword v[94:95], v89
.LBB78_91:
	s_or_b64 exec, exec, s[14:15]
	v_mov_b32_e32 v87, v86
	v_mov_b32_e32 v89, v86
.LBB78_92:
	s_or_b64 exec, exec, s[2:3]
.LBB78_93:
	s_andn2_saveexec_b64 s[0:1], s[0:1]
	s_cbranch_execz .LBB78_95
; %bb.94:
	v_mov_b32_e32 v94, v68
	v_mov_b32_e32 v95, v69
	v_mov_b32_e32 v96, v66
	v_mov_b32_e32 v97, v67
	ds_write2_b64 v88, v[94:95], v[96:97] offset0:6 offset1:7
	v_mov_b32_e32 v94, v64
	v_mov_b32_e32 v95, v65
	v_mov_b32_e32 v96, v62
	v_mov_b32_e32 v97, v63
	ds_write2_b64 v88, v[94:95], v[96:97] offset0:8 offset1:9
	;; [unrolled: 5-line block ×16, first 2 shown]
	v_mov_b32_e32 v94, v0
	v_mov_b32_e32 v95, v1
	v_mov_b32_e32 v89, 5
	ds_write2_b64 v88, v[94:95], v[82:83] offset0:38 offset1:39
.LBB78_95:
	s_or_b64 exec, exec, s[0:1]
	v_cmp_lt_i32_e32 vcc, 5, v89
	s_waitcnt lgkmcnt(0)
	s_barrier
	s_and_saveexec_b64 s[0:1], vcc
	s_cbranch_execz .LBB78_97
; %bb.96:
	ds_read2_b64 v[94:97], v88 offset0:6 offset1:7
	ds_read2_b64 v[98:101], v88 offset0:8 offset1:9
	v_mul_f64 v[70:71], v[84:85], v[70:71]
	ds_read2_b64 v[102:105], v88 offset0:10 offset1:11
	s_waitcnt lgkmcnt(0)
	v_fma_f64 v[68:69], -v[70:71], v[94:95], v[68:69]
	v_fma_f64 v[66:67], -v[70:71], v[96:97], v[66:67]
	ds_read2_b64 v[94:97], v88 offset0:12 offset1:13
	v_fma_f64 v[64:65], -v[70:71], v[98:99], v[64:65]
	v_fma_f64 v[62:63], -v[70:71], v[100:101], v[62:63]
	ds_read2_b64 v[98:101], v88 offset0:14 offset1:15
	;; [unrolled: 3-line block ×3, first 2 shown]
	s_waitcnt lgkmcnt(0)
	v_fma_f64 v[56:57], -v[70:71], v[94:95], v[56:57]
	v_fma_f64 v[54:55], -v[70:71], v[96:97], v[54:55]
	;; [unrolled: 1-line block ×3, first 2 shown]
	ds_read2_b64 v[94:97], v88 offset0:18 offset1:19
	v_fma_f64 v[52:53], -v[70:71], v[100:101], v[52:53]
	ds_read2_b64 v[98:101], v88 offset0:20 offset1:21
	v_fma_f64 v[48:49], -v[70:71], v[102:103], v[48:49]
	v_fma_f64 v[46:47], -v[70:71], v[104:105], v[46:47]
	s_waitcnt lgkmcnt(0)
	v_fma_f64 v[44:45], -v[70:71], v[94:95], v[44:45]
	ds_read2_b64 v[102:105], v88 offset0:22 offset1:23
	v_fma_f64 v[42:43], -v[70:71], v[96:97], v[42:43]
	ds_read2_b64 v[94:97], v88 offset0:24 offset1:25
	v_fma_f64 v[40:41], -v[70:71], v[98:99], v[40:41]
	v_fma_f64 v[38:39], -v[70:71], v[100:101], v[38:39]
	ds_read2_b64 v[98:101], v88 offset0:26 offset1:27
	s_waitcnt lgkmcnt(0)
	v_fma_f64 v[36:37], -v[70:71], v[102:103], v[36:37]
	v_fma_f64 v[34:35], -v[70:71], v[104:105], v[34:35]
	ds_read2_b64 v[102:105], v88 offset0:28 offset1:29
	v_fma_f64 v[32:33], -v[70:71], v[94:95], v[32:33]
	v_fma_f64 v[30:31], -v[70:71], v[96:97], v[30:31]
	;; [unrolled: 1-line block ×3, first 2 shown]
	ds_read2_b64 v[94:97], v88 offset0:30 offset1:31
	v_fma_f64 v[26:27], -v[70:71], v[100:101], v[26:27]
	ds_read2_b64 v[98:101], v88 offset0:32 offset1:33
	s_waitcnt lgkmcnt(0)
	v_fma_f64 v[24:25], -v[70:71], v[102:103], v[24:25]
	v_fma_f64 v[20:21], -v[70:71], v[104:105], v[20:21]
	;; [unrolled: 1-line block ×4, first 2 shown]
	ds_read2_b64 v[94:97], v88 offset0:34 offset1:35
	ds_read2_b64 v[102:105], v88 offset0:36 offset1:37
	v_fma_f64 v[16:17], -v[70:71], v[98:99], v[16:17]
	v_fma_f64 v[14:15], -v[70:71], v[100:101], v[14:15]
	ds_read2_b64 v[98:101], v88 offset0:38 offset1:39
	s_waitcnt lgkmcnt(0)
	v_fma_f64 v[12:13], -v[70:71], v[94:95], v[12:13]
	v_fma_f64 v[10:11], -v[70:71], v[96:97], v[10:11]
	;; [unrolled: 1-line block ×6, first 2 shown]
.LBB78_97:
	s_or_b64 exec, exec, s[0:1]
	v_lshl_add_u32 v84, v89, 3, v88
	s_barrier
	ds_write_b64 v84, v[68:69]
	s_waitcnt lgkmcnt(0)
	s_barrier
	ds_read_b64 v[84:85], v88 offset:48
	s_cmp_lt_i32 s18, 8
	v_mov_b32_e32 v86, 6
	s_cbranch_scc1 .LBB78_100
; %bb.98:
	v_add3_u32 v94, v93, 0, 56
	s_mov_b32 s0, 7
	v_mov_b32_e32 v86, 6
.LBB78_99:                              ; =>This Inner Loop Header: Depth=1
	ds_read_b64 v[96:97], v94
	v_mov_b32_e32 v95, s0
	s_add_i32 s0, s0, 1
	v_add_u32_e32 v94, 8, v94
	s_cmp_lg_u32 s18, s0
	s_waitcnt lgkmcnt(0)
	v_cmp_lt_f64_e64 vcc, |v[84:85]|, |v[96:97]|
	v_cndmask_b32_e32 v85, v85, v97, vcc
	v_cndmask_b32_e32 v84, v84, v96, vcc
	;; [unrolled: 1-line block ×3, first 2 shown]
	s_cbranch_scc1 .LBB78_99
.LBB78_100:
	s_waitcnt lgkmcnt(0)
	v_cmp_eq_f64_e32 vcc, 0, v[84:85]
	s_and_saveexec_b64 s[0:1], vcc
	s_xor_b64 s[0:1], exec, s[0:1]
; %bb.101:
	v_cmp_ne_u32_e32 vcc, 0, v92
	v_cndmask_b32_e32 v92, 7, v92, vcc
; %bb.102:
	s_andn2_saveexec_b64 s[0:1], s[0:1]
; %bb.103:
	v_div_scale_f64 v[94:95], s[2:3], v[84:85], v[84:85], 1.0
	v_rcp_f64_e32 v[96:97], v[94:95]
	v_div_scale_f64 v[98:99], vcc, 1.0, v[84:85], 1.0
	v_fma_f64 v[100:101], -v[94:95], v[96:97], 1.0
	v_fmac_f64_e32 v[96:97], v[96:97], v[100:101]
	v_fma_f64 v[100:101], -v[94:95], v[96:97], 1.0
	v_fmac_f64_e32 v[96:97], v[96:97], v[100:101]
	v_mul_f64 v[100:101], v[98:99], v[96:97]
	v_fma_f64 v[94:95], -v[94:95], v[100:101], v[98:99]
	v_div_fmas_f64 v[94:95], v[94:95], v[96:97], v[100:101]
	v_div_fixup_f64 v[84:85], v[94:95], v[84:85], 1.0
; %bb.104:
	s_or_b64 exec, exec, s[0:1]
	v_cmp_ne_u32_e32 vcc, v89, v86
	s_and_saveexec_b64 s[0:1], vcc
	s_xor_b64 s[0:1], exec, s[0:1]
	s_cbranch_execz .LBB78_110
; %bb.105:
	v_cmp_eq_u32_e32 vcc, 6, v89
	s_and_saveexec_b64 s[2:3], vcc
	s_cbranch_execz .LBB78_109
; %bb.106:
	v_cmp_ne_u32_e32 vcc, 6, v86
	s_xor_b64 s[14:15], s[6:7], -1
	s_and_b64 s[16:17], s[14:15], vcc
	s_and_saveexec_b64 s[14:15], s[16:17]
	s_cbranch_execz .LBB78_108
; %bb.107:
	v_ashrrev_i32_e32 v87, 31, v86
	v_lshlrev_b64 v[94:95], 2, v[86:87]
	v_add_co_u32_e32 v94, vcc, v4, v94
	v_addc_co_u32_e32 v95, vcc, v5, v95, vcc
	flat_load_dword v87, v[94:95]
	flat_load_dword v89, v[4:5] offset:24
	s_waitcnt vmcnt(0) lgkmcnt(0)
	flat_store_dword v[4:5], v87 offset:24
	flat_store_dword v[94:95], v89
.LBB78_108:
	s_or_b64 exec, exec, s[14:15]
	v_mov_b32_e32 v87, v86
	v_mov_b32_e32 v89, v86
.LBB78_109:
	s_or_b64 exec, exec, s[2:3]
.LBB78_110:
	s_andn2_saveexec_b64 s[0:1], s[0:1]
	s_cbranch_execz .LBB78_112
; %bb.111:
	v_mov_b32_e32 v89, 6
	ds_write2_b64 v88, v[66:67], v[64:65] offset0:7 offset1:8
	ds_write2_b64 v88, v[62:63], v[60:61] offset0:9 offset1:10
	ds_write2_b64 v88, v[58:59], v[56:57] offset0:11 offset1:12
	ds_write2_b64 v88, v[54:55], v[50:51] offset0:13 offset1:14
	ds_write2_b64 v88, v[52:53], v[48:49] offset0:15 offset1:16
	ds_write2_b64 v88, v[46:47], v[44:45] offset0:17 offset1:18
	ds_write2_b64 v88, v[42:43], v[40:41] offset0:19 offset1:20
	ds_write2_b64 v88, v[38:39], v[36:37] offset0:21 offset1:22
	ds_write2_b64 v88, v[34:35], v[32:33] offset0:23 offset1:24
	ds_write2_b64 v88, v[30:31], v[28:29] offset0:25 offset1:26
	ds_write2_b64 v88, v[26:27], v[24:25] offset0:27 offset1:28
	ds_write2_b64 v88, v[20:21], v[22:23] offset0:29 offset1:30
	ds_write2_b64 v88, v[18:19], v[16:17] offset0:31 offset1:32
	ds_write2_b64 v88, v[14:15], v[12:13] offset0:33 offset1:34
	ds_write2_b64 v88, v[10:11], v[8:9] offset0:35 offset1:36
	ds_write2_b64 v88, v[6:7], v[0:1] offset0:37 offset1:38
	ds_write_b64 v88, v[82:83] offset:312
.LBB78_112:
	s_or_b64 exec, exec, s[0:1]
	v_cmp_lt_i32_e32 vcc, 6, v89
	s_waitcnt lgkmcnt(0)
	s_barrier
	s_and_saveexec_b64 s[0:1], vcc
	s_cbranch_execz .LBB78_114
; %bb.113:
	ds_read2_b64 v[94:97], v88 offset0:7 offset1:8
	ds_read2_b64 v[98:101], v88 offset0:9 offset1:10
	v_mul_f64 v[68:69], v[84:85], v[68:69]
	ds_read2_b64 v[102:105], v88 offset0:11 offset1:12
	ds_read_b64 v[84:85], v88 offset:312
	s_waitcnt lgkmcnt(0)
	v_fma_f64 v[66:67], -v[68:69], v[94:95], v[66:67]
	v_fma_f64 v[64:65], -v[68:69], v[96:97], v[64:65]
	ds_read2_b64 v[94:97], v88 offset0:13 offset1:14
	v_fma_f64 v[62:63], -v[68:69], v[98:99], v[62:63]
	v_fma_f64 v[60:61], -v[68:69], v[100:101], v[60:61]
	;; [unrolled: 1-line block ×3, first 2 shown]
	ds_read2_b64 v[98:101], v88 offset0:15 offset1:16
	v_fma_f64 v[56:57], -v[68:69], v[104:105], v[56:57]
	ds_read2_b64 v[102:105], v88 offset0:17 offset1:18
	s_waitcnt lgkmcnt(0)
	v_fma_f64 v[54:55], -v[68:69], v[94:95], v[54:55]
	v_fma_f64 v[50:51], -v[68:69], v[96:97], v[50:51]
	ds_read2_b64 v[94:97], v88 offset0:19 offset1:20
	v_fma_f64 v[52:53], -v[68:69], v[98:99], v[52:53]
	v_fma_f64 v[48:49], -v[68:69], v[100:101], v[48:49]
	ds_read2_b64 v[98:101], v88 offset0:21 offset1:22
	v_fma_f64 v[46:47], -v[68:69], v[102:103], v[46:47]
	v_fma_f64 v[44:45], -v[68:69], v[104:105], v[44:45]
	s_waitcnt lgkmcnt(0)
	v_fma_f64 v[42:43], -v[68:69], v[94:95], v[42:43]
	ds_read2_b64 v[102:105], v88 offset0:23 offset1:24
	v_fma_f64 v[40:41], -v[68:69], v[96:97], v[40:41]
	ds_read2_b64 v[94:97], v88 offset0:25 offset1:26
	v_fma_f64 v[38:39], -v[68:69], v[98:99], v[38:39]
	v_fma_f64 v[36:37], -v[68:69], v[100:101], v[36:37]
	s_waitcnt lgkmcnt(0)
	v_fma_f64 v[34:35], -v[68:69], v[102:103], v[34:35]
	ds_read2_b64 v[98:101], v88 offset0:27 offset1:28
	v_fma_f64 v[32:33], -v[68:69], v[104:105], v[32:33]
	ds_read2_b64 v[102:105], v88 offset0:29 offset1:30
	v_fma_f64 v[30:31], -v[68:69], v[94:95], v[30:31]
	v_fma_f64 v[28:29], -v[68:69], v[96:97], v[28:29]
	ds_read2_b64 v[94:97], v88 offset0:31 offset1:32
	s_waitcnt lgkmcnt(0)
	v_fma_f64 v[26:27], -v[68:69], v[98:99], v[26:27]
	v_fma_f64 v[24:25], -v[68:69], v[100:101], v[24:25]
	ds_read2_b64 v[98:101], v88 offset0:33 offset1:34
	v_fma_f64 v[20:21], -v[68:69], v[102:103], v[20:21]
	v_fma_f64 v[22:23], -v[68:69], v[104:105], v[22:23]
	;; [unrolled: 1-line block ×4, first 2 shown]
	ds_read2_b64 v[94:97], v88 offset0:35 offset1:36
	ds_read2_b64 v[102:105], v88 offset0:37 offset1:38
	s_waitcnt lgkmcnt(0)
	v_fma_f64 v[14:15], -v[68:69], v[98:99], v[14:15]
	v_fma_f64 v[12:13], -v[68:69], v[100:101], v[12:13]
	;; [unrolled: 1-line block ×7, first 2 shown]
.LBB78_114:
	s_or_b64 exec, exec, s[0:1]
	v_lshl_add_u32 v84, v89, 3, v88
	s_barrier
	ds_write_b64 v84, v[66:67]
	s_waitcnt lgkmcnt(0)
	s_barrier
	ds_read_b64 v[84:85], v88 offset:56
	s_cmp_lt_i32 s18, 9
	v_mov_b32_e32 v86, 7
	s_cbranch_scc1 .LBB78_117
; %bb.115:
	v_add3_u32 v93, v93, 0, 64
	s_mov_b32 s0, 8
	v_mov_b32_e32 v86, 7
.LBB78_116:                             ; =>This Inner Loop Header: Depth=1
	ds_read_b64 v[94:95], v93
	v_mov_b32_e32 v96, s0
	s_add_i32 s0, s0, 1
	v_add_u32_e32 v93, 8, v93
	s_cmp_lg_u32 s18, s0
	s_waitcnt lgkmcnt(0)
	v_cmp_lt_f64_e64 vcc, |v[84:85]|, |v[94:95]|
	v_cndmask_b32_e32 v85, v85, v95, vcc
	v_cndmask_b32_e32 v84, v84, v94, vcc
	;; [unrolled: 1-line block ×3, first 2 shown]
	s_cbranch_scc1 .LBB78_116
.LBB78_117:
	s_waitcnt lgkmcnt(0)
	v_cmp_eq_f64_e32 vcc, 0, v[84:85]
	s_and_saveexec_b64 s[0:1], vcc
	s_xor_b64 s[0:1], exec, s[0:1]
; %bb.118:
	v_cmp_ne_u32_e32 vcc, 0, v92
	v_cndmask_b32_e32 v92, 8, v92, vcc
; %bb.119:
	s_andn2_saveexec_b64 s[0:1], s[0:1]
; %bb.120:
	v_div_scale_f64 v[94:95], s[2:3], v[84:85], v[84:85], 1.0
	v_rcp_f64_e32 v[96:97], v[94:95]
	v_div_scale_f64 v[98:99], vcc, 1.0, v[84:85], 1.0
	v_fma_f64 v[100:101], -v[94:95], v[96:97], 1.0
	v_fmac_f64_e32 v[96:97], v[96:97], v[100:101]
	v_fma_f64 v[100:101], -v[94:95], v[96:97], 1.0
	v_fmac_f64_e32 v[96:97], v[96:97], v[100:101]
	v_mul_f64 v[100:101], v[98:99], v[96:97]
	v_fma_f64 v[94:95], -v[94:95], v[100:101], v[98:99]
	v_div_fmas_f64 v[94:95], v[94:95], v[96:97], v[100:101]
	v_div_fixup_f64 v[84:85], v[94:95], v[84:85], 1.0
; %bb.121:
	s_or_b64 exec, exec, s[0:1]
	v_cmp_ne_u32_e32 vcc, v89, v86
	s_and_saveexec_b64 s[0:1], vcc
	s_xor_b64 s[0:1], exec, s[0:1]
	s_cbranch_execz .LBB78_127
; %bb.122:
	v_cmp_eq_u32_e32 vcc, 7, v89
	s_and_saveexec_b64 s[2:3], vcc
	s_cbranch_execz .LBB78_126
; %bb.123:
	v_cmp_ne_u32_e32 vcc, 7, v86
	s_xor_b64 s[14:15], s[6:7], -1
	s_and_b64 s[16:17], s[14:15], vcc
	s_and_saveexec_b64 s[14:15], s[16:17]
	s_cbranch_execz .LBB78_125
; %bb.124:
	v_ashrrev_i32_e32 v87, 31, v86
	v_lshlrev_b64 v[94:95], 2, v[86:87]
	v_add_co_u32_e32 v94, vcc, v4, v94
	v_addc_co_u32_e32 v95, vcc, v5, v95, vcc
	flat_load_dword v87, v[94:95]
	flat_load_dword v89, v[4:5] offset:28
	s_waitcnt vmcnt(0) lgkmcnt(0)
	flat_store_dword v[4:5], v87 offset:28
	flat_store_dword v[94:95], v89
.LBB78_125:
	s_or_b64 exec, exec, s[14:15]
	v_mov_b32_e32 v87, v86
	v_mov_b32_e32 v89, v86
.LBB78_126:
	s_or_b64 exec, exec, s[2:3]
.LBB78_127:
	s_andn2_saveexec_b64 s[0:1], s[0:1]
	s_cbranch_execz .LBB78_129
; %bb.128:
	v_mov_b32_e32 v94, v64
	v_mov_b32_e32 v95, v65
	v_mov_b32_e32 v96, v62
	v_mov_b32_e32 v97, v63
	ds_write2_b64 v88, v[94:95], v[96:97] offset0:8 offset1:9
	v_mov_b32_e32 v94, v60
	v_mov_b32_e32 v95, v61
	v_mov_b32_e32 v96, v58
	v_mov_b32_e32 v97, v59
	ds_write2_b64 v88, v[94:95], v[96:97] offset0:10 offset1:11
	;; [unrolled: 5-line block ×15, first 2 shown]
	v_mov_b32_e32 v94, v0
	v_mov_b32_e32 v95, v1
	;; [unrolled: 1-line block ×3, first 2 shown]
	ds_write2_b64 v88, v[94:95], v[82:83] offset0:38 offset1:39
.LBB78_129:
	s_or_b64 exec, exec, s[0:1]
	v_cmp_lt_i32_e32 vcc, 7, v89
	s_waitcnt lgkmcnt(0)
	s_barrier
	s_and_saveexec_b64 s[0:1], vcc
	s_cbranch_execz .LBB78_131
; %bb.130:
	ds_read2_b64 v[94:97], v88 offset0:8 offset1:9
	ds_read2_b64 v[98:101], v88 offset0:10 offset1:11
	v_mul_f64 v[66:67], v[84:85], v[66:67]
	ds_read2_b64 v[102:105], v88 offset0:12 offset1:13
	s_waitcnt lgkmcnt(0)
	v_fma_f64 v[64:65], -v[66:67], v[94:95], v[64:65]
	v_fma_f64 v[62:63], -v[66:67], v[96:97], v[62:63]
	ds_read2_b64 v[94:97], v88 offset0:14 offset1:15
	v_fma_f64 v[60:61], -v[66:67], v[98:99], v[60:61]
	v_fma_f64 v[58:59], -v[66:67], v[100:101], v[58:59]
	;; [unrolled: 1-line block ×3, first 2 shown]
	ds_read2_b64 v[98:101], v88 offset0:16 offset1:17
	v_fma_f64 v[54:55], -v[66:67], v[104:105], v[54:55]
	ds_read2_b64 v[102:105], v88 offset0:18 offset1:19
	s_waitcnt lgkmcnt(0)
	v_fma_f64 v[50:51], -v[66:67], v[94:95], v[50:51]
	v_fma_f64 v[52:53], -v[66:67], v[96:97], v[52:53]
	ds_read2_b64 v[94:97], v88 offset0:20 offset1:21
	v_fma_f64 v[48:49], -v[66:67], v[98:99], v[48:49]
	v_fma_f64 v[46:47], -v[66:67], v[100:101], v[46:47]
	ds_read2_b64 v[98:101], v88 offset0:22 offset1:23
	v_fma_f64 v[44:45], -v[66:67], v[102:103], v[44:45]
	v_fma_f64 v[42:43], -v[66:67], v[104:105], v[42:43]
	s_waitcnt lgkmcnt(0)
	v_fma_f64 v[40:41], -v[66:67], v[94:95], v[40:41]
	ds_read2_b64 v[102:105], v88 offset0:24 offset1:25
	v_fma_f64 v[38:39], -v[66:67], v[96:97], v[38:39]
	ds_read2_b64 v[94:97], v88 offset0:26 offset1:27
	v_fma_f64 v[36:37], -v[66:67], v[98:99], v[36:37]
	v_fma_f64 v[34:35], -v[66:67], v[100:101], v[34:35]
	s_waitcnt lgkmcnt(0)
	v_fma_f64 v[32:33], -v[66:67], v[102:103], v[32:33]
	ds_read2_b64 v[98:101], v88 offset0:28 offset1:29
	v_fma_f64 v[30:31], -v[66:67], v[104:105], v[30:31]
	ds_read2_b64 v[102:105], v88 offset0:30 offset1:31
	v_fma_f64 v[28:29], -v[66:67], v[94:95], v[28:29]
	v_fma_f64 v[26:27], -v[66:67], v[96:97], v[26:27]
	ds_read2_b64 v[94:97], v88 offset0:32 offset1:33
	s_waitcnt lgkmcnt(0)
	v_fma_f64 v[24:25], -v[66:67], v[98:99], v[24:25]
	v_fma_f64 v[20:21], -v[66:67], v[100:101], v[20:21]
	ds_read2_b64 v[98:101], v88 offset0:34 offset1:35
	v_fma_f64 v[22:23], -v[66:67], v[102:103], v[22:23]
	v_fma_f64 v[18:19], -v[66:67], v[104:105], v[18:19]
	v_fma_f64 v[16:17], -v[66:67], v[94:95], v[16:17]
	ds_read2_b64 v[102:105], v88 offset0:36 offset1:37
	v_fma_f64 v[14:15], -v[66:67], v[96:97], v[14:15]
	ds_read2_b64 v[94:97], v88 offset0:38 offset1:39
	s_waitcnt lgkmcnt(0)
	v_fma_f64 v[12:13], -v[66:67], v[98:99], v[12:13]
	v_fma_f64 v[10:11], -v[66:67], v[100:101], v[10:11]
	;; [unrolled: 1-line block ×6, first 2 shown]
.LBB78_131:
	s_or_b64 exec, exec, s[0:1]
	v_lshl_add_u32 v84, v89, 3, v88
	s_barrier
	ds_write_b64 v84, v[64:65]
	s_waitcnt lgkmcnt(0)
	s_barrier
	ds_read_b64 v[84:85], v88 offset:64
	s_cmp_lt_i32 s18, 10
	v_mov_b32_e32 v86, 8
	s_cbranch_scc1 .LBB78_134
; %bb.132:
	v_add_u32_e32 v93, 0x48, v88
	s_mov_b32 s0, 9
	v_mov_b32_e32 v86, 8
.LBB78_133:                             ; =>This Inner Loop Header: Depth=1
	ds_read_b64 v[94:95], v93
	v_mov_b32_e32 v96, s0
	s_add_i32 s0, s0, 1
	v_add_u32_e32 v93, 8, v93
	s_cmp_lg_u32 s18, s0
	s_waitcnt lgkmcnt(0)
	v_cmp_lt_f64_e64 vcc, |v[84:85]|, |v[94:95]|
	v_cndmask_b32_e32 v85, v85, v95, vcc
	v_cndmask_b32_e32 v84, v84, v94, vcc
	;; [unrolled: 1-line block ×3, first 2 shown]
	s_cbranch_scc1 .LBB78_133
.LBB78_134:
	s_waitcnt lgkmcnt(0)
	v_cmp_eq_f64_e32 vcc, 0, v[84:85]
	s_and_saveexec_b64 s[0:1], vcc
	s_xor_b64 s[0:1], exec, s[0:1]
; %bb.135:
	v_cmp_ne_u32_e32 vcc, 0, v92
	v_cndmask_b32_e32 v92, 9, v92, vcc
; %bb.136:
	s_andn2_saveexec_b64 s[0:1], s[0:1]
; %bb.137:
	v_div_scale_f64 v[94:95], s[2:3], v[84:85], v[84:85], 1.0
	v_rcp_f64_e32 v[96:97], v[94:95]
	v_div_scale_f64 v[98:99], vcc, 1.0, v[84:85], 1.0
	v_fma_f64 v[100:101], -v[94:95], v[96:97], 1.0
	v_fmac_f64_e32 v[96:97], v[96:97], v[100:101]
	v_fma_f64 v[100:101], -v[94:95], v[96:97], 1.0
	v_fmac_f64_e32 v[96:97], v[96:97], v[100:101]
	v_mul_f64 v[100:101], v[98:99], v[96:97]
	v_fma_f64 v[94:95], -v[94:95], v[100:101], v[98:99]
	v_div_fmas_f64 v[94:95], v[94:95], v[96:97], v[100:101]
	v_div_fixup_f64 v[84:85], v[94:95], v[84:85], 1.0
; %bb.138:
	s_or_b64 exec, exec, s[0:1]
	v_cmp_ne_u32_e32 vcc, v89, v86
	s_and_saveexec_b64 s[0:1], vcc
	s_xor_b64 s[0:1], exec, s[0:1]
	s_cbranch_execz .LBB78_144
; %bb.139:
	v_cmp_eq_u32_e32 vcc, 8, v89
	s_and_saveexec_b64 s[2:3], vcc
	s_cbranch_execz .LBB78_143
; %bb.140:
	v_cmp_ne_u32_e32 vcc, 8, v86
	s_xor_b64 s[14:15], s[6:7], -1
	s_and_b64 s[16:17], s[14:15], vcc
	s_and_saveexec_b64 s[14:15], s[16:17]
	s_cbranch_execz .LBB78_142
; %bb.141:
	v_ashrrev_i32_e32 v87, 31, v86
	v_lshlrev_b64 v[94:95], 2, v[86:87]
	v_add_co_u32_e32 v94, vcc, v4, v94
	v_addc_co_u32_e32 v95, vcc, v5, v95, vcc
	flat_load_dword v87, v[94:95]
	flat_load_dword v89, v[4:5] offset:32
	s_waitcnt vmcnt(0) lgkmcnt(0)
	flat_store_dword v[4:5], v87 offset:32
	flat_store_dword v[94:95], v89
.LBB78_142:
	s_or_b64 exec, exec, s[14:15]
	v_mov_b32_e32 v87, v86
	v_mov_b32_e32 v89, v86
.LBB78_143:
	s_or_b64 exec, exec, s[2:3]
.LBB78_144:
	s_andn2_saveexec_b64 s[0:1], s[0:1]
	s_cbranch_execz .LBB78_146
; %bb.145:
	v_mov_b32_e32 v89, 8
	ds_write2_b64 v88, v[62:63], v[60:61] offset0:9 offset1:10
	ds_write2_b64 v88, v[58:59], v[56:57] offset0:11 offset1:12
	;; [unrolled: 1-line block ×15, first 2 shown]
	ds_write_b64 v88, v[82:83] offset:312
.LBB78_146:
	s_or_b64 exec, exec, s[0:1]
	v_cmp_lt_i32_e32 vcc, 8, v89
	s_waitcnt lgkmcnt(0)
	s_barrier
	s_and_saveexec_b64 s[0:1], vcc
	s_cbranch_execz .LBB78_148
; %bb.147:
	ds_read2_b64 v[94:97], v88 offset0:9 offset1:10
	ds_read2_b64 v[98:101], v88 offset0:11 offset1:12
	;; [unrolled: 1-line block ×3, first 2 shown]
	v_mul_f64 v[64:65], v[84:85], v[64:65]
	ds_read_b64 v[84:85], v88 offset:312
	s_waitcnt lgkmcnt(0)
	v_fma_f64 v[62:63], -v[64:65], v[94:95], v[62:63]
	v_fma_f64 v[60:61], -v[64:65], v[96:97], v[60:61]
	ds_read2_b64 v[94:97], v88 offset0:15 offset1:16
	v_fma_f64 v[58:59], -v[64:65], v[98:99], v[58:59]
	v_fma_f64 v[56:57], -v[64:65], v[100:101], v[56:57]
	;; [unrolled: 1-line block ×3, first 2 shown]
	ds_read2_b64 v[98:101], v88 offset0:17 offset1:18
	v_fma_f64 v[50:51], -v[64:65], v[104:105], v[50:51]
	ds_read2_b64 v[102:105], v88 offset0:19 offset1:20
	s_waitcnt lgkmcnt(0)
	v_fma_f64 v[52:53], -v[64:65], v[94:95], v[52:53]
	v_fma_f64 v[48:49], -v[64:65], v[96:97], v[48:49]
	;; [unrolled: 1-line block ×3, first 2 shown]
	ds_read2_b64 v[94:97], v88 offset0:21 offset1:22
	v_fma_f64 v[44:45], -v[64:65], v[100:101], v[44:45]
	ds_read2_b64 v[98:101], v88 offset0:23 offset1:24
	v_fma_f64 v[42:43], -v[64:65], v[102:103], v[42:43]
	v_fma_f64 v[40:41], -v[64:65], v[104:105], v[40:41]
	ds_read2_b64 v[102:105], v88 offset0:25 offset1:26
	s_waitcnt lgkmcnt(0)
	v_fma_f64 v[38:39], -v[64:65], v[94:95], v[38:39]
	v_fma_f64 v[36:37], -v[64:65], v[96:97], v[36:37]
	ds_read2_b64 v[94:97], v88 offset0:27 offset1:28
	v_fma_f64 v[34:35], -v[64:65], v[98:99], v[34:35]
	v_fma_f64 v[32:33], -v[64:65], v[100:101], v[32:33]
	;; [unrolled: 1-line block ×3, first 2 shown]
	ds_read2_b64 v[98:101], v88 offset0:29 offset1:30
	v_fma_f64 v[28:29], -v[64:65], v[104:105], v[28:29]
	ds_read2_b64 v[102:105], v88 offset0:31 offset1:32
	s_waitcnt lgkmcnt(0)
	v_fma_f64 v[26:27], -v[64:65], v[94:95], v[26:27]
	v_fma_f64 v[24:25], -v[64:65], v[96:97], v[24:25]
	;; [unrolled: 1-line block ×3, first 2 shown]
	ds_read2_b64 v[94:97], v88 offset0:33 offset1:34
	v_fma_f64 v[22:23], -v[64:65], v[100:101], v[22:23]
	ds_read2_b64 v[98:101], v88 offset0:35 offset1:36
	v_fma_f64 v[18:19], -v[64:65], v[102:103], v[18:19]
	v_fma_f64 v[16:17], -v[64:65], v[104:105], v[16:17]
	ds_read2_b64 v[102:105], v88 offset0:37 offset1:38
	s_waitcnt lgkmcnt(0)
	v_fma_f64 v[14:15], -v[64:65], v[94:95], v[14:15]
	v_fma_f64 v[12:13], -v[64:65], v[96:97], v[12:13]
	;; [unrolled: 1-line block ×7, first 2 shown]
.LBB78_148:
	s_or_b64 exec, exec, s[0:1]
	v_lshl_add_u32 v84, v89, 3, v88
	s_barrier
	ds_write_b64 v84, v[62:63]
	s_waitcnt lgkmcnt(0)
	s_barrier
	ds_read_b64 v[84:85], v88 offset:72
	s_cmp_lt_i32 s18, 11
	v_mov_b32_e32 v86, 9
	s_cbranch_scc1 .LBB78_151
; %bb.149:
	v_add_u32_e32 v93, 0x50, v88
	s_mov_b32 s0, 10
	v_mov_b32_e32 v86, 9
.LBB78_150:                             ; =>This Inner Loop Header: Depth=1
	ds_read_b64 v[94:95], v93
	v_mov_b32_e32 v96, s0
	s_add_i32 s0, s0, 1
	v_add_u32_e32 v93, 8, v93
	s_cmp_lg_u32 s18, s0
	s_waitcnt lgkmcnt(0)
	v_cmp_lt_f64_e64 vcc, |v[84:85]|, |v[94:95]|
	v_cndmask_b32_e32 v85, v85, v95, vcc
	v_cndmask_b32_e32 v84, v84, v94, vcc
	;; [unrolled: 1-line block ×3, first 2 shown]
	s_cbranch_scc1 .LBB78_150
.LBB78_151:
	s_waitcnt lgkmcnt(0)
	v_cmp_eq_f64_e32 vcc, 0, v[84:85]
	s_and_saveexec_b64 s[0:1], vcc
	s_xor_b64 s[0:1], exec, s[0:1]
; %bb.152:
	v_cmp_ne_u32_e32 vcc, 0, v92
	v_cndmask_b32_e32 v92, 10, v92, vcc
; %bb.153:
	s_andn2_saveexec_b64 s[0:1], s[0:1]
; %bb.154:
	v_div_scale_f64 v[94:95], s[2:3], v[84:85], v[84:85], 1.0
	v_rcp_f64_e32 v[96:97], v[94:95]
	v_div_scale_f64 v[98:99], vcc, 1.0, v[84:85], 1.0
	v_fma_f64 v[100:101], -v[94:95], v[96:97], 1.0
	v_fmac_f64_e32 v[96:97], v[96:97], v[100:101]
	v_fma_f64 v[100:101], -v[94:95], v[96:97], 1.0
	v_fmac_f64_e32 v[96:97], v[96:97], v[100:101]
	v_mul_f64 v[100:101], v[98:99], v[96:97]
	v_fma_f64 v[94:95], -v[94:95], v[100:101], v[98:99]
	v_div_fmas_f64 v[94:95], v[94:95], v[96:97], v[100:101]
	v_div_fixup_f64 v[84:85], v[94:95], v[84:85], 1.0
; %bb.155:
	s_or_b64 exec, exec, s[0:1]
	v_cmp_ne_u32_e32 vcc, v89, v86
	s_and_saveexec_b64 s[0:1], vcc
	s_xor_b64 s[0:1], exec, s[0:1]
	s_cbranch_execz .LBB78_161
; %bb.156:
	v_cmp_eq_u32_e32 vcc, 9, v89
	s_and_saveexec_b64 s[2:3], vcc
	s_cbranch_execz .LBB78_160
; %bb.157:
	v_cmp_ne_u32_e32 vcc, 9, v86
	s_xor_b64 s[14:15], s[6:7], -1
	s_and_b64 s[16:17], s[14:15], vcc
	s_and_saveexec_b64 s[14:15], s[16:17]
	s_cbranch_execz .LBB78_159
; %bb.158:
	v_ashrrev_i32_e32 v87, 31, v86
	v_lshlrev_b64 v[94:95], 2, v[86:87]
	v_add_co_u32_e32 v94, vcc, v4, v94
	v_addc_co_u32_e32 v95, vcc, v5, v95, vcc
	flat_load_dword v87, v[94:95]
	flat_load_dword v89, v[4:5] offset:36
	s_waitcnt vmcnt(0) lgkmcnt(0)
	flat_store_dword v[4:5], v87 offset:36
	flat_store_dword v[94:95], v89
.LBB78_159:
	s_or_b64 exec, exec, s[14:15]
	v_mov_b32_e32 v87, v86
	v_mov_b32_e32 v89, v86
.LBB78_160:
	s_or_b64 exec, exec, s[2:3]
.LBB78_161:
	s_andn2_saveexec_b64 s[0:1], s[0:1]
	s_cbranch_execz .LBB78_163
; %bb.162:
	v_mov_b32_e32 v94, v60
	v_mov_b32_e32 v95, v61
	v_mov_b32_e32 v96, v58
	v_mov_b32_e32 v97, v59
	ds_write2_b64 v88, v[94:95], v[96:97] offset0:10 offset1:11
	v_mov_b32_e32 v94, v56
	v_mov_b32_e32 v95, v57
	v_mov_b32_e32 v96, v54
	v_mov_b32_e32 v97, v55
	ds_write2_b64 v88, v[94:95], v[96:97] offset0:12 offset1:13
	v_mov_b32_e32 v94, v50
	v_mov_b32_e32 v95, v51
	v_mov_b32_e32 v96, v52
	v_mov_b32_e32 v97, v53
	ds_write2_b64 v88, v[94:95], v[96:97] offset0:14 offset1:15
	v_mov_b32_e32 v94, v48
	v_mov_b32_e32 v95, v49
	v_mov_b32_e32 v96, v46
	v_mov_b32_e32 v97, v47
	ds_write2_b64 v88, v[94:95], v[96:97] offset0:16 offset1:17
	v_mov_b32_e32 v94, v44
	v_mov_b32_e32 v95, v45
	v_mov_b32_e32 v96, v42
	v_mov_b32_e32 v97, v43
	ds_write2_b64 v88, v[94:95], v[96:97] offset0:18 offset1:19
	v_mov_b32_e32 v94, v40
	v_mov_b32_e32 v95, v41
	v_mov_b32_e32 v96, v38
	v_mov_b32_e32 v97, v39
	ds_write2_b64 v88, v[94:95], v[96:97] offset0:20 offset1:21
	v_mov_b32_e32 v94, v36
	v_mov_b32_e32 v95, v37
	v_mov_b32_e32 v96, v34
	v_mov_b32_e32 v97, v35
	ds_write2_b64 v88, v[94:95], v[96:97] offset0:22 offset1:23
	v_mov_b32_e32 v94, v32
	v_mov_b32_e32 v95, v33
	v_mov_b32_e32 v96, v30
	v_mov_b32_e32 v97, v31
	ds_write2_b64 v88, v[94:95], v[96:97] offset0:24 offset1:25
	v_mov_b32_e32 v94, v28
	v_mov_b32_e32 v95, v29
	v_mov_b32_e32 v96, v26
	v_mov_b32_e32 v97, v27
	ds_write2_b64 v88, v[94:95], v[96:97] offset0:26 offset1:27
	v_mov_b32_e32 v94, v24
	v_mov_b32_e32 v95, v25
	v_mov_b32_e32 v96, v20
	v_mov_b32_e32 v97, v21
	ds_write2_b64 v88, v[94:95], v[96:97] offset0:28 offset1:29
	v_mov_b32_e32 v94, v22
	v_mov_b32_e32 v95, v23
	v_mov_b32_e32 v96, v18
	v_mov_b32_e32 v97, v19
	ds_write2_b64 v88, v[94:95], v[96:97] offset0:30 offset1:31
	v_mov_b32_e32 v94, v16
	v_mov_b32_e32 v95, v17
	v_mov_b32_e32 v96, v14
	v_mov_b32_e32 v97, v15
	ds_write2_b64 v88, v[94:95], v[96:97] offset0:32 offset1:33
	v_mov_b32_e32 v94, v12
	v_mov_b32_e32 v95, v13
	v_mov_b32_e32 v96, v10
	v_mov_b32_e32 v97, v11
	ds_write2_b64 v88, v[94:95], v[96:97] offset0:34 offset1:35
	v_mov_b32_e32 v94, v8
	v_mov_b32_e32 v95, v9
	v_mov_b32_e32 v96, v6
	v_mov_b32_e32 v97, v7
	ds_write2_b64 v88, v[94:95], v[96:97] offset0:36 offset1:37
	v_mov_b32_e32 v94, v0
	v_mov_b32_e32 v95, v1
	;; [unrolled: 1-line block ×3, first 2 shown]
	ds_write2_b64 v88, v[94:95], v[82:83] offset0:38 offset1:39
.LBB78_163:
	s_or_b64 exec, exec, s[0:1]
	v_cmp_lt_i32_e32 vcc, 9, v89
	s_waitcnt lgkmcnt(0)
	s_barrier
	s_and_saveexec_b64 s[0:1], vcc
	s_cbranch_execz .LBB78_165
; %bb.164:
	ds_read2_b64 v[94:97], v88 offset0:10 offset1:11
	ds_read2_b64 v[98:101], v88 offset0:12 offset1:13
	;; [unrolled: 1-line block ×3, first 2 shown]
	v_mul_f64 v[62:63], v[84:85], v[62:63]
	s_waitcnt lgkmcnt(0)
	v_fma_f64 v[60:61], -v[62:63], v[94:95], v[60:61]
	v_fma_f64 v[58:59], -v[62:63], v[96:97], v[58:59]
	ds_read2_b64 v[94:97], v88 offset0:16 offset1:17
	v_fma_f64 v[56:57], -v[62:63], v[98:99], v[56:57]
	v_fma_f64 v[54:55], -v[62:63], v[100:101], v[54:55]
	;; [unrolled: 1-line block ×3, first 2 shown]
	ds_read2_b64 v[98:101], v88 offset0:18 offset1:19
	v_fma_f64 v[52:53], -v[62:63], v[104:105], v[52:53]
	ds_read2_b64 v[102:105], v88 offset0:20 offset1:21
	s_waitcnt lgkmcnt(0)
	v_fma_f64 v[48:49], -v[62:63], v[94:95], v[48:49]
	v_fma_f64 v[46:47], -v[62:63], v[96:97], v[46:47]
	;; [unrolled: 1-line block ×3, first 2 shown]
	ds_read2_b64 v[94:97], v88 offset0:22 offset1:23
	v_fma_f64 v[42:43], -v[62:63], v[100:101], v[42:43]
	ds_read2_b64 v[98:101], v88 offset0:24 offset1:25
	v_fma_f64 v[40:41], -v[62:63], v[102:103], v[40:41]
	v_fma_f64 v[38:39], -v[62:63], v[104:105], v[38:39]
	ds_read2_b64 v[102:105], v88 offset0:26 offset1:27
	s_waitcnt lgkmcnt(0)
	v_fma_f64 v[36:37], -v[62:63], v[94:95], v[36:37]
	v_fma_f64 v[34:35], -v[62:63], v[96:97], v[34:35]
	ds_read2_b64 v[94:97], v88 offset0:28 offset1:29
	v_fma_f64 v[32:33], -v[62:63], v[98:99], v[32:33]
	v_fma_f64 v[30:31], -v[62:63], v[100:101], v[30:31]
	;; [unrolled: 1-line block ×3, first 2 shown]
	ds_read2_b64 v[98:101], v88 offset0:30 offset1:31
	v_fma_f64 v[26:27], -v[62:63], v[104:105], v[26:27]
	ds_read2_b64 v[102:105], v88 offset0:32 offset1:33
	s_waitcnt lgkmcnt(0)
	v_fma_f64 v[24:25], -v[62:63], v[94:95], v[24:25]
	v_fma_f64 v[20:21], -v[62:63], v[96:97], v[20:21]
	v_fma_f64 v[22:23], -v[62:63], v[98:99], v[22:23]
	v_fma_f64 v[18:19], -v[62:63], v[100:101], v[18:19]
	ds_read2_b64 v[94:97], v88 offset0:34 offset1:35
	ds_read2_b64 v[98:101], v88 offset0:36 offset1:37
	v_fma_f64 v[16:17], -v[62:63], v[102:103], v[16:17]
	v_fma_f64 v[14:15], -v[62:63], v[104:105], v[14:15]
	ds_read2_b64 v[102:105], v88 offset0:38 offset1:39
	s_waitcnt lgkmcnt(0)
	v_fma_f64 v[12:13], -v[62:63], v[94:95], v[12:13]
	v_fma_f64 v[10:11], -v[62:63], v[96:97], v[10:11]
	;; [unrolled: 1-line block ×6, first 2 shown]
.LBB78_165:
	s_or_b64 exec, exec, s[0:1]
	v_lshl_add_u32 v84, v89, 3, v88
	s_barrier
	ds_write_b64 v84, v[60:61]
	s_waitcnt lgkmcnt(0)
	s_barrier
	ds_read_b64 v[84:85], v88 offset:80
	s_cmp_lt_i32 s18, 12
	v_mov_b32_e32 v86, 10
	s_cbranch_scc1 .LBB78_168
; %bb.166:
	v_add_u32_e32 v93, 0x58, v88
	s_mov_b32 s0, 11
	v_mov_b32_e32 v86, 10
.LBB78_167:                             ; =>This Inner Loop Header: Depth=1
	ds_read_b64 v[94:95], v93
	v_mov_b32_e32 v96, s0
	s_add_i32 s0, s0, 1
	v_add_u32_e32 v93, 8, v93
	s_cmp_lg_u32 s18, s0
	s_waitcnt lgkmcnt(0)
	v_cmp_lt_f64_e64 vcc, |v[84:85]|, |v[94:95]|
	v_cndmask_b32_e32 v85, v85, v95, vcc
	v_cndmask_b32_e32 v84, v84, v94, vcc
	;; [unrolled: 1-line block ×3, first 2 shown]
	s_cbranch_scc1 .LBB78_167
.LBB78_168:
	s_waitcnt lgkmcnt(0)
	v_cmp_eq_f64_e32 vcc, 0, v[84:85]
	s_and_saveexec_b64 s[0:1], vcc
	s_xor_b64 s[0:1], exec, s[0:1]
; %bb.169:
	v_cmp_ne_u32_e32 vcc, 0, v92
	v_cndmask_b32_e32 v92, 11, v92, vcc
; %bb.170:
	s_andn2_saveexec_b64 s[0:1], s[0:1]
; %bb.171:
	v_div_scale_f64 v[94:95], s[2:3], v[84:85], v[84:85], 1.0
	v_rcp_f64_e32 v[96:97], v[94:95]
	v_div_scale_f64 v[98:99], vcc, 1.0, v[84:85], 1.0
	v_fma_f64 v[100:101], -v[94:95], v[96:97], 1.0
	v_fmac_f64_e32 v[96:97], v[96:97], v[100:101]
	v_fma_f64 v[100:101], -v[94:95], v[96:97], 1.0
	v_fmac_f64_e32 v[96:97], v[96:97], v[100:101]
	v_mul_f64 v[100:101], v[98:99], v[96:97]
	v_fma_f64 v[94:95], -v[94:95], v[100:101], v[98:99]
	v_div_fmas_f64 v[94:95], v[94:95], v[96:97], v[100:101]
	v_div_fixup_f64 v[84:85], v[94:95], v[84:85], 1.0
; %bb.172:
	s_or_b64 exec, exec, s[0:1]
	v_cmp_ne_u32_e32 vcc, v89, v86
	s_and_saveexec_b64 s[0:1], vcc
	s_xor_b64 s[0:1], exec, s[0:1]
	s_cbranch_execz .LBB78_178
; %bb.173:
	v_cmp_eq_u32_e32 vcc, 10, v89
	s_and_saveexec_b64 s[2:3], vcc
	s_cbranch_execz .LBB78_177
; %bb.174:
	v_cmp_ne_u32_e32 vcc, 10, v86
	s_xor_b64 s[14:15], s[6:7], -1
	s_and_b64 s[16:17], s[14:15], vcc
	s_and_saveexec_b64 s[14:15], s[16:17]
	s_cbranch_execz .LBB78_176
; %bb.175:
	v_ashrrev_i32_e32 v87, 31, v86
	v_lshlrev_b64 v[94:95], 2, v[86:87]
	v_add_co_u32_e32 v94, vcc, v4, v94
	v_addc_co_u32_e32 v95, vcc, v5, v95, vcc
	flat_load_dword v87, v[94:95]
	flat_load_dword v89, v[4:5] offset:40
	s_waitcnt vmcnt(0) lgkmcnt(0)
	flat_store_dword v[4:5], v87 offset:40
	flat_store_dword v[94:95], v89
.LBB78_176:
	s_or_b64 exec, exec, s[14:15]
	v_mov_b32_e32 v87, v86
	v_mov_b32_e32 v89, v86
.LBB78_177:
	s_or_b64 exec, exec, s[2:3]
.LBB78_178:
	s_andn2_saveexec_b64 s[0:1], s[0:1]
	s_cbranch_execz .LBB78_180
; %bb.179:
	v_mov_b32_e32 v89, 10
	ds_write2_b64 v88, v[58:59], v[56:57] offset0:11 offset1:12
	ds_write2_b64 v88, v[54:55], v[50:51] offset0:13 offset1:14
	;; [unrolled: 1-line block ×14, first 2 shown]
	ds_write_b64 v88, v[82:83] offset:312
.LBB78_180:
	s_or_b64 exec, exec, s[0:1]
	v_cmp_lt_i32_e32 vcc, 10, v89
	s_waitcnt lgkmcnt(0)
	s_barrier
	s_and_saveexec_b64 s[0:1], vcc
	s_cbranch_execz .LBB78_182
; %bb.181:
	ds_read2_b64 v[94:97], v88 offset0:11 offset1:12
	ds_read2_b64 v[98:101], v88 offset0:13 offset1:14
	v_mul_f64 v[60:61], v[84:85], v[60:61]
	ds_read2_b64 v[102:105], v88 offset0:15 offset1:16
	ds_read_b64 v[84:85], v88 offset:312
	s_waitcnt lgkmcnt(0)
	v_fma_f64 v[58:59], -v[60:61], v[94:95], v[58:59]
	v_fma_f64 v[56:57], -v[60:61], v[96:97], v[56:57]
	ds_read2_b64 v[94:97], v88 offset0:17 offset1:18
	v_fma_f64 v[54:55], -v[60:61], v[98:99], v[54:55]
	v_fma_f64 v[50:51], -v[60:61], v[100:101], v[50:51]
	ds_read2_b64 v[98:101], v88 offset0:19 offset1:20
	;; [unrolled: 3-line block ×3, first 2 shown]
	s_waitcnt lgkmcnt(0)
	v_fma_f64 v[46:47], -v[60:61], v[94:95], v[46:47]
	v_fma_f64 v[44:45], -v[60:61], v[96:97], v[44:45]
	v_fma_f64 v[42:43], -v[60:61], v[98:99], v[42:43]
	ds_read2_b64 v[94:97], v88 offset0:23 offset1:24
	v_fma_f64 v[40:41], -v[60:61], v[100:101], v[40:41]
	ds_read2_b64 v[98:101], v88 offset0:25 offset1:26
	v_fma_f64 v[38:39], -v[60:61], v[102:103], v[38:39]
	v_fma_f64 v[36:37], -v[60:61], v[104:105], v[36:37]
	s_waitcnt lgkmcnt(0)
	v_fma_f64 v[34:35], -v[60:61], v[94:95], v[34:35]
	ds_read2_b64 v[102:105], v88 offset0:27 offset1:28
	v_fma_f64 v[32:33], -v[60:61], v[96:97], v[32:33]
	ds_read2_b64 v[94:97], v88 offset0:29 offset1:30
	v_fma_f64 v[30:31], -v[60:61], v[98:99], v[30:31]
	v_fma_f64 v[28:29], -v[60:61], v[100:101], v[28:29]
	ds_read2_b64 v[98:101], v88 offset0:31 offset1:32
	s_waitcnt lgkmcnt(0)
	v_fma_f64 v[26:27], -v[60:61], v[102:103], v[26:27]
	v_fma_f64 v[24:25], -v[60:61], v[104:105], v[24:25]
	ds_read2_b64 v[102:105], v88 offset0:33 offset1:34
	v_fma_f64 v[20:21], -v[60:61], v[94:95], v[20:21]
	v_fma_f64 v[22:23], -v[60:61], v[96:97], v[22:23]
	;; [unrolled: 1-line block ×4, first 2 shown]
	ds_read2_b64 v[94:97], v88 offset0:35 offset1:36
	ds_read2_b64 v[98:101], v88 offset0:37 offset1:38
	s_waitcnt lgkmcnt(0)
	v_fma_f64 v[14:15], -v[60:61], v[102:103], v[14:15]
	v_fma_f64 v[12:13], -v[60:61], v[104:105], v[12:13]
	;; [unrolled: 1-line block ×7, first 2 shown]
.LBB78_182:
	s_or_b64 exec, exec, s[0:1]
	v_lshl_add_u32 v84, v89, 3, v88
	s_barrier
	ds_write_b64 v84, v[58:59]
	s_waitcnt lgkmcnt(0)
	s_barrier
	ds_read_b64 v[84:85], v88 offset:88
	s_cmp_lt_i32 s18, 13
	v_mov_b32_e32 v86, 11
	s_cbranch_scc1 .LBB78_185
; %bb.183:
	v_add_u32_e32 v93, 0x60, v88
	s_mov_b32 s0, 12
	v_mov_b32_e32 v86, 11
.LBB78_184:                             ; =>This Inner Loop Header: Depth=1
	ds_read_b64 v[94:95], v93
	v_mov_b32_e32 v96, s0
	s_add_i32 s0, s0, 1
	v_add_u32_e32 v93, 8, v93
	s_cmp_lg_u32 s18, s0
	s_waitcnt lgkmcnt(0)
	v_cmp_lt_f64_e64 vcc, |v[84:85]|, |v[94:95]|
	v_cndmask_b32_e32 v85, v85, v95, vcc
	v_cndmask_b32_e32 v84, v84, v94, vcc
	;; [unrolled: 1-line block ×3, first 2 shown]
	s_cbranch_scc1 .LBB78_184
.LBB78_185:
	s_waitcnt lgkmcnt(0)
	v_cmp_eq_f64_e32 vcc, 0, v[84:85]
	s_and_saveexec_b64 s[0:1], vcc
	s_xor_b64 s[0:1], exec, s[0:1]
; %bb.186:
	v_cmp_ne_u32_e32 vcc, 0, v92
	v_cndmask_b32_e32 v92, 12, v92, vcc
; %bb.187:
	s_andn2_saveexec_b64 s[0:1], s[0:1]
; %bb.188:
	v_div_scale_f64 v[94:95], s[2:3], v[84:85], v[84:85], 1.0
	v_rcp_f64_e32 v[96:97], v[94:95]
	v_div_scale_f64 v[98:99], vcc, 1.0, v[84:85], 1.0
	v_fma_f64 v[100:101], -v[94:95], v[96:97], 1.0
	v_fmac_f64_e32 v[96:97], v[96:97], v[100:101]
	v_fma_f64 v[100:101], -v[94:95], v[96:97], 1.0
	v_fmac_f64_e32 v[96:97], v[96:97], v[100:101]
	v_mul_f64 v[100:101], v[98:99], v[96:97]
	v_fma_f64 v[94:95], -v[94:95], v[100:101], v[98:99]
	v_div_fmas_f64 v[94:95], v[94:95], v[96:97], v[100:101]
	v_div_fixup_f64 v[84:85], v[94:95], v[84:85], 1.0
; %bb.189:
	s_or_b64 exec, exec, s[0:1]
	v_cmp_ne_u32_e32 vcc, v89, v86
	s_and_saveexec_b64 s[0:1], vcc
	s_xor_b64 s[0:1], exec, s[0:1]
	s_cbranch_execz .LBB78_195
; %bb.190:
	v_cmp_eq_u32_e32 vcc, 11, v89
	s_and_saveexec_b64 s[2:3], vcc
	s_cbranch_execz .LBB78_194
; %bb.191:
	v_cmp_ne_u32_e32 vcc, 11, v86
	s_xor_b64 s[14:15], s[6:7], -1
	s_and_b64 s[16:17], s[14:15], vcc
	s_and_saveexec_b64 s[14:15], s[16:17]
	s_cbranch_execz .LBB78_193
; %bb.192:
	v_ashrrev_i32_e32 v87, 31, v86
	v_lshlrev_b64 v[94:95], 2, v[86:87]
	v_add_co_u32_e32 v94, vcc, v4, v94
	v_addc_co_u32_e32 v95, vcc, v5, v95, vcc
	flat_load_dword v87, v[94:95]
	flat_load_dword v89, v[4:5] offset:44
	s_waitcnt vmcnt(0) lgkmcnt(0)
	flat_store_dword v[4:5], v87 offset:44
	flat_store_dword v[94:95], v89
.LBB78_193:
	s_or_b64 exec, exec, s[14:15]
	v_mov_b32_e32 v87, v86
	v_mov_b32_e32 v89, v86
.LBB78_194:
	s_or_b64 exec, exec, s[2:3]
.LBB78_195:
	s_andn2_saveexec_b64 s[0:1], s[0:1]
	s_cbranch_execz .LBB78_197
; %bb.196:
	v_mov_b32_e32 v94, v56
	v_mov_b32_e32 v95, v57
	v_mov_b32_e32 v96, v54
	v_mov_b32_e32 v97, v55
	ds_write2_b64 v88, v[94:95], v[96:97] offset0:12 offset1:13
	v_mov_b32_e32 v94, v50
	v_mov_b32_e32 v95, v51
	v_mov_b32_e32 v96, v52
	v_mov_b32_e32 v97, v53
	ds_write2_b64 v88, v[94:95], v[96:97] offset0:14 offset1:15
	;; [unrolled: 5-line block ×13, first 2 shown]
	v_mov_b32_e32 v94, v0
	v_mov_b32_e32 v95, v1
	;; [unrolled: 1-line block ×3, first 2 shown]
	ds_write2_b64 v88, v[94:95], v[82:83] offset0:38 offset1:39
.LBB78_197:
	s_or_b64 exec, exec, s[0:1]
	v_cmp_lt_i32_e32 vcc, 11, v89
	s_waitcnt lgkmcnt(0)
	s_barrier
	s_and_saveexec_b64 s[0:1], vcc
	s_cbranch_execz .LBB78_199
; %bb.198:
	ds_read2_b64 v[94:97], v88 offset0:12 offset1:13
	ds_read2_b64 v[98:101], v88 offset0:14 offset1:15
	v_mul_f64 v[58:59], v[84:85], v[58:59]
	ds_read2_b64 v[102:105], v88 offset0:16 offset1:17
	s_waitcnt lgkmcnt(0)
	v_fma_f64 v[56:57], -v[58:59], v[94:95], v[56:57]
	v_fma_f64 v[54:55], -v[58:59], v[96:97], v[54:55]
	ds_read2_b64 v[94:97], v88 offset0:18 offset1:19
	v_fma_f64 v[50:51], -v[58:59], v[98:99], v[50:51]
	v_fma_f64 v[52:53], -v[58:59], v[100:101], v[52:53]
	ds_read2_b64 v[98:101], v88 offset0:20 offset1:21
	;; [unrolled: 3-line block ×3, first 2 shown]
	s_waitcnt lgkmcnt(0)
	v_fma_f64 v[44:45], -v[58:59], v[94:95], v[44:45]
	v_fma_f64 v[42:43], -v[58:59], v[96:97], v[42:43]
	;; [unrolled: 1-line block ×3, first 2 shown]
	ds_read2_b64 v[94:97], v88 offset0:24 offset1:25
	v_fma_f64 v[38:39], -v[58:59], v[100:101], v[38:39]
	ds_read2_b64 v[98:101], v88 offset0:26 offset1:27
	v_fma_f64 v[36:37], -v[58:59], v[102:103], v[36:37]
	v_fma_f64 v[34:35], -v[58:59], v[104:105], v[34:35]
	s_waitcnt lgkmcnt(0)
	v_fma_f64 v[32:33], -v[58:59], v[94:95], v[32:33]
	ds_read2_b64 v[102:105], v88 offset0:28 offset1:29
	v_fma_f64 v[30:31], -v[58:59], v[96:97], v[30:31]
	ds_read2_b64 v[94:97], v88 offset0:30 offset1:31
	v_fma_f64 v[28:29], -v[58:59], v[98:99], v[28:29]
	v_fma_f64 v[26:27], -v[58:59], v[100:101], v[26:27]
	ds_read2_b64 v[98:101], v88 offset0:32 offset1:33
	s_waitcnt lgkmcnt(0)
	v_fma_f64 v[24:25], -v[58:59], v[102:103], v[24:25]
	v_fma_f64 v[20:21], -v[58:59], v[104:105], v[20:21]
	;; [unrolled: 1-line block ×4, first 2 shown]
	ds_read2_b64 v[94:97], v88 offset0:34 offset1:35
	v_fma_f64 v[16:17], -v[58:59], v[98:99], v[16:17]
	ds_read2_b64 v[102:105], v88 offset0:36 offset1:37
	v_fma_f64 v[14:15], -v[58:59], v[100:101], v[14:15]
	ds_read2_b64 v[98:101], v88 offset0:38 offset1:39
	s_waitcnt lgkmcnt(0)
	v_fma_f64 v[12:13], -v[58:59], v[94:95], v[12:13]
	v_fma_f64 v[10:11], -v[58:59], v[96:97], v[10:11]
	;; [unrolled: 1-line block ×6, first 2 shown]
.LBB78_199:
	s_or_b64 exec, exec, s[0:1]
	v_lshl_add_u32 v84, v89, 3, v88
	s_barrier
	ds_write_b64 v84, v[56:57]
	s_waitcnt lgkmcnt(0)
	s_barrier
	ds_read_b64 v[84:85], v88 offset:96
	s_cmp_lt_i32 s18, 14
	v_mov_b32_e32 v86, 12
	s_cbranch_scc1 .LBB78_202
; %bb.200:
	v_add_u32_e32 v93, 0x68, v88
	s_mov_b32 s0, 13
	v_mov_b32_e32 v86, 12
.LBB78_201:                             ; =>This Inner Loop Header: Depth=1
	ds_read_b64 v[94:95], v93
	v_mov_b32_e32 v96, s0
	s_add_i32 s0, s0, 1
	v_add_u32_e32 v93, 8, v93
	s_cmp_lg_u32 s18, s0
	s_waitcnt lgkmcnt(0)
	v_cmp_lt_f64_e64 vcc, |v[84:85]|, |v[94:95]|
	v_cndmask_b32_e32 v85, v85, v95, vcc
	v_cndmask_b32_e32 v84, v84, v94, vcc
	;; [unrolled: 1-line block ×3, first 2 shown]
	s_cbranch_scc1 .LBB78_201
.LBB78_202:
	s_waitcnt lgkmcnt(0)
	v_cmp_eq_f64_e32 vcc, 0, v[84:85]
	s_and_saveexec_b64 s[0:1], vcc
	s_xor_b64 s[0:1], exec, s[0:1]
; %bb.203:
	v_cmp_ne_u32_e32 vcc, 0, v92
	v_cndmask_b32_e32 v92, 13, v92, vcc
; %bb.204:
	s_andn2_saveexec_b64 s[0:1], s[0:1]
; %bb.205:
	v_div_scale_f64 v[94:95], s[2:3], v[84:85], v[84:85], 1.0
	v_rcp_f64_e32 v[96:97], v[94:95]
	v_div_scale_f64 v[98:99], vcc, 1.0, v[84:85], 1.0
	v_fma_f64 v[100:101], -v[94:95], v[96:97], 1.0
	v_fmac_f64_e32 v[96:97], v[96:97], v[100:101]
	v_fma_f64 v[100:101], -v[94:95], v[96:97], 1.0
	v_fmac_f64_e32 v[96:97], v[96:97], v[100:101]
	v_mul_f64 v[100:101], v[98:99], v[96:97]
	v_fma_f64 v[94:95], -v[94:95], v[100:101], v[98:99]
	v_div_fmas_f64 v[94:95], v[94:95], v[96:97], v[100:101]
	v_div_fixup_f64 v[84:85], v[94:95], v[84:85], 1.0
; %bb.206:
	s_or_b64 exec, exec, s[0:1]
	v_cmp_ne_u32_e32 vcc, v89, v86
	s_and_saveexec_b64 s[0:1], vcc
	s_xor_b64 s[0:1], exec, s[0:1]
	s_cbranch_execz .LBB78_212
; %bb.207:
	v_cmp_eq_u32_e32 vcc, 12, v89
	s_and_saveexec_b64 s[2:3], vcc
	s_cbranch_execz .LBB78_211
; %bb.208:
	v_cmp_ne_u32_e32 vcc, 12, v86
	s_xor_b64 s[14:15], s[6:7], -1
	s_and_b64 s[16:17], s[14:15], vcc
	s_and_saveexec_b64 s[14:15], s[16:17]
	s_cbranch_execz .LBB78_210
; %bb.209:
	v_ashrrev_i32_e32 v87, 31, v86
	v_lshlrev_b64 v[94:95], 2, v[86:87]
	v_add_co_u32_e32 v94, vcc, v4, v94
	v_addc_co_u32_e32 v95, vcc, v5, v95, vcc
	flat_load_dword v87, v[94:95]
	flat_load_dword v89, v[4:5] offset:48
	s_waitcnt vmcnt(0) lgkmcnt(0)
	flat_store_dword v[4:5], v87 offset:48
	flat_store_dword v[94:95], v89
.LBB78_210:
	s_or_b64 exec, exec, s[14:15]
	v_mov_b32_e32 v87, v86
	v_mov_b32_e32 v89, v86
.LBB78_211:
	s_or_b64 exec, exec, s[2:3]
.LBB78_212:
	s_andn2_saveexec_b64 s[0:1], s[0:1]
	s_cbranch_execz .LBB78_214
; %bb.213:
	v_mov_b32_e32 v89, 12
	ds_write2_b64 v88, v[54:55], v[50:51] offset0:13 offset1:14
	ds_write2_b64 v88, v[52:53], v[48:49] offset0:15 offset1:16
	;; [unrolled: 1-line block ×13, first 2 shown]
	ds_write_b64 v88, v[82:83] offset:312
.LBB78_214:
	s_or_b64 exec, exec, s[0:1]
	v_cmp_lt_i32_e32 vcc, 12, v89
	s_waitcnt lgkmcnt(0)
	s_barrier
	s_and_saveexec_b64 s[0:1], vcc
	s_cbranch_execz .LBB78_216
; %bb.215:
	ds_read2_b64 v[94:97], v88 offset0:13 offset1:14
	ds_read2_b64 v[98:101], v88 offset0:15 offset1:16
	v_mul_f64 v[56:57], v[84:85], v[56:57]
	ds_read2_b64 v[102:105], v88 offset0:17 offset1:18
	ds_read_b64 v[84:85], v88 offset:312
	s_waitcnt lgkmcnt(0)
	v_fma_f64 v[54:55], -v[56:57], v[94:95], v[54:55]
	v_fma_f64 v[50:51], -v[56:57], v[96:97], v[50:51]
	ds_read2_b64 v[94:97], v88 offset0:19 offset1:20
	v_fma_f64 v[52:53], -v[56:57], v[98:99], v[52:53]
	v_fma_f64 v[48:49], -v[56:57], v[100:101], v[48:49]
	;; [unrolled: 1-line block ×3, first 2 shown]
	ds_read2_b64 v[98:101], v88 offset0:21 offset1:22
	v_fma_f64 v[44:45], -v[56:57], v[104:105], v[44:45]
	ds_read2_b64 v[102:105], v88 offset0:23 offset1:24
	s_waitcnt lgkmcnt(0)
	v_fma_f64 v[42:43], -v[56:57], v[94:95], v[42:43]
	v_fma_f64 v[40:41], -v[56:57], v[96:97], v[40:41]
	ds_read2_b64 v[94:97], v88 offset0:25 offset1:26
	v_fma_f64 v[38:39], -v[56:57], v[98:99], v[38:39]
	v_fma_f64 v[36:37], -v[56:57], v[100:101], v[36:37]
	ds_read2_b64 v[98:101], v88 offset0:27 offset1:28
	v_fma_f64 v[34:35], -v[56:57], v[102:103], v[34:35]
	v_fma_f64 v[32:33], -v[56:57], v[104:105], v[32:33]
	s_waitcnt lgkmcnt(0)
	v_fma_f64 v[30:31], -v[56:57], v[94:95], v[30:31]
	ds_read2_b64 v[102:105], v88 offset0:29 offset1:30
	v_fma_f64 v[28:29], -v[56:57], v[96:97], v[28:29]
	ds_read2_b64 v[94:97], v88 offset0:31 offset1:32
	v_fma_f64 v[26:27], -v[56:57], v[98:99], v[26:27]
	v_fma_f64 v[24:25], -v[56:57], v[100:101], v[24:25]
	s_waitcnt lgkmcnt(0)
	v_fma_f64 v[20:21], -v[56:57], v[102:103], v[20:21]
	ds_read2_b64 v[98:101], v88 offset0:33 offset1:34
	v_fma_f64 v[22:23], -v[56:57], v[104:105], v[22:23]
	v_fma_f64 v[18:19], -v[56:57], v[94:95], v[18:19]
	;; [unrolled: 1-line block ×3, first 2 shown]
	ds_read2_b64 v[94:97], v88 offset0:35 offset1:36
	ds_read2_b64 v[102:105], v88 offset0:37 offset1:38
	s_waitcnt lgkmcnt(0)
	v_fma_f64 v[14:15], -v[56:57], v[98:99], v[14:15]
	v_fma_f64 v[12:13], -v[56:57], v[100:101], v[12:13]
	;; [unrolled: 1-line block ×7, first 2 shown]
.LBB78_216:
	s_or_b64 exec, exec, s[0:1]
	v_lshl_add_u32 v84, v89, 3, v88
	s_barrier
	ds_write_b64 v84, v[54:55]
	s_waitcnt lgkmcnt(0)
	s_barrier
	ds_read_b64 v[84:85], v88 offset:104
	s_cmp_lt_i32 s18, 15
	v_mov_b32_e32 v86, 13
	s_cbranch_scc1 .LBB78_219
; %bb.217:
	v_add_u32_e32 v93, 0x70, v88
	s_mov_b32 s0, 14
	v_mov_b32_e32 v86, 13
.LBB78_218:                             ; =>This Inner Loop Header: Depth=1
	ds_read_b64 v[94:95], v93
	v_mov_b32_e32 v96, s0
	s_add_i32 s0, s0, 1
	v_add_u32_e32 v93, 8, v93
	s_cmp_lg_u32 s18, s0
	s_waitcnt lgkmcnt(0)
	v_cmp_lt_f64_e64 vcc, |v[84:85]|, |v[94:95]|
	v_cndmask_b32_e32 v85, v85, v95, vcc
	v_cndmask_b32_e32 v84, v84, v94, vcc
	;; [unrolled: 1-line block ×3, first 2 shown]
	s_cbranch_scc1 .LBB78_218
.LBB78_219:
	s_waitcnt lgkmcnt(0)
	v_cmp_eq_f64_e32 vcc, 0, v[84:85]
	s_and_saveexec_b64 s[0:1], vcc
	s_xor_b64 s[0:1], exec, s[0:1]
; %bb.220:
	v_cmp_ne_u32_e32 vcc, 0, v92
	v_cndmask_b32_e32 v92, 14, v92, vcc
; %bb.221:
	s_andn2_saveexec_b64 s[0:1], s[0:1]
; %bb.222:
	v_div_scale_f64 v[94:95], s[2:3], v[84:85], v[84:85], 1.0
	v_rcp_f64_e32 v[96:97], v[94:95]
	v_div_scale_f64 v[98:99], vcc, 1.0, v[84:85], 1.0
	v_fma_f64 v[100:101], -v[94:95], v[96:97], 1.0
	v_fmac_f64_e32 v[96:97], v[96:97], v[100:101]
	v_fma_f64 v[100:101], -v[94:95], v[96:97], 1.0
	v_fmac_f64_e32 v[96:97], v[96:97], v[100:101]
	v_mul_f64 v[100:101], v[98:99], v[96:97]
	v_fma_f64 v[94:95], -v[94:95], v[100:101], v[98:99]
	v_div_fmas_f64 v[94:95], v[94:95], v[96:97], v[100:101]
	v_div_fixup_f64 v[84:85], v[94:95], v[84:85], 1.0
; %bb.223:
	s_or_b64 exec, exec, s[0:1]
	v_cmp_ne_u32_e32 vcc, v89, v86
	s_and_saveexec_b64 s[0:1], vcc
	s_xor_b64 s[0:1], exec, s[0:1]
	s_cbranch_execz .LBB78_229
; %bb.224:
	v_cmp_eq_u32_e32 vcc, 13, v89
	s_and_saveexec_b64 s[2:3], vcc
	s_cbranch_execz .LBB78_228
; %bb.225:
	v_cmp_ne_u32_e32 vcc, 13, v86
	s_xor_b64 s[14:15], s[6:7], -1
	s_and_b64 s[16:17], s[14:15], vcc
	s_and_saveexec_b64 s[14:15], s[16:17]
	s_cbranch_execz .LBB78_227
; %bb.226:
	v_ashrrev_i32_e32 v87, 31, v86
	v_lshlrev_b64 v[94:95], 2, v[86:87]
	v_add_co_u32_e32 v94, vcc, v4, v94
	v_addc_co_u32_e32 v95, vcc, v5, v95, vcc
	flat_load_dword v87, v[94:95]
	flat_load_dword v89, v[4:5] offset:52
	s_waitcnt vmcnt(0) lgkmcnt(0)
	flat_store_dword v[4:5], v87 offset:52
	flat_store_dword v[94:95], v89
.LBB78_227:
	s_or_b64 exec, exec, s[14:15]
	v_mov_b32_e32 v87, v86
	v_mov_b32_e32 v89, v86
.LBB78_228:
	s_or_b64 exec, exec, s[2:3]
.LBB78_229:
	s_andn2_saveexec_b64 s[0:1], s[0:1]
	s_cbranch_execz .LBB78_231
; %bb.230:
	v_mov_b32_e32 v94, v50
	v_mov_b32_e32 v95, v51
	v_mov_b32_e32 v96, v52
	v_mov_b32_e32 v97, v53
	ds_write2_b64 v88, v[94:95], v[96:97] offset0:14 offset1:15
	v_mov_b32_e32 v94, v48
	v_mov_b32_e32 v95, v49
	v_mov_b32_e32 v96, v46
	v_mov_b32_e32 v97, v47
	ds_write2_b64 v88, v[94:95], v[96:97] offset0:16 offset1:17
	;; [unrolled: 5-line block ×12, first 2 shown]
	v_mov_b32_e32 v94, v0
	v_mov_b32_e32 v95, v1
	;; [unrolled: 1-line block ×3, first 2 shown]
	ds_write2_b64 v88, v[94:95], v[82:83] offset0:38 offset1:39
.LBB78_231:
	s_or_b64 exec, exec, s[0:1]
	v_cmp_lt_i32_e32 vcc, 13, v89
	s_waitcnt lgkmcnt(0)
	s_barrier
	s_and_saveexec_b64 s[0:1], vcc
	s_cbranch_execz .LBB78_233
; %bb.232:
	ds_read2_b64 v[94:97], v88 offset0:14 offset1:15
	ds_read2_b64 v[98:101], v88 offset0:16 offset1:17
	v_mul_f64 v[54:55], v[84:85], v[54:55]
	ds_read2_b64 v[102:105], v88 offset0:18 offset1:19
	s_waitcnt lgkmcnt(0)
	v_fma_f64 v[50:51], -v[54:55], v[94:95], v[50:51]
	v_fma_f64 v[52:53], -v[54:55], v[96:97], v[52:53]
	ds_read2_b64 v[94:97], v88 offset0:20 offset1:21
	v_fma_f64 v[48:49], -v[54:55], v[98:99], v[48:49]
	v_fma_f64 v[46:47], -v[54:55], v[100:101], v[46:47]
	;; [unrolled: 1-line block ×3, first 2 shown]
	ds_read2_b64 v[98:101], v88 offset0:22 offset1:23
	v_fma_f64 v[42:43], -v[54:55], v[104:105], v[42:43]
	ds_read2_b64 v[102:105], v88 offset0:24 offset1:25
	s_waitcnt lgkmcnt(0)
	v_fma_f64 v[40:41], -v[54:55], v[94:95], v[40:41]
	v_fma_f64 v[38:39], -v[54:55], v[96:97], v[38:39]
	ds_read2_b64 v[94:97], v88 offset0:26 offset1:27
	v_fma_f64 v[36:37], -v[54:55], v[98:99], v[36:37]
	v_fma_f64 v[34:35], -v[54:55], v[100:101], v[34:35]
	ds_read2_b64 v[98:101], v88 offset0:28 offset1:29
	v_fma_f64 v[32:33], -v[54:55], v[102:103], v[32:33]
	v_fma_f64 v[30:31], -v[54:55], v[104:105], v[30:31]
	s_waitcnt lgkmcnt(0)
	v_fma_f64 v[28:29], -v[54:55], v[94:95], v[28:29]
	ds_read2_b64 v[102:105], v88 offset0:30 offset1:31
	v_fma_f64 v[26:27], -v[54:55], v[96:97], v[26:27]
	ds_read2_b64 v[94:97], v88 offset0:32 offset1:33
	v_fma_f64 v[24:25], -v[54:55], v[98:99], v[24:25]
	v_fma_f64 v[20:21], -v[54:55], v[100:101], v[20:21]
	s_waitcnt lgkmcnt(0)
	v_fma_f64 v[22:23], -v[54:55], v[102:103], v[22:23]
	v_fma_f64 v[18:19], -v[54:55], v[104:105], v[18:19]
	ds_read2_b64 v[98:101], v88 offset0:34 offset1:35
	ds_read2_b64 v[102:105], v88 offset0:36 offset1:37
	v_fma_f64 v[16:17], -v[54:55], v[94:95], v[16:17]
	v_fma_f64 v[14:15], -v[54:55], v[96:97], v[14:15]
	ds_read2_b64 v[94:97], v88 offset0:38 offset1:39
	s_waitcnt lgkmcnt(0)
	v_fma_f64 v[12:13], -v[54:55], v[98:99], v[12:13]
	v_fma_f64 v[10:11], -v[54:55], v[100:101], v[10:11]
	;; [unrolled: 1-line block ×6, first 2 shown]
.LBB78_233:
	s_or_b64 exec, exec, s[0:1]
	v_lshl_add_u32 v84, v89, 3, v88
	s_barrier
	ds_write_b64 v84, v[50:51]
	s_waitcnt lgkmcnt(0)
	s_barrier
	ds_read_b64 v[84:85], v88 offset:112
	s_cmp_lt_i32 s18, 16
	v_mov_b32_e32 v86, 14
	s_cbranch_scc1 .LBB78_236
; %bb.234:
	v_add_u32_e32 v93, 0x78, v88
	s_mov_b32 s0, 15
	v_mov_b32_e32 v86, 14
.LBB78_235:                             ; =>This Inner Loop Header: Depth=1
	ds_read_b64 v[94:95], v93
	v_mov_b32_e32 v96, s0
	s_add_i32 s0, s0, 1
	v_add_u32_e32 v93, 8, v93
	s_cmp_lg_u32 s18, s0
	s_waitcnt lgkmcnt(0)
	v_cmp_lt_f64_e64 vcc, |v[84:85]|, |v[94:95]|
	v_cndmask_b32_e32 v85, v85, v95, vcc
	v_cndmask_b32_e32 v84, v84, v94, vcc
	;; [unrolled: 1-line block ×3, first 2 shown]
	s_cbranch_scc1 .LBB78_235
.LBB78_236:
	s_waitcnt lgkmcnt(0)
	v_cmp_eq_f64_e32 vcc, 0, v[84:85]
	s_and_saveexec_b64 s[0:1], vcc
	s_xor_b64 s[0:1], exec, s[0:1]
; %bb.237:
	v_cmp_ne_u32_e32 vcc, 0, v92
	v_cndmask_b32_e32 v92, 15, v92, vcc
; %bb.238:
	s_andn2_saveexec_b64 s[0:1], s[0:1]
; %bb.239:
	v_div_scale_f64 v[94:95], s[2:3], v[84:85], v[84:85], 1.0
	v_rcp_f64_e32 v[96:97], v[94:95]
	v_div_scale_f64 v[98:99], vcc, 1.0, v[84:85], 1.0
	v_fma_f64 v[100:101], -v[94:95], v[96:97], 1.0
	v_fmac_f64_e32 v[96:97], v[96:97], v[100:101]
	v_fma_f64 v[100:101], -v[94:95], v[96:97], 1.0
	v_fmac_f64_e32 v[96:97], v[96:97], v[100:101]
	v_mul_f64 v[100:101], v[98:99], v[96:97]
	v_fma_f64 v[94:95], -v[94:95], v[100:101], v[98:99]
	v_div_fmas_f64 v[94:95], v[94:95], v[96:97], v[100:101]
	v_div_fixup_f64 v[84:85], v[94:95], v[84:85], 1.0
; %bb.240:
	s_or_b64 exec, exec, s[0:1]
	v_cmp_ne_u32_e32 vcc, v89, v86
	s_and_saveexec_b64 s[0:1], vcc
	s_xor_b64 s[0:1], exec, s[0:1]
	s_cbranch_execz .LBB78_246
; %bb.241:
	v_cmp_eq_u32_e32 vcc, 14, v89
	s_and_saveexec_b64 s[2:3], vcc
	s_cbranch_execz .LBB78_245
; %bb.242:
	v_cmp_ne_u32_e32 vcc, 14, v86
	s_xor_b64 s[14:15], s[6:7], -1
	s_and_b64 s[16:17], s[14:15], vcc
	s_and_saveexec_b64 s[14:15], s[16:17]
	s_cbranch_execz .LBB78_244
; %bb.243:
	v_ashrrev_i32_e32 v87, 31, v86
	v_lshlrev_b64 v[94:95], 2, v[86:87]
	v_add_co_u32_e32 v94, vcc, v4, v94
	v_addc_co_u32_e32 v95, vcc, v5, v95, vcc
	flat_load_dword v87, v[94:95]
	flat_load_dword v89, v[4:5] offset:56
	s_waitcnt vmcnt(0) lgkmcnt(0)
	flat_store_dword v[4:5], v87 offset:56
	flat_store_dword v[94:95], v89
.LBB78_244:
	s_or_b64 exec, exec, s[14:15]
	v_mov_b32_e32 v87, v86
	v_mov_b32_e32 v89, v86
.LBB78_245:
	s_or_b64 exec, exec, s[2:3]
.LBB78_246:
	s_andn2_saveexec_b64 s[0:1], s[0:1]
	s_cbranch_execz .LBB78_248
; %bb.247:
	v_mov_b32_e32 v89, 14
	ds_write2_b64 v88, v[52:53], v[48:49] offset0:15 offset1:16
	ds_write2_b64 v88, v[46:47], v[44:45] offset0:17 offset1:18
	;; [unrolled: 1-line block ×12, first 2 shown]
	ds_write_b64 v88, v[82:83] offset:312
.LBB78_248:
	s_or_b64 exec, exec, s[0:1]
	v_cmp_lt_i32_e32 vcc, 14, v89
	s_waitcnt lgkmcnt(0)
	s_barrier
	s_and_saveexec_b64 s[0:1], vcc
	s_cbranch_execz .LBB78_250
; %bb.249:
	ds_read2_b64 v[94:97], v88 offset0:15 offset1:16
	ds_read2_b64 v[98:101], v88 offset0:17 offset1:18
	;; [unrolled: 1-line block ×3, first 2 shown]
	v_mul_f64 v[50:51], v[84:85], v[50:51]
	ds_read_b64 v[84:85], v88 offset:312
	s_waitcnt lgkmcnt(0)
	v_fma_f64 v[52:53], -v[50:51], v[94:95], v[52:53]
	v_fma_f64 v[48:49], -v[50:51], v[96:97], v[48:49]
	ds_read2_b64 v[94:97], v88 offset0:21 offset1:22
	v_fma_f64 v[46:47], -v[50:51], v[98:99], v[46:47]
	v_fma_f64 v[44:45], -v[50:51], v[100:101], v[44:45]
	;; [unrolled: 1-line block ×3, first 2 shown]
	ds_read2_b64 v[98:101], v88 offset0:23 offset1:24
	v_fma_f64 v[40:41], -v[50:51], v[104:105], v[40:41]
	ds_read2_b64 v[102:105], v88 offset0:25 offset1:26
	s_waitcnt lgkmcnt(0)
	v_fma_f64 v[38:39], -v[50:51], v[94:95], v[38:39]
	v_fma_f64 v[36:37], -v[50:51], v[96:97], v[36:37]
	;; [unrolled: 1-line block ×3, first 2 shown]
	ds_read2_b64 v[94:97], v88 offset0:27 offset1:28
	v_fma_f64 v[32:33], -v[50:51], v[100:101], v[32:33]
	ds_read2_b64 v[98:101], v88 offset0:29 offset1:30
	v_fma_f64 v[30:31], -v[50:51], v[102:103], v[30:31]
	v_fma_f64 v[28:29], -v[50:51], v[104:105], v[28:29]
	ds_read2_b64 v[102:105], v88 offset0:31 offset1:32
	s_waitcnt lgkmcnt(0)
	v_fma_f64 v[26:27], -v[50:51], v[94:95], v[26:27]
	v_fma_f64 v[24:25], -v[50:51], v[96:97], v[24:25]
	ds_read2_b64 v[94:97], v88 offset0:33 offset1:34
	v_fma_f64 v[20:21], -v[50:51], v[98:99], v[20:21]
	v_fma_f64 v[22:23], -v[50:51], v[100:101], v[22:23]
	;; [unrolled: 1-line block ×4, first 2 shown]
	ds_read2_b64 v[98:101], v88 offset0:35 offset1:36
	ds_read2_b64 v[102:105], v88 offset0:37 offset1:38
	s_waitcnt lgkmcnt(0)
	v_fma_f64 v[14:15], -v[50:51], v[94:95], v[14:15]
	v_fma_f64 v[12:13], -v[50:51], v[96:97], v[12:13]
	;; [unrolled: 1-line block ×7, first 2 shown]
.LBB78_250:
	s_or_b64 exec, exec, s[0:1]
	v_lshl_add_u32 v84, v89, 3, v88
	s_barrier
	ds_write_b64 v84, v[52:53]
	s_waitcnt lgkmcnt(0)
	s_barrier
	ds_read_b64 v[84:85], v88 offset:120
	s_cmp_lt_i32 s18, 17
	v_mov_b32_e32 v86, 15
	s_cbranch_scc1 .LBB78_253
; %bb.251:
	v_add_u32_e32 v93, 0x80, v88
	s_mov_b32 s0, 16
	v_mov_b32_e32 v86, 15
.LBB78_252:                             ; =>This Inner Loop Header: Depth=1
	ds_read_b64 v[94:95], v93
	v_mov_b32_e32 v96, s0
	s_add_i32 s0, s0, 1
	v_add_u32_e32 v93, 8, v93
	s_cmp_lg_u32 s18, s0
	s_waitcnt lgkmcnt(0)
	v_cmp_lt_f64_e64 vcc, |v[84:85]|, |v[94:95]|
	v_cndmask_b32_e32 v85, v85, v95, vcc
	v_cndmask_b32_e32 v84, v84, v94, vcc
	;; [unrolled: 1-line block ×3, first 2 shown]
	s_cbranch_scc1 .LBB78_252
.LBB78_253:
	s_waitcnt lgkmcnt(0)
	v_cmp_eq_f64_e32 vcc, 0, v[84:85]
	s_and_saveexec_b64 s[0:1], vcc
	s_xor_b64 s[0:1], exec, s[0:1]
; %bb.254:
	v_cmp_ne_u32_e32 vcc, 0, v92
	v_cndmask_b32_e32 v92, 16, v92, vcc
; %bb.255:
	s_andn2_saveexec_b64 s[0:1], s[0:1]
; %bb.256:
	v_div_scale_f64 v[94:95], s[2:3], v[84:85], v[84:85], 1.0
	v_rcp_f64_e32 v[96:97], v[94:95]
	v_div_scale_f64 v[98:99], vcc, 1.0, v[84:85], 1.0
	v_fma_f64 v[100:101], -v[94:95], v[96:97], 1.0
	v_fmac_f64_e32 v[96:97], v[96:97], v[100:101]
	v_fma_f64 v[100:101], -v[94:95], v[96:97], 1.0
	v_fmac_f64_e32 v[96:97], v[96:97], v[100:101]
	v_mul_f64 v[100:101], v[98:99], v[96:97]
	v_fma_f64 v[94:95], -v[94:95], v[100:101], v[98:99]
	v_div_fmas_f64 v[94:95], v[94:95], v[96:97], v[100:101]
	v_div_fixup_f64 v[84:85], v[94:95], v[84:85], 1.0
; %bb.257:
	s_or_b64 exec, exec, s[0:1]
	v_cmp_ne_u32_e32 vcc, v89, v86
	s_and_saveexec_b64 s[0:1], vcc
	s_xor_b64 s[0:1], exec, s[0:1]
	s_cbranch_execz .LBB78_263
; %bb.258:
	v_cmp_eq_u32_e32 vcc, 15, v89
	s_and_saveexec_b64 s[2:3], vcc
	s_cbranch_execz .LBB78_262
; %bb.259:
	v_cmp_ne_u32_e32 vcc, 15, v86
	s_xor_b64 s[14:15], s[6:7], -1
	s_and_b64 s[16:17], s[14:15], vcc
	s_and_saveexec_b64 s[14:15], s[16:17]
	s_cbranch_execz .LBB78_261
; %bb.260:
	v_ashrrev_i32_e32 v87, 31, v86
	v_lshlrev_b64 v[94:95], 2, v[86:87]
	v_add_co_u32_e32 v94, vcc, v4, v94
	v_addc_co_u32_e32 v95, vcc, v5, v95, vcc
	flat_load_dword v87, v[94:95]
	flat_load_dword v89, v[4:5] offset:60
	s_waitcnt vmcnt(0) lgkmcnt(0)
	flat_store_dword v[4:5], v87 offset:60
	flat_store_dword v[94:95], v89
.LBB78_261:
	s_or_b64 exec, exec, s[14:15]
	v_mov_b32_e32 v87, v86
	v_mov_b32_e32 v89, v86
.LBB78_262:
	s_or_b64 exec, exec, s[2:3]
.LBB78_263:
	s_andn2_saveexec_b64 s[0:1], s[0:1]
	s_cbranch_execz .LBB78_265
; %bb.264:
	v_mov_b32_e32 v94, v48
	v_mov_b32_e32 v95, v49
	v_mov_b32_e32 v96, v46
	v_mov_b32_e32 v97, v47
	ds_write2_b64 v88, v[94:95], v[96:97] offset0:16 offset1:17
	v_mov_b32_e32 v94, v44
	v_mov_b32_e32 v95, v45
	v_mov_b32_e32 v96, v42
	v_mov_b32_e32 v97, v43
	ds_write2_b64 v88, v[94:95], v[96:97] offset0:18 offset1:19
	;; [unrolled: 5-line block ×11, first 2 shown]
	v_mov_b32_e32 v94, v0
	v_mov_b32_e32 v95, v1
	;; [unrolled: 1-line block ×3, first 2 shown]
	ds_write2_b64 v88, v[94:95], v[82:83] offset0:38 offset1:39
.LBB78_265:
	s_or_b64 exec, exec, s[0:1]
	v_cmp_lt_i32_e32 vcc, 15, v89
	s_waitcnt lgkmcnt(0)
	s_barrier
	s_and_saveexec_b64 s[0:1], vcc
	s_cbranch_execz .LBB78_267
; %bb.266:
	ds_read2_b64 v[94:97], v88 offset0:16 offset1:17
	ds_read2_b64 v[98:101], v88 offset0:18 offset1:19
	ds_read2_b64 v[102:105], v88 offset0:20 offset1:21
	v_mul_f64 v[52:53], v[84:85], v[52:53]
	s_waitcnt lgkmcnt(0)
	v_fma_f64 v[48:49], -v[52:53], v[94:95], v[48:49]
	v_fma_f64 v[46:47], -v[52:53], v[96:97], v[46:47]
	ds_read2_b64 v[94:97], v88 offset0:22 offset1:23
	v_fma_f64 v[44:45], -v[52:53], v[98:99], v[44:45]
	v_fma_f64 v[42:43], -v[52:53], v[100:101], v[42:43]
	;; [unrolled: 1-line block ×3, first 2 shown]
	ds_read2_b64 v[98:101], v88 offset0:24 offset1:25
	v_fma_f64 v[38:39], -v[52:53], v[104:105], v[38:39]
	ds_read2_b64 v[102:105], v88 offset0:26 offset1:27
	s_waitcnt lgkmcnt(0)
	v_fma_f64 v[36:37], -v[52:53], v[94:95], v[36:37]
	v_fma_f64 v[34:35], -v[52:53], v[96:97], v[34:35]
	;; [unrolled: 1-line block ×3, first 2 shown]
	ds_read2_b64 v[94:97], v88 offset0:28 offset1:29
	v_fma_f64 v[30:31], -v[52:53], v[100:101], v[30:31]
	ds_read2_b64 v[98:101], v88 offset0:30 offset1:31
	v_fma_f64 v[28:29], -v[52:53], v[102:103], v[28:29]
	v_fma_f64 v[26:27], -v[52:53], v[104:105], v[26:27]
	ds_read2_b64 v[102:105], v88 offset0:32 offset1:33
	s_waitcnt lgkmcnt(0)
	v_fma_f64 v[24:25], -v[52:53], v[94:95], v[24:25]
	v_fma_f64 v[20:21], -v[52:53], v[96:97], v[20:21]
	ds_read2_b64 v[94:97], v88 offset0:34 offset1:35
	v_fma_f64 v[22:23], -v[52:53], v[98:99], v[22:23]
	v_fma_f64 v[18:19], -v[52:53], v[100:101], v[18:19]
	;; [unrolled: 1-line block ×3, first 2 shown]
	ds_read2_b64 v[98:101], v88 offset0:36 offset1:37
	v_fma_f64 v[14:15], -v[52:53], v[104:105], v[14:15]
	ds_read2_b64 v[102:105], v88 offset0:38 offset1:39
	s_waitcnt lgkmcnt(0)
	v_fma_f64 v[12:13], -v[52:53], v[94:95], v[12:13]
	v_fma_f64 v[10:11], -v[52:53], v[96:97], v[10:11]
	;; [unrolled: 1-line block ×6, first 2 shown]
.LBB78_267:
	s_or_b64 exec, exec, s[0:1]
	v_lshl_add_u32 v84, v89, 3, v88
	s_barrier
	ds_write_b64 v84, v[48:49]
	s_waitcnt lgkmcnt(0)
	s_barrier
	ds_read_b64 v[84:85], v88 offset:128
	s_cmp_lt_i32 s18, 18
	v_mov_b32_e32 v86, 16
	s_cbranch_scc1 .LBB78_270
; %bb.268:
	v_add_u32_e32 v93, 0x88, v88
	s_mov_b32 s0, 17
	v_mov_b32_e32 v86, 16
.LBB78_269:                             ; =>This Inner Loop Header: Depth=1
	ds_read_b64 v[94:95], v93
	v_mov_b32_e32 v96, s0
	s_add_i32 s0, s0, 1
	v_add_u32_e32 v93, 8, v93
	s_cmp_lg_u32 s18, s0
	s_waitcnt lgkmcnt(0)
	v_cmp_lt_f64_e64 vcc, |v[84:85]|, |v[94:95]|
	v_cndmask_b32_e32 v85, v85, v95, vcc
	v_cndmask_b32_e32 v84, v84, v94, vcc
	;; [unrolled: 1-line block ×3, first 2 shown]
	s_cbranch_scc1 .LBB78_269
.LBB78_270:
	s_waitcnt lgkmcnt(0)
	v_cmp_eq_f64_e32 vcc, 0, v[84:85]
	s_and_saveexec_b64 s[0:1], vcc
	s_xor_b64 s[0:1], exec, s[0:1]
; %bb.271:
	v_cmp_ne_u32_e32 vcc, 0, v92
	v_cndmask_b32_e32 v92, 17, v92, vcc
; %bb.272:
	s_andn2_saveexec_b64 s[0:1], s[0:1]
; %bb.273:
	v_div_scale_f64 v[94:95], s[2:3], v[84:85], v[84:85], 1.0
	v_rcp_f64_e32 v[96:97], v[94:95]
	v_div_scale_f64 v[98:99], vcc, 1.0, v[84:85], 1.0
	v_fma_f64 v[100:101], -v[94:95], v[96:97], 1.0
	v_fmac_f64_e32 v[96:97], v[96:97], v[100:101]
	v_fma_f64 v[100:101], -v[94:95], v[96:97], 1.0
	v_fmac_f64_e32 v[96:97], v[96:97], v[100:101]
	v_mul_f64 v[100:101], v[98:99], v[96:97]
	v_fma_f64 v[94:95], -v[94:95], v[100:101], v[98:99]
	v_div_fmas_f64 v[94:95], v[94:95], v[96:97], v[100:101]
	v_div_fixup_f64 v[84:85], v[94:95], v[84:85], 1.0
; %bb.274:
	s_or_b64 exec, exec, s[0:1]
	v_cmp_ne_u32_e32 vcc, v89, v86
	s_and_saveexec_b64 s[0:1], vcc
	s_xor_b64 s[0:1], exec, s[0:1]
	s_cbranch_execz .LBB78_280
; %bb.275:
	v_cmp_eq_u32_e32 vcc, 16, v89
	s_and_saveexec_b64 s[2:3], vcc
	s_cbranch_execz .LBB78_279
; %bb.276:
	v_cmp_ne_u32_e32 vcc, 16, v86
	s_xor_b64 s[14:15], s[6:7], -1
	s_and_b64 s[16:17], s[14:15], vcc
	s_and_saveexec_b64 s[14:15], s[16:17]
	s_cbranch_execz .LBB78_278
; %bb.277:
	v_ashrrev_i32_e32 v87, 31, v86
	v_lshlrev_b64 v[94:95], 2, v[86:87]
	v_add_co_u32_e32 v94, vcc, v4, v94
	v_addc_co_u32_e32 v95, vcc, v5, v95, vcc
	flat_load_dword v87, v[94:95]
	flat_load_dword v89, v[4:5] offset:64
	s_waitcnt vmcnt(0) lgkmcnt(0)
	flat_store_dword v[4:5], v87 offset:64
	flat_store_dword v[94:95], v89
.LBB78_278:
	s_or_b64 exec, exec, s[14:15]
	v_mov_b32_e32 v87, v86
	v_mov_b32_e32 v89, v86
.LBB78_279:
	s_or_b64 exec, exec, s[2:3]
.LBB78_280:
	s_andn2_saveexec_b64 s[0:1], s[0:1]
	s_cbranch_execz .LBB78_282
; %bb.281:
	v_mov_b32_e32 v89, 16
	ds_write2_b64 v88, v[46:47], v[44:45] offset0:17 offset1:18
	ds_write2_b64 v88, v[42:43], v[40:41] offset0:19 offset1:20
	;; [unrolled: 1-line block ×11, first 2 shown]
	ds_write_b64 v88, v[82:83] offset:312
.LBB78_282:
	s_or_b64 exec, exec, s[0:1]
	v_cmp_lt_i32_e32 vcc, 16, v89
	s_waitcnt lgkmcnt(0)
	s_barrier
	s_and_saveexec_b64 s[0:1], vcc
	s_cbranch_execz .LBB78_284
; %bb.283:
	ds_read2_b64 v[94:97], v88 offset0:17 offset1:18
	ds_read2_b64 v[98:101], v88 offset0:19 offset1:20
	v_mul_f64 v[48:49], v[84:85], v[48:49]
	ds_read2_b64 v[102:105], v88 offset0:21 offset1:22
	ds_read_b64 v[84:85], v88 offset:312
	s_waitcnt lgkmcnt(0)
	v_fma_f64 v[46:47], -v[48:49], v[94:95], v[46:47]
	v_fma_f64 v[44:45], -v[48:49], v[96:97], v[44:45]
	ds_read2_b64 v[94:97], v88 offset0:23 offset1:24
	v_fma_f64 v[42:43], -v[48:49], v[98:99], v[42:43]
	v_fma_f64 v[40:41], -v[48:49], v[100:101], v[40:41]
	ds_read2_b64 v[98:101], v88 offset0:25 offset1:26
	v_fma_f64 v[38:39], -v[48:49], v[102:103], v[38:39]
	v_fma_f64 v[36:37], -v[48:49], v[104:105], v[36:37]
	ds_read2_b64 v[102:105], v88 offset0:27 offset1:28
	s_waitcnt lgkmcnt(0)
	v_fma_f64 v[34:35], -v[48:49], v[94:95], v[34:35]
	v_fma_f64 v[32:33], -v[48:49], v[96:97], v[32:33]
	;; [unrolled: 1-line block ×3, first 2 shown]
	ds_read2_b64 v[94:97], v88 offset0:29 offset1:30
	v_fma_f64 v[28:29], -v[48:49], v[100:101], v[28:29]
	ds_read2_b64 v[98:101], v88 offset0:31 offset1:32
	v_fma_f64 v[26:27], -v[48:49], v[102:103], v[26:27]
	v_fma_f64 v[24:25], -v[48:49], v[104:105], v[24:25]
	s_waitcnt lgkmcnt(0)
	v_fma_f64 v[20:21], -v[48:49], v[94:95], v[20:21]
	ds_read2_b64 v[102:105], v88 offset0:33 offset1:34
	v_fma_f64 v[22:23], -v[48:49], v[96:97], v[22:23]
	ds_read2_b64 v[94:97], v88 offset0:35 offset1:36
	v_fma_f64 v[18:19], -v[48:49], v[98:99], v[18:19]
	v_fma_f64 v[16:17], -v[48:49], v[100:101], v[16:17]
	ds_read2_b64 v[98:101], v88 offset0:37 offset1:38
	s_waitcnt lgkmcnt(0)
	v_fma_f64 v[14:15], -v[48:49], v[102:103], v[14:15]
	v_fma_f64 v[12:13], -v[48:49], v[104:105], v[12:13]
	;; [unrolled: 1-line block ×7, first 2 shown]
.LBB78_284:
	s_or_b64 exec, exec, s[0:1]
	v_lshl_add_u32 v84, v89, 3, v88
	s_barrier
	ds_write_b64 v84, v[46:47]
	s_waitcnt lgkmcnt(0)
	s_barrier
	ds_read_b64 v[84:85], v88 offset:136
	s_cmp_lt_i32 s18, 19
	v_mov_b32_e32 v86, 17
	s_cbranch_scc1 .LBB78_287
; %bb.285:
	v_add_u32_e32 v93, 0x90, v88
	s_mov_b32 s0, 18
	v_mov_b32_e32 v86, 17
.LBB78_286:                             ; =>This Inner Loop Header: Depth=1
	ds_read_b64 v[94:95], v93
	v_mov_b32_e32 v96, s0
	s_add_i32 s0, s0, 1
	v_add_u32_e32 v93, 8, v93
	s_cmp_lg_u32 s18, s0
	s_waitcnt lgkmcnt(0)
	v_cmp_lt_f64_e64 vcc, |v[84:85]|, |v[94:95]|
	v_cndmask_b32_e32 v85, v85, v95, vcc
	v_cndmask_b32_e32 v84, v84, v94, vcc
	;; [unrolled: 1-line block ×3, first 2 shown]
	s_cbranch_scc1 .LBB78_286
.LBB78_287:
	s_waitcnt lgkmcnt(0)
	v_cmp_eq_f64_e32 vcc, 0, v[84:85]
	s_and_saveexec_b64 s[0:1], vcc
	s_xor_b64 s[0:1], exec, s[0:1]
; %bb.288:
	v_cmp_ne_u32_e32 vcc, 0, v92
	v_cndmask_b32_e32 v92, 18, v92, vcc
; %bb.289:
	s_andn2_saveexec_b64 s[0:1], s[0:1]
; %bb.290:
	v_div_scale_f64 v[94:95], s[2:3], v[84:85], v[84:85], 1.0
	v_rcp_f64_e32 v[96:97], v[94:95]
	v_div_scale_f64 v[98:99], vcc, 1.0, v[84:85], 1.0
	v_fma_f64 v[100:101], -v[94:95], v[96:97], 1.0
	v_fmac_f64_e32 v[96:97], v[96:97], v[100:101]
	v_fma_f64 v[100:101], -v[94:95], v[96:97], 1.0
	v_fmac_f64_e32 v[96:97], v[96:97], v[100:101]
	v_mul_f64 v[100:101], v[98:99], v[96:97]
	v_fma_f64 v[94:95], -v[94:95], v[100:101], v[98:99]
	v_div_fmas_f64 v[94:95], v[94:95], v[96:97], v[100:101]
	v_div_fixup_f64 v[84:85], v[94:95], v[84:85], 1.0
; %bb.291:
	s_or_b64 exec, exec, s[0:1]
	v_cmp_ne_u32_e32 vcc, v89, v86
	s_and_saveexec_b64 s[0:1], vcc
	s_xor_b64 s[0:1], exec, s[0:1]
	s_cbranch_execz .LBB78_297
; %bb.292:
	v_cmp_eq_u32_e32 vcc, 17, v89
	s_and_saveexec_b64 s[2:3], vcc
	s_cbranch_execz .LBB78_296
; %bb.293:
	v_cmp_ne_u32_e32 vcc, 17, v86
	s_xor_b64 s[14:15], s[6:7], -1
	s_and_b64 s[16:17], s[14:15], vcc
	s_and_saveexec_b64 s[14:15], s[16:17]
	s_cbranch_execz .LBB78_295
; %bb.294:
	v_ashrrev_i32_e32 v87, 31, v86
	v_lshlrev_b64 v[94:95], 2, v[86:87]
	v_add_co_u32_e32 v94, vcc, v4, v94
	v_addc_co_u32_e32 v95, vcc, v5, v95, vcc
	flat_load_dword v87, v[94:95]
	flat_load_dword v89, v[4:5] offset:68
	s_waitcnt vmcnt(0) lgkmcnt(0)
	flat_store_dword v[4:5], v87 offset:68
	flat_store_dword v[94:95], v89
.LBB78_295:
	s_or_b64 exec, exec, s[14:15]
	v_mov_b32_e32 v87, v86
	v_mov_b32_e32 v89, v86
.LBB78_296:
	s_or_b64 exec, exec, s[2:3]
.LBB78_297:
	s_andn2_saveexec_b64 s[0:1], s[0:1]
	s_cbranch_execz .LBB78_299
; %bb.298:
	v_mov_b32_e32 v94, v44
	v_mov_b32_e32 v95, v45
	v_mov_b32_e32 v96, v42
	v_mov_b32_e32 v97, v43
	ds_write2_b64 v88, v[94:95], v[96:97] offset0:18 offset1:19
	v_mov_b32_e32 v94, v40
	v_mov_b32_e32 v95, v41
	v_mov_b32_e32 v96, v38
	v_mov_b32_e32 v97, v39
	ds_write2_b64 v88, v[94:95], v[96:97] offset0:20 offset1:21
	;; [unrolled: 5-line block ×10, first 2 shown]
	v_mov_b32_e32 v94, v0
	v_mov_b32_e32 v95, v1
	;; [unrolled: 1-line block ×3, first 2 shown]
	ds_write2_b64 v88, v[94:95], v[82:83] offset0:38 offset1:39
.LBB78_299:
	s_or_b64 exec, exec, s[0:1]
	v_cmp_lt_i32_e32 vcc, 17, v89
	s_waitcnt lgkmcnt(0)
	s_barrier
	s_and_saveexec_b64 s[0:1], vcc
	s_cbranch_execz .LBB78_301
; %bb.300:
	ds_read2_b64 v[94:97], v88 offset0:18 offset1:19
	ds_read2_b64 v[98:101], v88 offset0:20 offset1:21
	v_mul_f64 v[46:47], v[84:85], v[46:47]
	ds_read2_b64 v[102:105], v88 offset0:22 offset1:23
	s_waitcnt lgkmcnt(0)
	v_fma_f64 v[44:45], -v[46:47], v[94:95], v[44:45]
	v_fma_f64 v[42:43], -v[46:47], v[96:97], v[42:43]
	ds_read2_b64 v[94:97], v88 offset0:24 offset1:25
	v_fma_f64 v[40:41], -v[46:47], v[98:99], v[40:41]
	v_fma_f64 v[38:39], -v[46:47], v[100:101], v[38:39]
	ds_read2_b64 v[98:101], v88 offset0:26 offset1:27
	;; [unrolled: 3-line block ×3, first 2 shown]
	s_waitcnt lgkmcnt(0)
	v_fma_f64 v[32:33], -v[46:47], v[94:95], v[32:33]
	v_fma_f64 v[30:31], -v[46:47], v[96:97], v[30:31]
	;; [unrolled: 1-line block ×3, first 2 shown]
	ds_read2_b64 v[94:97], v88 offset0:30 offset1:31
	v_fma_f64 v[26:27], -v[46:47], v[100:101], v[26:27]
	ds_read2_b64 v[98:101], v88 offset0:32 offset1:33
	v_fma_f64 v[24:25], -v[46:47], v[102:103], v[24:25]
	v_fma_f64 v[20:21], -v[46:47], v[104:105], v[20:21]
	s_waitcnt lgkmcnt(0)
	v_fma_f64 v[22:23], -v[46:47], v[94:95], v[22:23]
	v_fma_f64 v[18:19], -v[46:47], v[96:97], v[18:19]
	ds_read2_b64 v[94:97], v88 offset0:34 offset1:35
	ds_read2_b64 v[102:105], v88 offset0:36 offset1:37
	v_fma_f64 v[16:17], -v[46:47], v[98:99], v[16:17]
	v_fma_f64 v[14:15], -v[46:47], v[100:101], v[14:15]
	ds_read2_b64 v[98:101], v88 offset0:38 offset1:39
	s_waitcnt lgkmcnt(0)
	v_fma_f64 v[12:13], -v[46:47], v[94:95], v[12:13]
	v_fma_f64 v[10:11], -v[46:47], v[96:97], v[10:11]
	;; [unrolled: 1-line block ×6, first 2 shown]
.LBB78_301:
	s_or_b64 exec, exec, s[0:1]
	v_lshl_add_u32 v84, v89, 3, v88
	s_barrier
	ds_write_b64 v84, v[44:45]
	s_waitcnt lgkmcnt(0)
	s_barrier
	ds_read_b64 v[84:85], v88 offset:144
	s_cmp_lt_i32 s18, 20
	v_mov_b32_e32 v86, 18
	s_cbranch_scc1 .LBB78_304
; %bb.302:
	v_add_u32_e32 v93, 0x98, v88
	s_mov_b32 s0, 19
	v_mov_b32_e32 v86, 18
.LBB78_303:                             ; =>This Inner Loop Header: Depth=1
	ds_read_b64 v[94:95], v93
	v_mov_b32_e32 v96, s0
	s_add_i32 s0, s0, 1
	v_add_u32_e32 v93, 8, v93
	s_cmp_lg_u32 s18, s0
	s_waitcnt lgkmcnt(0)
	v_cmp_lt_f64_e64 vcc, |v[84:85]|, |v[94:95]|
	v_cndmask_b32_e32 v85, v85, v95, vcc
	v_cndmask_b32_e32 v84, v84, v94, vcc
	;; [unrolled: 1-line block ×3, first 2 shown]
	s_cbranch_scc1 .LBB78_303
.LBB78_304:
	s_waitcnt lgkmcnt(0)
	v_cmp_eq_f64_e32 vcc, 0, v[84:85]
	s_and_saveexec_b64 s[0:1], vcc
	s_xor_b64 s[0:1], exec, s[0:1]
; %bb.305:
	v_cmp_ne_u32_e32 vcc, 0, v92
	v_cndmask_b32_e32 v92, 19, v92, vcc
; %bb.306:
	s_andn2_saveexec_b64 s[0:1], s[0:1]
; %bb.307:
	v_div_scale_f64 v[94:95], s[2:3], v[84:85], v[84:85], 1.0
	v_rcp_f64_e32 v[96:97], v[94:95]
	v_div_scale_f64 v[98:99], vcc, 1.0, v[84:85], 1.0
	v_fma_f64 v[100:101], -v[94:95], v[96:97], 1.0
	v_fmac_f64_e32 v[96:97], v[96:97], v[100:101]
	v_fma_f64 v[100:101], -v[94:95], v[96:97], 1.0
	v_fmac_f64_e32 v[96:97], v[96:97], v[100:101]
	v_mul_f64 v[100:101], v[98:99], v[96:97]
	v_fma_f64 v[94:95], -v[94:95], v[100:101], v[98:99]
	v_div_fmas_f64 v[94:95], v[94:95], v[96:97], v[100:101]
	v_div_fixup_f64 v[84:85], v[94:95], v[84:85], 1.0
; %bb.308:
	s_or_b64 exec, exec, s[0:1]
	v_cmp_ne_u32_e32 vcc, v89, v86
	s_and_saveexec_b64 s[0:1], vcc
	s_xor_b64 s[0:1], exec, s[0:1]
	s_cbranch_execz .LBB78_314
; %bb.309:
	v_cmp_eq_u32_e32 vcc, 18, v89
	s_and_saveexec_b64 s[2:3], vcc
	s_cbranch_execz .LBB78_313
; %bb.310:
	v_cmp_ne_u32_e32 vcc, 18, v86
	s_xor_b64 s[14:15], s[6:7], -1
	s_and_b64 s[16:17], s[14:15], vcc
	s_and_saveexec_b64 s[14:15], s[16:17]
	s_cbranch_execz .LBB78_312
; %bb.311:
	v_ashrrev_i32_e32 v87, 31, v86
	v_lshlrev_b64 v[94:95], 2, v[86:87]
	v_add_co_u32_e32 v94, vcc, v4, v94
	v_addc_co_u32_e32 v95, vcc, v5, v95, vcc
	flat_load_dword v87, v[94:95]
	flat_load_dword v89, v[4:5] offset:72
	s_waitcnt vmcnt(0) lgkmcnt(0)
	flat_store_dword v[4:5], v87 offset:72
	flat_store_dword v[94:95], v89
.LBB78_312:
	s_or_b64 exec, exec, s[14:15]
	v_mov_b32_e32 v87, v86
	v_mov_b32_e32 v89, v86
.LBB78_313:
	s_or_b64 exec, exec, s[2:3]
.LBB78_314:
	s_andn2_saveexec_b64 s[0:1], s[0:1]
	s_cbranch_execz .LBB78_316
; %bb.315:
	v_mov_b32_e32 v89, 18
	ds_write2_b64 v88, v[42:43], v[40:41] offset0:19 offset1:20
	ds_write2_b64 v88, v[38:39], v[36:37] offset0:21 offset1:22
	ds_write2_b64 v88, v[34:35], v[32:33] offset0:23 offset1:24
	ds_write2_b64 v88, v[30:31], v[28:29] offset0:25 offset1:26
	ds_write2_b64 v88, v[26:27], v[24:25] offset0:27 offset1:28
	ds_write2_b64 v88, v[20:21], v[22:23] offset0:29 offset1:30
	ds_write2_b64 v88, v[18:19], v[16:17] offset0:31 offset1:32
	ds_write2_b64 v88, v[14:15], v[12:13] offset0:33 offset1:34
	ds_write2_b64 v88, v[10:11], v[8:9] offset0:35 offset1:36
	ds_write2_b64 v88, v[6:7], v[0:1] offset0:37 offset1:38
	ds_write_b64 v88, v[82:83] offset:312
.LBB78_316:
	s_or_b64 exec, exec, s[0:1]
	v_cmp_lt_i32_e32 vcc, 18, v89
	s_waitcnt lgkmcnt(0)
	s_barrier
	s_and_saveexec_b64 s[0:1], vcc
	s_cbranch_execz .LBB78_318
; %bb.317:
	ds_read2_b64 v[94:97], v88 offset0:19 offset1:20
	ds_read2_b64 v[98:101], v88 offset0:21 offset1:22
	v_mul_f64 v[44:45], v[84:85], v[44:45]
	ds_read2_b64 v[102:105], v88 offset0:23 offset1:24
	ds_read_b64 v[84:85], v88 offset:312
	s_waitcnt lgkmcnt(0)
	v_fma_f64 v[42:43], -v[44:45], v[94:95], v[42:43]
	v_fma_f64 v[40:41], -v[44:45], v[96:97], v[40:41]
	ds_read2_b64 v[94:97], v88 offset0:25 offset1:26
	v_fma_f64 v[38:39], -v[44:45], v[98:99], v[38:39]
	v_fma_f64 v[36:37], -v[44:45], v[100:101], v[36:37]
	;; [unrolled: 1-line block ×3, first 2 shown]
	ds_read2_b64 v[98:101], v88 offset0:27 offset1:28
	v_fma_f64 v[32:33], -v[44:45], v[104:105], v[32:33]
	ds_read2_b64 v[102:105], v88 offset0:29 offset1:30
	s_waitcnt lgkmcnt(0)
	v_fma_f64 v[30:31], -v[44:45], v[94:95], v[30:31]
	v_fma_f64 v[28:29], -v[44:45], v[96:97], v[28:29]
	ds_read2_b64 v[94:97], v88 offset0:31 offset1:32
	v_fma_f64 v[26:27], -v[44:45], v[98:99], v[26:27]
	v_fma_f64 v[24:25], -v[44:45], v[100:101], v[24:25]
	ds_read2_b64 v[98:101], v88 offset0:33 offset1:34
	v_fma_f64 v[20:21], -v[44:45], v[102:103], v[20:21]
	v_fma_f64 v[22:23], -v[44:45], v[104:105], v[22:23]
	s_waitcnt lgkmcnt(0)
	v_fma_f64 v[18:19], -v[44:45], v[94:95], v[18:19]
	v_fma_f64 v[16:17], -v[44:45], v[96:97], v[16:17]
	ds_read2_b64 v[94:97], v88 offset0:35 offset1:36
	ds_read2_b64 v[102:105], v88 offset0:37 offset1:38
	v_fma_f64 v[14:15], -v[44:45], v[98:99], v[14:15]
	v_fma_f64 v[12:13], -v[44:45], v[100:101], v[12:13]
	;; [unrolled: 1-line block ×3, first 2 shown]
	s_waitcnt lgkmcnt(0)
	v_fma_f64 v[10:11], -v[44:45], v[94:95], v[10:11]
	v_fma_f64 v[8:9], -v[44:45], v[96:97], v[8:9]
	;; [unrolled: 1-line block ×4, first 2 shown]
.LBB78_318:
	s_or_b64 exec, exec, s[0:1]
	v_lshl_add_u32 v84, v89, 3, v88
	s_barrier
	ds_write_b64 v84, v[42:43]
	s_waitcnt lgkmcnt(0)
	s_barrier
	ds_read_b64 v[84:85], v88 offset:152
	s_cmp_lt_i32 s18, 21
	v_mov_b32_e32 v86, 19
	s_cbranch_scc1 .LBB78_321
; %bb.319:
	v_add_u32_e32 v93, 0xa0, v88
	s_mov_b32 s0, 20
	v_mov_b32_e32 v86, 19
.LBB78_320:                             ; =>This Inner Loop Header: Depth=1
	ds_read_b64 v[94:95], v93
	v_mov_b32_e32 v96, s0
	s_add_i32 s0, s0, 1
	v_add_u32_e32 v93, 8, v93
	s_cmp_lg_u32 s18, s0
	s_waitcnt lgkmcnt(0)
	v_cmp_lt_f64_e64 vcc, |v[84:85]|, |v[94:95]|
	v_cndmask_b32_e32 v85, v85, v95, vcc
	v_cndmask_b32_e32 v84, v84, v94, vcc
	;; [unrolled: 1-line block ×3, first 2 shown]
	s_cbranch_scc1 .LBB78_320
.LBB78_321:
	s_waitcnt lgkmcnt(0)
	v_cmp_eq_f64_e32 vcc, 0, v[84:85]
	s_and_saveexec_b64 s[0:1], vcc
	s_xor_b64 s[0:1], exec, s[0:1]
; %bb.322:
	v_cmp_ne_u32_e32 vcc, 0, v92
	v_cndmask_b32_e32 v92, 20, v92, vcc
; %bb.323:
	s_andn2_saveexec_b64 s[0:1], s[0:1]
; %bb.324:
	v_div_scale_f64 v[94:95], s[2:3], v[84:85], v[84:85], 1.0
	v_rcp_f64_e32 v[96:97], v[94:95]
	v_div_scale_f64 v[98:99], vcc, 1.0, v[84:85], 1.0
	v_fma_f64 v[100:101], -v[94:95], v[96:97], 1.0
	v_fmac_f64_e32 v[96:97], v[96:97], v[100:101]
	v_fma_f64 v[100:101], -v[94:95], v[96:97], 1.0
	v_fmac_f64_e32 v[96:97], v[96:97], v[100:101]
	v_mul_f64 v[100:101], v[98:99], v[96:97]
	v_fma_f64 v[94:95], -v[94:95], v[100:101], v[98:99]
	v_div_fmas_f64 v[94:95], v[94:95], v[96:97], v[100:101]
	v_div_fixup_f64 v[84:85], v[94:95], v[84:85], 1.0
; %bb.325:
	s_or_b64 exec, exec, s[0:1]
	v_cmp_ne_u32_e32 vcc, v89, v86
	s_and_saveexec_b64 s[0:1], vcc
	s_xor_b64 s[0:1], exec, s[0:1]
	s_cbranch_execz .LBB78_331
; %bb.326:
	v_cmp_eq_u32_e32 vcc, 19, v89
	s_and_saveexec_b64 s[2:3], vcc
	s_cbranch_execz .LBB78_330
; %bb.327:
	v_cmp_ne_u32_e32 vcc, 19, v86
	s_xor_b64 s[14:15], s[6:7], -1
	s_and_b64 s[16:17], s[14:15], vcc
	s_and_saveexec_b64 s[14:15], s[16:17]
	s_cbranch_execz .LBB78_329
; %bb.328:
	v_ashrrev_i32_e32 v87, 31, v86
	v_lshlrev_b64 v[94:95], 2, v[86:87]
	v_add_co_u32_e32 v94, vcc, v4, v94
	v_addc_co_u32_e32 v95, vcc, v5, v95, vcc
	flat_load_dword v87, v[94:95]
	flat_load_dword v89, v[4:5] offset:76
	s_waitcnt vmcnt(0) lgkmcnt(0)
	flat_store_dword v[4:5], v87 offset:76
	flat_store_dword v[94:95], v89
.LBB78_329:
	s_or_b64 exec, exec, s[14:15]
	v_mov_b32_e32 v87, v86
	v_mov_b32_e32 v89, v86
.LBB78_330:
	s_or_b64 exec, exec, s[2:3]
.LBB78_331:
	s_andn2_saveexec_b64 s[0:1], s[0:1]
	s_cbranch_execz .LBB78_333
; %bb.332:
	v_mov_b32_e32 v94, v40
	v_mov_b32_e32 v95, v41
	v_mov_b32_e32 v96, v38
	v_mov_b32_e32 v97, v39
	ds_write2_b64 v88, v[94:95], v[96:97] offset0:20 offset1:21
	v_mov_b32_e32 v94, v36
	v_mov_b32_e32 v95, v37
	v_mov_b32_e32 v96, v34
	v_mov_b32_e32 v97, v35
	ds_write2_b64 v88, v[94:95], v[96:97] offset0:22 offset1:23
	;; [unrolled: 5-line block ×9, first 2 shown]
	v_mov_b32_e32 v94, v0
	v_mov_b32_e32 v95, v1
	;; [unrolled: 1-line block ×3, first 2 shown]
	ds_write2_b64 v88, v[94:95], v[82:83] offset0:38 offset1:39
.LBB78_333:
	s_or_b64 exec, exec, s[0:1]
	v_cmp_lt_i32_e32 vcc, 19, v89
	s_waitcnt lgkmcnt(0)
	s_barrier
	s_and_saveexec_b64 s[0:1], vcc
	s_cbranch_execz .LBB78_335
; %bb.334:
	ds_read2_b64 v[94:97], v88 offset0:20 offset1:21
	ds_read2_b64 v[98:101], v88 offset0:22 offset1:23
	v_mul_f64 v[42:43], v[84:85], v[42:43]
	ds_read2_b64 v[102:105], v88 offset0:24 offset1:25
	s_waitcnt lgkmcnt(0)
	v_fma_f64 v[40:41], -v[42:43], v[94:95], v[40:41]
	v_fma_f64 v[38:39], -v[42:43], v[96:97], v[38:39]
	ds_read2_b64 v[94:97], v88 offset0:26 offset1:27
	v_fma_f64 v[36:37], -v[42:43], v[98:99], v[36:37]
	v_fma_f64 v[34:35], -v[42:43], v[100:101], v[34:35]
	;; [unrolled: 1-line block ×3, first 2 shown]
	ds_read2_b64 v[98:101], v88 offset0:28 offset1:29
	v_fma_f64 v[30:31], -v[42:43], v[104:105], v[30:31]
	ds_read2_b64 v[102:105], v88 offset0:30 offset1:31
	s_waitcnt lgkmcnt(0)
	v_fma_f64 v[28:29], -v[42:43], v[94:95], v[28:29]
	v_fma_f64 v[26:27], -v[42:43], v[96:97], v[26:27]
	ds_read2_b64 v[94:97], v88 offset0:32 offset1:33
	v_fma_f64 v[24:25], -v[42:43], v[98:99], v[24:25]
	v_fma_f64 v[20:21], -v[42:43], v[100:101], v[20:21]
	ds_read2_b64 v[98:101], v88 offset0:34 offset1:35
	v_fma_f64 v[22:23], -v[42:43], v[102:103], v[22:23]
	v_fma_f64 v[18:19], -v[42:43], v[104:105], v[18:19]
	s_waitcnt lgkmcnt(0)
	v_fma_f64 v[16:17], -v[42:43], v[94:95], v[16:17]
	ds_read2_b64 v[102:105], v88 offset0:36 offset1:37
	v_fma_f64 v[14:15], -v[42:43], v[96:97], v[14:15]
	ds_read2_b64 v[94:97], v88 offset0:38 offset1:39
	v_fma_f64 v[12:13], -v[42:43], v[98:99], v[12:13]
	v_fma_f64 v[10:11], -v[42:43], v[100:101], v[10:11]
	s_waitcnt lgkmcnt(0)
	v_fma_f64 v[8:9], -v[42:43], v[102:103], v[8:9]
	v_fma_f64 v[6:7], -v[42:43], v[104:105], v[6:7]
	;; [unrolled: 1-line block ×4, first 2 shown]
.LBB78_335:
	s_or_b64 exec, exec, s[0:1]
	v_lshl_add_u32 v84, v89, 3, v88
	s_barrier
	ds_write_b64 v84, v[40:41]
	s_waitcnt lgkmcnt(0)
	s_barrier
	ds_read_b64 v[84:85], v88 offset:160
	s_cmp_lt_i32 s18, 22
	v_mov_b32_e32 v86, 20
	s_cbranch_scc1 .LBB78_338
; %bb.336:
	v_add_u32_e32 v93, 0xa8, v88
	s_mov_b32 s0, 21
	v_mov_b32_e32 v86, 20
.LBB78_337:                             ; =>This Inner Loop Header: Depth=1
	ds_read_b64 v[94:95], v93
	v_mov_b32_e32 v96, s0
	s_add_i32 s0, s0, 1
	v_add_u32_e32 v93, 8, v93
	s_cmp_lg_u32 s18, s0
	s_waitcnt lgkmcnt(0)
	v_cmp_lt_f64_e64 vcc, |v[84:85]|, |v[94:95]|
	v_cndmask_b32_e32 v85, v85, v95, vcc
	v_cndmask_b32_e32 v84, v84, v94, vcc
	;; [unrolled: 1-line block ×3, first 2 shown]
	s_cbranch_scc1 .LBB78_337
.LBB78_338:
	s_waitcnt lgkmcnt(0)
	v_cmp_eq_f64_e32 vcc, 0, v[84:85]
	s_and_saveexec_b64 s[0:1], vcc
	s_xor_b64 s[0:1], exec, s[0:1]
; %bb.339:
	v_cmp_ne_u32_e32 vcc, 0, v92
	v_cndmask_b32_e32 v92, 21, v92, vcc
; %bb.340:
	s_andn2_saveexec_b64 s[0:1], s[0:1]
; %bb.341:
	v_div_scale_f64 v[94:95], s[2:3], v[84:85], v[84:85], 1.0
	v_rcp_f64_e32 v[96:97], v[94:95]
	v_div_scale_f64 v[98:99], vcc, 1.0, v[84:85], 1.0
	v_fma_f64 v[100:101], -v[94:95], v[96:97], 1.0
	v_fmac_f64_e32 v[96:97], v[96:97], v[100:101]
	v_fma_f64 v[100:101], -v[94:95], v[96:97], 1.0
	v_fmac_f64_e32 v[96:97], v[96:97], v[100:101]
	v_mul_f64 v[100:101], v[98:99], v[96:97]
	v_fma_f64 v[94:95], -v[94:95], v[100:101], v[98:99]
	v_div_fmas_f64 v[94:95], v[94:95], v[96:97], v[100:101]
	v_div_fixup_f64 v[84:85], v[94:95], v[84:85], 1.0
; %bb.342:
	s_or_b64 exec, exec, s[0:1]
	v_cmp_ne_u32_e32 vcc, v89, v86
	s_and_saveexec_b64 s[0:1], vcc
	s_xor_b64 s[0:1], exec, s[0:1]
	s_cbranch_execz .LBB78_348
; %bb.343:
	v_cmp_eq_u32_e32 vcc, 20, v89
	s_and_saveexec_b64 s[2:3], vcc
	s_cbranch_execz .LBB78_347
; %bb.344:
	v_cmp_ne_u32_e32 vcc, 20, v86
	s_xor_b64 s[14:15], s[6:7], -1
	s_and_b64 s[16:17], s[14:15], vcc
	s_and_saveexec_b64 s[14:15], s[16:17]
	s_cbranch_execz .LBB78_346
; %bb.345:
	v_ashrrev_i32_e32 v87, 31, v86
	v_lshlrev_b64 v[94:95], 2, v[86:87]
	v_add_co_u32_e32 v94, vcc, v4, v94
	v_addc_co_u32_e32 v95, vcc, v5, v95, vcc
	flat_load_dword v87, v[94:95]
	flat_load_dword v89, v[4:5] offset:80
	s_waitcnt vmcnt(0) lgkmcnt(0)
	flat_store_dword v[4:5], v87 offset:80
	flat_store_dword v[94:95], v89
.LBB78_346:
	s_or_b64 exec, exec, s[14:15]
	v_mov_b32_e32 v87, v86
	v_mov_b32_e32 v89, v86
.LBB78_347:
	s_or_b64 exec, exec, s[2:3]
.LBB78_348:
	s_andn2_saveexec_b64 s[0:1], s[0:1]
	s_cbranch_execz .LBB78_350
; %bb.349:
	v_mov_b32_e32 v89, 20
	ds_write2_b64 v88, v[38:39], v[36:37] offset0:21 offset1:22
	ds_write2_b64 v88, v[34:35], v[32:33] offset0:23 offset1:24
	;; [unrolled: 1-line block ×9, first 2 shown]
	ds_write_b64 v88, v[82:83] offset:312
.LBB78_350:
	s_or_b64 exec, exec, s[0:1]
	v_cmp_lt_i32_e32 vcc, 20, v89
	s_waitcnt lgkmcnt(0)
	s_barrier
	s_and_saveexec_b64 s[0:1], vcc
	s_cbranch_execz .LBB78_352
; %bb.351:
	ds_read2_b64 v[94:97], v88 offset0:21 offset1:22
	ds_read2_b64 v[98:101], v88 offset0:23 offset1:24
	;; [unrolled: 1-line block ×3, first 2 shown]
	v_mul_f64 v[40:41], v[84:85], v[40:41]
	ds_read_b64 v[84:85], v88 offset:312
	s_waitcnt lgkmcnt(0)
	v_fma_f64 v[38:39], -v[40:41], v[94:95], v[38:39]
	v_fma_f64 v[36:37], -v[40:41], v[96:97], v[36:37]
	ds_read2_b64 v[94:97], v88 offset0:27 offset1:28
	v_fma_f64 v[34:35], -v[40:41], v[98:99], v[34:35]
	v_fma_f64 v[32:33], -v[40:41], v[100:101], v[32:33]
	;; [unrolled: 1-line block ×3, first 2 shown]
	ds_read2_b64 v[98:101], v88 offset0:29 offset1:30
	v_fma_f64 v[28:29], -v[40:41], v[104:105], v[28:29]
	ds_read2_b64 v[102:105], v88 offset0:31 offset1:32
	s_waitcnt lgkmcnt(0)
	v_fma_f64 v[26:27], -v[40:41], v[94:95], v[26:27]
	v_fma_f64 v[24:25], -v[40:41], v[96:97], v[24:25]
	;; [unrolled: 1-line block ×3, first 2 shown]
	ds_read2_b64 v[94:97], v88 offset0:33 offset1:34
	v_fma_f64 v[22:23], -v[40:41], v[100:101], v[22:23]
	ds_read2_b64 v[98:101], v88 offset0:35 offset1:36
	v_fma_f64 v[18:19], -v[40:41], v[102:103], v[18:19]
	v_fma_f64 v[16:17], -v[40:41], v[104:105], v[16:17]
	ds_read2_b64 v[102:105], v88 offset0:37 offset1:38
	s_waitcnt lgkmcnt(0)
	v_fma_f64 v[14:15], -v[40:41], v[94:95], v[14:15]
	v_fma_f64 v[12:13], -v[40:41], v[96:97], v[12:13]
	;; [unrolled: 1-line block ×7, first 2 shown]
.LBB78_352:
	s_or_b64 exec, exec, s[0:1]
	v_lshl_add_u32 v84, v89, 3, v88
	s_barrier
	ds_write_b64 v84, v[38:39]
	s_waitcnt lgkmcnt(0)
	s_barrier
	ds_read_b64 v[84:85], v88 offset:168
	s_cmp_lt_i32 s18, 23
	v_mov_b32_e32 v86, 21
	s_cbranch_scc1 .LBB78_355
; %bb.353:
	v_add_u32_e32 v93, 0xb0, v88
	s_mov_b32 s0, 22
	v_mov_b32_e32 v86, 21
.LBB78_354:                             ; =>This Inner Loop Header: Depth=1
	ds_read_b64 v[94:95], v93
	v_mov_b32_e32 v96, s0
	s_add_i32 s0, s0, 1
	v_add_u32_e32 v93, 8, v93
	s_cmp_lg_u32 s18, s0
	s_waitcnt lgkmcnt(0)
	v_cmp_lt_f64_e64 vcc, |v[84:85]|, |v[94:95]|
	v_cndmask_b32_e32 v85, v85, v95, vcc
	v_cndmask_b32_e32 v84, v84, v94, vcc
	;; [unrolled: 1-line block ×3, first 2 shown]
	s_cbranch_scc1 .LBB78_354
.LBB78_355:
	s_waitcnt lgkmcnt(0)
	v_cmp_eq_f64_e32 vcc, 0, v[84:85]
	s_and_saveexec_b64 s[0:1], vcc
	s_xor_b64 s[0:1], exec, s[0:1]
; %bb.356:
	v_cmp_ne_u32_e32 vcc, 0, v92
	v_cndmask_b32_e32 v92, 22, v92, vcc
; %bb.357:
	s_andn2_saveexec_b64 s[0:1], s[0:1]
; %bb.358:
	v_div_scale_f64 v[94:95], s[2:3], v[84:85], v[84:85], 1.0
	v_rcp_f64_e32 v[96:97], v[94:95]
	v_div_scale_f64 v[98:99], vcc, 1.0, v[84:85], 1.0
	v_fma_f64 v[100:101], -v[94:95], v[96:97], 1.0
	v_fmac_f64_e32 v[96:97], v[96:97], v[100:101]
	v_fma_f64 v[100:101], -v[94:95], v[96:97], 1.0
	v_fmac_f64_e32 v[96:97], v[96:97], v[100:101]
	v_mul_f64 v[100:101], v[98:99], v[96:97]
	v_fma_f64 v[94:95], -v[94:95], v[100:101], v[98:99]
	v_div_fmas_f64 v[94:95], v[94:95], v[96:97], v[100:101]
	v_div_fixup_f64 v[84:85], v[94:95], v[84:85], 1.0
; %bb.359:
	s_or_b64 exec, exec, s[0:1]
	v_cmp_ne_u32_e32 vcc, v89, v86
	s_and_saveexec_b64 s[0:1], vcc
	s_xor_b64 s[0:1], exec, s[0:1]
	s_cbranch_execz .LBB78_365
; %bb.360:
	v_cmp_eq_u32_e32 vcc, 21, v89
	s_and_saveexec_b64 s[2:3], vcc
	s_cbranch_execz .LBB78_364
; %bb.361:
	v_cmp_ne_u32_e32 vcc, 21, v86
	s_xor_b64 s[14:15], s[6:7], -1
	s_and_b64 s[16:17], s[14:15], vcc
	s_and_saveexec_b64 s[14:15], s[16:17]
	s_cbranch_execz .LBB78_363
; %bb.362:
	v_ashrrev_i32_e32 v87, 31, v86
	v_lshlrev_b64 v[94:95], 2, v[86:87]
	v_add_co_u32_e32 v94, vcc, v4, v94
	v_addc_co_u32_e32 v95, vcc, v5, v95, vcc
	flat_load_dword v87, v[94:95]
	flat_load_dword v89, v[4:5] offset:84
	s_waitcnt vmcnt(0) lgkmcnt(0)
	flat_store_dword v[4:5], v87 offset:84
	flat_store_dword v[94:95], v89
.LBB78_363:
	s_or_b64 exec, exec, s[14:15]
	v_mov_b32_e32 v87, v86
	v_mov_b32_e32 v89, v86
.LBB78_364:
	s_or_b64 exec, exec, s[2:3]
.LBB78_365:
	s_andn2_saveexec_b64 s[0:1], s[0:1]
	s_cbranch_execz .LBB78_367
; %bb.366:
	v_mov_b32_e32 v94, v36
	v_mov_b32_e32 v95, v37
	v_mov_b32_e32 v96, v34
	v_mov_b32_e32 v97, v35
	ds_write2_b64 v88, v[94:95], v[96:97] offset0:22 offset1:23
	v_mov_b32_e32 v94, v32
	v_mov_b32_e32 v95, v33
	v_mov_b32_e32 v96, v30
	v_mov_b32_e32 v97, v31
	ds_write2_b64 v88, v[94:95], v[96:97] offset0:24 offset1:25
	;; [unrolled: 5-line block ×8, first 2 shown]
	v_mov_b32_e32 v94, v0
	v_mov_b32_e32 v95, v1
	;; [unrolled: 1-line block ×3, first 2 shown]
	ds_write2_b64 v88, v[94:95], v[82:83] offset0:38 offset1:39
.LBB78_367:
	s_or_b64 exec, exec, s[0:1]
	v_cmp_lt_i32_e32 vcc, 21, v89
	s_waitcnt lgkmcnt(0)
	s_barrier
	s_and_saveexec_b64 s[0:1], vcc
	s_cbranch_execz .LBB78_369
; %bb.368:
	ds_read2_b64 v[94:97], v88 offset0:22 offset1:23
	ds_read2_b64 v[98:101], v88 offset0:24 offset1:25
	;; [unrolled: 1-line block ×3, first 2 shown]
	v_mul_f64 v[38:39], v[84:85], v[38:39]
	s_waitcnt lgkmcnt(0)
	v_fma_f64 v[36:37], -v[38:39], v[94:95], v[36:37]
	v_fma_f64 v[34:35], -v[38:39], v[96:97], v[34:35]
	ds_read2_b64 v[94:97], v88 offset0:28 offset1:29
	v_fma_f64 v[32:33], -v[38:39], v[98:99], v[32:33]
	v_fma_f64 v[30:31], -v[38:39], v[100:101], v[30:31]
	;; [unrolled: 1-line block ×3, first 2 shown]
	ds_read2_b64 v[98:101], v88 offset0:30 offset1:31
	v_fma_f64 v[26:27], -v[38:39], v[104:105], v[26:27]
	ds_read2_b64 v[102:105], v88 offset0:32 offset1:33
	s_waitcnt lgkmcnt(0)
	v_fma_f64 v[24:25], -v[38:39], v[94:95], v[24:25]
	v_fma_f64 v[20:21], -v[38:39], v[96:97], v[20:21]
	;; [unrolled: 1-line block ×4, first 2 shown]
	ds_read2_b64 v[94:97], v88 offset0:34 offset1:35
	ds_read2_b64 v[98:101], v88 offset0:36 offset1:37
	v_fma_f64 v[16:17], -v[38:39], v[102:103], v[16:17]
	v_fma_f64 v[14:15], -v[38:39], v[104:105], v[14:15]
	ds_read2_b64 v[102:105], v88 offset0:38 offset1:39
	s_waitcnt lgkmcnt(0)
	v_fma_f64 v[12:13], -v[38:39], v[94:95], v[12:13]
	v_fma_f64 v[10:11], -v[38:39], v[96:97], v[10:11]
	;; [unrolled: 1-line block ×6, first 2 shown]
.LBB78_369:
	s_or_b64 exec, exec, s[0:1]
	v_lshl_add_u32 v84, v89, 3, v88
	s_barrier
	ds_write_b64 v84, v[36:37]
	s_waitcnt lgkmcnt(0)
	s_barrier
	ds_read_b64 v[84:85], v88 offset:176
	s_cmp_lt_i32 s18, 24
	v_mov_b32_e32 v86, 22
	s_cbranch_scc1 .LBB78_372
; %bb.370:
	v_add_u32_e32 v93, 0xb8, v88
	s_mov_b32 s0, 23
	v_mov_b32_e32 v86, 22
.LBB78_371:                             ; =>This Inner Loop Header: Depth=1
	ds_read_b64 v[94:95], v93
	v_mov_b32_e32 v96, s0
	s_add_i32 s0, s0, 1
	v_add_u32_e32 v93, 8, v93
	s_cmp_lg_u32 s18, s0
	s_waitcnt lgkmcnt(0)
	v_cmp_lt_f64_e64 vcc, |v[84:85]|, |v[94:95]|
	v_cndmask_b32_e32 v85, v85, v95, vcc
	v_cndmask_b32_e32 v84, v84, v94, vcc
	;; [unrolled: 1-line block ×3, first 2 shown]
	s_cbranch_scc1 .LBB78_371
.LBB78_372:
	s_waitcnt lgkmcnt(0)
	v_cmp_eq_f64_e32 vcc, 0, v[84:85]
	s_and_saveexec_b64 s[0:1], vcc
	s_xor_b64 s[0:1], exec, s[0:1]
; %bb.373:
	v_cmp_ne_u32_e32 vcc, 0, v92
	v_cndmask_b32_e32 v92, 23, v92, vcc
; %bb.374:
	s_andn2_saveexec_b64 s[0:1], s[0:1]
; %bb.375:
	v_div_scale_f64 v[94:95], s[2:3], v[84:85], v[84:85], 1.0
	v_rcp_f64_e32 v[96:97], v[94:95]
	v_div_scale_f64 v[98:99], vcc, 1.0, v[84:85], 1.0
	v_fma_f64 v[100:101], -v[94:95], v[96:97], 1.0
	v_fmac_f64_e32 v[96:97], v[96:97], v[100:101]
	v_fma_f64 v[100:101], -v[94:95], v[96:97], 1.0
	v_fmac_f64_e32 v[96:97], v[96:97], v[100:101]
	v_mul_f64 v[100:101], v[98:99], v[96:97]
	v_fma_f64 v[94:95], -v[94:95], v[100:101], v[98:99]
	v_div_fmas_f64 v[94:95], v[94:95], v[96:97], v[100:101]
	v_div_fixup_f64 v[84:85], v[94:95], v[84:85], 1.0
; %bb.376:
	s_or_b64 exec, exec, s[0:1]
	v_cmp_ne_u32_e32 vcc, v89, v86
	s_and_saveexec_b64 s[0:1], vcc
	s_xor_b64 s[0:1], exec, s[0:1]
	s_cbranch_execz .LBB78_382
; %bb.377:
	v_cmp_eq_u32_e32 vcc, 22, v89
	s_and_saveexec_b64 s[2:3], vcc
	s_cbranch_execz .LBB78_381
; %bb.378:
	v_cmp_ne_u32_e32 vcc, 22, v86
	s_xor_b64 s[14:15], s[6:7], -1
	s_and_b64 s[16:17], s[14:15], vcc
	s_and_saveexec_b64 s[14:15], s[16:17]
	s_cbranch_execz .LBB78_380
; %bb.379:
	v_ashrrev_i32_e32 v87, 31, v86
	v_lshlrev_b64 v[94:95], 2, v[86:87]
	v_add_co_u32_e32 v94, vcc, v4, v94
	v_addc_co_u32_e32 v95, vcc, v5, v95, vcc
	flat_load_dword v87, v[94:95]
	flat_load_dword v89, v[4:5] offset:88
	s_waitcnt vmcnt(0) lgkmcnt(0)
	flat_store_dword v[4:5], v87 offset:88
	flat_store_dword v[94:95], v89
.LBB78_380:
	s_or_b64 exec, exec, s[14:15]
	v_mov_b32_e32 v87, v86
	v_mov_b32_e32 v89, v86
.LBB78_381:
	s_or_b64 exec, exec, s[2:3]
.LBB78_382:
	s_andn2_saveexec_b64 s[0:1], s[0:1]
	s_cbranch_execz .LBB78_384
; %bb.383:
	v_mov_b32_e32 v89, 22
	ds_write2_b64 v88, v[34:35], v[32:33] offset0:23 offset1:24
	ds_write2_b64 v88, v[30:31], v[28:29] offset0:25 offset1:26
	;; [unrolled: 1-line block ×8, first 2 shown]
	ds_write_b64 v88, v[82:83] offset:312
.LBB78_384:
	s_or_b64 exec, exec, s[0:1]
	v_cmp_lt_i32_e32 vcc, 22, v89
	s_waitcnt lgkmcnt(0)
	s_barrier
	s_and_saveexec_b64 s[0:1], vcc
	s_cbranch_execz .LBB78_386
; %bb.385:
	ds_read2_b64 v[94:97], v88 offset0:23 offset1:24
	ds_read2_b64 v[98:101], v88 offset0:25 offset1:26
	v_mul_f64 v[36:37], v[84:85], v[36:37]
	ds_read2_b64 v[102:105], v88 offset0:27 offset1:28
	ds_read_b64 v[84:85], v88 offset:312
	s_waitcnt lgkmcnt(0)
	v_fma_f64 v[34:35], -v[36:37], v[94:95], v[34:35]
	v_fma_f64 v[32:33], -v[36:37], v[96:97], v[32:33]
	ds_read2_b64 v[94:97], v88 offset0:29 offset1:30
	v_fma_f64 v[30:31], -v[36:37], v[98:99], v[30:31]
	v_fma_f64 v[28:29], -v[36:37], v[100:101], v[28:29]
	ds_read2_b64 v[98:101], v88 offset0:31 offset1:32
	;; [unrolled: 3-line block ×3, first 2 shown]
	s_waitcnt lgkmcnt(0)
	v_fma_f64 v[20:21], -v[36:37], v[94:95], v[20:21]
	v_fma_f64 v[22:23], -v[36:37], v[96:97], v[22:23]
	;; [unrolled: 1-line block ×4, first 2 shown]
	ds_read2_b64 v[94:97], v88 offset0:35 offset1:36
	ds_read2_b64 v[98:101], v88 offset0:37 offset1:38
	v_fma_f64 v[14:15], -v[36:37], v[102:103], v[14:15]
	v_fma_f64 v[12:13], -v[36:37], v[104:105], v[12:13]
	;; [unrolled: 1-line block ×3, first 2 shown]
	s_waitcnt lgkmcnt(0)
	v_fma_f64 v[10:11], -v[36:37], v[94:95], v[10:11]
	v_fma_f64 v[8:9], -v[36:37], v[96:97], v[8:9]
	;; [unrolled: 1-line block ×4, first 2 shown]
.LBB78_386:
	s_or_b64 exec, exec, s[0:1]
	v_lshl_add_u32 v84, v89, 3, v88
	s_barrier
	ds_write_b64 v84, v[34:35]
	s_waitcnt lgkmcnt(0)
	s_barrier
	ds_read_b64 v[84:85], v88 offset:184
	s_cmp_lt_i32 s18, 25
	v_mov_b32_e32 v86, 23
	s_cbranch_scc1 .LBB78_389
; %bb.387:
	v_add_u32_e32 v93, 0xc0, v88
	s_mov_b32 s0, 24
	v_mov_b32_e32 v86, 23
.LBB78_388:                             ; =>This Inner Loop Header: Depth=1
	ds_read_b64 v[94:95], v93
	v_mov_b32_e32 v96, s0
	s_add_i32 s0, s0, 1
	v_add_u32_e32 v93, 8, v93
	s_cmp_lg_u32 s18, s0
	s_waitcnt lgkmcnt(0)
	v_cmp_lt_f64_e64 vcc, |v[84:85]|, |v[94:95]|
	v_cndmask_b32_e32 v85, v85, v95, vcc
	v_cndmask_b32_e32 v84, v84, v94, vcc
	;; [unrolled: 1-line block ×3, first 2 shown]
	s_cbranch_scc1 .LBB78_388
.LBB78_389:
	s_waitcnt lgkmcnt(0)
	v_cmp_eq_f64_e32 vcc, 0, v[84:85]
	s_and_saveexec_b64 s[0:1], vcc
	s_xor_b64 s[0:1], exec, s[0:1]
; %bb.390:
	v_cmp_ne_u32_e32 vcc, 0, v92
	v_cndmask_b32_e32 v92, 24, v92, vcc
; %bb.391:
	s_andn2_saveexec_b64 s[0:1], s[0:1]
; %bb.392:
	v_div_scale_f64 v[94:95], s[2:3], v[84:85], v[84:85], 1.0
	v_rcp_f64_e32 v[96:97], v[94:95]
	v_div_scale_f64 v[98:99], vcc, 1.0, v[84:85], 1.0
	v_fma_f64 v[100:101], -v[94:95], v[96:97], 1.0
	v_fmac_f64_e32 v[96:97], v[96:97], v[100:101]
	v_fma_f64 v[100:101], -v[94:95], v[96:97], 1.0
	v_fmac_f64_e32 v[96:97], v[96:97], v[100:101]
	v_mul_f64 v[100:101], v[98:99], v[96:97]
	v_fma_f64 v[94:95], -v[94:95], v[100:101], v[98:99]
	v_div_fmas_f64 v[94:95], v[94:95], v[96:97], v[100:101]
	v_div_fixup_f64 v[84:85], v[94:95], v[84:85], 1.0
; %bb.393:
	s_or_b64 exec, exec, s[0:1]
	v_cmp_ne_u32_e32 vcc, v89, v86
	s_and_saveexec_b64 s[0:1], vcc
	s_xor_b64 s[0:1], exec, s[0:1]
	s_cbranch_execz .LBB78_399
; %bb.394:
	v_cmp_eq_u32_e32 vcc, 23, v89
	s_and_saveexec_b64 s[2:3], vcc
	s_cbranch_execz .LBB78_398
; %bb.395:
	v_cmp_ne_u32_e32 vcc, 23, v86
	s_xor_b64 s[14:15], s[6:7], -1
	s_and_b64 s[16:17], s[14:15], vcc
	s_and_saveexec_b64 s[14:15], s[16:17]
	s_cbranch_execz .LBB78_397
; %bb.396:
	v_ashrrev_i32_e32 v87, 31, v86
	v_lshlrev_b64 v[94:95], 2, v[86:87]
	v_add_co_u32_e32 v94, vcc, v4, v94
	v_addc_co_u32_e32 v95, vcc, v5, v95, vcc
	flat_load_dword v87, v[94:95]
	flat_load_dword v89, v[4:5] offset:92
	s_waitcnt vmcnt(0) lgkmcnt(0)
	flat_store_dword v[4:5], v87 offset:92
	flat_store_dword v[94:95], v89
.LBB78_397:
	s_or_b64 exec, exec, s[14:15]
	v_mov_b32_e32 v87, v86
	v_mov_b32_e32 v89, v86
.LBB78_398:
	s_or_b64 exec, exec, s[2:3]
.LBB78_399:
	s_andn2_saveexec_b64 s[0:1], s[0:1]
	s_cbranch_execz .LBB78_401
; %bb.400:
	v_mov_b32_e32 v94, v32
	v_mov_b32_e32 v95, v33
	v_mov_b32_e32 v96, v30
	v_mov_b32_e32 v97, v31
	ds_write2_b64 v88, v[94:95], v[96:97] offset0:24 offset1:25
	v_mov_b32_e32 v94, v28
	v_mov_b32_e32 v95, v29
	v_mov_b32_e32 v96, v26
	v_mov_b32_e32 v97, v27
	ds_write2_b64 v88, v[94:95], v[96:97] offset0:26 offset1:27
	;; [unrolled: 5-line block ×7, first 2 shown]
	v_mov_b32_e32 v94, v0
	v_mov_b32_e32 v95, v1
	;; [unrolled: 1-line block ×3, first 2 shown]
	ds_write2_b64 v88, v[94:95], v[82:83] offset0:38 offset1:39
.LBB78_401:
	s_or_b64 exec, exec, s[0:1]
	v_cmp_lt_i32_e32 vcc, 23, v89
	s_waitcnt lgkmcnt(0)
	s_barrier
	s_and_saveexec_b64 s[0:1], vcc
	s_cbranch_execz .LBB78_403
; %bb.402:
	ds_read2_b64 v[94:97], v88 offset0:24 offset1:25
	ds_read2_b64 v[98:101], v88 offset0:26 offset1:27
	v_mul_f64 v[34:35], v[84:85], v[34:35]
	ds_read2_b64 v[102:105], v88 offset0:28 offset1:29
	s_waitcnt lgkmcnt(0)
	v_fma_f64 v[32:33], -v[34:35], v[94:95], v[32:33]
	v_fma_f64 v[30:31], -v[34:35], v[96:97], v[30:31]
	ds_read2_b64 v[94:97], v88 offset0:30 offset1:31
	v_fma_f64 v[28:29], -v[34:35], v[98:99], v[28:29]
	v_fma_f64 v[26:27], -v[34:35], v[100:101], v[26:27]
	ds_read2_b64 v[98:101], v88 offset0:32 offset1:33
	v_fma_f64 v[24:25], -v[34:35], v[102:103], v[24:25]
	v_fma_f64 v[20:21], -v[34:35], v[104:105], v[20:21]
	s_waitcnt lgkmcnt(0)
	v_fma_f64 v[22:23], -v[34:35], v[94:95], v[22:23]
	v_fma_f64 v[18:19], -v[34:35], v[96:97], v[18:19]
	ds_read2_b64 v[94:97], v88 offset0:34 offset1:35
	v_fma_f64 v[16:17], -v[34:35], v[98:99], v[16:17]
	ds_read2_b64 v[102:105], v88 offset0:36 offset1:37
	;; [unrolled: 2-line block ×3, first 2 shown]
	s_waitcnt lgkmcnt(0)
	v_fma_f64 v[12:13], -v[34:35], v[94:95], v[12:13]
	v_fma_f64 v[10:11], -v[34:35], v[96:97], v[10:11]
	;; [unrolled: 1-line block ×6, first 2 shown]
.LBB78_403:
	s_or_b64 exec, exec, s[0:1]
	v_lshl_add_u32 v84, v89, 3, v88
	s_barrier
	ds_write_b64 v84, v[32:33]
	s_waitcnt lgkmcnt(0)
	s_barrier
	ds_read_b64 v[84:85], v88 offset:192
	s_cmp_lt_i32 s18, 26
	v_mov_b32_e32 v86, 24
	s_cbranch_scc1 .LBB78_406
; %bb.404:
	v_add_u32_e32 v93, 0xc8, v88
	s_mov_b32 s0, 25
	v_mov_b32_e32 v86, 24
.LBB78_405:                             ; =>This Inner Loop Header: Depth=1
	ds_read_b64 v[94:95], v93
	v_mov_b32_e32 v96, s0
	s_add_i32 s0, s0, 1
	v_add_u32_e32 v93, 8, v93
	s_cmp_lg_u32 s18, s0
	s_waitcnt lgkmcnt(0)
	v_cmp_lt_f64_e64 vcc, |v[84:85]|, |v[94:95]|
	v_cndmask_b32_e32 v85, v85, v95, vcc
	v_cndmask_b32_e32 v84, v84, v94, vcc
	;; [unrolled: 1-line block ×3, first 2 shown]
	s_cbranch_scc1 .LBB78_405
.LBB78_406:
	s_waitcnt lgkmcnt(0)
	v_cmp_eq_f64_e32 vcc, 0, v[84:85]
	s_and_saveexec_b64 s[0:1], vcc
	s_xor_b64 s[0:1], exec, s[0:1]
; %bb.407:
	v_cmp_ne_u32_e32 vcc, 0, v92
	v_cndmask_b32_e32 v92, 25, v92, vcc
; %bb.408:
	s_andn2_saveexec_b64 s[0:1], s[0:1]
; %bb.409:
	v_div_scale_f64 v[94:95], s[2:3], v[84:85], v[84:85], 1.0
	v_rcp_f64_e32 v[96:97], v[94:95]
	v_div_scale_f64 v[98:99], vcc, 1.0, v[84:85], 1.0
	v_fma_f64 v[100:101], -v[94:95], v[96:97], 1.0
	v_fmac_f64_e32 v[96:97], v[96:97], v[100:101]
	v_fma_f64 v[100:101], -v[94:95], v[96:97], 1.0
	v_fmac_f64_e32 v[96:97], v[96:97], v[100:101]
	v_mul_f64 v[100:101], v[98:99], v[96:97]
	v_fma_f64 v[94:95], -v[94:95], v[100:101], v[98:99]
	v_div_fmas_f64 v[94:95], v[94:95], v[96:97], v[100:101]
	v_div_fixup_f64 v[84:85], v[94:95], v[84:85], 1.0
; %bb.410:
	s_or_b64 exec, exec, s[0:1]
	v_cmp_ne_u32_e32 vcc, v89, v86
	s_and_saveexec_b64 s[0:1], vcc
	s_xor_b64 s[0:1], exec, s[0:1]
	s_cbranch_execz .LBB78_416
; %bb.411:
	v_cmp_eq_u32_e32 vcc, 24, v89
	s_and_saveexec_b64 s[2:3], vcc
	s_cbranch_execz .LBB78_415
; %bb.412:
	v_cmp_ne_u32_e32 vcc, 24, v86
	s_xor_b64 s[14:15], s[6:7], -1
	s_and_b64 s[16:17], s[14:15], vcc
	s_and_saveexec_b64 s[14:15], s[16:17]
	s_cbranch_execz .LBB78_414
; %bb.413:
	v_ashrrev_i32_e32 v87, 31, v86
	v_lshlrev_b64 v[94:95], 2, v[86:87]
	v_add_co_u32_e32 v94, vcc, v4, v94
	v_addc_co_u32_e32 v95, vcc, v5, v95, vcc
	flat_load_dword v87, v[94:95]
	flat_load_dword v89, v[4:5] offset:96
	s_waitcnt vmcnt(0) lgkmcnt(0)
	flat_store_dword v[4:5], v87 offset:96
	flat_store_dword v[94:95], v89
.LBB78_414:
	s_or_b64 exec, exec, s[14:15]
	v_mov_b32_e32 v87, v86
	v_mov_b32_e32 v89, v86
.LBB78_415:
	s_or_b64 exec, exec, s[2:3]
.LBB78_416:
	s_andn2_saveexec_b64 s[0:1], s[0:1]
	s_cbranch_execz .LBB78_418
; %bb.417:
	v_mov_b32_e32 v89, 24
	ds_write2_b64 v88, v[30:31], v[28:29] offset0:25 offset1:26
	ds_write2_b64 v88, v[26:27], v[24:25] offset0:27 offset1:28
	ds_write2_b64 v88, v[20:21], v[22:23] offset0:29 offset1:30
	ds_write2_b64 v88, v[18:19], v[16:17] offset0:31 offset1:32
	ds_write2_b64 v88, v[14:15], v[12:13] offset0:33 offset1:34
	ds_write2_b64 v88, v[10:11], v[8:9] offset0:35 offset1:36
	ds_write2_b64 v88, v[6:7], v[0:1] offset0:37 offset1:38
	ds_write_b64 v88, v[82:83] offset:312
.LBB78_418:
	s_or_b64 exec, exec, s[0:1]
	v_cmp_lt_i32_e32 vcc, 24, v89
	s_waitcnt lgkmcnt(0)
	s_barrier
	s_and_saveexec_b64 s[0:1], vcc
	s_cbranch_execz .LBB78_420
; %bb.419:
	ds_read2_b64 v[94:97], v88 offset0:25 offset1:26
	ds_read2_b64 v[98:101], v88 offset0:27 offset1:28
	v_mul_f64 v[32:33], v[84:85], v[32:33]
	ds_read2_b64 v[102:105], v88 offset0:29 offset1:30
	ds_read_b64 v[84:85], v88 offset:312
	s_waitcnt lgkmcnt(0)
	v_fma_f64 v[30:31], -v[32:33], v[94:95], v[30:31]
	v_fma_f64 v[28:29], -v[32:33], v[96:97], v[28:29]
	ds_read2_b64 v[94:97], v88 offset0:31 offset1:32
	v_fma_f64 v[26:27], -v[32:33], v[98:99], v[26:27]
	v_fma_f64 v[24:25], -v[32:33], v[100:101], v[24:25]
	;; [unrolled: 1-line block ×3, first 2 shown]
	ds_read2_b64 v[98:101], v88 offset0:33 offset1:34
	v_fma_f64 v[22:23], -v[32:33], v[104:105], v[22:23]
	s_waitcnt lgkmcnt(0)
	v_fma_f64 v[18:19], -v[32:33], v[94:95], v[18:19]
	v_fma_f64 v[16:17], -v[32:33], v[96:97], v[16:17]
	ds_read2_b64 v[94:97], v88 offset0:35 offset1:36
	ds_read2_b64 v[102:105], v88 offset0:37 offset1:38
	v_fma_f64 v[14:15], -v[32:33], v[98:99], v[14:15]
	v_fma_f64 v[12:13], -v[32:33], v[100:101], v[12:13]
	v_fma_f64 v[82:83], -v[32:33], v[84:85], v[82:83]
	s_waitcnt lgkmcnt(0)
	v_fma_f64 v[10:11], -v[32:33], v[94:95], v[10:11]
	v_fma_f64 v[8:9], -v[32:33], v[96:97], v[8:9]
	;; [unrolled: 1-line block ×4, first 2 shown]
.LBB78_420:
	s_or_b64 exec, exec, s[0:1]
	v_lshl_add_u32 v84, v89, 3, v88
	s_barrier
	ds_write_b64 v84, v[30:31]
	s_waitcnt lgkmcnt(0)
	s_barrier
	ds_read_b64 v[84:85], v88 offset:200
	s_cmp_lt_i32 s18, 27
	v_mov_b32_e32 v86, 25
	s_cbranch_scc1 .LBB78_423
; %bb.421:
	v_add_u32_e32 v93, 0xd0, v88
	s_mov_b32 s0, 26
	v_mov_b32_e32 v86, 25
.LBB78_422:                             ; =>This Inner Loop Header: Depth=1
	ds_read_b64 v[94:95], v93
	v_mov_b32_e32 v96, s0
	s_add_i32 s0, s0, 1
	v_add_u32_e32 v93, 8, v93
	s_cmp_lg_u32 s18, s0
	s_waitcnt lgkmcnt(0)
	v_cmp_lt_f64_e64 vcc, |v[84:85]|, |v[94:95]|
	v_cndmask_b32_e32 v85, v85, v95, vcc
	v_cndmask_b32_e32 v84, v84, v94, vcc
	;; [unrolled: 1-line block ×3, first 2 shown]
	s_cbranch_scc1 .LBB78_422
.LBB78_423:
	s_waitcnt lgkmcnt(0)
	v_cmp_eq_f64_e32 vcc, 0, v[84:85]
	s_and_saveexec_b64 s[0:1], vcc
	s_xor_b64 s[0:1], exec, s[0:1]
; %bb.424:
	v_cmp_ne_u32_e32 vcc, 0, v92
	v_cndmask_b32_e32 v92, 26, v92, vcc
; %bb.425:
	s_andn2_saveexec_b64 s[0:1], s[0:1]
; %bb.426:
	v_div_scale_f64 v[94:95], s[2:3], v[84:85], v[84:85], 1.0
	v_rcp_f64_e32 v[96:97], v[94:95]
	v_div_scale_f64 v[98:99], vcc, 1.0, v[84:85], 1.0
	v_fma_f64 v[100:101], -v[94:95], v[96:97], 1.0
	v_fmac_f64_e32 v[96:97], v[96:97], v[100:101]
	v_fma_f64 v[100:101], -v[94:95], v[96:97], 1.0
	v_fmac_f64_e32 v[96:97], v[96:97], v[100:101]
	v_mul_f64 v[100:101], v[98:99], v[96:97]
	v_fma_f64 v[94:95], -v[94:95], v[100:101], v[98:99]
	v_div_fmas_f64 v[94:95], v[94:95], v[96:97], v[100:101]
	v_div_fixup_f64 v[84:85], v[94:95], v[84:85], 1.0
; %bb.427:
	s_or_b64 exec, exec, s[0:1]
	v_cmp_ne_u32_e32 vcc, v89, v86
	s_and_saveexec_b64 s[0:1], vcc
	s_xor_b64 s[0:1], exec, s[0:1]
	s_cbranch_execz .LBB78_433
; %bb.428:
	v_cmp_eq_u32_e32 vcc, 25, v89
	s_and_saveexec_b64 s[2:3], vcc
	s_cbranch_execz .LBB78_432
; %bb.429:
	v_cmp_ne_u32_e32 vcc, 25, v86
	s_xor_b64 s[14:15], s[6:7], -1
	s_and_b64 s[16:17], s[14:15], vcc
	s_and_saveexec_b64 s[14:15], s[16:17]
	s_cbranch_execz .LBB78_431
; %bb.430:
	v_ashrrev_i32_e32 v87, 31, v86
	v_lshlrev_b64 v[94:95], 2, v[86:87]
	v_add_co_u32_e32 v94, vcc, v4, v94
	v_addc_co_u32_e32 v95, vcc, v5, v95, vcc
	flat_load_dword v87, v[94:95]
	flat_load_dword v89, v[4:5] offset:100
	s_waitcnt vmcnt(0) lgkmcnt(0)
	flat_store_dword v[4:5], v87 offset:100
	flat_store_dword v[94:95], v89
.LBB78_431:
	s_or_b64 exec, exec, s[14:15]
	v_mov_b32_e32 v87, v86
	v_mov_b32_e32 v89, v86
.LBB78_432:
	s_or_b64 exec, exec, s[2:3]
.LBB78_433:
	s_andn2_saveexec_b64 s[0:1], s[0:1]
	s_cbranch_execz .LBB78_435
; %bb.434:
	v_mov_b32_e32 v94, v28
	v_mov_b32_e32 v95, v29
	v_mov_b32_e32 v96, v26
	v_mov_b32_e32 v97, v27
	ds_write2_b64 v88, v[94:95], v[96:97] offset0:26 offset1:27
	v_mov_b32_e32 v94, v24
	v_mov_b32_e32 v95, v25
	v_mov_b32_e32 v96, v20
	v_mov_b32_e32 v97, v21
	ds_write2_b64 v88, v[94:95], v[96:97] offset0:28 offset1:29
	;; [unrolled: 5-line block ×6, first 2 shown]
	v_mov_b32_e32 v94, v0
	v_mov_b32_e32 v95, v1
	;; [unrolled: 1-line block ×3, first 2 shown]
	ds_write2_b64 v88, v[94:95], v[82:83] offset0:38 offset1:39
.LBB78_435:
	s_or_b64 exec, exec, s[0:1]
	v_cmp_lt_i32_e32 vcc, 25, v89
	s_waitcnt lgkmcnt(0)
	s_barrier
	s_and_saveexec_b64 s[0:1], vcc
	s_cbranch_execz .LBB78_437
; %bb.436:
	ds_read2_b64 v[94:97], v88 offset0:26 offset1:27
	ds_read2_b64 v[98:101], v88 offset0:28 offset1:29
	v_mul_f64 v[30:31], v[84:85], v[30:31]
	ds_read2_b64 v[102:105], v88 offset0:30 offset1:31
	s_waitcnt lgkmcnt(0)
	v_fma_f64 v[28:29], -v[30:31], v[94:95], v[28:29]
	v_fma_f64 v[26:27], -v[30:31], v[96:97], v[26:27]
	ds_read2_b64 v[94:97], v88 offset0:32 offset1:33
	v_fma_f64 v[24:25], -v[30:31], v[98:99], v[24:25]
	v_fma_f64 v[20:21], -v[30:31], v[100:101], v[20:21]
	;; [unrolled: 1-line block ×4, first 2 shown]
	ds_read2_b64 v[98:101], v88 offset0:34 offset1:35
	ds_read2_b64 v[102:105], v88 offset0:36 offset1:37
	s_waitcnt lgkmcnt(0)
	v_fma_f64 v[16:17], -v[30:31], v[94:95], v[16:17]
	v_fma_f64 v[14:15], -v[30:31], v[96:97], v[14:15]
	ds_read2_b64 v[94:97], v88 offset0:38 offset1:39
	v_fma_f64 v[12:13], -v[30:31], v[98:99], v[12:13]
	v_fma_f64 v[10:11], -v[30:31], v[100:101], v[10:11]
	;; [unrolled: 1-line block ×4, first 2 shown]
	s_waitcnt lgkmcnt(0)
	v_fma_f64 v[0:1], -v[30:31], v[94:95], v[0:1]
	v_fma_f64 v[82:83], -v[30:31], v[96:97], v[82:83]
.LBB78_437:
	s_or_b64 exec, exec, s[0:1]
	v_lshl_add_u32 v84, v89, 3, v88
	s_barrier
	ds_write_b64 v84, v[28:29]
	s_waitcnt lgkmcnt(0)
	s_barrier
	ds_read_b64 v[84:85], v88 offset:208
	s_cmp_lt_i32 s18, 28
	v_mov_b32_e32 v86, 26
	s_cbranch_scc1 .LBB78_440
; %bb.438:
	v_add_u32_e32 v93, 0xd8, v88
	s_mov_b32 s0, 27
	v_mov_b32_e32 v86, 26
.LBB78_439:                             ; =>This Inner Loop Header: Depth=1
	ds_read_b64 v[94:95], v93
	v_mov_b32_e32 v96, s0
	s_add_i32 s0, s0, 1
	v_add_u32_e32 v93, 8, v93
	s_cmp_lg_u32 s18, s0
	s_waitcnt lgkmcnt(0)
	v_cmp_lt_f64_e64 vcc, |v[84:85]|, |v[94:95]|
	v_cndmask_b32_e32 v85, v85, v95, vcc
	v_cndmask_b32_e32 v84, v84, v94, vcc
	;; [unrolled: 1-line block ×3, first 2 shown]
	s_cbranch_scc1 .LBB78_439
.LBB78_440:
	s_waitcnt lgkmcnt(0)
	v_cmp_eq_f64_e32 vcc, 0, v[84:85]
	s_and_saveexec_b64 s[0:1], vcc
	s_xor_b64 s[0:1], exec, s[0:1]
; %bb.441:
	v_cmp_ne_u32_e32 vcc, 0, v92
	v_cndmask_b32_e32 v92, 27, v92, vcc
; %bb.442:
	s_andn2_saveexec_b64 s[0:1], s[0:1]
; %bb.443:
	v_div_scale_f64 v[94:95], s[2:3], v[84:85], v[84:85], 1.0
	v_rcp_f64_e32 v[96:97], v[94:95]
	v_div_scale_f64 v[98:99], vcc, 1.0, v[84:85], 1.0
	v_fma_f64 v[100:101], -v[94:95], v[96:97], 1.0
	v_fmac_f64_e32 v[96:97], v[96:97], v[100:101]
	v_fma_f64 v[100:101], -v[94:95], v[96:97], 1.0
	v_fmac_f64_e32 v[96:97], v[96:97], v[100:101]
	v_mul_f64 v[100:101], v[98:99], v[96:97]
	v_fma_f64 v[94:95], -v[94:95], v[100:101], v[98:99]
	v_div_fmas_f64 v[94:95], v[94:95], v[96:97], v[100:101]
	v_div_fixup_f64 v[84:85], v[94:95], v[84:85], 1.0
; %bb.444:
	s_or_b64 exec, exec, s[0:1]
	v_cmp_ne_u32_e32 vcc, v89, v86
	s_and_saveexec_b64 s[0:1], vcc
	s_xor_b64 s[0:1], exec, s[0:1]
	s_cbranch_execz .LBB78_450
; %bb.445:
	v_cmp_eq_u32_e32 vcc, 26, v89
	s_and_saveexec_b64 s[2:3], vcc
	s_cbranch_execz .LBB78_449
; %bb.446:
	v_cmp_ne_u32_e32 vcc, 26, v86
	s_xor_b64 s[14:15], s[6:7], -1
	s_and_b64 s[16:17], s[14:15], vcc
	s_and_saveexec_b64 s[14:15], s[16:17]
	s_cbranch_execz .LBB78_448
; %bb.447:
	v_ashrrev_i32_e32 v87, 31, v86
	v_lshlrev_b64 v[94:95], 2, v[86:87]
	v_add_co_u32_e32 v94, vcc, v4, v94
	v_addc_co_u32_e32 v95, vcc, v5, v95, vcc
	flat_load_dword v87, v[94:95]
	flat_load_dword v89, v[4:5] offset:104
	s_waitcnt vmcnt(0) lgkmcnt(0)
	flat_store_dword v[4:5], v87 offset:104
	flat_store_dword v[94:95], v89
.LBB78_448:
	s_or_b64 exec, exec, s[14:15]
	v_mov_b32_e32 v87, v86
	v_mov_b32_e32 v89, v86
.LBB78_449:
	s_or_b64 exec, exec, s[2:3]
.LBB78_450:
	s_andn2_saveexec_b64 s[0:1], s[0:1]
	s_cbranch_execz .LBB78_452
; %bb.451:
	v_mov_b32_e32 v89, 26
	ds_write2_b64 v88, v[26:27], v[24:25] offset0:27 offset1:28
	ds_write2_b64 v88, v[20:21], v[22:23] offset0:29 offset1:30
	ds_write2_b64 v88, v[18:19], v[16:17] offset0:31 offset1:32
	ds_write2_b64 v88, v[14:15], v[12:13] offset0:33 offset1:34
	ds_write2_b64 v88, v[10:11], v[8:9] offset0:35 offset1:36
	ds_write2_b64 v88, v[6:7], v[0:1] offset0:37 offset1:38
	ds_write_b64 v88, v[82:83] offset:312
.LBB78_452:
	s_or_b64 exec, exec, s[0:1]
	v_cmp_lt_i32_e32 vcc, 26, v89
	s_waitcnt lgkmcnt(0)
	s_barrier
	s_and_saveexec_b64 s[0:1], vcc
	s_cbranch_execz .LBB78_454
; %bb.453:
	ds_read2_b64 v[94:97], v88 offset0:27 offset1:28
	ds_read2_b64 v[98:101], v88 offset0:29 offset1:30
	;; [unrolled: 1-line block ×3, first 2 shown]
	v_mul_f64 v[28:29], v[84:85], v[28:29]
	ds_read_b64 v[84:85], v88 offset:312
	s_waitcnt lgkmcnt(0)
	v_fma_f64 v[26:27], -v[28:29], v[94:95], v[26:27]
	v_fma_f64 v[24:25], -v[28:29], v[96:97], v[24:25]
	ds_read2_b64 v[94:97], v88 offset0:33 offset1:34
	v_fma_f64 v[20:21], -v[28:29], v[98:99], v[20:21]
	v_fma_f64 v[22:23], -v[28:29], v[100:101], v[22:23]
	;; [unrolled: 1-line block ×4, first 2 shown]
	ds_read2_b64 v[98:101], v88 offset0:35 offset1:36
	ds_read2_b64 v[102:105], v88 offset0:37 offset1:38
	s_waitcnt lgkmcnt(0)
	v_fma_f64 v[14:15], -v[28:29], v[94:95], v[14:15]
	v_fma_f64 v[12:13], -v[28:29], v[96:97], v[12:13]
	;; [unrolled: 1-line block ×7, first 2 shown]
.LBB78_454:
	s_or_b64 exec, exec, s[0:1]
	v_lshl_add_u32 v84, v89, 3, v88
	s_barrier
	ds_write_b64 v84, v[26:27]
	s_waitcnt lgkmcnt(0)
	s_barrier
	ds_read_b64 v[84:85], v88 offset:216
	s_cmp_lt_i32 s18, 29
	v_mov_b32_e32 v86, 27
	s_cbranch_scc1 .LBB78_457
; %bb.455:
	v_add_u32_e32 v93, 0xe0, v88
	s_mov_b32 s0, 28
	v_mov_b32_e32 v86, 27
.LBB78_456:                             ; =>This Inner Loop Header: Depth=1
	ds_read_b64 v[94:95], v93
	v_mov_b32_e32 v96, s0
	s_add_i32 s0, s0, 1
	v_add_u32_e32 v93, 8, v93
	s_cmp_lg_u32 s18, s0
	s_waitcnt lgkmcnt(0)
	v_cmp_lt_f64_e64 vcc, |v[84:85]|, |v[94:95]|
	v_cndmask_b32_e32 v85, v85, v95, vcc
	v_cndmask_b32_e32 v84, v84, v94, vcc
	;; [unrolled: 1-line block ×3, first 2 shown]
	s_cbranch_scc1 .LBB78_456
.LBB78_457:
	s_waitcnt lgkmcnt(0)
	v_cmp_eq_f64_e32 vcc, 0, v[84:85]
	s_and_saveexec_b64 s[0:1], vcc
	s_xor_b64 s[0:1], exec, s[0:1]
; %bb.458:
	v_cmp_ne_u32_e32 vcc, 0, v92
	v_cndmask_b32_e32 v92, 28, v92, vcc
; %bb.459:
	s_andn2_saveexec_b64 s[0:1], s[0:1]
; %bb.460:
	v_div_scale_f64 v[94:95], s[2:3], v[84:85], v[84:85], 1.0
	v_rcp_f64_e32 v[96:97], v[94:95]
	v_div_scale_f64 v[98:99], vcc, 1.0, v[84:85], 1.0
	v_fma_f64 v[100:101], -v[94:95], v[96:97], 1.0
	v_fmac_f64_e32 v[96:97], v[96:97], v[100:101]
	v_fma_f64 v[100:101], -v[94:95], v[96:97], 1.0
	v_fmac_f64_e32 v[96:97], v[96:97], v[100:101]
	v_mul_f64 v[100:101], v[98:99], v[96:97]
	v_fma_f64 v[94:95], -v[94:95], v[100:101], v[98:99]
	v_div_fmas_f64 v[94:95], v[94:95], v[96:97], v[100:101]
	v_div_fixup_f64 v[84:85], v[94:95], v[84:85], 1.0
; %bb.461:
	s_or_b64 exec, exec, s[0:1]
	v_cmp_ne_u32_e32 vcc, v89, v86
	s_and_saveexec_b64 s[0:1], vcc
	s_xor_b64 s[0:1], exec, s[0:1]
	s_cbranch_execz .LBB78_467
; %bb.462:
	v_cmp_eq_u32_e32 vcc, 27, v89
	s_and_saveexec_b64 s[2:3], vcc
	s_cbranch_execz .LBB78_466
; %bb.463:
	v_cmp_ne_u32_e32 vcc, 27, v86
	s_xor_b64 s[14:15], s[6:7], -1
	s_and_b64 s[16:17], s[14:15], vcc
	s_and_saveexec_b64 s[14:15], s[16:17]
	s_cbranch_execz .LBB78_465
; %bb.464:
	v_ashrrev_i32_e32 v87, 31, v86
	v_lshlrev_b64 v[94:95], 2, v[86:87]
	v_add_co_u32_e32 v94, vcc, v4, v94
	v_addc_co_u32_e32 v95, vcc, v5, v95, vcc
	flat_load_dword v87, v[94:95]
	flat_load_dword v89, v[4:5] offset:108
	s_waitcnt vmcnt(0) lgkmcnt(0)
	flat_store_dword v[4:5], v87 offset:108
	flat_store_dword v[94:95], v89
.LBB78_465:
	s_or_b64 exec, exec, s[14:15]
	v_mov_b32_e32 v87, v86
	v_mov_b32_e32 v89, v86
.LBB78_466:
	s_or_b64 exec, exec, s[2:3]
.LBB78_467:
	s_andn2_saveexec_b64 s[0:1], s[0:1]
	s_cbranch_execz .LBB78_469
; %bb.468:
	v_mov_b32_e32 v94, v24
	v_mov_b32_e32 v95, v25
	v_mov_b32_e32 v96, v20
	v_mov_b32_e32 v97, v21
	ds_write2_b64 v88, v[94:95], v[96:97] offset0:28 offset1:29
	v_mov_b32_e32 v94, v22
	v_mov_b32_e32 v95, v23
	v_mov_b32_e32 v96, v18
	v_mov_b32_e32 v97, v19
	ds_write2_b64 v88, v[94:95], v[96:97] offset0:30 offset1:31
	;; [unrolled: 5-line block ×5, first 2 shown]
	v_mov_b32_e32 v94, v0
	v_mov_b32_e32 v95, v1
	;; [unrolled: 1-line block ×3, first 2 shown]
	ds_write2_b64 v88, v[94:95], v[82:83] offset0:38 offset1:39
.LBB78_469:
	s_or_b64 exec, exec, s[0:1]
	v_cmp_lt_i32_e32 vcc, 27, v89
	s_waitcnt lgkmcnt(0)
	s_barrier
	s_and_saveexec_b64 s[0:1], vcc
	s_cbranch_execz .LBB78_471
; %bb.470:
	ds_read2_b64 v[94:97], v88 offset0:28 offset1:29
	ds_read2_b64 v[98:101], v88 offset0:30 offset1:31
	;; [unrolled: 1-line block ×3, first 2 shown]
	v_mul_f64 v[26:27], v[84:85], v[26:27]
	s_waitcnt lgkmcnt(0)
	v_fma_f64 v[24:25], -v[26:27], v[94:95], v[24:25]
	v_fma_f64 v[20:21], -v[26:27], v[96:97], v[20:21]
	ds_read2_b64 v[94:97], v88 offset0:34 offset1:35
	v_fma_f64 v[22:23], -v[26:27], v[98:99], v[22:23]
	v_fma_f64 v[18:19], -v[26:27], v[100:101], v[18:19]
	;; [unrolled: 1-line block ×3, first 2 shown]
	ds_read2_b64 v[98:101], v88 offset0:36 offset1:37
	v_fma_f64 v[14:15], -v[26:27], v[104:105], v[14:15]
	ds_read2_b64 v[102:105], v88 offset0:38 offset1:39
	s_waitcnt lgkmcnt(0)
	v_fma_f64 v[12:13], -v[26:27], v[94:95], v[12:13]
	v_fma_f64 v[10:11], -v[26:27], v[96:97], v[10:11]
	v_fma_f64 v[8:9], -v[26:27], v[98:99], v[8:9]
	v_fma_f64 v[6:7], -v[26:27], v[100:101], v[6:7]
	v_fma_f64 v[0:1], -v[26:27], v[102:103], v[0:1]
	v_fma_f64 v[82:83], -v[26:27], v[104:105], v[82:83]
.LBB78_471:
	s_or_b64 exec, exec, s[0:1]
	v_lshl_add_u32 v84, v89, 3, v88
	s_barrier
	ds_write_b64 v84, v[24:25]
	s_waitcnt lgkmcnt(0)
	s_barrier
	ds_read_b64 v[84:85], v88 offset:224
	s_cmp_lt_i32 s18, 30
	v_mov_b32_e32 v86, 28
	s_cbranch_scc1 .LBB78_474
; %bb.472:
	v_add_u32_e32 v93, 0xe8, v88
	s_mov_b32 s0, 29
	v_mov_b32_e32 v86, 28
.LBB78_473:                             ; =>This Inner Loop Header: Depth=1
	ds_read_b64 v[94:95], v93
	v_mov_b32_e32 v96, s0
	s_add_i32 s0, s0, 1
	v_add_u32_e32 v93, 8, v93
	s_cmp_lg_u32 s18, s0
	s_waitcnt lgkmcnt(0)
	v_cmp_lt_f64_e64 vcc, |v[84:85]|, |v[94:95]|
	v_cndmask_b32_e32 v85, v85, v95, vcc
	v_cndmask_b32_e32 v84, v84, v94, vcc
	;; [unrolled: 1-line block ×3, first 2 shown]
	s_cbranch_scc1 .LBB78_473
.LBB78_474:
	s_waitcnt lgkmcnt(0)
	v_cmp_eq_f64_e32 vcc, 0, v[84:85]
	s_and_saveexec_b64 s[0:1], vcc
	s_xor_b64 s[0:1], exec, s[0:1]
; %bb.475:
	v_cmp_ne_u32_e32 vcc, 0, v92
	v_cndmask_b32_e32 v92, 29, v92, vcc
; %bb.476:
	s_andn2_saveexec_b64 s[0:1], s[0:1]
; %bb.477:
	v_div_scale_f64 v[94:95], s[2:3], v[84:85], v[84:85], 1.0
	v_rcp_f64_e32 v[96:97], v[94:95]
	v_div_scale_f64 v[98:99], vcc, 1.0, v[84:85], 1.0
	v_fma_f64 v[100:101], -v[94:95], v[96:97], 1.0
	v_fmac_f64_e32 v[96:97], v[96:97], v[100:101]
	v_fma_f64 v[100:101], -v[94:95], v[96:97], 1.0
	v_fmac_f64_e32 v[96:97], v[96:97], v[100:101]
	v_mul_f64 v[100:101], v[98:99], v[96:97]
	v_fma_f64 v[94:95], -v[94:95], v[100:101], v[98:99]
	v_div_fmas_f64 v[94:95], v[94:95], v[96:97], v[100:101]
	v_div_fixup_f64 v[84:85], v[94:95], v[84:85], 1.0
; %bb.478:
	s_or_b64 exec, exec, s[0:1]
	v_cmp_ne_u32_e32 vcc, v89, v86
	s_and_saveexec_b64 s[0:1], vcc
	s_xor_b64 s[0:1], exec, s[0:1]
	s_cbranch_execz .LBB78_484
; %bb.479:
	v_cmp_eq_u32_e32 vcc, 28, v89
	s_and_saveexec_b64 s[2:3], vcc
	s_cbranch_execz .LBB78_483
; %bb.480:
	v_cmp_ne_u32_e32 vcc, 28, v86
	s_xor_b64 s[14:15], s[6:7], -1
	s_and_b64 s[16:17], s[14:15], vcc
	s_and_saveexec_b64 s[14:15], s[16:17]
	s_cbranch_execz .LBB78_482
; %bb.481:
	v_ashrrev_i32_e32 v87, 31, v86
	v_lshlrev_b64 v[94:95], 2, v[86:87]
	v_add_co_u32_e32 v94, vcc, v4, v94
	v_addc_co_u32_e32 v95, vcc, v5, v95, vcc
	flat_load_dword v87, v[94:95]
	flat_load_dword v89, v[4:5] offset:112
	s_waitcnt vmcnt(0) lgkmcnt(0)
	flat_store_dword v[4:5], v87 offset:112
	flat_store_dword v[94:95], v89
.LBB78_482:
	s_or_b64 exec, exec, s[14:15]
	v_mov_b32_e32 v87, v86
	v_mov_b32_e32 v89, v86
.LBB78_483:
	s_or_b64 exec, exec, s[2:3]
.LBB78_484:
	s_andn2_saveexec_b64 s[0:1], s[0:1]
	s_cbranch_execz .LBB78_486
; %bb.485:
	v_mov_b32_e32 v89, 28
	ds_write2_b64 v88, v[20:21], v[22:23] offset0:29 offset1:30
	ds_write2_b64 v88, v[18:19], v[16:17] offset0:31 offset1:32
	;; [unrolled: 1-line block ×5, first 2 shown]
	ds_write_b64 v88, v[82:83] offset:312
.LBB78_486:
	s_or_b64 exec, exec, s[0:1]
	v_cmp_lt_i32_e32 vcc, 28, v89
	s_waitcnt lgkmcnt(0)
	s_barrier
	s_and_saveexec_b64 s[0:1], vcc
	s_cbranch_execz .LBB78_488
; %bb.487:
	ds_read2_b64 v[94:97], v88 offset0:29 offset1:30
	ds_read2_b64 v[98:101], v88 offset0:31 offset1:32
	v_mul_f64 v[24:25], v[84:85], v[24:25]
	ds_read2_b64 v[102:105], v88 offset0:33 offset1:34
	ds_read_b64 v[84:85], v88 offset:312
	s_waitcnt lgkmcnt(0)
	v_fma_f64 v[20:21], -v[24:25], v[94:95], v[20:21]
	v_fma_f64 v[22:23], -v[24:25], v[96:97], v[22:23]
	ds_read2_b64 v[94:97], v88 offset0:35 offset1:36
	v_fma_f64 v[18:19], -v[24:25], v[98:99], v[18:19]
	v_fma_f64 v[16:17], -v[24:25], v[100:101], v[16:17]
	ds_read2_b64 v[98:101], v88 offset0:37 offset1:38
	v_fma_f64 v[14:15], -v[24:25], v[102:103], v[14:15]
	v_fma_f64 v[12:13], -v[24:25], v[104:105], v[12:13]
	s_waitcnt lgkmcnt(0)
	v_fma_f64 v[10:11], -v[24:25], v[94:95], v[10:11]
	v_fma_f64 v[8:9], -v[24:25], v[96:97], v[8:9]
	;; [unrolled: 1-line block ×5, first 2 shown]
.LBB78_488:
	s_or_b64 exec, exec, s[0:1]
	v_lshl_add_u32 v84, v89, 3, v88
	s_barrier
	ds_write_b64 v84, v[20:21]
	s_waitcnt lgkmcnt(0)
	s_barrier
	ds_read_b64 v[84:85], v88 offset:232
	s_cmp_lt_i32 s18, 31
	v_mov_b32_e32 v86, 29
	s_cbranch_scc1 .LBB78_491
; %bb.489:
	v_add_u32_e32 v93, 0xf0, v88
	s_mov_b32 s0, 30
	v_mov_b32_e32 v86, 29
.LBB78_490:                             ; =>This Inner Loop Header: Depth=1
	ds_read_b64 v[94:95], v93
	v_mov_b32_e32 v96, s0
	s_add_i32 s0, s0, 1
	v_add_u32_e32 v93, 8, v93
	s_cmp_lg_u32 s18, s0
	s_waitcnt lgkmcnt(0)
	v_cmp_lt_f64_e64 vcc, |v[84:85]|, |v[94:95]|
	v_cndmask_b32_e32 v85, v85, v95, vcc
	v_cndmask_b32_e32 v84, v84, v94, vcc
	;; [unrolled: 1-line block ×3, first 2 shown]
	s_cbranch_scc1 .LBB78_490
.LBB78_491:
	s_waitcnt lgkmcnt(0)
	v_cmp_eq_f64_e32 vcc, 0, v[84:85]
	s_and_saveexec_b64 s[0:1], vcc
	s_xor_b64 s[0:1], exec, s[0:1]
; %bb.492:
	v_cmp_ne_u32_e32 vcc, 0, v92
	v_cndmask_b32_e32 v92, 30, v92, vcc
; %bb.493:
	s_andn2_saveexec_b64 s[0:1], s[0:1]
; %bb.494:
	v_div_scale_f64 v[94:95], s[2:3], v[84:85], v[84:85], 1.0
	v_rcp_f64_e32 v[96:97], v[94:95]
	v_div_scale_f64 v[98:99], vcc, 1.0, v[84:85], 1.0
	v_fma_f64 v[100:101], -v[94:95], v[96:97], 1.0
	v_fmac_f64_e32 v[96:97], v[96:97], v[100:101]
	v_fma_f64 v[100:101], -v[94:95], v[96:97], 1.0
	v_fmac_f64_e32 v[96:97], v[96:97], v[100:101]
	v_mul_f64 v[100:101], v[98:99], v[96:97]
	v_fma_f64 v[94:95], -v[94:95], v[100:101], v[98:99]
	v_div_fmas_f64 v[94:95], v[94:95], v[96:97], v[100:101]
	v_div_fixup_f64 v[84:85], v[94:95], v[84:85], 1.0
; %bb.495:
	s_or_b64 exec, exec, s[0:1]
	v_cmp_ne_u32_e32 vcc, v89, v86
	s_and_saveexec_b64 s[0:1], vcc
	s_xor_b64 s[0:1], exec, s[0:1]
	s_cbranch_execz .LBB78_501
; %bb.496:
	v_cmp_eq_u32_e32 vcc, 29, v89
	s_and_saveexec_b64 s[2:3], vcc
	s_cbranch_execz .LBB78_500
; %bb.497:
	v_cmp_ne_u32_e32 vcc, 29, v86
	s_xor_b64 s[14:15], s[6:7], -1
	s_and_b64 s[16:17], s[14:15], vcc
	s_and_saveexec_b64 s[14:15], s[16:17]
	s_cbranch_execz .LBB78_499
; %bb.498:
	v_ashrrev_i32_e32 v87, 31, v86
	v_lshlrev_b64 v[94:95], 2, v[86:87]
	v_add_co_u32_e32 v94, vcc, v4, v94
	v_addc_co_u32_e32 v95, vcc, v5, v95, vcc
	flat_load_dword v87, v[94:95]
	flat_load_dword v89, v[4:5] offset:116
	s_waitcnt vmcnt(0) lgkmcnt(0)
	flat_store_dword v[4:5], v87 offset:116
	flat_store_dword v[94:95], v89
.LBB78_499:
	s_or_b64 exec, exec, s[14:15]
	v_mov_b32_e32 v87, v86
	v_mov_b32_e32 v89, v86
.LBB78_500:
	s_or_b64 exec, exec, s[2:3]
.LBB78_501:
	s_andn2_saveexec_b64 s[0:1], s[0:1]
	s_cbranch_execz .LBB78_503
; %bb.502:
	v_mov_b32_e32 v94, v22
	v_mov_b32_e32 v95, v23
	v_mov_b32_e32 v96, v18
	v_mov_b32_e32 v97, v19
	ds_write2_b64 v88, v[94:95], v[96:97] offset0:30 offset1:31
	v_mov_b32_e32 v94, v16
	v_mov_b32_e32 v95, v17
	v_mov_b32_e32 v96, v14
	v_mov_b32_e32 v97, v15
	ds_write2_b64 v88, v[94:95], v[96:97] offset0:32 offset1:33
	;; [unrolled: 5-line block ×4, first 2 shown]
	v_mov_b32_e32 v94, v0
	v_mov_b32_e32 v95, v1
	;; [unrolled: 1-line block ×3, first 2 shown]
	ds_write2_b64 v88, v[94:95], v[82:83] offset0:38 offset1:39
.LBB78_503:
	s_or_b64 exec, exec, s[0:1]
	v_cmp_lt_i32_e32 vcc, 29, v89
	s_waitcnt lgkmcnt(0)
	s_barrier
	s_and_saveexec_b64 s[0:1], vcc
	s_cbranch_execz .LBB78_505
; %bb.504:
	ds_read2_b64 v[94:97], v88 offset0:30 offset1:31
	ds_read2_b64 v[98:101], v88 offset0:32 offset1:33
	v_mul_f64 v[20:21], v[84:85], v[20:21]
	ds_read2_b64 v[102:105], v88 offset0:36 offset1:37
	s_waitcnt lgkmcnt(0)
	v_fma_f64 v[22:23], -v[20:21], v[94:95], v[22:23]
	v_fma_f64 v[18:19], -v[20:21], v[96:97], v[18:19]
	ds_read2_b64 v[94:97], v88 offset0:34 offset1:35
	v_fma_f64 v[16:17], -v[20:21], v[98:99], v[16:17]
	v_fma_f64 v[14:15], -v[20:21], v[100:101], v[14:15]
	ds_read2_b64 v[98:101], v88 offset0:38 offset1:39
	v_fma_f64 v[8:9], -v[20:21], v[102:103], v[8:9]
	s_waitcnt lgkmcnt(0)
	v_fma_f64 v[12:13], -v[20:21], v[94:95], v[12:13]
	v_fma_f64 v[10:11], -v[20:21], v[96:97], v[10:11]
	;; [unrolled: 1-line block ×5, first 2 shown]
.LBB78_505:
	s_or_b64 exec, exec, s[0:1]
	v_lshl_add_u32 v84, v89, 3, v88
	s_barrier
	ds_write_b64 v84, v[22:23]
	s_waitcnt lgkmcnt(0)
	s_barrier
	ds_read_b64 v[84:85], v88 offset:240
	s_cmp_lt_i32 s18, 32
	v_mov_b32_e32 v86, 30
	s_cbranch_scc1 .LBB78_508
; %bb.506:
	v_add_u32_e32 v93, 0xf8, v88
	s_mov_b32 s0, 31
	v_mov_b32_e32 v86, 30
.LBB78_507:                             ; =>This Inner Loop Header: Depth=1
	ds_read_b64 v[94:95], v93
	v_mov_b32_e32 v96, s0
	s_add_i32 s0, s0, 1
	v_add_u32_e32 v93, 8, v93
	s_cmp_lg_u32 s18, s0
	s_waitcnt lgkmcnt(0)
	v_cmp_lt_f64_e64 vcc, |v[84:85]|, |v[94:95]|
	v_cndmask_b32_e32 v85, v85, v95, vcc
	v_cndmask_b32_e32 v84, v84, v94, vcc
	;; [unrolled: 1-line block ×3, first 2 shown]
	s_cbranch_scc1 .LBB78_507
.LBB78_508:
	s_waitcnt lgkmcnt(0)
	v_cmp_eq_f64_e32 vcc, 0, v[84:85]
	s_and_saveexec_b64 s[0:1], vcc
	s_xor_b64 s[0:1], exec, s[0:1]
; %bb.509:
	v_cmp_ne_u32_e32 vcc, 0, v92
	v_cndmask_b32_e32 v92, 31, v92, vcc
; %bb.510:
	s_andn2_saveexec_b64 s[0:1], s[0:1]
; %bb.511:
	v_div_scale_f64 v[94:95], s[2:3], v[84:85], v[84:85], 1.0
	v_rcp_f64_e32 v[96:97], v[94:95]
	v_div_scale_f64 v[98:99], vcc, 1.0, v[84:85], 1.0
	v_fma_f64 v[100:101], -v[94:95], v[96:97], 1.0
	v_fmac_f64_e32 v[96:97], v[96:97], v[100:101]
	v_fma_f64 v[100:101], -v[94:95], v[96:97], 1.0
	v_fmac_f64_e32 v[96:97], v[96:97], v[100:101]
	v_mul_f64 v[100:101], v[98:99], v[96:97]
	v_fma_f64 v[94:95], -v[94:95], v[100:101], v[98:99]
	v_div_fmas_f64 v[94:95], v[94:95], v[96:97], v[100:101]
	v_div_fixup_f64 v[84:85], v[94:95], v[84:85], 1.0
; %bb.512:
	s_or_b64 exec, exec, s[0:1]
	v_cmp_ne_u32_e32 vcc, v89, v86
	s_and_saveexec_b64 s[0:1], vcc
	s_xor_b64 s[0:1], exec, s[0:1]
	s_cbranch_execz .LBB78_518
; %bb.513:
	v_cmp_eq_u32_e32 vcc, 30, v89
	s_and_saveexec_b64 s[2:3], vcc
	s_cbranch_execz .LBB78_517
; %bb.514:
	v_cmp_ne_u32_e32 vcc, 30, v86
	s_xor_b64 s[14:15], s[6:7], -1
	s_and_b64 s[16:17], s[14:15], vcc
	s_and_saveexec_b64 s[14:15], s[16:17]
	s_cbranch_execz .LBB78_516
; %bb.515:
	v_ashrrev_i32_e32 v87, 31, v86
	v_lshlrev_b64 v[94:95], 2, v[86:87]
	v_add_co_u32_e32 v94, vcc, v4, v94
	v_addc_co_u32_e32 v95, vcc, v5, v95, vcc
	flat_load_dword v87, v[94:95]
	flat_load_dword v89, v[4:5] offset:120
	s_waitcnt vmcnt(0) lgkmcnt(0)
	flat_store_dword v[4:5], v87 offset:120
	flat_store_dword v[94:95], v89
.LBB78_516:
	s_or_b64 exec, exec, s[14:15]
	v_mov_b32_e32 v87, v86
	v_mov_b32_e32 v89, v86
.LBB78_517:
	s_or_b64 exec, exec, s[2:3]
.LBB78_518:
	s_andn2_saveexec_b64 s[0:1], s[0:1]
	s_cbranch_execz .LBB78_520
; %bb.519:
	v_mov_b32_e32 v89, 30
	ds_write2_b64 v88, v[18:19], v[16:17] offset0:31 offset1:32
	ds_write2_b64 v88, v[14:15], v[12:13] offset0:33 offset1:34
	;; [unrolled: 1-line block ×4, first 2 shown]
	ds_write_b64 v88, v[82:83] offset:312
.LBB78_520:
	s_or_b64 exec, exec, s[0:1]
	v_cmp_lt_i32_e32 vcc, 30, v89
	s_waitcnt lgkmcnt(0)
	s_barrier
	s_and_saveexec_b64 s[0:1], vcc
	s_cbranch_execz .LBB78_522
; %bb.521:
	ds_read2_b64 v[94:97], v88 offset0:31 offset1:32
	ds_read2_b64 v[98:101], v88 offset0:33 offset1:34
	v_mul_f64 v[22:23], v[84:85], v[22:23]
	ds_read_b64 v[84:85], v88 offset:312
	ds_read2_b64 v[102:105], v88 offset0:37 offset1:38
	s_waitcnt lgkmcnt(0)
	v_fma_f64 v[18:19], -v[22:23], v[94:95], v[18:19]
	v_fma_f64 v[16:17], -v[22:23], v[96:97], v[16:17]
	ds_read2_b64 v[94:97], v88 offset0:35 offset1:36
	v_fma_f64 v[14:15], -v[22:23], v[98:99], v[14:15]
	v_fma_f64 v[12:13], -v[22:23], v[100:101], v[12:13]
	;; [unrolled: 1-line block ×4, first 2 shown]
	s_waitcnt lgkmcnt(0)
	v_fma_f64 v[10:11], -v[22:23], v[94:95], v[10:11]
	v_fma_f64 v[8:9], -v[22:23], v[96:97], v[8:9]
	;; [unrolled: 1-line block ×3, first 2 shown]
.LBB78_522:
	s_or_b64 exec, exec, s[0:1]
	v_lshl_add_u32 v84, v89, 3, v88
	s_barrier
	ds_write_b64 v84, v[18:19]
	s_waitcnt lgkmcnt(0)
	s_barrier
	ds_read_b64 v[84:85], v88 offset:248
	s_cmp_lt_i32 s18, 33
	v_mov_b32_e32 v86, 31
	s_cbranch_scc1 .LBB78_525
; %bb.523:
	v_add_u32_e32 v93, 0x100, v88
	s_mov_b32 s0, 32
	v_mov_b32_e32 v86, 31
.LBB78_524:                             ; =>This Inner Loop Header: Depth=1
	ds_read_b64 v[94:95], v93
	v_mov_b32_e32 v96, s0
	s_add_i32 s0, s0, 1
	v_add_u32_e32 v93, 8, v93
	s_cmp_lg_u32 s18, s0
	s_waitcnt lgkmcnt(0)
	v_cmp_lt_f64_e64 vcc, |v[84:85]|, |v[94:95]|
	v_cndmask_b32_e32 v85, v85, v95, vcc
	v_cndmask_b32_e32 v84, v84, v94, vcc
	;; [unrolled: 1-line block ×3, first 2 shown]
	s_cbranch_scc1 .LBB78_524
.LBB78_525:
	s_waitcnt lgkmcnt(0)
	v_cmp_eq_f64_e32 vcc, 0, v[84:85]
	s_and_saveexec_b64 s[0:1], vcc
	s_xor_b64 s[0:1], exec, s[0:1]
; %bb.526:
	v_cmp_ne_u32_e32 vcc, 0, v92
	v_cndmask_b32_e32 v92, 32, v92, vcc
; %bb.527:
	s_andn2_saveexec_b64 s[0:1], s[0:1]
; %bb.528:
	v_div_scale_f64 v[94:95], s[2:3], v[84:85], v[84:85], 1.0
	v_rcp_f64_e32 v[96:97], v[94:95]
	v_div_scale_f64 v[98:99], vcc, 1.0, v[84:85], 1.0
	v_fma_f64 v[100:101], -v[94:95], v[96:97], 1.0
	v_fmac_f64_e32 v[96:97], v[96:97], v[100:101]
	v_fma_f64 v[100:101], -v[94:95], v[96:97], 1.0
	v_fmac_f64_e32 v[96:97], v[96:97], v[100:101]
	v_mul_f64 v[100:101], v[98:99], v[96:97]
	v_fma_f64 v[94:95], -v[94:95], v[100:101], v[98:99]
	v_div_fmas_f64 v[94:95], v[94:95], v[96:97], v[100:101]
	v_div_fixup_f64 v[84:85], v[94:95], v[84:85], 1.0
; %bb.529:
	s_or_b64 exec, exec, s[0:1]
	v_cmp_ne_u32_e32 vcc, v89, v86
	s_and_saveexec_b64 s[0:1], vcc
	s_xor_b64 s[0:1], exec, s[0:1]
	s_cbranch_execz .LBB78_535
; %bb.530:
	v_cmp_eq_u32_e32 vcc, 31, v89
	s_and_saveexec_b64 s[2:3], vcc
	s_cbranch_execz .LBB78_534
; %bb.531:
	v_cmp_ne_u32_e32 vcc, 31, v86
	s_xor_b64 s[14:15], s[6:7], -1
	s_and_b64 s[16:17], s[14:15], vcc
	s_and_saveexec_b64 s[14:15], s[16:17]
	s_cbranch_execz .LBB78_533
; %bb.532:
	v_ashrrev_i32_e32 v87, 31, v86
	v_lshlrev_b64 v[94:95], 2, v[86:87]
	v_add_co_u32_e32 v94, vcc, v4, v94
	v_addc_co_u32_e32 v95, vcc, v5, v95, vcc
	flat_load_dword v87, v[94:95]
	flat_load_dword v89, v[4:5] offset:124
	s_waitcnt vmcnt(0) lgkmcnt(0)
	flat_store_dword v[4:5], v87 offset:124
	flat_store_dword v[94:95], v89
.LBB78_533:
	s_or_b64 exec, exec, s[14:15]
	v_mov_b32_e32 v87, v86
	v_mov_b32_e32 v89, v86
.LBB78_534:
	s_or_b64 exec, exec, s[2:3]
.LBB78_535:
	s_andn2_saveexec_b64 s[0:1], s[0:1]
	s_cbranch_execz .LBB78_537
; %bb.536:
	v_mov_b32_e32 v94, v16
	v_mov_b32_e32 v95, v17
	v_mov_b32_e32 v96, v14
	v_mov_b32_e32 v97, v15
	ds_write2_b64 v88, v[94:95], v[96:97] offset0:32 offset1:33
	v_mov_b32_e32 v94, v12
	v_mov_b32_e32 v95, v13
	v_mov_b32_e32 v96, v10
	v_mov_b32_e32 v97, v11
	ds_write2_b64 v88, v[94:95], v[96:97] offset0:34 offset1:35
	;; [unrolled: 5-line block ×3, first 2 shown]
	v_mov_b32_e32 v94, v0
	v_mov_b32_e32 v95, v1
	;; [unrolled: 1-line block ×3, first 2 shown]
	ds_write2_b64 v88, v[94:95], v[82:83] offset0:38 offset1:39
.LBB78_537:
	s_or_b64 exec, exec, s[0:1]
	v_cmp_lt_i32_e32 vcc, 31, v89
	s_waitcnt lgkmcnt(0)
	s_barrier
	s_and_saveexec_b64 s[0:1], vcc
	s_cbranch_execz .LBB78_539
; %bb.538:
	ds_read2_b64 v[94:97], v88 offset0:32 offset1:33
	ds_read2_b64 v[98:101], v88 offset0:34 offset1:35
	v_mul_f64 v[18:19], v[84:85], v[18:19]
	ds_read2_b64 v[102:105], v88 offset0:36 offset1:37
	s_waitcnt lgkmcnt(0)
	v_fma_f64 v[16:17], -v[18:19], v[94:95], v[16:17]
	v_fma_f64 v[14:15], -v[18:19], v[96:97], v[14:15]
	ds_read2_b64 v[94:97], v88 offset0:38 offset1:39
	v_fma_f64 v[12:13], -v[18:19], v[98:99], v[12:13]
	v_fma_f64 v[10:11], -v[18:19], v[100:101], v[10:11]
	;; [unrolled: 1-line block ×4, first 2 shown]
	s_waitcnt lgkmcnt(0)
	v_fma_f64 v[0:1], -v[18:19], v[94:95], v[0:1]
	v_fma_f64 v[82:83], -v[18:19], v[96:97], v[82:83]
.LBB78_539:
	s_or_b64 exec, exec, s[0:1]
	v_lshl_add_u32 v84, v89, 3, v88
	s_barrier
	ds_write_b64 v84, v[16:17]
	s_waitcnt lgkmcnt(0)
	s_barrier
	ds_read_b64 v[84:85], v88 offset:256
	s_cmp_lt_i32 s18, 34
	v_mov_b32_e32 v86, 32
	s_cbranch_scc1 .LBB78_542
; %bb.540:
	v_add_u32_e32 v93, 0x108, v88
	s_mov_b32 s0, 33
	v_mov_b32_e32 v86, 32
.LBB78_541:                             ; =>This Inner Loop Header: Depth=1
	ds_read_b64 v[94:95], v93
	v_mov_b32_e32 v96, s0
	s_add_i32 s0, s0, 1
	v_add_u32_e32 v93, 8, v93
	s_cmp_lg_u32 s18, s0
	s_waitcnt lgkmcnt(0)
	v_cmp_lt_f64_e64 vcc, |v[84:85]|, |v[94:95]|
	v_cndmask_b32_e32 v85, v85, v95, vcc
	v_cndmask_b32_e32 v84, v84, v94, vcc
	;; [unrolled: 1-line block ×3, first 2 shown]
	s_cbranch_scc1 .LBB78_541
.LBB78_542:
	s_waitcnt lgkmcnt(0)
	v_cmp_eq_f64_e32 vcc, 0, v[84:85]
	s_and_saveexec_b64 s[0:1], vcc
	s_xor_b64 s[0:1], exec, s[0:1]
; %bb.543:
	v_cmp_ne_u32_e32 vcc, 0, v92
	v_cndmask_b32_e32 v92, 33, v92, vcc
; %bb.544:
	s_andn2_saveexec_b64 s[0:1], s[0:1]
; %bb.545:
	v_div_scale_f64 v[94:95], s[2:3], v[84:85], v[84:85], 1.0
	v_rcp_f64_e32 v[96:97], v[94:95]
	v_div_scale_f64 v[98:99], vcc, 1.0, v[84:85], 1.0
	v_fma_f64 v[100:101], -v[94:95], v[96:97], 1.0
	v_fmac_f64_e32 v[96:97], v[96:97], v[100:101]
	v_fma_f64 v[100:101], -v[94:95], v[96:97], 1.0
	v_fmac_f64_e32 v[96:97], v[96:97], v[100:101]
	v_mul_f64 v[100:101], v[98:99], v[96:97]
	v_fma_f64 v[94:95], -v[94:95], v[100:101], v[98:99]
	v_div_fmas_f64 v[94:95], v[94:95], v[96:97], v[100:101]
	v_div_fixup_f64 v[84:85], v[94:95], v[84:85], 1.0
; %bb.546:
	s_or_b64 exec, exec, s[0:1]
	v_cmp_ne_u32_e32 vcc, v89, v86
	s_and_saveexec_b64 s[0:1], vcc
	s_xor_b64 s[0:1], exec, s[0:1]
	s_cbranch_execz .LBB78_552
; %bb.547:
	v_cmp_eq_u32_e32 vcc, 32, v89
	s_and_saveexec_b64 s[2:3], vcc
	s_cbranch_execz .LBB78_551
; %bb.548:
	v_cmp_ne_u32_e32 vcc, 32, v86
	s_xor_b64 s[14:15], s[6:7], -1
	s_and_b64 s[16:17], s[14:15], vcc
	s_and_saveexec_b64 s[14:15], s[16:17]
	s_cbranch_execz .LBB78_550
; %bb.549:
	v_ashrrev_i32_e32 v87, 31, v86
	v_lshlrev_b64 v[94:95], 2, v[86:87]
	v_add_co_u32_e32 v94, vcc, v4, v94
	v_addc_co_u32_e32 v95, vcc, v5, v95, vcc
	flat_load_dword v87, v[94:95]
	flat_load_dword v89, v[4:5] offset:128
	s_waitcnt vmcnt(0) lgkmcnt(0)
	flat_store_dword v[4:5], v87 offset:128
	flat_store_dword v[94:95], v89
.LBB78_550:
	s_or_b64 exec, exec, s[14:15]
	v_mov_b32_e32 v87, v86
	v_mov_b32_e32 v89, v86
.LBB78_551:
	s_or_b64 exec, exec, s[2:3]
.LBB78_552:
	s_andn2_saveexec_b64 s[0:1], s[0:1]
	s_cbranch_execz .LBB78_554
; %bb.553:
	v_mov_b32_e32 v89, 32
	ds_write2_b64 v88, v[14:15], v[12:13] offset0:33 offset1:34
	ds_write2_b64 v88, v[10:11], v[8:9] offset0:35 offset1:36
	;; [unrolled: 1-line block ×3, first 2 shown]
	ds_write_b64 v88, v[82:83] offset:312
.LBB78_554:
	s_or_b64 exec, exec, s[0:1]
	v_cmp_lt_i32_e32 vcc, 32, v89
	s_waitcnt lgkmcnt(0)
	s_barrier
	s_and_saveexec_b64 s[0:1], vcc
	s_cbranch_execz .LBB78_556
; %bb.555:
	ds_read2_b64 v[94:97], v88 offset0:33 offset1:34
	ds_read2_b64 v[98:101], v88 offset0:35 offset1:36
	v_mul_f64 v[16:17], v[84:85], v[16:17]
	ds_read2_b64 v[102:105], v88 offset0:37 offset1:38
	ds_read_b64 v[84:85], v88 offset:312
	s_waitcnt lgkmcnt(0)
	v_fma_f64 v[14:15], -v[16:17], v[94:95], v[14:15]
	v_fma_f64 v[12:13], -v[16:17], v[96:97], v[12:13]
	v_fma_f64 v[10:11], -v[16:17], v[98:99], v[10:11]
	v_fma_f64 v[8:9], -v[16:17], v[100:101], v[8:9]
	v_fma_f64 v[6:7], -v[16:17], v[102:103], v[6:7]
	v_fma_f64 v[0:1], -v[16:17], v[104:105], v[0:1]
	v_fma_f64 v[82:83], -v[16:17], v[84:85], v[82:83]
.LBB78_556:
	s_or_b64 exec, exec, s[0:1]
	v_lshl_add_u32 v84, v89, 3, v88
	s_barrier
	ds_write_b64 v84, v[14:15]
	s_waitcnt lgkmcnt(0)
	s_barrier
	ds_read_b64 v[84:85], v88 offset:264
	s_cmp_lt_i32 s18, 35
	v_mov_b32_e32 v86, 33
	s_cbranch_scc1 .LBB78_559
; %bb.557:
	v_add_u32_e32 v93, 0x110, v88
	s_mov_b32 s0, 34
	v_mov_b32_e32 v86, 33
.LBB78_558:                             ; =>This Inner Loop Header: Depth=1
	ds_read_b64 v[94:95], v93
	v_mov_b32_e32 v96, s0
	s_add_i32 s0, s0, 1
	v_add_u32_e32 v93, 8, v93
	s_cmp_lg_u32 s18, s0
	s_waitcnt lgkmcnt(0)
	v_cmp_lt_f64_e64 vcc, |v[84:85]|, |v[94:95]|
	v_cndmask_b32_e32 v85, v85, v95, vcc
	v_cndmask_b32_e32 v84, v84, v94, vcc
	;; [unrolled: 1-line block ×3, first 2 shown]
	s_cbranch_scc1 .LBB78_558
.LBB78_559:
	s_waitcnt lgkmcnt(0)
	v_cmp_eq_f64_e32 vcc, 0, v[84:85]
	s_and_saveexec_b64 s[0:1], vcc
	s_xor_b64 s[0:1], exec, s[0:1]
; %bb.560:
	v_cmp_ne_u32_e32 vcc, 0, v92
	v_cndmask_b32_e32 v92, 34, v92, vcc
; %bb.561:
	s_andn2_saveexec_b64 s[0:1], s[0:1]
; %bb.562:
	v_div_scale_f64 v[94:95], s[2:3], v[84:85], v[84:85], 1.0
	v_rcp_f64_e32 v[96:97], v[94:95]
	v_div_scale_f64 v[98:99], vcc, 1.0, v[84:85], 1.0
	v_fma_f64 v[100:101], -v[94:95], v[96:97], 1.0
	v_fmac_f64_e32 v[96:97], v[96:97], v[100:101]
	v_fma_f64 v[100:101], -v[94:95], v[96:97], 1.0
	v_fmac_f64_e32 v[96:97], v[96:97], v[100:101]
	v_mul_f64 v[100:101], v[98:99], v[96:97]
	v_fma_f64 v[94:95], -v[94:95], v[100:101], v[98:99]
	v_div_fmas_f64 v[94:95], v[94:95], v[96:97], v[100:101]
	v_div_fixup_f64 v[84:85], v[94:95], v[84:85], 1.0
; %bb.563:
	s_or_b64 exec, exec, s[0:1]
	v_cmp_ne_u32_e32 vcc, v89, v86
	s_and_saveexec_b64 s[0:1], vcc
	s_xor_b64 s[0:1], exec, s[0:1]
	s_cbranch_execz .LBB78_569
; %bb.564:
	v_cmp_eq_u32_e32 vcc, 33, v89
	s_and_saveexec_b64 s[2:3], vcc
	s_cbranch_execz .LBB78_568
; %bb.565:
	v_cmp_ne_u32_e32 vcc, 33, v86
	s_xor_b64 s[14:15], s[6:7], -1
	s_and_b64 s[16:17], s[14:15], vcc
	s_and_saveexec_b64 s[14:15], s[16:17]
	s_cbranch_execz .LBB78_567
; %bb.566:
	v_ashrrev_i32_e32 v87, 31, v86
	v_lshlrev_b64 v[94:95], 2, v[86:87]
	v_add_co_u32_e32 v94, vcc, v4, v94
	v_addc_co_u32_e32 v95, vcc, v5, v95, vcc
	flat_load_dword v87, v[94:95]
	flat_load_dword v89, v[4:5] offset:132
	s_waitcnt vmcnt(0) lgkmcnt(0)
	flat_store_dword v[4:5], v87 offset:132
	flat_store_dword v[94:95], v89
.LBB78_567:
	s_or_b64 exec, exec, s[14:15]
	v_mov_b32_e32 v87, v86
	v_mov_b32_e32 v89, v86
.LBB78_568:
	s_or_b64 exec, exec, s[2:3]
.LBB78_569:
	s_andn2_saveexec_b64 s[0:1], s[0:1]
	s_cbranch_execz .LBB78_571
; %bb.570:
	v_mov_b32_e32 v94, v12
	v_mov_b32_e32 v95, v13
	;; [unrolled: 1-line block ×4, first 2 shown]
	ds_write2_b64 v88, v[94:95], v[96:97] offset0:34 offset1:35
	v_mov_b32_e32 v94, v8
	v_mov_b32_e32 v95, v9
	;; [unrolled: 1-line block ×4, first 2 shown]
	ds_write2_b64 v88, v[94:95], v[96:97] offset0:36 offset1:37
	v_mov_b32_e32 v94, v0
	v_mov_b32_e32 v95, v1
	;; [unrolled: 1-line block ×3, first 2 shown]
	ds_write2_b64 v88, v[94:95], v[82:83] offset0:38 offset1:39
.LBB78_571:
	s_or_b64 exec, exec, s[0:1]
	v_cmp_lt_i32_e32 vcc, 33, v89
	s_waitcnt lgkmcnt(0)
	s_barrier
	s_and_saveexec_b64 s[0:1], vcc
	s_cbranch_execz .LBB78_573
; %bb.572:
	ds_read2_b64 v[94:97], v88 offset0:34 offset1:35
	ds_read2_b64 v[98:101], v88 offset0:36 offset1:37
	;; [unrolled: 1-line block ×3, first 2 shown]
	v_mul_f64 v[14:15], v[84:85], v[14:15]
	s_waitcnt lgkmcnt(0)
	v_fma_f64 v[12:13], -v[14:15], v[94:95], v[12:13]
	v_fma_f64 v[10:11], -v[14:15], v[96:97], v[10:11]
	;; [unrolled: 1-line block ×6, first 2 shown]
.LBB78_573:
	s_or_b64 exec, exec, s[0:1]
	v_lshl_add_u32 v84, v89, 3, v88
	s_barrier
	ds_write_b64 v84, v[12:13]
	s_waitcnt lgkmcnt(0)
	s_barrier
	ds_read_b64 v[84:85], v88 offset:272
	s_cmp_lt_i32 s18, 36
	v_mov_b32_e32 v86, 34
	s_cbranch_scc1 .LBB78_576
; %bb.574:
	v_add_u32_e32 v93, 0x118, v88
	s_mov_b32 s0, 35
	v_mov_b32_e32 v86, 34
.LBB78_575:                             ; =>This Inner Loop Header: Depth=1
	ds_read_b64 v[94:95], v93
	v_mov_b32_e32 v96, s0
	s_add_i32 s0, s0, 1
	v_add_u32_e32 v93, 8, v93
	s_cmp_lg_u32 s18, s0
	s_waitcnt lgkmcnt(0)
	v_cmp_lt_f64_e64 vcc, |v[84:85]|, |v[94:95]|
	v_cndmask_b32_e32 v85, v85, v95, vcc
	v_cndmask_b32_e32 v84, v84, v94, vcc
	;; [unrolled: 1-line block ×3, first 2 shown]
	s_cbranch_scc1 .LBB78_575
.LBB78_576:
	s_waitcnt lgkmcnt(0)
	v_cmp_eq_f64_e32 vcc, 0, v[84:85]
	s_and_saveexec_b64 s[0:1], vcc
	s_xor_b64 s[0:1], exec, s[0:1]
; %bb.577:
	v_cmp_ne_u32_e32 vcc, 0, v92
	v_cndmask_b32_e32 v92, 35, v92, vcc
; %bb.578:
	s_andn2_saveexec_b64 s[0:1], s[0:1]
; %bb.579:
	v_div_scale_f64 v[94:95], s[2:3], v[84:85], v[84:85], 1.0
	v_rcp_f64_e32 v[96:97], v[94:95]
	v_div_scale_f64 v[98:99], vcc, 1.0, v[84:85], 1.0
	v_fma_f64 v[100:101], -v[94:95], v[96:97], 1.0
	v_fmac_f64_e32 v[96:97], v[96:97], v[100:101]
	v_fma_f64 v[100:101], -v[94:95], v[96:97], 1.0
	v_fmac_f64_e32 v[96:97], v[96:97], v[100:101]
	v_mul_f64 v[100:101], v[98:99], v[96:97]
	v_fma_f64 v[94:95], -v[94:95], v[100:101], v[98:99]
	v_div_fmas_f64 v[94:95], v[94:95], v[96:97], v[100:101]
	v_div_fixup_f64 v[84:85], v[94:95], v[84:85], 1.0
; %bb.580:
	s_or_b64 exec, exec, s[0:1]
	v_cmp_ne_u32_e32 vcc, v89, v86
	s_and_saveexec_b64 s[0:1], vcc
	s_xor_b64 s[0:1], exec, s[0:1]
	s_cbranch_execz .LBB78_586
; %bb.581:
	v_cmp_eq_u32_e32 vcc, 34, v89
	s_and_saveexec_b64 s[2:3], vcc
	s_cbranch_execz .LBB78_585
; %bb.582:
	v_cmp_ne_u32_e32 vcc, 34, v86
	s_xor_b64 s[14:15], s[6:7], -1
	s_and_b64 s[16:17], s[14:15], vcc
	s_and_saveexec_b64 s[14:15], s[16:17]
	s_cbranch_execz .LBB78_584
; %bb.583:
	v_ashrrev_i32_e32 v87, 31, v86
	v_lshlrev_b64 v[94:95], 2, v[86:87]
	v_add_co_u32_e32 v94, vcc, v4, v94
	v_addc_co_u32_e32 v95, vcc, v5, v95, vcc
	flat_load_dword v87, v[94:95]
	flat_load_dword v89, v[4:5] offset:136
	s_waitcnt vmcnt(0) lgkmcnt(0)
	flat_store_dword v[4:5], v87 offset:136
	flat_store_dword v[94:95], v89
.LBB78_584:
	s_or_b64 exec, exec, s[14:15]
	v_mov_b32_e32 v87, v86
	v_mov_b32_e32 v89, v86
.LBB78_585:
	s_or_b64 exec, exec, s[2:3]
.LBB78_586:
	s_andn2_saveexec_b64 s[0:1], s[0:1]
	s_cbranch_execz .LBB78_588
; %bb.587:
	v_mov_b32_e32 v89, 34
	ds_write2_b64 v88, v[10:11], v[8:9] offset0:35 offset1:36
	ds_write2_b64 v88, v[6:7], v[0:1] offset0:37 offset1:38
	ds_write_b64 v88, v[82:83] offset:312
.LBB78_588:
	s_or_b64 exec, exec, s[0:1]
	v_cmp_lt_i32_e32 vcc, 34, v89
	s_waitcnt lgkmcnt(0)
	s_barrier
	s_and_saveexec_b64 s[0:1], vcc
	s_cbranch_execz .LBB78_590
; %bb.589:
	ds_read2_b64 v[94:97], v88 offset0:35 offset1:36
	ds_read2_b64 v[98:101], v88 offset0:37 offset1:38
	v_mul_f64 v[12:13], v[84:85], v[12:13]
	ds_read_b64 v[84:85], v88 offset:312
	s_waitcnt lgkmcnt(0)
	v_fma_f64 v[10:11], -v[12:13], v[94:95], v[10:11]
	v_fma_f64 v[8:9], -v[12:13], v[96:97], v[8:9]
	;; [unrolled: 1-line block ×5, first 2 shown]
.LBB78_590:
	s_or_b64 exec, exec, s[0:1]
	v_lshl_add_u32 v84, v89, 3, v88
	s_barrier
	ds_write_b64 v84, v[10:11]
	s_waitcnt lgkmcnt(0)
	s_barrier
	ds_read_b64 v[84:85], v88 offset:280
	s_cmp_lt_i32 s18, 37
	v_mov_b32_e32 v86, 35
	s_cbranch_scc1 .LBB78_593
; %bb.591:
	v_add_u32_e32 v93, 0x120, v88
	s_mov_b32 s0, 36
	v_mov_b32_e32 v86, 35
.LBB78_592:                             ; =>This Inner Loop Header: Depth=1
	ds_read_b64 v[94:95], v93
	v_mov_b32_e32 v96, s0
	s_add_i32 s0, s0, 1
	v_add_u32_e32 v93, 8, v93
	s_cmp_lg_u32 s18, s0
	s_waitcnt lgkmcnt(0)
	v_cmp_lt_f64_e64 vcc, |v[84:85]|, |v[94:95]|
	v_cndmask_b32_e32 v85, v85, v95, vcc
	v_cndmask_b32_e32 v84, v84, v94, vcc
	;; [unrolled: 1-line block ×3, first 2 shown]
	s_cbranch_scc1 .LBB78_592
.LBB78_593:
	s_waitcnt lgkmcnt(0)
	v_cmp_eq_f64_e32 vcc, 0, v[84:85]
	s_and_saveexec_b64 s[0:1], vcc
	s_xor_b64 s[0:1], exec, s[0:1]
; %bb.594:
	v_cmp_ne_u32_e32 vcc, 0, v92
	v_cndmask_b32_e32 v92, 36, v92, vcc
; %bb.595:
	s_andn2_saveexec_b64 s[0:1], s[0:1]
; %bb.596:
	v_div_scale_f64 v[94:95], s[2:3], v[84:85], v[84:85], 1.0
	v_rcp_f64_e32 v[96:97], v[94:95]
	v_div_scale_f64 v[98:99], vcc, 1.0, v[84:85], 1.0
	v_fma_f64 v[100:101], -v[94:95], v[96:97], 1.0
	v_fmac_f64_e32 v[96:97], v[96:97], v[100:101]
	v_fma_f64 v[100:101], -v[94:95], v[96:97], 1.0
	v_fmac_f64_e32 v[96:97], v[96:97], v[100:101]
	v_mul_f64 v[100:101], v[98:99], v[96:97]
	v_fma_f64 v[94:95], -v[94:95], v[100:101], v[98:99]
	v_div_fmas_f64 v[94:95], v[94:95], v[96:97], v[100:101]
	v_div_fixup_f64 v[84:85], v[94:95], v[84:85], 1.0
; %bb.597:
	s_or_b64 exec, exec, s[0:1]
	v_cmp_ne_u32_e32 vcc, v89, v86
	s_and_saveexec_b64 s[0:1], vcc
	s_xor_b64 s[0:1], exec, s[0:1]
	s_cbranch_execz .LBB78_603
; %bb.598:
	v_cmp_eq_u32_e32 vcc, 35, v89
	s_and_saveexec_b64 s[2:3], vcc
	s_cbranch_execz .LBB78_602
; %bb.599:
	v_cmp_ne_u32_e32 vcc, 35, v86
	s_xor_b64 s[14:15], s[6:7], -1
	s_and_b64 s[16:17], s[14:15], vcc
	s_and_saveexec_b64 s[14:15], s[16:17]
	s_cbranch_execz .LBB78_601
; %bb.600:
	v_ashrrev_i32_e32 v87, 31, v86
	v_lshlrev_b64 v[94:95], 2, v[86:87]
	v_add_co_u32_e32 v94, vcc, v4, v94
	v_addc_co_u32_e32 v95, vcc, v5, v95, vcc
	flat_load_dword v87, v[94:95]
	flat_load_dword v89, v[4:5] offset:140
	s_waitcnt vmcnt(0) lgkmcnt(0)
	flat_store_dword v[4:5], v87 offset:140
	flat_store_dword v[94:95], v89
.LBB78_601:
	s_or_b64 exec, exec, s[14:15]
	v_mov_b32_e32 v87, v86
	v_mov_b32_e32 v89, v86
.LBB78_602:
	s_or_b64 exec, exec, s[2:3]
.LBB78_603:
	s_andn2_saveexec_b64 s[0:1], s[0:1]
	s_cbranch_execz .LBB78_605
; %bb.604:
	v_mov_b32_e32 v94, v8
	v_mov_b32_e32 v95, v9
	v_mov_b32_e32 v96, v6
	v_mov_b32_e32 v97, v7
	ds_write2_b64 v88, v[94:95], v[96:97] offset0:36 offset1:37
	v_mov_b32_e32 v94, v0
	v_mov_b32_e32 v95, v1
	;; [unrolled: 1-line block ×3, first 2 shown]
	ds_write2_b64 v88, v[94:95], v[82:83] offset0:38 offset1:39
.LBB78_605:
	s_or_b64 exec, exec, s[0:1]
	v_cmp_lt_i32_e32 vcc, 35, v89
	s_waitcnt lgkmcnt(0)
	s_barrier
	s_and_saveexec_b64 s[0:1], vcc
	s_cbranch_execz .LBB78_607
; %bb.606:
	ds_read2_b64 v[94:97], v88 offset0:36 offset1:37
	ds_read2_b64 v[98:101], v88 offset0:38 offset1:39
	v_mul_f64 v[10:11], v[84:85], v[10:11]
	s_waitcnt lgkmcnt(0)
	v_fma_f64 v[8:9], -v[10:11], v[94:95], v[8:9]
	v_fma_f64 v[6:7], -v[10:11], v[96:97], v[6:7]
	;; [unrolled: 1-line block ×4, first 2 shown]
.LBB78_607:
	s_or_b64 exec, exec, s[0:1]
	v_lshl_add_u32 v84, v89, 3, v88
	s_barrier
	ds_write_b64 v84, v[8:9]
	s_waitcnt lgkmcnt(0)
	s_barrier
	ds_read_b64 v[84:85], v88 offset:288
	s_cmp_lt_i32 s18, 38
	v_mov_b32_e32 v86, 36
	s_cbranch_scc1 .LBB78_610
; %bb.608:
	v_add_u32_e32 v93, 0x128, v88
	s_mov_b32 s0, 37
	v_mov_b32_e32 v86, 36
.LBB78_609:                             ; =>This Inner Loop Header: Depth=1
	ds_read_b64 v[94:95], v93
	v_mov_b32_e32 v96, s0
	s_add_i32 s0, s0, 1
	v_add_u32_e32 v93, 8, v93
	s_cmp_lg_u32 s18, s0
	s_waitcnt lgkmcnt(0)
	v_cmp_lt_f64_e64 vcc, |v[84:85]|, |v[94:95]|
	v_cndmask_b32_e32 v85, v85, v95, vcc
	v_cndmask_b32_e32 v84, v84, v94, vcc
	;; [unrolled: 1-line block ×3, first 2 shown]
	s_cbranch_scc1 .LBB78_609
.LBB78_610:
	s_waitcnt lgkmcnt(0)
	v_cmp_eq_f64_e32 vcc, 0, v[84:85]
	s_and_saveexec_b64 s[0:1], vcc
	s_xor_b64 s[0:1], exec, s[0:1]
; %bb.611:
	v_cmp_ne_u32_e32 vcc, 0, v92
	v_cndmask_b32_e32 v92, 37, v92, vcc
; %bb.612:
	s_andn2_saveexec_b64 s[0:1], s[0:1]
; %bb.613:
	v_div_scale_f64 v[94:95], s[2:3], v[84:85], v[84:85], 1.0
	v_rcp_f64_e32 v[96:97], v[94:95]
	v_div_scale_f64 v[98:99], vcc, 1.0, v[84:85], 1.0
	v_fma_f64 v[100:101], -v[94:95], v[96:97], 1.0
	v_fmac_f64_e32 v[96:97], v[96:97], v[100:101]
	v_fma_f64 v[100:101], -v[94:95], v[96:97], 1.0
	v_fmac_f64_e32 v[96:97], v[96:97], v[100:101]
	v_mul_f64 v[100:101], v[98:99], v[96:97]
	v_fma_f64 v[94:95], -v[94:95], v[100:101], v[98:99]
	v_div_fmas_f64 v[94:95], v[94:95], v[96:97], v[100:101]
	v_div_fixup_f64 v[84:85], v[94:95], v[84:85], 1.0
; %bb.614:
	s_or_b64 exec, exec, s[0:1]
	v_cmp_ne_u32_e32 vcc, v89, v86
	s_and_saveexec_b64 s[0:1], vcc
	s_xor_b64 s[0:1], exec, s[0:1]
	s_cbranch_execz .LBB78_620
; %bb.615:
	v_cmp_eq_u32_e32 vcc, 36, v89
	s_and_saveexec_b64 s[2:3], vcc
	s_cbranch_execz .LBB78_619
; %bb.616:
	v_cmp_ne_u32_e32 vcc, 36, v86
	s_xor_b64 s[14:15], s[6:7], -1
	s_and_b64 s[16:17], s[14:15], vcc
	s_and_saveexec_b64 s[14:15], s[16:17]
	s_cbranch_execz .LBB78_618
; %bb.617:
	v_ashrrev_i32_e32 v87, 31, v86
	v_lshlrev_b64 v[94:95], 2, v[86:87]
	v_add_co_u32_e32 v94, vcc, v4, v94
	v_addc_co_u32_e32 v95, vcc, v5, v95, vcc
	flat_load_dword v87, v[94:95]
	flat_load_dword v89, v[4:5] offset:144
	s_waitcnt vmcnt(0) lgkmcnt(0)
	flat_store_dword v[4:5], v87 offset:144
	flat_store_dword v[94:95], v89
.LBB78_618:
	s_or_b64 exec, exec, s[14:15]
	v_mov_b32_e32 v87, v86
	v_mov_b32_e32 v89, v86
.LBB78_619:
	s_or_b64 exec, exec, s[2:3]
.LBB78_620:
	s_andn2_saveexec_b64 s[0:1], s[0:1]
	s_cbranch_execz .LBB78_622
; %bb.621:
	v_mov_b32_e32 v89, 36
	ds_write2_b64 v88, v[6:7], v[0:1] offset0:37 offset1:38
	ds_write_b64 v88, v[82:83] offset:312
.LBB78_622:
	s_or_b64 exec, exec, s[0:1]
	v_cmp_lt_i32_e32 vcc, 36, v89
	s_waitcnt lgkmcnt(0)
	s_barrier
	s_and_saveexec_b64 s[0:1], vcc
	s_cbranch_execz .LBB78_624
; %bb.623:
	ds_read2_b64 v[94:97], v88 offset0:37 offset1:38
	ds_read_b64 v[98:99], v88 offset:312
	v_mul_f64 v[8:9], v[84:85], v[8:9]
	s_waitcnt lgkmcnt(0)
	v_fma_f64 v[6:7], -v[8:9], v[94:95], v[6:7]
	v_fma_f64 v[0:1], -v[8:9], v[96:97], v[0:1]
	;; [unrolled: 1-line block ×3, first 2 shown]
.LBB78_624:
	s_or_b64 exec, exec, s[0:1]
	v_lshl_add_u32 v84, v89, 3, v88
	s_barrier
	ds_write_b64 v84, v[6:7]
	s_waitcnt lgkmcnt(0)
	s_barrier
	ds_read_b64 v[84:85], v88 offset:296
	s_cmp_lt_i32 s18, 39
	v_mov_b32_e32 v86, 37
	s_cbranch_scc1 .LBB78_627
; %bb.625:
	v_add_u32_e32 v93, 0x130, v88
	s_mov_b32 s0, 38
	v_mov_b32_e32 v86, 37
.LBB78_626:                             ; =>This Inner Loop Header: Depth=1
	ds_read_b64 v[94:95], v93
	v_mov_b32_e32 v96, s0
	s_add_i32 s0, s0, 1
	v_add_u32_e32 v93, 8, v93
	s_cmp_lg_u32 s18, s0
	s_waitcnt lgkmcnt(0)
	v_cmp_lt_f64_e64 vcc, |v[84:85]|, |v[94:95]|
	v_cndmask_b32_e32 v85, v85, v95, vcc
	v_cndmask_b32_e32 v84, v84, v94, vcc
	;; [unrolled: 1-line block ×3, first 2 shown]
	s_cbranch_scc1 .LBB78_626
.LBB78_627:
	s_waitcnt lgkmcnt(0)
	v_cmp_eq_f64_e32 vcc, 0, v[84:85]
	s_and_saveexec_b64 s[0:1], vcc
	s_xor_b64 s[0:1], exec, s[0:1]
; %bb.628:
	v_cmp_ne_u32_e32 vcc, 0, v92
	v_cndmask_b32_e32 v92, 38, v92, vcc
; %bb.629:
	s_andn2_saveexec_b64 s[0:1], s[0:1]
; %bb.630:
	v_div_scale_f64 v[94:95], s[2:3], v[84:85], v[84:85], 1.0
	v_rcp_f64_e32 v[96:97], v[94:95]
	v_div_scale_f64 v[98:99], vcc, 1.0, v[84:85], 1.0
	v_fma_f64 v[100:101], -v[94:95], v[96:97], 1.0
	v_fmac_f64_e32 v[96:97], v[96:97], v[100:101]
	v_fma_f64 v[100:101], -v[94:95], v[96:97], 1.0
	v_fmac_f64_e32 v[96:97], v[96:97], v[100:101]
	v_mul_f64 v[100:101], v[98:99], v[96:97]
	v_fma_f64 v[94:95], -v[94:95], v[100:101], v[98:99]
	v_div_fmas_f64 v[94:95], v[94:95], v[96:97], v[100:101]
	v_div_fixup_f64 v[84:85], v[94:95], v[84:85], 1.0
; %bb.631:
	s_or_b64 exec, exec, s[0:1]
	v_cmp_ne_u32_e32 vcc, v89, v86
	s_and_saveexec_b64 s[0:1], vcc
	s_xor_b64 s[0:1], exec, s[0:1]
	s_cbranch_execz .LBB78_637
; %bb.632:
	v_cmp_eq_u32_e32 vcc, 37, v89
	s_and_saveexec_b64 s[2:3], vcc
	s_cbranch_execz .LBB78_636
; %bb.633:
	v_cmp_ne_u32_e32 vcc, 37, v86
	s_xor_b64 s[14:15], s[6:7], -1
	s_and_b64 s[16:17], s[14:15], vcc
	s_and_saveexec_b64 s[14:15], s[16:17]
	s_cbranch_execz .LBB78_635
; %bb.634:
	v_ashrrev_i32_e32 v87, 31, v86
	v_lshlrev_b64 v[94:95], 2, v[86:87]
	v_add_co_u32_e32 v94, vcc, v4, v94
	v_addc_co_u32_e32 v95, vcc, v5, v95, vcc
	flat_load_dword v87, v[94:95]
	flat_load_dword v89, v[4:5] offset:148
	s_waitcnt vmcnt(0) lgkmcnt(0)
	flat_store_dword v[4:5], v87 offset:148
	flat_store_dword v[94:95], v89
.LBB78_635:
	s_or_b64 exec, exec, s[14:15]
	v_mov_b32_e32 v87, v86
	v_mov_b32_e32 v89, v86
.LBB78_636:
	s_or_b64 exec, exec, s[2:3]
.LBB78_637:
	s_andn2_saveexec_b64 s[0:1], s[0:1]
	s_cbranch_execz .LBB78_639
; %bb.638:
	v_mov_b32_e32 v94, v0
	v_mov_b32_e32 v95, v1
	;; [unrolled: 1-line block ×3, first 2 shown]
	ds_write2_b64 v88, v[94:95], v[82:83] offset0:38 offset1:39
.LBB78_639:
	s_or_b64 exec, exec, s[0:1]
	v_cmp_lt_i32_e32 vcc, 37, v89
	s_waitcnt lgkmcnt(0)
	s_barrier
	s_and_saveexec_b64 s[0:1], vcc
	s_cbranch_execz .LBB78_641
; %bb.640:
	ds_read2_b64 v[94:97], v88 offset0:38 offset1:39
	v_mul_f64 v[6:7], v[84:85], v[6:7]
	s_waitcnt lgkmcnt(0)
	v_fma_f64 v[0:1], -v[6:7], v[94:95], v[0:1]
	v_fma_f64 v[82:83], -v[6:7], v[96:97], v[82:83]
.LBB78_641:
	s_or_b64 exec, exec, s[0:1]
	v_lshl_add_u32 v84, v89, 3, v88
	s_barrier
	ds_write_b64 v84, v[0:1]
	s_waitcnt lgkmcnt(0)
	s_barrier
	ds_read_b64 v[84:85], v88 offset:304
	s_cmp_lt_i32 s18, 40
	v_mov_b32_e32 v86, 38
	s_cbranch_scc1 .LBB78_644
; %bb.642:
	v_add_u32_e32 v93, 0x138, v88
	s_mov_b32 s0, 39
	v_mov_b32_e32 v86, 38
.LBB78_643:                             ; =>This Inner Loop Header: Depth=1
	ds_read_b64 v[94:95], v93
	v_mov_b32_e32 v96, s0
	s_add_i32 s0, s0, 1
	v_add_u32_e32 v93, 8, v93
	s_cmp_lg_u32 s18, s0
	s_waitcnt lgkmcnt(0)
	v_cmp_lt_f64_e64 vcc, |v[84:85]|, |v[94:95]|
	v_cndmask_b32_e32 v85, v85, v95, vcc
	v_cndmask_b32_e32 v84, v84, v94, vcc
	;; [unrolled: 1-line block ×3, first 2 shown]
	s_cbranch_scc1 .LBB78_643
.LBB78_644:
	s_waitcnt lgkmcnt(0)
	v_cmp_eq_f64_e32 vcc, 0, v[84:85]
	s_and_saveexec_b64 s[0:1], vcc
	s_xor_b64 s[0:1], exec, s[0:1]
; %bb.645:
	v_cmp_ne_u32_e32 vcc, 0, v92
	v_cndmask_b32_e32 v92, 39, v92, vcc
; %bb.646:
	s_andn2_saveexec_b64 s[0:1], s[0:1]
; %bb.647:
	v_div_scale_f64 v[94:95], s[2:3], v[84:85], v[84:85], 1.0
	v_rcp_f64_e32 v[96:97], v[94:95]
	v_div_scale_f64 v[98:99], vcc, 1.0, v[84:85], 1.0
	v_fma_f64 v[100:101], -v[94:95], v[96:97], 1.0
	v_fmac_f64_e32 v[96:97], v[96:97], v[100:101]
	v_fma_f64 v[100:101], -v[94:95], v[96:97], 1.0
	v_fmac_f64_e32 v[96:97], v[96:97], v[100:101]
	v_mul_f64 v[100:101], v[98:99], v[96:97]
	v_fma_f64 v[94:95], -v[94:95], v[100:101], v[98:99]
	v_div_fmas_f64 v[94:95], v[94:95], v[96:97], v[100:101]
	v_div_fixup_f64 v[84:85], v[94:95], v[84:85], 1.0
; %bb.648:
	s_or_b64 exec, exec, s[0:1]
	v_cmp_ne_u32_e32 vcc, v89, v86
	s_and_saveexec_b64 s[0:1], vcc
	s_xor_b64 s[0:1], exec, s[0:1]
	s_cbranch_execz .LBB78_654
; %bb.649:
	v_cmp_eq_u32_e32 vcc, 38, v89
	s_and_saveexec_b64 s[2:3], vcc
	s_cbranch_execz .LBB78_653
; %bb.650:
	v_cmp_ne_u32_e32 vcc, 38, v86
	s_xor_b64 s[14:15], s[6:7], -1
	s_and_b64 s[16:17], s[14:15], vcc
	s_and_saveexec_b64 s[14:15], s[16:17]
	s_cbranch_execz .LBB78_652
; %bb.651:
	v_ashrrev_i32_e32 v87, 31, v86
	v_lshlrev_b64 v[94:95], 2, v[86:87]
	v_add_co_u32_e32 v94, vcc, v4, v94
	v_addc_co_u32_e32 v95, vcc, v5, v95, vcc
	flat_load_dword v87, v[94:95]
	flat_load_dword v89, v[4:5] offset:152
	s_waitcnt vmcnt(0) lgkmcnt(0)
	flat_store_dword v[4:5], v87 offset:152
	flat_store_dword v[94:95], v89
.LBB78_652:
	s_or_b64 exec, exec, s[14:15]
	v_mov_b32_e32 v87, v86
	v_mov_b32_e32 v89, v86
.LBB78_653:
	s_or_b64 exec, exec, s[2:3]
.LBB78_654:
	s_andn2_saveexec_b64 s[0:1], s[0:1]
	s_cbranch_execz .LBB78_656
; %bb.655:
	v_mov_b32_e32 v89, 38
	ds_write_b64 v88, v[82:83] offset:312
.LBB78_656:
	s_or_b64 exec, exec, s[0:1]
	v_cmp_lt_i32_e32 vcc, 38, v89
	s_waitcnt lgkmcnt(0)
	s_barrier
	s_and_saveexec_b64 s[0:1], vcc
	s_cbranch_execz .LBB78_658
; %bb.657:
	ds_read_b64 v[94:95], v88 offset:312
	v_mul_f64 v[0:1], v[84:85], v[0:1]
	s_waitcnt lgkmcnt(0)
	v_fma_f64 v[82:83], -v[0:1], v[94:95], v[82:83]
.LBB78_658:
	s_or_b64 exec, exec, s[0:1]
	v_lshl_add_u32 v84, v89, 3, v88
	s_barrier
	ds_write_b64 v84, v[82:83]
	s_waitcnt lgkmcnt(0)
	s_barrier
	ds_read_b64 v[84:85], v88 offset:312
	s_cmp_lt_i32 s18, 41
	v_mov_b32_e32 v86, 39
	s_cbranch_scc1 .LBB78_661
; %bb.659:
	v_add_u32_e32 v88, 0x140, v88
	s_mov_b32 s0, 40
	v_mov_b32_e32 v86, 39
.LBB78_660:                             ; =>This Inner Loop Header: Depth=1
	ds_read_b64 v[94:95], v88
	v_mov_b32_e32 v93, s0
	s_add_i32 s0, s0, 1
	v_add_u32_e32 v88, 8, v88
	s_cmp_lg_u32 s18, s0
	s_waitcnt lgkmcnt(0)
	v_cmp_lt_f64_e64 vcc, |v[84:85]|, |v[94:95]|
	v_cndmask_b32_e32 v85, v85, v95, vcc
	v_cndmask_b32_e32 v84, v84, v94, vcc
	;; [unrolled: 1-line block ×3, first 2 shown]
	s_cbranch_scc1 .LBB78_660
.LBB78_661:
	s_waitcnt lgkmcnt(0)
	v_cmp_eq_f64_e32 vcc, 0, v[84:85]
	s_and_saveexec_b64 s[0:1], vcc
	s_xor_b64 s[0:1], exec, s[0:1]
; %bb.662:
	v_cmp_ne_u32_e32 vcc, 0, v92
	v_cndmask_b32_e32 v92, 40, v92, vcc
; %bb.663:
	s_andn2_saveexec_b64 s[0:1], s[0:1]
; %bb.664:
	v_div_scale_f64 v[94:95], s[2:3], v[84:85], v[84:85], 1.0
	v_rcp_f64_e32 v[96:97], v[94:95]
	v_div_scale_f64 v[98:99], vcc, 1.0, v[84:85], 1.0
	v_fma_f64 v[100:101], -v[94:95], v[96:97], 1.0
	v_fmac_f64_e32 v[96:97], v[96:97], v[100:101]
	v_fma_f64 v[100:101], -v[94:95], v[96:97], 1.0
	v_fmac_f64_e32 v[96:97], v[96:97], v[100:101]
	v_mul_f64 v[100:101], v[98:99], v[96:97]
	v_fma_f64 v[94:95], -v[94:95], v[100:101], v[98:99]
	v_div_fmas_f64 v[94:95], v[94:95], v[96:97], v[100:101]
	v_div_fixup_f64 v[84:85], v[94:95], v[84:85], 1.0
; %bb.665:
	s_or_b64 exec, exec, s[0:1]
	v_cmp_ne_u32_e32 vcc, v89, v86
	v_mov_b32_e32 v88, 39
	s_and_saveexec_b64 s[0:1], vcc
	s_cbranch_execz .LBB78_671
; %bb.666:
	v_cmp_eq_u32_e32 vcc, 39, v89
	s_and_saveexec_b64 s[2:3], vcc
	s_cbranch_execz .LBB78_670
; %bb.667:
	v_cmp_ne_u32_e32 vcc, 39, v86
	s_xor_b64 s[6:7], s[6:7], -1
	s_and_b64 s[14:15], s[6:7], vcc
	s_and_saveexec_b64 s[6:7], s[14:15]
	s_cbranch_execz .LBB78_669
; %bb.668:
	v_ashrrev_i32_e32 v87, 31, v86
	v_lshlrev_b64 v[88:89], 2, v[86:87]
	v_add_co_u32_e32 v88, vcc, v4, v88
	v_addc_co_u32_e32 v89, vcc, v5, v89, vcc
	flat_load_dword v87, v[88:89]
	flat_load_dword v93, v[4:5] offset:156
	s_waitcnt vmcnt(0) lgkmcnt(0)
	flat_store_dword v[4:5], v87 offset:156
	flat_store_dword v[88:89], v93
.LBB78_669:
	s_or_b64 exec, exec, s[6:7]
	v_mov_b32_e32 v87, v86
	v_mov_b32_e32 v89, v86
.LBB78_670:
	s_or_b64 exec, exec, s[2:3]
	v_mov_b32_e32 v88, v89
.LBB78_671:
	s_or_b64 exec, exec, s[0:1]
	s_load_dwordx8 s[0:7], s[4:5], 0x28
	v_cmp_gt_i32_e32 vcc, 40, v88
	v_ashrrev_i32_e32 v89, 31, v88
	s_waitcnt lgkmcnt(0)
	s_barrier
	s_barrier
	s_and_saveexec_b64 s[14:15], vcc
	s_cbranch_execz .LBB78_673
; %bb.672:
	v_mul_lo_u32 v86, v3, s4
	v_mul_lo_u32 v93, v2, s5
	v_mad_u64_u32 v[4:5], s[4:5], v2, s4, 0
	s_lshl_b64 s[2:3], s[2:3], 2
	v_add3_u32 v5, v5, v93, v86
	s_add_u32 s0, s2, s0
	v_lshlrev_b64 v[4:5], 2, v[4:5]
	s_addc_u32 s1, s3, s1
	v_mov_b32_e32 v86, s1
	v_add_co_u32_e32 v93, vcc, s0, v4
	v_addc_co_u32_e32 v86, vcc, v86, v5, vcc
	v_lshlrev_b64 v[4:5], 2, v[88:89]
	v_add_co_u32_e32 v4, vcc, v93, v4
	v_addc_co_u32_e32 v5, vcc, v86, v5, vcc
	v_add3_u32 v86, v87, s13, 1
	global_store_dword v[4:5], v86, off
.LBB78_673:
	s_or_b64 exec, exec, s[14:15]
	v_cmp_eq_u32_e32 vcc, 0, v88
	s_and_saveexec_b64 s[2:3], vcc
	s_cbranch_execz .LBB78_676
; %bb.674:
	v_lshlrev_b64 v[2:3], 2, v[2:3]
	v_mov_b32_e32 v4, s7
	v_add_co_u32_e32 v2, vcc, s6, v2
	v_addc_co_u32_e32 v3, vcc, v4, v3, vcc
	global_load_dword v4, v[2:3], off
	v_cmp_lt_i32_e64 s[0:1], 0, v92
	s_waitcnt vmcnt(0)
	v_cmp_eq_u32_e32 vcc, 0, v4
	s_and_b64 s[0:1], vcc, s[0:1]
	s_and_b64 exec, exec, s[0:1]
	s_cbranch_execz .LBB78_676
; %bb.675:
	v_add_u32_e32 v4, s13, v92
	global_store_dword v[2:3], v4, off
.LBB78_676:
	s_or_b64 exec, exec, s[2:3]
	v_mul_f64 v[2:3], v[84:85], v[82:83]
	v_cmp_lt_i32_e32 vcc, 39, v88
	v_lshlrev_b64 v[4:5], 3, v[88:89]
	v_cndmask_b32_e32 v3, v83, v3, vcc
	v_cndmask_b32_e32 v2, v82, v2, vcc
	v_add_co_u32_e32 v4, vcc, v90, v4
	v_addc_co_u32_e32 v5, vcc, v91, v5, vcc
	global_store_dwordx2 v[4:5], v[80:81], off
	v_mov_b32_e32 v80, s11
	v_add_co_u32_e32 v4, vcc, s10, v4
	v_addc_co_u32_e32 v5, vcc, v5, v80, vcc
	global_store_dwordx2 v[4:5], v[78:79], off
	v_add_u32_e32 v4, s12, v88
	v_ashrrev_i32_e32 v5, 31, v4
	v_lshlrev_b64 v[78:79], 3, v[4:5]
	v_add_co_u32_e32 v78, vcc, v90, v78
	v_add_u32_e32 v4, s8, v4
	v_addc_co_u32_e32 v79, vcc, v91, v79, vcc
	v_ashrrev_i32_e32 v5, 31, v4
	global_store_dwordx2 v[78:79], v[76:77], off
	v_lshlrev_b64 v[76:77], 3, v[4:5]
	v_add_co_u32_e32 v76, vcc, v90, v76
	v_add_u32_e32 v4, s8, v4
	v_addc_co_u32_e32 v77, vcc, v91, v77, vcc
	v_ashrrev_i32_e32 v5, 31, v4
	global_store_dwordx2 v[76:77], v[74:75], off
	;; [unrolled: 6-line block ×36, first 2 shown]
	v_lshlrev_b64 v[6:7], 3, v[4:5]
	v_add_co_u32_e32 v6, vcc, v90, v6
	v_addc_co_u32_e32 v7, vcc, v91, v7, vcc
	global_store_dwordx2 v[6:7], v[0:1], off
	v_add_u32_e32 v0, s8, v4
	v_ashrrev_i32_e32 v1, 31, v0
	v_lshlrev_b64 v[0:1], 3, v[0:1]
	v_add_co_u32_e32 v0, vcc, v90, v0
	v_addc_co_u32_e32 v1, vcc, v91, v1, vcc
	global_store_dwordx2 v[0:1], v[2:3], off
.LBB78_677:
	s_endpgm
	.section	.rodata,"a",@progbits
	.p2align	6, 0x0
	.amdhsa_kernel _ZN9rocsolver6v33100L18getf2_small_kernelILi40EdiiPKPdEEvT1_T3_lS5_lPS5_llPT2_S5_S5_S7_l
		.amdhsa_group_segment_fixed_size 0
		.amdhsa_private_segment_fixed_size 0
		.amdhsa_kernarg_size 352
		.amdhsa_user_sgpr_count 6
		.amdhsa_user_sgpr_private_segment_buffer 1
		.amdhsa_user_sgpr_dispatch_ptr 0
		.amdhsa_user_sgpr_queue_ptr 0
		.amdhsa_user_sgpr_kernarg_segment_ptr 1
		.amdhsa_user_sgpr_dispatch_id 0
		.amdhsa_user_sgpr_flat_scratch_init 0
		.amdhsa_user_sgpr_kernarg_preload_length 0
		.amdhsa_user_sgpr_kernarg_preload_offset 0
		.amdhsa_user_sgpr_private_segment_size 0
		.amdhsa_uses_dynamic_stack 0
		.amdhsa_system_sgpr_private_segment_wavefront_offset 0
		.amdhsa_system_sgpr_workgroup_id_x 1
		.amdhsa_system_sgpr_workgroup_id_y 1
		.amdhsa_system_sgpr_workgroup_id_z 0
		.amdhsa_system_sgpr_workgroup_info 0
		.amdhsa_system_vgpr_workitem_id 1
		.amdhsa_next_free_vgpr 138
		.amdhsa_next_free_sgpr 22
		.amdhsa_accum_offset 140
		.amdhsa_reserve_vcc 1
		.amdhsa_reserve_flat_scratch 0
		.amdhsa_float_round_mode_32 0
		.amdhsa_float_round_mode_16_64 0
		.amdhsa_float_denorm_mode_32 3
		.amdhsa_float_denorm_mode_16_64 3
		.amdhsa_dx10_clamp 1
		.amdhsa_ieee_mode 1
		.amdhsa_fp16_overflow 0
		.amdhsa_tg_split 0
		.amdhsa_exception_fp_ieee_invalid_op 0
		.amdhsa_exception_fp_denorm_src 0
		.amdhsa_exception_fp_ieee_div_zero 0
		.amdhsa_exception_fp_ieee_overflow 0
		.amdhsa_exception_fp_ieee_underflow 0
		.amdhsa_exception_fp_ieee_inexact 0
		.amdhsa_exception_int_div_zero 0
	.end_amdhsa_kernel
	.section	.text._ZN9rocsolver6v33100L18getf2_small_kernelILi40EdiiPKPdEEvT1_T3_lS5_lPS5_llPT2_S5_S5_S7_l,"axG",@progbits,_ZN9rocsolver6v33100L18getf2_small_kernelILi40EdiiPKPdEEvT1_T3_lS5_lPS5_llPT2_S5_S5_S7_l,comdat
.Lfunc_end78:
	.size	_ZN9rocsolver6v33100L18getf2_small_kernelILi40EdiiPKPdEEvT1_T3_lS5_lPS5_llPT2_S5_S5_S7_l, .Lfunc_end78-_ZN9rocsolver6v33100L18getf2_small_kernelILi40EdiiPKPdEEvT1_T3_lS5_lPS5_llPT2_S5_S5_S7_l
                                        ; -- End function
	.section	.AMDGPU.csdata,"",@progbits
; Kernel info:
; codeLenInByte = 34824
; NumSgprs: 26
; NumVgprs: 138
; NumAgprs: 0
; TotalNumVgprs: 138
; ScratchSize: 0
; MemoryBound: 0
; FloatMode: 240
; IeeeMode: 1
; LDSByteSize: 0 bytes/workgroup (compile time only)
; SGPRBlocks: 3
; VGPRBlocks: 17
; NumSGPRsForWavesPerEU: 26
; NumVGPRsForWavesPerEU: 138
; AccumOffset: 140
; Occupancy: 3
; WaveLimiterHint : 1
; COMPUTE_PGM_RSRC2:SCRATCH_EN: 0
; COMPUTE_PGM_RSRC2:USER_SGPR: 6
; COMPUTE_PGM_RSRC2:TRAP_HANDLER: 0
; COMPUTE_PGM_RSRC2:TGID_X_EN: 1
; COMPUTE_PGM_RSRC2:TGID_Y_EN: 1
; COMPUTE_PGM_RSRC2:TGID_Z_EN: 0
; COMPUTE_PGM_RSRC2:TIDIG_COMP_CNT: 1
; COMPUTE_PGM_RSRC3_GFX90A:ACCUM_OFFSET: 34
; COMPUTE_PGM_RSRC3_GFX90A:TG_SPLIT: 0
	.section	.text._ZN9rocsolver6v33100L23getf2_npvt_small_kernelILi40EdiiPKPdEEvT1_T3_lS5_lPT2_S5_S5_,"axG",@progbits,_ZN9rocsolver6v33100L23getf2_npvt_small_kernelILi40EdiiPKPdEEvT1_T3_lS5_lPT2_S5_S5_,comdat
	.globl	_ZN9rocsolver6v33100L23getf2_npvt_small_kernelILi40EdiiPKPdEEvT1_T3_lS5_lPT2_S5_S5_ ; -- Begin function _ZN9rocsolver6v33100L23getf2_npvt_small_kernelILi40EdiiPKPdEEvT1_T3_lS5_lPT2_S5_S5_
	.p2align	8
	.type	_ZN9rocsolver6v33100L23getf2_npvt_small_kernelILi40EdiiPKPdEEvT1_T3_lS5_lPT2_S5_S5_,@function
_ZN9rocsolver6v33100L23getf2_npvt_small_kernelILi40EdiiPKPdEEvT1_T3_lS5_lPT2_S5_S5_: ; @_ZN9rocsolver6v33100L23getf2_npvt_small_kernelILi40EdiiPKPdEEvT1_T3_lS5_lPT2_S5_S5_
; %bb.0:
	s_load_dword s0, s[4:5], 0x44
	s_load_dwordx2 s[8:9], s[4:5], 0x30
	v_bfe_u32 v162, v0, 10, 10
	s_waitcnt lgkmcnt(0)
	s_lshr_b32 s6, s0, 16
	s_mul_i32 s7, s7, s6
	v_add_u32_e32 v2, s7, v162
	v_cmp_gt_i32_e32 vcc, s8, v2
	s_and_saveexec_b64 s[0:1], vcc
	s_cbranch_execz .LBB79_203
; %bb.1:
	s_load_dwordx4 s[12:15], s[4:5], 0x8
	s_load_dword s0, s[4:5], 0x18
	v_ashrrev_i32_e32 v3, 31, v2
	v_lshlrev_b64 v[4:5], 3, v[2:3]
	v_and_b32_e32 v242, 0x3ff, v0
	s_waitcnt lgkmcnt(0)
	v_mov_b32_e32 v1, s13
	v_add_co_u32_e32 v4, vcc, s12, v4
	v_addc_co_u32_e32 v5, vcc, v1, v5, vcc
	global_load_dwordx2 v[4:5], v[4:5], off
	s_add_i32 s1, s0, s0
	s_lshl_b64 s[2:3], s[14:15], 3
	v_add_u32_e32 v0, s1, v242
	v_mov_b32_e32 v25, s3
	v_ashrrev_i32_e32 v1, 31, v0
	v_add_u32_e32 v6, s0, v0
	v_lshlrev_b64 v[0:1], 3, v[0:1]
	v_ashrrev_i32_e32 v7, 31, v6
	v_add_u32_e32 v8, s0, v6
	v_lshlrev_b64 v[6:7], 3, v[6:7]
	;; [unrolled: 3-line block ×10, first 2 shown]
	v_add_u32_e32 v26, s0, v24
	v_ashrrev_i32_e32 v27, 31, v26
	v_add_u32_e32 v28, s0, v26
	v_ashrrev_i32_e32 v29, 31, v28
	;; [unrolled: 2-line block ×22, first 2 shown]
	v_add_u32_e32 v70, s0, v68
	s_waitcnt vmcnt(0)
	v_add_co_u32_e32 v78, vcc, s2, v4
	v_addc_co_u32_e32 v79, vcc, v5, v25, vcc
	v_add_co_u32_e32 v0, vcc, v78, v0
	v_addc_co_u32_e32 v1, vcc, v79, v1, vcc
	;; [unrolled: 2-line block ×10, first 2 shown]
	v_add_co_u32_e32 v20, vcc, v78, v22
	v_ashrrev_i32_e32 v25, 31, v24
	v_addc_co_u32_e32 v21, vcc, v79, v23, vcc
	v_lshlrev_b64 v[22:23], 3, v[24:25]
	v_add_co_u32_e32 v22, vcc, v78, v22
	v_addc_co_u32_e32 v23, vcc, v79, v23, vcc
	v_lshlrev_b64 v[24:25], 3, v[26:27]
	v_add_co_u32_e32 v24, vcc, v78, v24
	;; [unrolled: 3-line block ×23, first 2 shown]
	v_ashrrev_i32_e32 v71, 31, v70
	v_addc_co_u32_e32 v67, vcc, v79, v67, vcc
	v_lshlrev_b64 v[68:69], 3, v[70:71]
	v_add_u32_e32 v72, s0, v70
	v_add_co_u32_e32 v68, vcc, v78, v68
	v_ashrrev_i32_e32 v73, 31, v72
	v_addc_co_u32_e32 v69, vcc, v79, v69, vcc
	v_lshlrev_b64 v[70:71], 3, v[72:73]
	v_add_u32_e32 v74, s0, v72
	v_add_co_u32_e32 v70, vcc, v78, v70
	;; [unrolled: 5-line block ×4, first 2 shown]
	v_ashrrev_i32_e32 v77, 31, v76
	v_addc_co_u32_e32 v75, vcc, v79, v75, vcc
	v_lshlrev_b64 v[76:77], 3, v[76:77]
	v_add_co_u32_e32 v76, vcc, v78, v76
	v_addc_co_u32_e32 v77, vcc, v79, v77, vcc
	v_lshlrev_b32_e32 v80, 3, v242
	v_add_co_u32_e32 v78, vcc, v78, v80
	s_ashr_i32 s1, s0, 31
	v_addc_co_u32_e32 v79, vcc, 0, v79, vcc
	s_lshl_b64 s[0:1], s[0:1], 3
	v_mov_b32_e32 v81, s1
	v_add_co_u32_e32 v80, vcc, s0, v78
	v_addc_co_u32_e32 v81, vcc, v79, v81, vcc
	global_load_dwordx2 v[82:83], v[78:79], off
	global_load_dwordx2 v[120:121], v[80:81], off
	;; [unrolled: 1-line block ×40, first 2 shown]
	s_mulk_i32 s6, 0x140
	s_movk_i32 s0, 0x140
	s_add_i32 s1, s6, 0
	v_mad_u32_u24 v241, v162, s0, 0
	v_lshl_add_u32 v240, v162, 3, s1
	v_cmp_ne_u32_e64 s[2:3], 0, v242
	v_cmp_eq_u32_e64 s[0:1], 0, v242
	s_and_saveexec_b64 s[6:7], s[0:1]
	s_cbranch_execz .LBB79_4
; %bb.2:
	s_waitcnt vmcnt(39)
	ds_write_b64 v240, v[82:83]
	s_waitcnt vmcnt(37)
	ds_write2_b64 v241, v[120:121], v[158:159] offset0:1 offset1:2
	s_waitcnt vmcnt(35)
	ds_write2_b64 v241, v[118:119], v[156:157] offset0:3 offset1:4
	;; [unrolled: 2-line block ×19, first 2 shown]
	s_waitcnt vmcnt(0)
	ds_write_b64 v241, v[160:161] offset:312
	ds_read_b64 v[162:163], v240
	s_waitcnt lgkmcnt(0)
	v_cmp_neq_f64_e32 vcc, 0, v[162:163]
	s_and_b64 exec, exec, vcc
	s_cbranch_execz .LBB79_4
; %bb.3:
	v_div_scale_f64 v[164:165], s[10:11], v[162:163], v[162:163], 1.0
	v_rcp_f64_e32 v[166:167], v[164:165]
	v_div_scale_f64 v[168:169], vcc, 1.0, v[162:163], 1.0
	v_fma_f64 v[170:171], -v[164:165], v[166:167], 1.0
	v_fmac_f64_e32 v[166:167], v[166:167], v[170:171]
	v_fma_f64 v[170:171], -v[164:165], v[166:167], 1.0
	v_fmac_f64_e32 v[166:167], v[166:167], v[170:171]
	v_mul_f64 v[170:171], v[168:169], v[166:167]
	v_fma_f64 v[164:165], -v[164:165], v[170:171], v[168:169]
	v_div_fmas_f64 v[164:165], v[164:165], v[166:167], v[170:171]
	v_div_fixup_f64 v[162:163], v[164:165], v[162:163], 1.0
	ds_write_b64 v240, v[162:163]
.LBB79_4:
	s_or_b64 exec, exec, s[6:7]
	s_waitcnt lgkmcnt(0)
	s_barrier
	ds_read_b64 v[162:163], v240
	s_and_saveexec_b64 s[6:7], s[2:3]
	s_cbranch_execz .LBB79_6
; %bb.5:
	ds_read2_b64 v[164:167], v241 offset0:1 offset1:2
	ds_read2_b64 v[168:171], v241 offset0:3 offset1:4
	s_waitcnt vmcnt(39) lgkmcnt(2)
	v_mul_f64 v[82:83], v[162:163], v[82:83]
	ds_read2_b64 v[172:175], v241 offset0:5 offset1:6
	s_waitcnt vmcnt(38) lgkmcnt(2)
	v_fma_f64 v[120:121], -v[82:83], v[164:165], v[120:121]
	s_waitcnt vmcnt(37)
	v_fma_f64 v[158:159], -v[82:83], v[166:167], v[158:159]
	ds_read2_b64 v[164:167], v241 offset0:7 offset1:8
	s_waitcnt vmcnt(36) lgkmcnt(2)
	v_fma_f64 v[118:119], -v[82:83], v[168:169], v[118:119]
	s_waitcnt vmcnt(35)
	v_fma_f64 v[156:157], -v[82:83], v[170:171], v[156:157]
	;; [unrolled: 5-line block ×4, first 2 shown]
	s_waitcnt vmcnt(30) lgkmcnt(1)
	v_fma_f64 v[112:113], -v[82:83], v[168:169], v[112:113]
	ds_read2_b64 v[164:167], v241 offset0:13 offset1:14
	s_waitcnt vmcnt(29)
	v_fma_f64 v[150:151], -v[82:83], v[170:171], v[150:151]
	ds_read2_b64 v[168:171], v241 offset0:15 offset1:16
	s_waitcnt vmcnt(28) lgkmcnt(2)
	v_fma_f64 v[110:111], -v[82:83], v[172:173], v[110:111]
	s_waitcnt vmcnt(27)
	v_fma_f64 v[148:149], -v[82:83], v[174:175], v[148:149]
	s_waitcnt vmcnt(26) lgkmcnt(1)
	v_fma_f64 v[108:109], -v[82:83], v[164:165], v[108:109]
	ds_read2_b64 v[172:175], v241 offset0:17 offset1:18
	s_waitcnt vmcnt(25)
	v_fma_f64 v[146:147], -v[82:83], v[166:167], v[146:147]
	ds_read2_b64 v[164:167], v241 offset0:19 offset1:20
	s_waitcnt vmcnt(24) lgkmcnt(2)
	v_fma_f64 v[106:107], -v[82:83], v[168:169], v[106:107]
	s_waitcnt vmcnt(23)
	v_fma_f64 v[144:145], -v[82:83], v[170:171], v[144:145]
	ds_read2_b64 v[168:171], v241 offset0:21 offset1:22
	s_waitcnt vmcnt(22) lgkmcnt(2)
	v_fma_f64 v[104:105], -v[82:83], v[172:173], v[104:105]
	;; [unrolled: 5-line block ×3, first 2 shown]
	s_waitcnt vmcnt(19)
	v_fma_f64 v[140:141], -v[82:83], v[166:167], v[140:141]
	s_waitcnt vmcnt(18) lgkmcnt(1)
	v_fma_f64 v[100:101], -v[82:83], v[168:169], v[100:101]
	ds_read2_b64 v[164:167], v241 offset0:25 offset1:26
	s_waitcnt vmcnt(17)
	v_fma_f64 v[138:139], -v[82:83], v[170:171], v[138:139]
	ds_read2_b64 v[168:171], v241 offset0:27 offset1:28
	s_waitcnt vmcnt(16) lgkmcnt(2)
	v_fma_f64 v[98:99], -v[82:83], v[172:173], v[98:99]
	s_waitcnt vmcnt(15)
	v_fma_f64 v[136:137], -v[82:83], v[174:175], v[136:137]
	s_waitcnt vmcnt(14) lgkmcnt(1)
	v_fma_f64 v[96:97], -v[82:83], v[164:165], v[96:97]
	ds_read2_b64 v[172:175], v241 offset0:29 offset1:30
	s_waitcnt vmcnt(13)
	v_fma_f64 v[134:135], -v[82:83], v[166:167], v[134:135]
	ds_read2_b64 v[164:167], v241 offset0:31 offset1:32
	s_waitcnt vmcnt(12) lgkmcnt(2)
	v_fma_f64 v[94:95], -v[82:83], v[168:169], v[94:95]
	s_waitcnt vmcnt(11)
	v_fma_f64 v[132:133], -v[82:83], v[170:171], v[132:133]
	ds_read2_b64 v[168:171], v241 offset0:33 offset1:34
	s_waitcnt vmcnt(10) lgkmcnt(2)
	v_fma_f64 v[92:93], -v[82:83], v[172:173], v[92:93]
	s_waitcnt vmcnt(9)
	v_fma_f64 v[130:131], -v[82:83], v[174:175], v[130:131]
	s_waitcnt vmcnt(8) lgkmcnt(1)
	v_fma_f64 v[90:91], -v[82:83], v[164:165], v[90:91]
	s_waitcnt vmcnt(7)
	v_fma_f64 v[128:129], -v[82:83], v[166:167], v[128:129]
	ds_read2_b64 v[164:167], v241 offset0:35 offset1:36
	s_waitcnt vmcnt(6) lgkmcnt(1)
	v_fma_f64 v[88:89], -v[82:83], v[168:169], v[88:89]
	ds_read2_b64 v[172:175], v241 offset0:37 offset1:38
	ds_read_b64 v[168:169], v241 offset:312
	s_waitcnt vmcnt(5)
	v_fma_f64 v[126:127], -v[82:83], v[170:171], v[126:127]
	s_waitcnt vmcnt(4) lgkmcnt(2)
	v_fma_f64 v[86:87], -v[82:83], v[164:165], v[86:87]
	s_waitcnt vmcnt(3)
	v_fma_f64 v[124:125], -v[82:83], v[166:167], v[124:125]
	s_waitcnt vmcnt(2) lgkmcnt(1)
	v_fma_f64 v[84:85], -v[82:83], v[172:173], v[84:85]
	;; [unrolled: 4-line block ×3, first 2 shown]
.LBB79_6:
	s_or_b64 exec, exec, s[6:7]
	v_cmp_eq_u32_e32 vcc, 1, v242
	s_waitcnt lgkmcnt(0)
	s_barrier
	s_and_saveexec_b64 s[2:3], vcc
	s_cbranch_execz .LBB79_9
; %bb.7:
	s_waitcnt vmcnt(37)
	v_mov_b32_e32 v164, v158
	v_mov_b32_e32 v165, v159
	s_waitcnt vmcnt(36)
	v_mov_b32_e32 v166, v118
	v_mov_b32_e32 v167, v119
	ds_write_b64 v240, v[120:121]
	ds_write2_b64 v241, v[164:165], v[166:167] offset0:2 offset1:3
	s_waitcnt vmcnt(35)
	v_mov_b32_e32 v164, v156
	v_mov_b32_e32 v165, v157
	s_waitcnt vmcnt(34)
	v_mov_b32_e32 v166, v116
	v_mov_b32_e32 v167, v117
	ds_write2_b64 v241, v[164:165], v[166:167] offset0:4 offset1:5
	s_waitcnt vmcnt(33)
	v_mov_b32_e32 v164, v154
	v_mov_b32_e32 v165, v155
	s_waitcnt vmcnt(32)
	v_mov_b32_e32 v166, v114
	v_mov_b32_e32 v167, v115
	;; [unrolled: 7-line block ×17, first 2 shown]
	ds_write2_b64 v241, v[164:165], v[166:167] offset0:36 offset1:37
	s_waitcnt vmcnt(1)
	v_mov_b32_e32 v164, v122
	v_mov_b32_e32 v165, v123
	s_waitcnt vmcnt(0)
	ds_write2_b64 v241, v[164:165], v[160:161] offset0:38 offset1:39
	ds_read_b64 v[164:165], v240
	s_waitcnt lgkmcnt(0)
	v_cmp_neq_f64_e32 vcc, 0, v[164:165]
	s_and_b64 exec, exec, vcc
	s_cbranch_execz .LBB79_9
; %bb.8:
	v_div_scale_f64 v[166:167], s[6:7], v[164:165], v[164:165], 1.0
	v_rcp_f64_e32 v[168:169], v[166:167]
	v_div_scale_f64 v[170:171], vcc, 1.0, v[164:165], 1.0
	v_fma_f64 v[172:173], -v[166:167], v[168:169], 1.0
	v_fmac_f64_e32 v[168:169], v[168:169], v[172:173]
	v_fma_f64 v[172:173], -v[166:167], v[168:169], 1.0
	v_fmac_f64_e32 v[168:169], v[168:169], v[172:173]
	v_mul_f64 v[172:173], v[170:171], v[168:169]
	v_fma_f64 v[166:167], -v[166:167], v[172:173], v[170:171]
	v_div_fmas_f64 v[166:167], v[166:167], v[168:169], v[172:173]
	v_div_fixup_f64 v[164:165], v[166:167], v[164:165], 1.0
	ds_write_b64 v240, v[164:165]
.LBB79_9:
	s_or_b64 exec, exec, s[2:3]
	s_waitcnt lgkmcnt(0)
	s_barrier
	ds_read_b64 v[164:165], v240
	v_cmp_lt_u32_e32 vcc, 1, v242
	s_and_saveexec_b64 s[2:3], vcc
	s_cbranch_execz .LBB79_11
; %bb.10:
	ds_read2_b64 v[166:169], v241 offset0:2 offset1:3
	ds_read2_b64 v[170:173], v241 offset0:4 offset1:5
	s_waitcnt vmcnt(38) lgkmcnt(2)
	v_mul_f64 v[120:121], v[164:165], v[120:121]
	ds_read2_b64 v[174:177], v241 offset0:6 offset1:7
	s_waitcnt vmcnt(37) lgkmcnt(2)
	v_fma_f64 v[158:159], -v[120:121], v[166:167], v[158:159]
	s_waitcnt vmcnt(36)
	v_fma_f64 v[118:119], -v[120:121], v[168:169], v[118:119]
	ds_read2_b64 v[166:169], v241 offset0:8 offset1:9
	s_waitcnt vmcnt(35) lgkmcnt(2)
	v_fma_f64 v[156:157], -v[120:121], v[170:171], v[156:157]
	s_waitcnt vmcnt(34)
	v_fma_f64 v[116:117], -v[120:121], v[172:173], v[116:117]
	s_waitcnt vmcnt(33) lgkmcnt(1)
	v_fma_f64 v[154:155], -v[120:121], v[174:175], v[154:155]
	ds_read2_b64 v[170:173], v241 offset0:10 offset1:11
	s_waitcnt vmcnt(32)
	v_fma_f64 v[114:115], -v[120:121], v[176:177], v[114:115]
	ds_read2_b64 v[174:177], v241 offset0:12 offset1:13
	s_waitcnt vmcnt(31) lgkmcnt(2)
	v_fma_f64 v[152:153], -v[120:121], v[166:167], v[152:153]
	s_waitcnt vmcnt(30)
	v_fma_f64 v[112:113], -v[120:121], v[168:169], v[112:113]
	ds_read2_b64 v[166:169], v241 offset0:14 offset1:15
	s_waitcnt vmcnt(29) lgkmcnt(2)
	v_fma_f64 v[150:151], -v[120:121], v[170:171], v[150:151]
	;; [unrolled: 5-line block ×3, first 2 shown]
	s_waitcnt vmcnt(26)
	v_fma_f64 v[108:109], -v[120:121], v[176:177], v[108:109]
	s_waitcnt vmcnt(25) lgkmcnt(1)
	v_fma_f64 v[146:147], -v[120:121], v[166:167], v[146:147]
	ds_read2_b64 v[174:177], v241 offset0:18 offset1:19
	s_waitcnt vmcnt(24)
	v_fma_f64 v[106:107], -v[120:121], v[168:169], v[106:107]
	ds_read2_b64 v[166:169], v241 offset0:20 offset1:21
	s_waitcnt vmcnt(23) lgkmcnt(2)
	v_fma_f64 v[144:145], -v[120:121], v[170:171], v[144:145]
	s_waitcnt vmcnt(22)
	v_fma_f64 v[104:105], -v[120:121], v[172:173], v[104:105]
	s_waitcnt vmcnt(21) lgkmcnt(1)
	v_fma_f64 v[142:143], -v[120:121], v[174:175], v[142:143]
	ds_read2_b64 v[170:173], v241 offset0:22 offset1:23
	s_waitcnt vmcnt(20)
	v_fma_f64 v[102:103], -v[120:121], v[176:177], v[102:103]
	ds_read2_b64 v[174:177], v241 offset0:24 offset1:25
	s_waitcnt vmcnt(19) lgkmcnt(2)
	v_fma_f64 v[140:141], -v[120:121], v[166:167], v[140:141]
	s_waitcnt vmcnt(18)
	v_fma_f64 v[100:101], -v[120:121], v[168:169], v[100:101]
	ds_read2_b64 v[166:169], v241 offset0:26 offset1:27
	s_waitcnt vmcnt(17) lgkmcnt(2)
	v_fma_f64 v[138:139], -v[120:121], v[170:171], v[138:139]
	;; [unrolled: 5-line block ×3, first 2 shown]
	s_waitcnt vmcnt(14)
	v_fma_f64 v[96:97], -v[120:121], v[176:177], v[96:97]
	s_waitcnt vmcnt(13) lgkmcnt(1)
	v_fma_f64 v[134:135], -v[120:121], v[166:167], v[134:135]
	ds_read2_b64 v[174:177], v241 offset0:30 offset1:31
	s_waitcnt vmcnt(12)
	v_fma_f64 v[94:95], -v[120:121], v[168:169], v[94:95]
	ds_read2_b64 v[166:169], v241 offset0:32 offset1:33
	s_waitcnt vmcnt(11) lgkmcnt(2)
	v_fma_f64 v[132:133], -v[120:121], v[170:171], v[132:133]
	s_waitcnt vmcnt(10)
	v_fma_f64 v[92:93], -v[120:121], v[172:173], v[92:93]
	s_waitcnt vmcnt(9) lgkmcnt(1)
	v_fma_f64 v[130:131], -v[120:121], v[174:175], v[130:131]
	s_waitcnt vmcnt(8)
	v_fma_f64 v[90:91], -v[120:121], v[176:177], v[90:91]
	ds_read2_b64 v[170:173], v241 offset0:34 offset1:35
	ds_read2_b64 v[174:177], v241 offset0:36 offset1:37
	s_waitcnt vmcnt(7) lgkmcnt(2)
	v_fma_f64 v[128:129], -v[120:121], v[166:167], v[128:129]
	s_waitcnt vmcnt(6)
	v_fma_f64 v[88:89], -v[120:121], v[168:169], v[88:89]
	ds_read2_b64 v[166:169], v241 offset0:38 offset1:39
	s_waitcnt vmcnt(5) lgkmcnt(2)
	v_fma_f64 v[126:127], -v[120:121], v[170:171], v[126:127]
	s_waitcnt vmcnt(4)
	v_fma_f64 v[86:87], -v[120:121], v[172:173], v[86:87]
	s_waitcnt vmcnt(3) lgkmcnt(1)
	v_fma_f64 v[124:125], -v[120:121], v[174:175], v[124:125]
	s_waitcnt vmcnt(2)
	v_fma_f64 v[84:85], -v[120:121], v[176:177], v[84:85]
	;; [unrolled: 4-line block ×3, first 2 shown]
.LBB79_11:
	s_or_b64 exec, exec, s[2:3]
	v_cmp_eq_u32_e32 vcc, 2, v242
	s_waitcnt lgkmcnt(0)
	s_barrier
	s_and_saveexec_b64 s[2:3], vcc
	s_cbranch_execz .LBB79_14
; %bb.12:
	s_waitcnt vmcnt(37)
	ds_write_b64 v240, v[158:159]
	s_waitcnt vmcnt(35)
	ds_write2_b64 v241, v[118:119], v[156:157] offset0:3 offset1:4
	s_waitcnt vmcnt(33)
	ds_write2_b64 v241, v[116:117], v[154:155] offset0:5 offset1:6
	;; [unrolled: 2-line block ×18, first 2 shown]
	s_waitcnt vmcnt(0)
	ds_write_b64 v241, v[160:161] offset:312
	ds_read_b64 v[166:167], v240
	s_waitcnt lgkmcnt(0)
	v_cmp_neq_f64_e32 vcc, 0, v[166:167]
	s_and_b64 exec, exec, vcc
	s_cbranch_execz .LBB79_14
; %bb.13:
	v_div_scale_f64 v[168:169], s[6:7], v[166:167], v[166:167], 1.0
	v_rcp_f64_e32 v[170:171], v[168:169]
	v_div_scale_f64 v[172:173], vcc, 1.0, v[166:167], 1.0
	v_fma_f64 v[174:175], -v[168:169], v[170:171], 1.0
	v_fmac_f64_e32 v[170:171], v[170:171], v[174:175]
	v_fma_f64 v[174:175], -v[168:169], v[170:171], 1.0
	v_fmac_f64_e32 v[170:171], v[170:171], v[174:175]
	v_mul_f64 v[174:175], v[172:173], v[170:171]
	v_fma_f64 v[168:169], -v[168:169], v[174:175], v[172:173]
	v_div_fmas_f64 v[168:169], v[168:169], v[170:171], v[174:175]
	v_div_fixup_f64 v[166:167], v[168:169], v[166:167], 1.0
	ds_write_b64 v240, v[166:167]
.LBB79_14:
	s_or_b64 exec, exec, s[2:3]
	s_waitcnt lgkmcnt(0)
	s_barrier
	ds_read_b64 v[166:167], v240
	v_cmp_lt_u32_e32 vcc, 2, v242
	s_and_saveexec_b64 s[2:3], vcc
	s_cbranch_execz .LBB79_16
; %bb.15:
	ds_read2_b64 v[168:171], v241 offset0:3 offset1:4
	ds_read2_b64 v[172:175], v241 offset0:5 offset1:6
	s_waitcnt vmcnt(37) lgkmcnt(2)
	v_mul_f64 v[158:159], v[166:167], v[158:159]
	ds_read2_b64 v[176:179], v241 offset0:7 offset1:8
	s_waitcnt vmcnt(36) lgkmcnt(2)
	v_fma_f64 v[118:119], -v[158:159], v[168:169], v[118:119]
	s_waitcnt vmcnt(35)
	v_fma_f64 v[156:157], -v[158:159], v[170:171], v[156:157]
	ds_read2_b64 v[168:171], v241 offset0:9 offset1:10
	s_waitcnt vmcnt(34) lgkmcnt(2)
	v_fma_f64 v[116:117], -v[158:159], v[172:173], v[116:117]
	s_waitcnt vmcnt(33)
	v_fma_f64 v[154:155], -v[158:159], v[174:175], v[154:155]
	s_waitcnt vmcnt(32) lgkmcnt(1)
	v_fma_f64 v[114:115], -v[158:159], v[176:177], v[114:115]
	ds_read2_b64 v[172:175], v241 offset0:11 offset1:12
	s_waitcnt vmcnt(31)
	v_fma_f64 v[152:153], -v[158:159], v[178:179], v[152:153]
	ds_read2_b64 v[176:179], v241 offset0:13 offset1:14
	s_waitcnt vmcnt(30) lgkmcnt(2)
	v_fma_f64 v[112:113], -v[158:159], v[168:169], v[112:113]
	s_waitcnt vmcnt(29)
	v_fma_f64 v[150:151], -v[158:159], v[170:171], v[150:151]
	ds_read2_b64 v[168:171], v241 offset0:15 offset1:16
	s_waitcnt vmcnt(28) lgkmcnt(2)
	v_fma_f64 v[110:111], -v[158:159], v[172:173], v[110:111]
	;; [unrolled: 5-line block ×3, first 2 shown]
	s_waitcnt vmcnt(25)
	v_fma_f64 v[146:147], -v[158:159], v[178:179], v[146:147]
	s_waitcnt vmcnt(24) lgkmcnt(1)
	v_fma_f64 v[106:107], -v[158:159], v[168:169], v[106:107]
	ds_read2_b64 v[176:179], v241 offset0:19 offset1:20
	s_waitcnt vmcnt(23)
	v_fma_f64 v[144:145], -v[158:159], v[170:171], v[144:145]
	ds_read2_b64 v[168:171], v241 offset0:21 offset1:22
	s_waitcnt vmcnt(22) lgkmcnt(2)
	v_fma_f64 v[104:105], -v[158:159], v[172:173], v[104:105]
	s_waitcnt vmcnt(21)
	v_fma_f64 v[142:143], -v[158:159], v[174:175], v[142:143]
	s_waitcnt vmcnt(20) lgkmcnt(1)
	v_fma_f64 v[102:103], -v[158:159], v[176:177], v[102:103]
	ds_read2_b64 v[172:175], v241 offset0:23 offset1:24
	s_waitcnt vmcnt(19)
	v_fma_f64 v[140:141], -v[158:159], v[178:179], v[140:141]
	ds_read2_b64 v[176:179], v241 offset0:25 offset1:26
	s_waitcnt vmcnt(18) lgkmcnt(2)
	v_fma_f64 v[100:101], -v[158:159], v[168:169], v[100:101]
	s_waitcnt vmcnt(17)
	v_fma_f64 v[138:139], -v[158:159], v[170:171], v[138:139]
	ds_read2_b64 v[168:171], v241 offset0:27 offset1:28
	s_waitcnt vmcnt(16) lgkmcnt(2)
	v_fma_f64 v[98:99], -v[158:159], v[172:173], v[98:99]
	;; [unrolled: 5-line block ×3, first 2 shown]
	s_waitcnt vmcnt(13)
	v_fma_f64 v[134:135], -v[158:159], v[178:179], v[134:135]
	s_waitcnt vmcnt(12) lgkmcnt(1)
	v_fma_f64 v[94:95], -v[158:159], v[168:169], v[94:95]
	ds_read2_b64 v[176:179], v241 offset0:31 offset1:32
	s_waitcnt vmcnt(11)
	v_fma_f64 v[132:133], -v[158:159], v[170:171], v[132:133]
	ds_read2_b64 v[168:171], v241 offset0:33 offset1:34
	s_waitcnt vmcnt(10) lgkmcnt(2)
	v_fma_f64 v[92:93], -v[158:159], v[172:173], v[92:93]
	s_waitcnt vmcnt(9)
	v_fma_f64 v[130:131], -v[158:159], v[174:175], v[130:131]
	s_waitcnt vmcnt(8) lgkmcnt(1)
	v_fma_f64 v[90:91], -v[158:159], v[176:177], v[90:91]
	s_waitcnt vmcnt(7)
	v_fma_f64 v[128:129], -v[158:159], v[178:179], v[128:129]
	ds_read2_b64 v[172:175], v241 offset0:35 offset1:36
	ds_read2_b64 v[176:179], v241 offset0:37 offset1:38
	s_waitcnt vmcnt(6) lgkmcnt(2)
	v_fma_f64 v[88:89], -v[158:159], v[168:169], v[88:89]
	ds_read_b64 v[168:169], v241 offset:312
	s_waitcnt vmcnt(5)
	v_fma_f64 v[126:127], -v[158:159], v[170:171], v[126:127]
	s_waitcnt vmcnt(4) lgkmcnt(2)
	v_fma_f64 v[86:87], -v[158:159], v[172:173], v[86:87]
	s_waitcnt vmcnt(3)
	v_fma_f64 v[124:125], -v[158:159], v[174:175], v[124:125]
	s_waitcnt vmcnt(2) lgkmcnt(1)
	v_fma_f64 v[84:85], -v[158:159], v[176:177], v[84:85]
	;; [unrolled: 4-line block ×3, first 2 shown]
.LBB79_16:
	s_or_b64 exec, exec, s[2:3]
	v_cmp_eq_u32_e32 vcc, 3, v242
	s_waitcnt lgkmcnt(0)
	s_barrier
	s_and_saveexec_b64 s[2:3], vcc
	s_cbranch_execz .LBB79_19
; %bb.17:
	s_waitcnt vmcnt(35)
	v_mov_b32_e32 v168, v156
	v_mov_b32_e32 v169, v157
	s_waitcnt vmcnt(34)
	v_mov_b32_e32 v170, v116
	v_mov_b32_e32 v171, v117
	ds_write_b64 v240, v[118:119]
	ds_write2_b64 v241, v[168:169], v[170:171] offset0:4 offset1:5
	s_waitcnt vmcnt(33)
	v_mov_b32_e32 v168, v154
	v_mov_b32_e32 v169, v155
	s_waitcnt vmcnt(32)
	v_mov_b32_e32 v170, v114
	v_mov_b32_e32 v171, v115
	ds_write2_b64 v241, v[168:169], v[170:171] offset0:6 offset1:7
	s_waitcnt vmcnt(31)
	v_mov_b32_e32 v168, v152
	v_mov_b32_e32 v169, v153
	s_waitcnt vmcnt(30)
	v_mov_b32_e32 v170, v112
	v_mov_b32_e32 v171, v113
	;; [unrolled: 7-line block ×16, first 2 shown]
	ds_write2_b64 v241, v[168:169], v[170:171] offset0:36 offset1:37
	s_waitcnt vmcnt(1)
	v_mov_b32_e32 v168, v122
	v_mov_b32_e32 v169, v123
	s_waitcnt vmcnt(0)
	ds_write2_b64 v241, v[168:169], v[160:161] offset0:38 offset1:39
	ds_read_b64 v[168:169], v240
	s_waitcnt lgkmcnt(0)
	v_cmp_neq_f64_e32 vcc, 0, v[168:169]
	s_and_b64 exec, exec, vcc
	s_cbranch_execz .LBB79_19
; %bb.18:
	v_div_scale_f64 v[170:171], s[6:7], v[168:169], v[168:169], 1.0
	v_rcp_f64_e32 v[172:173], v[170:171]
	v_div_scale_f64 v[174:175], vcc, 1.0, v[168:169], 1.0
	v_fma_f64 v[176:177], -v[170:171], v[172:173], 1.0
	v_fmac_f64_e32 v[172:173], v[172:173], v[176:177]
	v_fma_f64 v[176:177], -v[170:171], v[172:173], 1.0
	v_fmac_f64_e32 v[172:173], v[172:173], v[176:177]
	v_mul_f64 v[176:177], v[174:175], v[172:173]
	v_fma_f64 v[170:171], -v[170:171], v[176:177], v[174:175]
	v_div_fmas_f64 v[170:171], v[170:171], v[172:173], v[176:177]
	v_div_fixup_f64 v[168:169], v[170:171], v[168:169], 1.0
	ds_write_b64 v240, v[168:169]
.LBB79_19:
	s_or_b64 exec, exec, s[2:3]
	s_waitcnt lgkmcnt(0)
	s_barrier
	ds_read_b64 v[168:169], v240
	v_cmp_lt_u32_e32 vcc, 3, v242
	s_and_saveexec_b64 s[2:3], vcc
	s_cbranch_execz .LBB79_21
; %bb.20:
	ds_read2_b64 v[170:173], v241 offset0:4 offset1:5
	ds_read2_b64 v[174:177], v241 offset0:6 offset1:7
	ds_read2_b64 v[178:181], v241 offset0:8 offset1:9
	s_waitcnt vmcnt(36) lgkmcnt(3)
	v_mul_f64 v[118:119], v[168:169], v[118:119]
	s_waitcnt vmcnt(35) lgkmcnt(2)
	v_fma_f64 v[156:157], -v[118:119], v[170:171], v[156:157]
	s_waitcnt vmcnt(34)
	v_fma_f64 v[116:117], -v[118:119], v[172:173], v[116:117]
	ds_read2_b64 v[170:173], v241 offset0:10 offset1:11
	s_waitcnt vmcnt(33) lgkmcnt(2)
	v_fma_f64 v[154:155], -v[118:119], v[174:175], v[154:155]
	s_waitcnt vmcnt(32)
	v_fma_f64 v[114:115], -v[118:119], v[176:177], v[114:115]
	s_waitcnt vmcnt(31) lgkmcnt(1)
	v_fma_f64 v[152:153], -v[118:119], v[178:179], v[152:153]
	ds_read2_b64 v[174:177], v241 offset0:12 offset1:13
	s_waitcnt vmcnt(30)
	v_fma_f64 v[112:113], -v[118:119], v[180:181], v[112:113]
	ds_read2_b64 v[178:181], v241 offset0:14 offset1:15
	s_waitcnt vmcnt(29) lgkmcnt(2)
	v_fma_f64 v[150:151], -v[118:119], v[170:171], v[150:151]
	s_waitcnt vmcnt(28)
	v_fma_f64 v[110:111], -v[118:119], v[172:173], v[110:111]
	s_waitcnt vmcnt(27) lgkmcnt(1)
	v_fma_f64 v[148:149], -v[118:119], v[174:175], v[148:149]
	ds_read2_b64 v[170:173], v241 offset0:16 offset1:17
	s_waitcnt vmcnt(26)
	v_fma_f64 v[108:109], -v[118:119], v[176:177], v[108:109]
	ds_read2_b64 v[174:177], v241 offset0:18 offset1:19
	s_waitcnt vmcnt(25) lgkmcnt(2)
	v_fma_f64 v[146:147], -v[118:119], v[178:179], v[146:147]
	s_waitcnt vmcnt(24)
	v_fma_f64 v[106:107], -v[118:119], v[180:181], v[106:107]
	ds_read2_b64 v[178:181], v241 offset0:20 offset1:21
	s_waitcnt vmcnt(23) lgkmcnt(2)
	v_fma_f64 v[144:145], -v[118:119], v[170:171], v[144:145]
	;; [unrolled: 5-line block ×3, first 2 shown]
	s_waitcnt vmcnt(20)
	v_fma_f64 v[102:103], -v[118:119], v[176:177], v[102:103]
	s_waitcnt vmcnt(19) lgkmcnt(1)
	v_fma_f64 v[140:141], -v[118:119], v[178:179], v[140:141]
	ds_read2_b64 v[174:177], v241 offset0:24 offset1:25
	s_waitcnt vmcnt(18)
	v_fma_f64 v[100:101], -v[118:119], v[180:181], v[100:101]
	ds_read2_b64 v[178:181], v241 offset0:26 offset1:27
	s_waitcnt vmcnt(17) lgkmcnt(2)
	v_fma_f64 v[138:139], -v[118:119], v[170:171], v[138:139]
	s_waitcnt vmcnt(16)
	v_fma_f64 v[98:99], -v[118:119], v[172:173], v[98:99]
	s_waitcnt vmcnt(15) lgkmcnt(1)
	v_fma_f64 v[136:137], -v[118:119], v[174:175], v[136:137]
	ds_read2_b64 v[170:173], v241 offset0:28 offset1:29
	s_waitcnt vmcnt(14)
	v_fma_f64 v[96:97], -v[118:119], v[176:177], v[96:97]
	ds_read2_b64 v[174:177], v241 offset0:30 offset1:31
	s_waitcnt vmcnt(13) lgkmcnt(2)
	v_fma_f64 v[134:135], -v[118:119], v[178:179], v[134:135]
	s_waitcnt vmcnt(12)
	v_fma_f64 v[94:95], -v[118:119], v[180:181], v[94:95]
	ds_read2_b64 v[178:181], v241 offset0:32 offset1:33
	s_waitcnt vmcnt(11) lgkmcnt(2)
	v_fma_f64 v[132:133], -v[118:119], v[170:171], v[132:133]
	;; [unrolled: 5-line block ×3, first 2 shown]
	s_waitcnt vmcnt(8)
	v_fma_f64 v[90:91], -v[118:119], v[176:177], v[90:91]
	s_waitcnt vmcnt(7) lgkmcnt(1)
	v_fma_f64 v[128:129], -v[118:119], v[178:179], v[128:129]
	ds_read2_b64 v[174:177], v241 offset0:36 offset1:37
	s_waitcnt vmcnt(6)
	v_fma_f64 v[88:89], -v[118:119], v[180:181], v[88:89]
	ds_read2_b64 v[178:181], v241 offset0:38 offset1:39
	s_waitcnt vmcnt(5) lgkmcnt(2)
	v_fma_f64 v[126:127], -v[118:119], v[170:171], v[126:127]
	s_waitcnt vmcnt(4)
	v_fma_f64 v[86:87], -v[118:119], v[172:173], v[86:87]
	s_waitcnt vmcnt(3) lgkmcnt(1)
	v_fma_f64 v[124:125], -v[118:119], v[174:175], v[124:125]
	s_waitcnt vmcnt(2)
	v_fma_f64 v[84:85], -v[118:119], v[176:177], v[84:85]
	;; [unrolled: 4-line block ×3, first 2 shown]
.LBB79_21:
	s_or_b64 exec, exec, s[2:3]
	v_cmp_eq_u32_e32 vcc, 4, v242
	s_waitcnt lgkmcnt(0)
	s_barrier
	s_and_saveexec_b64 s[2:3], vcc
	s_cbranch_execz .LBB79_24
; %bb.22:
	s_waitcnt vmcnt(35)
	ds_write_b64 v240, v[156:157]
	s_waitcnt vmcnt(33)
	ds_write2_b64 v241, v[116:117], v[154:155] offset0:5 offset1:6
	s_waitcnt vmcnt(31)
	ds_write2_b64 v241, v[114:115], v[152:153] offset0:7 offset1:8
	;; [unrolled: 2-line block ×17, first 2 shown]
	s_waitcnt vmcnt(0)
	ds_write_b64 v241, v[160:161] offset:312
	ds_read_b64 v[170:171], v240
	s_waitcnt lgkmcnt(0)
	v_cmp_neq_f64_e32 vcc, 0, v[170:171]
	s_and_b64 exec, exec, vcc
	s_cbranch_execz .LBB79_24
; %bb.23:
	v_div_scale_f64 v[172:173], s[6:7], v[170:171], v[170:171], 1.0
	v_rcp_f64_e32 v[174:175], v[172:173]
	v_div_scale_f64 v[176:177], vcc, 1.0, v[170:171], 1.0
	v_fma_f64 v[178:179], -v[172:173], v[174:175], 1.0
	v_fmac_f64_e32 v[174:175], v[174:175], v[178:179]
	v_fma_f64 v[178:179], -v[172:173], v[174:175], 1.0
	v_fmac_f64_e32 v[174:175], v[174:175], v[178:179]
	v_mul_f64 v[178:179], v[176:177], v[174:175]
	v_fma_f64 v[172:173], -v[172:173], v[178:179], v[176:177]
	v_div_fmas_f64 v[172:173], v[172:173], v[174:175], v[178:179]
	v_div_fixup_f64 v[170:171], v[172:173], v[170:171], 1.0
	ds_write_b64 v240, v[170:171]
.LBB79_24:
	s_or_b64 exec, exec, s[2:3]
	s_waitcnt lgkmcnt(0)
	s_barrier
	ds_read_b64 v[170:171], v240
	v_cmp_lt_u32_e32 vcc, 4, v242
	s_and_saveexec_b64 s[2:3], vcc
	s_cbranch_execz .LBB79_26
; %bb.25:
	ds_read2_b64 v[172:175], v241 offset0:5 offset1:6
	ds_read2_b64 v[176:179], v241 offset0:7 offset1:8
	;; [unrolled: 1-line block ×3, first 2 shown]
	s_waitcnt vmcnt(35) lgkmcnt(3)
	v_mul_f64 v[156:157], v[170:171], v[156:157]
	s_waitcnt vmcnt(34) lgkmcnt(2)
	v_fma_f64 v[116:117], -v[156:157], v[172:173], v[116:117]
	s_waitcnt vmcnt(33)
	v_fma_f64 v[154:155], -v[156:157], v[174:175], v[154:155]
	ds_read2_b64 v[172:175], v241 offset0:11 offset1:12
	s_waitcnt vmcnt(32) lgkmcnt(2)
	v_fma_f64 v[114:115], -v[156:157], v[176:177], v[114:115]
	s_waitcnt vmcnt(31)
	v_fma_f64 v[152:153], -v[156:157], v[178:179], v[152:153]
	s_waitcnt vmcnt(30) lgkmcnt(1)
	v_fma_f64 v[112:113], -v[156:157], v[180:181], v[112:113]
	ds_read2_b64 v[176:179], v241 offset0:13 offset1:14
	s_waitcnt vmcnt(29)
	v_fma_f64 v[150:151], -v[156:157], v[182:183], v[150:151]
	ds_read2_b64 v[180:183], v241 offset0:15 offset1:16
	s_waitcnt vmcnt(28) lgkmcnt(2)
	v_fma_f64 v[110:111], -v[156:157], v[172:173], v[110:111]
	s_waitcnt vmcnt(27)
	v_fma_f64 v[148:149], -v[156:157], v[174:175], v[148:149]
	s_waitcnt vmcnt(26) lgkmcnt(1)
	v_fma_f64 v[108:109], -v[156:157], v[176:177], v[108:109]
	ds_read2_b64 v[172:175], v241 offset0:17 offset1:18
	s_waitcnt vmcnt(25)
	v_fma_f64 v[146:147], -v[156:157], v[178:179], v[146:147]
	ds_read2_b64 v[176:179], v241 offset0:19 offset1:20
	s_waitcnt vmcnt(24) lgkmcnt(2)
	v_fma_f64 v[106:107], -v[156:157], v[180:181], v[106:107]
	s_waitcnt vmcnt(23)
	v_fma_f64 v[144:145], -v[156:157], v[182:183], v[144:145]
	ds_read2_b64 v[180:183], v241 offset0:21 offset1:22
	s_waitcnt vmcnt(22) lgkmcnt(2)
	v_fma_f64 v[104:105], -v[156:157], v[172:173], v[104:105]
	;; [unrolled: 5-line block ×3, first 2 shown]
	s_waitcnt vmcnt(19)
	v_fma_f64 v[140:141], -v[156:157], v[178:179], v[140:141]
	s_waitcnt vmcnt(18) lgkmcnt(1)
	v_fma_f64 v[100:101], -v[156:157], v[180:181], v[100:101]
	ds_read2_b64 v[176:179], v241 offset0:25 offset1:26
	s_waitcnt vmcnt(17)
	v_fma_f64 v[138:139], -v[156:157], v[182:183], v[138:139]
	ds_read2_b64 v[180:183], v241 offset0:27 offset1:28
	s_waitcnt vmcnt(16) lgkmcnt(2)
	v_fma_f64 v[98:99], -v[156:157], v[172:173], v[98:99]
	s_waitcnt vmcnt(15)
	v_fma_f64 v[136:137], -v[156:157], v[174:175], v[136:137]
	s_waitcnt vmcnt(14) lgkmcnt(1)
	v_fma_f64 v[96:97], -v[156:157], v[176:177], v[96:97]
	ds_read2_b64 v[172:175], v241 offset0:29 offset1:30
	s_waitcnt vmcnt(13)
	v_fma_f64 v[134:135], -v[156:157], v[178:179], v[134:135]
	ds_read2_b64 v[176:179], v241 offset0:31 offset1:32
	s_waitcnt vmcnt(12) lgkmcnt(2)
	v_fma_f64 v[94:95], -v[156:157], v[180:181], v[94:95]
	s_waitcnt vmcnt(11)
	v_fma_f64 v[132:133], -v[156:157], v[182:183], v[132:133]
	ds_read2_b64 v[180:183], v241 offset0:33 offset1:34
	s_waitcnt vmcnt(10) lgkmcnt(2)
	v_fma_f64 v[92:93], -v[156:157], v[172:173], v[92:93]
	;; [unrolled: 5-line block ×3, first 2 shown]
	s_waitcnt vmcnt(7)
	v_fma_f64 v[128:129], -v[156:157], v[178:179], v[128:129]
	s_waitcnt vmcnt(6) lgkmcnt(1)
	v_fma_f64 v[88:89], -v[156:157], v[180:181], v[88:89]
	ds_read2_b64 v[176:179], v241 offset0:37 offset1:38
	ds_read_b64 v[180:181], v241 offset:312
	s_waitcnt vmcnt(5)
	v_fma_f64 v[126:127], -v[156:157], v[182:183], v[126:127]
	s_waitcnt vmcnt(4) lgkmcnt(2)
	v_fma_f64 v[86:87], -v[156:157], v[172:173], v[86:87]
	s_waitcnt vmcnt(3)
	v_fma_f64 v[124:125], -v[156:157], v[174:175], v[124:125]
	s_waitcnt vmcnt(2) lgkmcnt(1)
	v_fma_f64 v[84:85], -v[156:157], v[176:177], v[84:85]
	;; [unrolled: 4-line block ×3, first 2 shown]
.LBB79_26:
	s_or_b64 exec, exec, s[2:3]
	v_cmp_eq_u32_e32 vcc, 5, v242
	s_waitcnt lgkmcnt(0)
	s_barrier
	s_and_saveexec_b64 s[2:3], vcc
	s_cbranch_execz .LBB79_29
; %bb.27:
	s_waitcnt vmcnt(33)
	v_mov_b32_e32 v172, v154
	v_mov_b32_e32 v173, v155
	s_waitcnt vmcnt(32)
	v_mov_b32_e32 v174, v114
	v_mov_b32_e32 v175, v115
	ds_write_b64 v240, v[116:117]
	ds_write2_b64 v241, v[172:173], v[174:175] offset0:6 offset1:7
	s_waitcnt vmcnt(31)
	v_mov_b32_e32 v172, v152
	v_mov_b32_e32 v173, v153
	s_waitcnt vmcnt(30)
	v_mov_b32_e32 v174, v112
	v_mov_b32_e32 v175, v113
	ds_write2_b64 v241, v[172:173], v[174:175] offset0:8 offset1:9
	s_waitcnt vmcnt(29)
	v_mov_b32_e32 v172, v150
	v_mov_b32_e32 v173, v151
	s_waitcnt vmcnt(28)
	v_mov_b32_e32 v174, v110
	v_mov_b32_e32 v175, v111
	;; [unrolled: 7-line block ×15, first 2 shown]
	ds_write2_b64 v241, v[172:173], v[174:175] offset0:36 offset1:37
	s_waitcnt vmcnt(1)
	v_mov_b32_e32 v172, v122
	v_mov_b32_e32 v173, v123
	s_waitcnt vmcnt(0)
	ds_write2_b64 v241, v[172:173], v[160:161] offset0:38 offset1:39
	ds_read_b64 v[172:173], v240
	s_waitcnt lgkmcnt(0)
	v_cmp_neq_f64_e32 vcc, 0, v[172:173]
	s_and_b64 exec, exec, vcc
	s_cbranch_execz .LBB79_29
; %bb.28:
	v_div_scale_f64 v[174:175], s[6:7], v[172:173], v[172:173], 1.0
	v_rcp_f64_e32 v[176:177], v[174:175]
	v_div_scale_f64 v[178:179], vcc, 1.0, v[172:173], 1.0
	v_fma_f64 v[180:181], -v[174:175], v[176:177], 1.0
	v_fmac_f64_e32 v[176:177], v[176:177], v[180:181]
	v_fma_f64 v[180:181], -v[174:175], v[176:177], 1.0
	v_fmac_f64_e32 v[176:177], v[176:177], v[180:181]
	v_mul_f64 v[180:181], v[178:179], v[176:177]
	v_fma_f64 v[174:175], -v[174:175], v[180:181], v[178:179]
	v_div_fmas_f64 v[174:175], v[174:175], v[176:177], v[180:181]
	v_div_fixup_f64 v[172:173], v[174:175], v[172:173], 1.0
	ds_write_b64 v240, v[172:173]
.LBB79_29:
	s_or_b64 exec, exec, s[2:3]
	s_waitcnt lgkmcnt(0)
	s_barrier
	ds_read_b64 v[172:173], v240
	v_cmp_lt_u32_e32 vcc, 5, v242
	s_and_saveexec_b64 s[2:3], vcc
	s_cbranch_execz .LBB79_31
; %bb.30:
	ds_read2_b64 v[174:177], v241 offset0:6 offset1:7
	ds_read2_b64 v[178:181], v241 offset0:8 offset1:9
	s_waitcnt vmcnt(34) lgkmcnt(2)
	v_mul_f64 v[116:117], v[172:173], v[116:117]
	ds_read2_b64 v[182:185], v241 offset0:10 offset1:11
	s_waitcnt vmcnt(33) lgkmcnt(2)
	v_fma_f64 v[154:155], -v[116:117], v[174:175], v[154:155]
	s_waitcnt vmcnt(32)
	v_fma_f64 v[114:115], -v[116:117], v[176:177], v[114:115]
	ds_read2_b64 v[174:177], v241 offset0:12 offset1:13
	s_waitcnt vmcnt(31) lgkmcnt(2)
	v_fma_f64 v[152:153], -v[116:117], v[178:179], v[152:153]
	s_waitcnt vmcnt(30)
	v_fma_f64 v[112:113], -v[116:117], v[180:181], v[112:113]
	;; [unrolled: 5-line block ×4, first 2 shown]
	s_waitcnt vmcnt(25) lgkmcnt(1)
	v_fma_f64 v[146:147], -v[116:117], v[178:179], v[146:147]
	ds_read2_b64 v[174:177], v241 offset0:18 offset1:19
	s_waitcnt vmcnt(24)
	v_fma_f64 v[106:107], -v[116:117], v[180:181], v[106:107]
	ds_read2_b64 v[178:181], v241 offset0:20 offset1:21
	s_waitcnt vmcnt(23) lgkmcnt(2)
	v_fma_f64 v[144:145], -v[116:117], v[182:183], v[144:145]
	s_waitcnt vmcnt(22)
	v_fma_f64 v[104:105], -v[116:117], v[184:185], v[104:105]
	s_waitcnt vmcnt(21) lgkmcnt(1)
	v_fma_f64 v[142:143], -v[116:117], v[174:175], v[142:143]
	ds_read2_b64 v[182:185], v241 offset0:22 offset1:23
	s_waitcnt vmcnt(20)
	v_fma_f64 v[102:103], -v[116:117], v[176:177], v[102:103]
	ds_read2_b64 v[174:177], v241 offset0:24 offset1:25
	s_waitcnt vmcnt(19) lgkmcnt(2)
	v_fma_f64 v[140:141], -v[116:117], v[178:179], v[140:141]
	s_waitcnt vmcnt(18)
	v_fma_f64 v[100:101], -v[116:117], v[180:181], v[100:101]
	ds_read2_b64 v[178:181], v241 offset0:26 offset1:27
	s_waitcnt vmcnt(17) lgkmcnt(2)
	v_fma_f64 v[138:139], -v[116:117], v[182:183], v[138:139]
	;; [unrolled: 5-line block ×3, first 2 shown]
	s_waitcnt vmcnt(14)
	v_fma_f64 v[96:97], -v[116:117], v[176:177], v[96:97]
	s_waitcnt vmcnt(13) lgkmcnt(1)
	v_fma_f64 v[134:135], -v[116:117], v[178:179], v[134:135]
	ds_read2_b64 v[174:177], v241 offset0:30 offset1:31
	s_waitcnt vmcnt(12)
	v_fma_f64 v[94:95], -v[116:117], v[180:181], v[94:95]
	ds_read2_b64 v[178:181], v241 offset0:32 offset1:33
	s_waitcnt vmcnt(11) lgkmcnt(2)
	v_fma_f64 v[132:133], -v[116:117], v[182:183], v[132:133]
	s_waitcnt vmcnt(10)
	v_fma_f64 v[92:93], -v[116:117], v[184:185], v[92:93]
	s_waitcnt vmcnt(9) lgkmcnt(1)
	v_fma_f64 v[130:131], -v[116:117], v[174:175], v[130:131]
	s_waitcnt vmcnt(8)
	v_fma_f64 v[90:91], -v[116:117], v[176:177], v[90:91]
	ds_read2_b64 v[174:177], v241 offset0:34 offset1:35
	ds_read2_b64 v[182:185], v241 offset0:36 offset1:37
	s_waitcnt vmcnt(7) lgkmcnt(2)
	v_fma_f64 v[128:129], -v[116:117], v[178:179], v[128:129]
	s_waitcnt vmcnt(6)
	v_fma_f64 v[88:89], -v[116:117], v[180:181], v[88:89]
	ds_read2_b64 v[178:181], v241 offset0:38 offset1:39
	s_waitcnt vmcnt(5) lgkmcnt(2)
	v_fma_f64 v[126:127], -v[116:117], v[174:175], v[126:127]
	s_waitcnt vmcnt(4)
	v_fma_f64 v[86:87], -v[116:117], v[176:177], v[86:87]
	s_waitcnt vmcnt(3) lgkmcnt(1)
	v_fma_f64 v[124:125], -v[116:117], v[182:183], v[124:125]
	s_waitcnt vmcnt(2)
	v_fma_f64 v[84:85], -v[116:117], v[184:185], v[84:85]
	s_waitcnt vmcnt(1) lgkmcnt(0)
	v_fma_f64 v[122:123], -v[116:117], v[178:179], v[122:123]
	s_waitcnt vmcnt(0)
	v_fma_f64 v[160:161], -v[116:117], v[180:181], v[160:161]
.LBB79_31:
	s_or_b64 exec, exec, s[2:3]
	v_cmp_eq_u32_e32 vcc, 6, v242
	s_waitcnt lgkmcnt(0)
	s_barrier
	s_and_saveexec_b64 s[2:3], vcc
	s_cbranch_execz .LBB79_34
; %bb.32:
	s_waitcnt vmcnt(33)
	ds_write_b64 v240, v[154:155]
	s_waitcnt vmcnt(31)
	ds_write2_b64 v241, v[114:115], v[152:153] offset0:7 offset1:8
	s_waitcnt vmcnt(29)
	ds_write2_b64 v241, v[112:113], v[150:151] offset0:9 offset1:10
	;; [unrolled: 2-line block ×16, first 2 shown]
	s_waitcnt vmcnt(0)
	ds_write_b64 v241, v[160:161] offset:312
	ds_read_b64 v[174:175], v240
	s_waitcnt lgkmcnt(0)
	v_cmp_neq_f64_e32 vcc, 0, v[174:175]
	s_and_b64 exec, exec, vcc
	s_cbranch_execz .LBB79_34
; %bb.33:
	v_div_scale_f64 v[176:177], s[6:7], v[174:175], v[174:175], 1.0
	v_rcp_f64_e32 v[178:179], v[176:177]
	v_div_scale_f64 v[180:181], vcc, 1.0, v[174:175], 1.0
	v_fma_f64 v[182:183], -v[176:177], v[178:179], 1.0
	v_fmac_f64_e32 v[178:179], v[178:179], v[182:183]
	v_fma_f64 v[182:183], -v[176:177], v[178:179], 1.0
	v_fmac_f64_e32 v[178:179], v[178:179], v[182:183]
	v_mul_f64 v[182:183], v[180:181], v[178:179]
	v_fma_f64 v[176:177], -v[176:177], v[182:183], v[180:181]
	v_div_fmas_f64 v[176:177], v[176:177], v[178:179], v[182:183]
	v_div_fixup_f64 v[174:175], v[176:177], v[174:175], 1.0
	ds_write_b64 v240, v[174:175]
.LBB79_34:
	s_or_b64 exec, exec, s[2:3]
	s_waitcnt lgkmcnt(0)
	s_barrier
	ds_read_b64 v[174:175], v240
	v_cmp_lt_u32_e32 vcc, 6, v242
	s_and_saveexec_b64 s[2:3], vcc
	s_cbranch_execz .LBB79_36
; %bb.35:
	ds_read2_b64 v[176:179], v241 offset0:7 offset1:8
	ds_read2_b64 v[180:183], v241 offset0:9 offset1:10
	s_waitcnt vmcnt(33) lgkmcnt(2)
	v_mul_f64 v[154:155], v[174:175], v[154:155]
	ds_read2_b64 v[184:187], v241 offset0:11 offset1:12
	s_waitcnt vmcnt(32) lgkmcnt(2)
	v_fma_f64 v[114:115], -v[154:155], v[176:177], v[114:115]
	s_waitcnt vmcnt(31)
	v_fma_f64 v[152:153], -v[154:155], v[178:179], v[152:153]
	ds_read2_b64 v[176:179], v241 offset0:13 offset1:14
	s_waitcnt vmcnt(30) lgkmcnt(2)
	v_fma_f64 v[112:113], -v[154:155], v[180:181], v[112:113]
	s_waitcnt vmcnt(29)
	v_fma_f64 v[150:151], -v[154:155], v[182:183], v[150:151]
	;; [unrolled: 5-line block ×4, first 2 shown]
	s_waitcnt vmcnt(24) lgkmcnt(1)
	v_fma_f64 v[106:107], -v[154:155], v[180:181], v[106:107]
	ds_read2_b64 v[176:179], v241 offset0:19 offset1:20
	s_waitcnt vmcnt(23)
	v_fma_f64 v[144:145], -v[154:155], v[182:183], v[144:145]
	ds_read2_b64 v[180:183], v241 offset0:21 offset1:22
	s_waitcnt vmcnt(22) lgkmcnt(2)
	v_fma_f64 v[104:105], -v[154:155], v[184:185], v[104:105]
	s_waitcnt vmcnt(21)
	v_fma_f64 v[142:143], -v[154:155], v[186:187], v[142:143]
	s_waitcnt vmcnt(20) lgkmcnt(1)
	v_fma_f64 v[102:103], -v[154:155], v[176:177], v[102:103]
	ds_read2_b64 v[184:187], v241 offset0:23 offset1:24
	s_waitcnt vmcnt(19)
	v_fma_f64 v[140:141], -v[154:155], v[178:179], v[140:141]
	ds_read2_b64 v[176:179], v241 offset0:25 offset1:26
	s_waitcnt vmcnt(18) lgkmcnt(2)
	v_fma_f64 v[100:101], -v[154:155], v[180:181], v[100:101]
	s_waitcnt vmcnt(17)
	v_fma_f64 v[138:139], -v[154:155], v[182:183], v[138:139]
	ds_read2_b64 v[180:183], v241 offset0:27 offset1:28
	s_waitcnt vmcnt(16) lgkmcnt(2)
	v_fma_f64 v[98:99], -v[154:155], v[184:185], v[98:99]
	;; [unrolled: 5-line block ×3, first 2 shown]
	s_waitcnt vmcnt(13)
	v_fma_f64 v[134:135], -v[154:155], v[178:179], v[134:135]
	s_waitcnt vmcnt(12) lgkmcnt(1)
	v_fma_f64 v[94:95], -v[154:155], v[180:181], v[94:95]
	ds_read2_b64 v[176:179], v241 offset0:31 offset1:32
	s_waitcnt vmcnt(11)
	v_fma_f64 v[132:133], -v[154:155], v[182:183], v[132:133]
	ds_read2_b64 v[180:183], v241 offset0:33 offset1:34
	s_waitcnt vmcnt(10) lgkmcnt(2)
	v_fma_f64 v[92:93], -v[154:155], v[184:185], v[92:93]
	s_waitcnt vmcnt(9)
	v_fma_f64 v[130:131], -v[154:155], v[186:187], v[130:131]
	s_waitcnt vmcnt(8) lgkmcnt(1)
	v_fma_f64 v[90:91], -v[154:155], v[176:177], v[90:91]
	s_waitcnt vmcnt(7)
	v_fma_f64 v[128:129], -v[154:155], v[178:179], v[128:129]
	ds_read2_b64 v[176:179], v241 offset0:35 offset1:36
	ds_read2_b64 v[184:187], v241 offset0:37 offset1:38
	s_waitcnt vmcnt(6) lgkmcnt(2)
	v_fma_f64 v[88:89], -v[154:155], v[180:181], v[88:89]
	ds_read_b64 v[180:181], v241 offset:312
	s_waitcnt vmcnt(5)
	v_fma_f64 v[126:127], -v[154:155], v[182:183], v[126:127]
	s_waitcnt vmcnt(4) lgkmcnt(2)
	v_fma_f64 v[86:87], -v[154:155], v[176:177], v[86:87]
	s_waitcnt vmcnt(3)
	v_fma_f64 v[124:125], -v[154:155], v[178:179], v[124:125]
	s_waitcnt vmcnt(2) lgkmcnt(1)
	v_fma_f64 v[84:85], -v[154:155], v[184:185], v[84:85]
	;; [unrolled: 4-line block ×3, first 2 shown]
.LBB79_36:
	s_or_b64 exec, exec, s[2:3]
	v_cmp_eq_u32_e32 vcc, 7, v242
	s_waitcnt lgkmcnt(0)
	s_barrier
	s_and_saveexec_b64 s[2:3], vcc
	s_cbranch_execz .LBB79_39
; %bb.37:
	s_waitcnt vmcnt(31)
	v_mov_b32_e32 v176, v152
	v_mov_b32_e32 v177, v153
	s_waitcnt vmcnt(30)
	v_mov_b32_e32 v178, v112
	v_mov_b32_e32 v179, v113
	ds_write_b64 v240, v[114:115]
	ds_write2_b64 v241, v[176:177], v[178:179] offset0:8 offset1:9
	s_waitcnt vmcnt(29)
	v_mov_b32_e32 v176, v150
	v_mov_b32_e32 v177, v151
	s_waitcnt vmcnt(28)
	v_mov_b32_e32 v178, v110
	v_mov_b32_e32 v179, v111
	ds_write2_b64 v241, v[176:177], v[178:179] offset0:10 offset1:11
	s_waitcnt vmcnt(27)
	v_mov_b32_e32 v176, v148
	v_mov_b32_e32 v177, v149
	s_waitcnt vmcnt(26)
	v_mov_b32_e32 v178, v108
	v_mov_b32_e32 v179, v109
	;; [unrolled: 7-line block ×14, first 2 shown]
	ds_write2_b64 v241, v[176:177], v[178:179] offset0:36 offset1:37
	s_waitcnt vmcnt(1)
	v_mov_b32_e32 v176, v122
	v_mov_b32_e32 v177, v123
	s_waitcnt vmcnt(0)
	ds_write2_b64 v241, v[176:177], v[160:161] offset0:38 offset1:39
	ds_read_b64 v[176:177], v240
	s_waitcnt lgkmcnt(0)
	v_cmp_neq_f64_e32 vcc, 0, v[176:177]
	s_and_b64 exec, exec, vcc
	s_cbranch_execz .LBB79_39
; %bb.38:
	v_div_scale_f64 v[178:179], s[6:7], v[176:177], v[176:177], 1.0
	v_rcp_f64_e32 v[180:181], v[178:179]
	v_div_scale_f64 v[182:183], vcc, 1.0, v[176:177], 1.0
	v_fma_f64 v[184:185], -v[178:179], v[180:181], 1.0
	v_fmac_f64_e32 v[180:181], v[180:181], v[184:185]
	v_fma_f64 v[184:185], -v[178:179], v[180:181], 1.0
	v_fmac_f64_e32 v[180:181], v[180:181], v[184:185]
	v_mul_f64 v[184:185], v[182:183], v[180:181]
	v_fma_f64 v[178:179], -v[178:179], v[184:185], v[182:183]
	v_div_fmas_f64 v[178:179], v[178:179], v[180:181], v[184:185]
	v_div_fixup_f64 v[176:177], v[178:179], v[176:177], 1.0
	ds_write_b64 v240, v[176:177]
.LBB79_39:
	s_or_b64 exec, exec, s[2:3]
	s_waitcnt lgkmcnt(0)
	s_barrier
	ds_read_b64 v[176:177], v240
	v_cmp_lt_u32_e32 vcc, 7, v242
	s_and_saveexec_b64 s[2:3], vcc
	s_cbranch_execz .LBB79_41
; %bb.40:
	ds_read2_b64 v[178:181], v241 offset0:8 offset1:9
	ds_read2_b64 v[182:185], v241 offset0:10 offset1:11
	s_waitcnt vmcnt(32) lgkmcnt(2)
	v_mul_f64 v[114:115], v[176:177], v[114:115]
	ds_read2_b64 v[186:189], v241 offset0:12 offset1:13
	s_waitcnt vmcnt(31) lgkmcnt(2)
	v_fma_f64 v[152:153], -v[114:115], v[178:179], v[152:153]
	s_waitcnt vmcnt(30)
	v_fma_f64 v[112:113], -v[114:115], v[180:181], v[112:113]
	ds_read2_b64 v[178:181], v241 offset0:14 offset1:15
	s_waitcnt vmcnt(29) lgkmcnt(2)
	v_fma_f64 v[150:151], -v[114:115], v[182:183], v[150:151]
	s_waitcnt vmcnt(28)
	v_fma_f64 v[110:111], -v[114:115], v[184:185], v[110:111]
	s_waitcnt vmcnt(27) lgkmcnt(1)
	v_fma_f64 v[148:149], -v[114:115], v[186:187], v[148:149]
	ds_read2_b64 v[182:185], v241 offset0:16 offset1:17
	s_waitcnt vmcnt(26)
	v_fma_f64 v[108:109], -v[114:115], v[188:189], v[108:109]
	ds_read2_b64 v[186:189], v241 offset0:18 offset1:19
	s_waitcnt vmcnt(25) lgkmcnt(2)
	v_fma_f64 v[146:147], -v[114:115], v[178:179], v[146:147]
	s_waitcnt vmcnt(24)
	v_fma_f64 v[106:107], -v[114:115], v[180:181], v[106:107]
	ds_read2_b64 v[178:181], v241 offset0:20 offset1:21
	s_waitcnt vmcnt(23) lgkmcnt(2)
	v_fma_f64 v[144:145], -v[114:115], v[182:183], v[144:145]
	;; [unrolled: 5-line block ×3, first 2 shown]
	s_waitcnt vmcnt(20)
	v_fma_f64 v[102:103], -v[114:115], v[188:189], v[102:103]
	s_waitcnt vmcnt(19) lgkmcnt(1)
	v_fma_f64 v[140:141], -v[114:115], v[178:179], v[140:141]
	ds_read2_b64 v[186:189], v241 offset0:24 offset1:25
	s_waitcnt vmcnt(18)
	v_fma_f64 v[100:101], -v[114:115], v[180:181], v[100:101]
	ds_read2_b64 v[178:181], v241 offset0:26 offset1:27
	s_waitcnt vmcnt(17) lgkmcnt(2)
	v_fma_f64 v[138:139], -v[114:115], v[182:183], v[138:139]
	s_waitcnt vmcnt(16)
	v_fma_f64 v[98:99], -v[114:115], v[184:185], v[98:99]
	s_waitcnt vmcnt(15) lgkmcnt(1)
	v_fma_f64 v[136:137], -v[114:115], v[186:187], v[136:137]
	ds_read2_b64 v[182:185], v241 offset0:28 offset1:29
	s_waitcnt vmcnt(14)
	v_fma_f64 v[96:97], -v[114:115], v[188:189], v[96:97]
	ds_read2_b64 v[186:189], v241 offset0:30 offset1:31
	s_waitcnt vmcnt(13) lgkmcnt(2)
	v_fma_f64 v[134:135], -v[114:115], v[178:179], v[134:135]
	s_waitcnt vmcnt(12)
	v_fma_f64 v[94:95], -v[114:115], v[180:181], v[94:95]
	ds_read2_b64 v[178:181], v241 offset0:32 offset1:33
	s_waitcnt vmcnt(11) lgkmcnt(2)
	v_fma_f64 v[132:133], -v[114:115], v[182:183], v[132:133]
	;; [unrolled: 5-line block ×3, first 2 shown]
	s_waitcnt vmcnt(8)
	v_fma_f64 v[90:91], -v[114:115], v[188:189], v[90:91]
	s_waitcnt vmcnt(7) lgkmcnt(1)
	v_fma_f64 v[128:129], -v[114:115], v[178:179], v[128:129]
	ds_read2_b64 v[186:189], v241 offset0:36 offset1:37
	s_waitcnt vmcnt(6)
	v_fma_f64 v[88:89], -v[114:115], v[180:181], v[88:89]
	ds_read2_b64 v[178:181], v241 offset0:38 offset1:39
	s_waitcnt vmcnt(5) lgkmcnt(2)
	v_fma_f64 v[126:127], -v[114:115], v[182:183], v[126:127]
	s_waitcnt vmcnt(4)
	v_fma_f64 v[86:87], -v[114:115], v[184:185], v[86:87]
	s_waitcnt vmcnt(3) lgkmcnt(1)
	v_fma_f64 v[124:125], -v[114:115], v[186:187], v[124:125]
	s_waitcnt vmcnt(2)
	v_fma_f64 v[84:85], -v[114:115], v[188:189], v[84:85]
	;; [unrolled: 4-line block ×3, first 2 shown]
.LBB79_41:
	s_or_b64 exec, exec, s[2:3]
	v_cmp_eq_u32_e32 vcc, 8, v242
	s_waitcnt lgkmcnt(0)
	s_barrier
	s_and_saveexec_b64 s[2:3], vcc
	s_cbranch_execz .LBB79_44
; %bb.42:
	s_waitcnt vmcnt(31)
	ds_write_b64 v240, v[152:153]
	s_waitcnt vmcnt(29)
	ds_write2_b64 v241, v[112:113], v[150:151] offset0:9 offset1:10
	s_waitcnt vmcnt(27)
	ds_write2_b64 v241, v[110:111], v[148:149] offset0:11 offset1:12
	;; [unrolled: 2-line block ×15, first 2 shown]
	s_waitcnt vmcnt(0)
	ds_write_b64 v241, v[160:161] offset:312
	ds_read_b64 v[178:179], v240
	s_waitcnt lgkmcnt(0)
	v_cmp_neq_f64_e32 vcc, 0, v[178:179]
	s_and_b64 exec, exec, vcc
	s_cbranch_execz .LBB79_44
; %bb.43:
	v_div_scale_f64 v[180:181], s[6:7], v[178:179], v[178:179], 1.0
	v_rcp_f64_e32 v[182:183], v[180:181]
	v_div_scale_f64 v[184:185], vcc, 1.0, v[178:179], 1.0
	v_fma_f64 v[186:187], -v[180:181], v[182:183], 1.0
	v_fmac_f64_e32 v[182:183], v[182:183], v[186:187]
	v_fma_f64 v[186:187], -v[180:181], v[182:183], 1.0
	v_fmac_f64_e32 v[182:183], v[182:183], v[186:187]
	v_mul_f64 v[186:187], v[184:185], v[182:183]
	v_fma_f64 v[180:181], -v[180:181], v[186:187], v[184:185]
	v_div_fmas_f64 v[180:181], v[180:181], v[182:183], v[186:187]
	v_div_fixup_f64 v[178:179], v[180:181], v[178:179], 1.0
	ds_write_b64 v240, v[178:179]
.LBB79_44:
	s_or_b64 exec, exec, s[2:3]
	s_waitcnt lgkmcnt(0)
	s_barrier
	ds_read_b64 v[178:179], v240
	v_cmp_lt_u32_e32 vcc, 8, v242
	s_and_saveexec_b64 s[2:3], vcc
	s_cbranch_execz .LBB79_46
; %bb.45:
	ds_read2_b64 v[180:183], v241 offset0:9 offset1:10
	ds_read2_b64 v[184:187], v241 offset0:11 offset1:12
	s_waitcnt vmcnt(31) lgkmcnt(2)
	v_mul_f64 v[152:153], v[178:179], v[152:153]
	ds_read2_b64 v[188:191], v241 offset0:13 offset1:14
	s_waitcnt vmcnt(30) lgkmcnt(2)
	v_fma_f64 v[112:113], -v[152:153], v[180:181], v[112:113]
	s_waitcnt vmcnt(29)
	v_fma_f64 v[150:151], -v[152:153], v[182:183], v[150:151]
	ds_read2_b64 v[180:183], v241 offset0:15 offset1:16
	s_waitcnt vmcnt(28) lgkmcnt(2)
	v_fma_f64 v[110:111], -v[152:153], v[184:185], v[110:111]
	s_waitcnt vmcnt(27)
	v_fma_f64 v[148:149], -v[152:153], v[186:187], v[148:149]
	s_waitcnt vmcnt(26) lgkmcnt(1)
	v_fma_f64 v[108:109], -v[152:153], v[188:189], v[108:109]
	ds_read2_b64 v[184:187], v241 offset0:17 offset1:18
	s_waitcnt vmcnt(25)
	v_fma_f64 v[146:147], -v[152:153], v[190:191], v[146:147]
	ds_read2_b64 v[188:191], v241 offset0:19 offset1:20
	s_waitcnt vmcnt(24) lgkmcnt(2)
	v_fma_f64 v[106:107], -v[152:153], v[180:181], v[106:107]
	s_waitcnt vmcnt(23)
	v_fma_f64 v[144:145], -v[152:153], v[182:183], v[144:145]
	ds_read2_b64 v[180:183], v241 offset0:21 offset1:22
	s_waitcnt vmcnt(22) lgkmcnt(2)
	v_fma_f64 v[104:105], -v[152:153], v[184:185], v[104:105]
	s_waitcnt vmcnt(21)
	v_fma_f64 v[142:143], -v[152:153], v[186:187], v[142:143]
	ds_read2_b64 v[184:187], v241 offset0:23 offset1:24
	s_waitcnt vmcnt(20) lgkmcnt(2)
	v_fma_f64 v[102:103], -v[152:153], v[188:189], v[102:103]
	s_waitcnt vmcnt(19)
	v_fma_f64 v[140:141], -v[152:153], v[190:191], v[140:141]
	s_waitcnt vmcnt(18) lgkmcnt(1)
	v_fma_f64 v[100:101], -v[152:153], v[180:181], v[100:101]
	ds_read2_b64 v[188:191], v241 offset0:25 offset1:26
	s_waitcnt vmcnt(17)
	v_fma_f64 v[138:139], -v[152:153], v[182:183], v[138:139]
	ds_read2_b64 v[180:183], v241 offset0:27 offset1:28
	s_waitcnt vmcnt(16) lgkmcnt(2)
	v_fma_f64 v[98:99], -v[152:153], v[184:185], v[98:99]
	s_waitcnt vmcnt(15)
	v_fma_f64 v[136:137], -v[152:153], v[186:187], v[136:137]
	s_waitcnt vmcnt(14) lgkmcnt(1)
	v_fma_f64 v[96:97], -v[152:153], v[188:189], v[96:97]
	ds_read2_b64 v[184:187], v241 offset0:29 offset1:30
	s_waitcnt vmcnt(13)
	v_fma_f64 v[134:135], -v[152:153], v[190:191], v[134:135]
	ds_read2_b64 v[188:191], v241 offset0:31 offset1:32
	s_waitcnt vmcnt(12) lgkmcnt(2)
	v_fma_f64 v[94:95], -v[152:153], v[180:181], v[94:95]
	s_waitcnt vmcnt(11)
	v_fma_f64 v[132:133], -v[152:153], v[182:183], v[132:133]
	ds_read2_b64 v[180:183], v241 offset0:33 offset1:34
	s_waitcnt vmcnt(10) lgkmcnt(2)
	v_fma_f64 v[92:93], -v[152:153], v[184:185], v[92:93]
	;; [unrolled: 5-line block ×3, first 2 shown]
	s_waitcnt vmcnt(7)
	v_fma_f64 v[128:129], -v[152:153], v[190:191], v[128:129]
	s_waitcnt vmcnt(6) lgkmcnt(1)
	v_fma_f64 v[88:89], -v[152:153], v[180:181], v[88:89]
	ds_read2_b64 v[188:191], v241 offset0:37 offset1:38
	ds_read_b64 v[180:181], v241 offset:312
	s_waitcnt vmcnt(5)
	v_fma_f64 v[126:127], -v[152:153], v[182:183], v[126:127]
	s_waitcnt vmcnt(4) lgkmcnt(2)
	v_fma_f64 v[86:87], -v[152:153], v[184:185], v[86:87]
	s_waitcnt vmcnt(3)
	v_fma_f64 v[124:125], -v[152:153], v[186:187], v[124:125]
	s_waitcnt vmcnt(2) lgkmcnt(1)
	v_fma_f64 v[84:85], -v[152:153], v[188:189], v[84:85]
	;; [unrolled: 4-line block ×3, first 2 shown]
.LBB79_46:
	s_or_b64 exec, exec, s[2:3]
	v_cmp_eq_u32_e32 vcc, 9, v242
	s_waitcnt lgkmcnt(0)
	s_barrier
	s_and_saveexec_b64 s[2:3], vcc
	s_cbranch_execz .LBB79_49
; %bb.47:
	s_waitcnt vmcnt(29)
	v_mov_b32_e32 v180, v150
	v_mov_b32_e32 v181, v151
	s_waitcnt vmcnt(28)
	v_mov_b32_e32 v182, v110
	v_mov_b32_e32 v183, v111
	ds_write_b64 v240, v[112:113]
	ds_write2_b64 v241, v[180:181], v[182:183] offset0:10 offset1:11
	s_waitcnt vmcnt(27)
	v_mov_b32_e32 v180, v148
	v_mov_b32_e32 v181, v149
	s_waitcnt vmcnt(26)
	v_mov_b32_e32 v182, v108
	v_mov_b32_e32 v183, v109
	ds_write2_b64 v241, v[180:181], v[182:183] offset0:12 offset1:13
	s_waitcnt vmcnt(25)
	v_mov_b32_e32 v180, v146
	v_mov_b32_e32 v181, v147
	s_waitcnt vmcnt(24)
	v_mov_b32_e32 v182, v106
	v_mov_b32_e32 v183, v107
	;; [unrolled: 7-line block ×13, first 2 shown]
	ds_write2_b64 v241, v[180:181], v[182:183] offset0:36 offset1:37
	s_waitcnt vmcnt(1)
	v_mov_b32_e32 v180, v122
	v_mov_b32_e32 v181, v123
	s_waitcnt vmcnt(0)
	ds_write2_b64 v241, v[180:181], v[160:161] offset0:38 offset1:39
	ds_read_b64 v[180:181], v240
	s_waitcnt lgkmcnt(0)
	v_cmp_neq_f64_e32 vcc, 0, v[180:181]
	s_and_b64 exec, exec, vcc
	s_cbranch_execz .LBB79_49
; %bb.48:
	v_div_scale_f64 v[182:183], s[6:7], v[180:181], v[180:181], 1.0
	v_rcp_f64_e32 v[184:185], v[182:183]
	v_div_scale_f64 v[186:187], vcc, 1.0, v[180:181], 1.0
	v_fma_f64 v[188:189], -v[182:183], v[184:185], 1.0
	v_fmac_f64_e32 v[184:185], v[184:185], v[188:189]
	v_fma_f64 v[188:189], -v[182:183], v[184:185], 1.0
	v_fmac_f64_e32 v[184:185], v[184:185], v[188:189]
	v_mul_f64 v[188:189], v[186:187], v[184:185]
	v_fma_f64 v[182:183], -v[182:183], v[188:189], v[186:187]
	v_div_fmas_f64 v[182:183], v[182:183], v[184:185], v[188:189]
	v_div_fixup_f64 v[180:181], v[182:183], v[180:181], 1.0
	ds_write_b64 v240, v[180:181]
.LBB79_49:
	s_or_b64 exec, exec, s[2:3]
	s_waitcnt lgkmcnt(0)
	s_barrier
	ds_read_b64 v[180:181], v240
	v_cmp_lt_u32_e32 vcc, 9, v242
	s_and_saveexec_b64 s[2:3], vcc
	s_cbranch_execz .LBB79_51
; %bb.50:
	ds_read2_b64 v[182:185], v241 offset0:10 offset1:11
	ds_read2_b64 v[186:189], v241 offset0:12 offset1:13
	;; [unrolled: 1-line block ×3, first 2 shown]
	s_waitcnt vmcnt(30) lgkmcnt(3)
	v_mul_f64 v[112:113], v[180:181], v[112:113]
	s_waitcnt vmcnt(29) lgkmcnt(2)
	v_fma_f64 v[150:151], -v[112:113], v[182:183], v[150:151]
	s_waitcnt vmcnt(28)
	v_fma_f64 v[110:111], -v[112:113], v[184:185], v[110:111]
	ds_read2_b64 v[182:185], v241 offset0:16 offset1:17
	s_waitcnt vmcnt(27) lgkmcnt(2)
	v_fma_f64 v[148:149], -v[112:113], v[186:187], v[148:149]
	s_waitcnt vmcnt(26)
	v_fma_f64 v[108:109], -v[112:113], v[188:189], v[108:109]
	s_waitcnt vmcnt(25) lgkmcnt(1)
	v_fma_f64 v[146:147], -v[112:113], v[190:191], v[146:147]
	ds_read2_b64 v[186:189], v241 offset0:18 offset1:19
	s_waitcnt vmcnt(24)
	v_fma_f64 v[106:107], -v[112:113], v[192:193], v[106:107]
	ds_read2_b64 v[190:193], v241 offset0:20 offset1:21
	s_waitcnt vmcnt(23) lgkmcnt(2)
	v_fma_f64 v[144:145], -v[112:113], v[182:183], v[144:145]
	s_waitcnt vmcnt(22)
	v_fma_f64 v[104:105], -v[112:113], v[184:185], v[104:105]
	s_waitcnt vmcnt(21) lgkmcnt(1)
	v_fma_f64 v[142:143], -v[112:113], v[186:187], v[142:143]
	ds_read2_b64 v[182:185], v241 offset0:22 offset1:23
	s_waitcnt vmcnt(20)
	v_fma_f64 v[102:103], -v[112:113], v[188:189], v[102:103]
	ds_read2_b64 v[186:189], v241 offset0:24 offset1:25
	s_waitcnt vmcnt(19) lgkmcnt(2)
	v_fma_f64 v[140:141], -v[112:113], v[190:191], v[140:141]
	s_waitcnt vmcnt(18)
	v_fma_f64 v[100:101], -v[112:113], v[192:193], v[100:101]
	ds_read2_b64 v[190:193], v241 offset0:26 offset1:27
	s_waitcnt vmcnt(17) lgkmcnt(2)
	v_fma_f64 v[138:139], -v[112:113], v[182:183], v[138:139]
	;; [unrolled: 5-line block ×3, first 2 shown]
	s_waitcnt vmcnt(14)
	v_fma_f64 v[96:97], -v[112:113], v[188:189], v[96:97]
	s_waitcnt vmcnt(13) lgkmcnt(1)
	v_fma_f64 v[134:135], -v[112:113], v[190:191], v[134:135]
	ds_read2_b64 v[186:189], v241 offset0:30 offset1:31
	s_waitcnt vmcnt(12)
	v_fma_f64 v[94:95], -v[112:113], v[192:193], v[94:95]
	ds_read2_b64 v[190:193], v241 offset0:32 offset1:33
	s_waitcnt vmcnt(11) lgkmcnt(2)
	v_fma_f64 v[132:133], -v[112:113], v[182:183], v[132:133]
	s_waitcnt vmcnt(10)
	v_fma_f64 v[92:93], -v[112:113], v[184:185], v[92:93]
	s_waitcnt vmcnt(9) lgkmcnt(1)
	v_fma_f64 v[130:131], -v[112:113], v[186:187], v[130:131]
	s_waitcnt vmcnt(8)
	v_fma_f64 v[90:91], -v[112:113], v[188:189], v[90:91]
	ds_read2_b64 v[182:185], v241 offset0:34 offset1:35
	ds_read2_b64 v[186:189], v241 offset0:36 offset1:37
	s_waitcnt vmcnt(7) lgkmcnt(2)
	v_fma_f64 v[128:129], -v[112:113], v[190:191], v[128:129]
	s_waitcnt vmcnt(6)
	v_fma_f64 v[88:89], -v[112:113], v[192:193], v[88:89]
	ds_read2_b64 v[190:193], v241 offset0:38 offset1:39
	s_waitcnt vmcnt(5) lgkmcnt(2)
	v_fma_f64 v[126:127], -v[112:113], v[182:183], v[126:127]
	s_waitcnt vmcnt(4)
	v_fma_f64 v[86:87], -v[112:113], v[184:185], v[86:87]
	s_waitcnt vmcnt(3) lgkmcnt(1)
	v_fma_f64 v[124:125], -v[112:113], v[186:187], v[124:125]
	s_waitcnt vmcnt(2)
	v_fma_f64 v[84:85], -v[112:113], v[188:189], v[84:85]
	;; [unrolled: 4-line block ×3, first 2 shown]
.LBB79_51:
	s_or_b64 exec, exec, s[2:3]
	v_cmp_eq_u32_e32 vcc, 10, v242
	s_waitcnt lgkmcnt(0)
	s_barrier
	s_and_saveexec_b64 s[2:3], vcc
	s_cbranch_execz .LBB79_54
; %bb.52:
	s_waitcnt vmcnt(29)
	ds_write_b64 v240, v[150:151]
	s_waitcnt vmcnt(27)
	ds_write2_b64 v241, v[110:111], v[148:149] offset0:11 offset1:12
	s_waitcnt vmcnt(25)
	ds_write2_b64 v241, v[108:109], v[146:147] offset0:13 offset1:14
	;; [unrolled: 2-line block ×14, first 2 shown]
	s_waitcnt vmcnt(0)
	ds_write_b64 v241, v[160:161] offset:312
	ds_read_b64 v[182:183], v240
	s_waitcnt lgkmcnt(0)
	v_cmp_neq_f64_e32 vcc, 0, v[182:183]
	s_and_b64 exec, exec, vcc
	s_cbranch_execz .LBB79_54
; %bb.53:
	v_div_scale_f64 v[184:185], s[6:7], v[182:183], v[182:183], 1.0
	v_rcp_f64_e32 v[186:187], v[184:185]
	v_div_scale_f64 v[188:189], vcc, 1.0, v[182:183], 1.0
	v_fma_f64 v[190:191], -v[184:185], v[186:187], 1.0
	v_fmac_f64_e32 v[186:187], v[186:187], v[190:191]
	v_fma_f64 v[190:191], -v[184:185], v[186:187], 1.0
	v_fmac_f64_e32 v[186:187], v[186:187], v[190:191]
	v_mul_f64 v[190:191], v[188:189], v[186:187]
	v_fma_f64 v[184:185], -v[184:185], v[190:191], v[188:189]
	v_div_fmas_f64 v[184:185], v[184:185], v[186:187], v[190:191]
	v_div_fixup_f64 v[182:183], v[184:185], v[182:183], 1.0
	ds_write_b64 v240, v[182:183]
.LBB79_54:
	s_or_b64 exec, exec, s[2:3]
	s_waitcnt lgkmcnt(0)
	s_barrier
	ds_read_b64 v[182:183], v240
	v_cmp_lt_u32_e32 vcc, 10, v242
	s_and_saveexec_b64 s[2:3], vcc
	s_cbranch_execz .LBB79_56
; %bb.55:
	ds_read2_b64 v[184:187], v241 offset0:11 offset1:12
	ds_read2_b64 v[188:191], v241 offset0:13 offset1:14
	;; [unrolled: 1-line block ×3, first 2 shown]
	s_waitcnt vmcnt(29) lgkmcnt(3)
	v_mul_f64 v[150:151], v[182:183], v[150:151]
	s_waitcnt vmcnt(28) lgkmcnt(2)
	v_fma_f64 v[110:111], -v[150:151], v[184:185], v[110:111]
	s_waitcnt vmcnt(27)
	v_fma_f64 v[148:149], -v[150:151], v[186:187], v[148:149]
	ds_read2_b64 v[184:187], v241 offset0:17 offset1:18
	s_waitcnt vmcnt(26) lgkmcnt(2)
	v_fma_f64 v[108:109], -v[150:151], v[188:189], v[108:109]
	s_waitcnt vmcnt(25)
	v_fma_f64 v[146:147], -v[150:151], v[190:191], v[146:147]
	s_waitcnt vmcnt(24) lgkmcnt(1)
	v_fma_f64 v[106:107], -v[150:151], v[192:193], v[106:107]
	ds_read2_b64 v[188:191], v241 offset0:19 offset1:20
	s_waitcnt vmcnt(23)
	v_fma_f64 v[144:145], -v[150:151], v[194:195], v[144:145]
	ds_read2_b64 v[192:195], v241 offset0:21 offset1:22
	s_waitcnt vmcnt(22) lgkmcnt(2)
	v_fma_f64 v[104:105], -v[150:151], v[184:185], v[104:105]
	s_waitcnt vmcnt(21)
	v_fma_f64 v[142:143], -v[150:151], v[186:187], v[142:143]
	s_waitcnt vmcnt(20) lgkmcnt(1)
	v_fma_f64 v[102:103], -v[150:151], v[188:189], v[102:103]
	ds_read2_b64 v[184:187], v241 offset0:23 offset1:24
	s_waitcnt vmcnt(19)
	v_fma_f64 v[140:141], -v[150:151], v[190:191], v[140:141]
	ds_read2_b64 v[188:191], v241 offset0:25 offset1:26
	s_waitcnt vmcnt(18) lgkmcnt(2)
	v_fma_f64 v[100:101], -v[150:151], v[192:193], v[100:101]
	s_waitcnt vmcnt(17)
	v_fma_f64 v[138:139], -v[150:151], v[194:195], v[138:139]
	ds_read2_b64 v[192:195], v241 offset0:27 offset1:28
	s_waitcnt vmcnt(16) lgkmcnt(2)
	v_fma_f64 v[98:99], -v[150:151], v[184:185], v[98:99]
	;; [unrolled: 5-line block ×3, first 2 shown]
	s_waitcnt vmcnt(13)
	v_fma_f64 v[134:135], -v[150:151], v[190:191], v[134:135]
	s_waitcnt vmcnt(12) lgkmcnt(1)
	v_fma_f64 v[94:95], -v[150:151], v[192:193], v[94:95]
	ds_read2_b64 v[188:191], v241 offset0:31 offset1:32
	s_waitcnt vmcnt(11)
	v_fma_f64 v[132:133], -v[150:151], v[194:195], v[132:133]
	ds_read2_b64 v[192:195], v241 offset0:33 offset1:34
	s_waitcnt vmcnt(10) lgkmcnt(2)
	v_fma_f64 v[92:93], -v[150:151], v[184:185], v[92:93]
	s_waitcnt vmcnt(9)
	v_fma_f64 v[130:131], -v[150:151], v[186:187], v[130:131]
	s_waitcnt vmcnt(8) lgkmcnt(1)
	v_fma_f64 v[90:91], -v[150:151], v[188:189], v[90:91]
	s_waitcnt vmcnt(7)
	v_fma_f64 v[128:129], -v[150:151], v[190:191], v[128:129]
	ds_read2_b64 v[184:187], v241 offset0:35 offset1:36
	ds_read2_b64 v[188:191], v241 offset0:37 offset1:38
	s_waitcnt vmcnt(6) lgkmcnt(2)
	v_fma_f64 v[88:89], -v[150:151], v[192:193], v[88:89]
	ds_read_b64 v[192:193], v241 offset:312
	s_waitcnt vmcnt(5)
	v_fma_f64 v[126:127], -v[150:151], v[194:195], v[126:127]
	s_waitcnt vmcnt(4) lgkmcnt(2)
	v_fma_f64 v[86:87], -v[150:151], v[184:185], v[86:87]
	s_waitcnt vmcnt(3)
	v_fma_f64 v[124:125], -v[150:151], v[186:187], v[124:125]
	s_waitcnt vmcnt(2) lgkmcnt(1)
	v_fma_f64 v[84:85], -v[150:151], v[188:189], v[84:85]
	;; [unrolled: 4-line block ×3, first 2 shown]
.LBB79_56:
	s_or_b64 exec, exec, s[2:3]
	v_cmp_eq_u32_e32 vcc, 11, v242
	s_waitcnt lgkmcnt(0)
	s_barrier
	s_and_saveexec_b64 s[2:3], vcc
	s_cbranch_execz .LBB79_59
; %bb.57:
	s_waitcnt vmcnt(27)
	v_mov_b32_e32 v184, v148
	v_mov_b32_e32 v185, v149
	s_waitcnt vmcnt(26)
	v_mov_b32_e32 v186, v108
	v_mov_b32_e32 v187, v109
	ds_write_b64 v240, v[110:111]
	ds_write2_b64 v241, v[184:185], v[186:187] offset0:12 offset1:13
	s_waitcnt vmcnt(25)
	v_mov_b32_e32 v184, v146
	v_mov_b32_e32 v185, v147
	s_waitcnt vmcnt(24)
	v_mov_b32_e32 v186, v106
	v_mov_b32_e32 v187, v107
	ds_write2_b64 v241, v[184:185], v[186:187] offset0:14 offset1:15
	s_waitcnt vmcnt(23)
	v_mov_b32_e32 v184, v144
	v_mov_b32_e32 v185, v145
	s_waitcnt vmcnt(22)
	v_mov_b32_e32 v186, v104
	v_mov_b32_e32 v187, v105
	;; [unrolled: 7-line block ×12, first 2 shown]
	ds_write2_b64 v241, v[184:185], v[186:187] offset0:36 offset1:37
	s_waitcnt vmcnt(1)
	v_mov_b32_e32 v184, v122
	v_mov_b32_e32 v185, v123
	s_waitcnt vmcnt(0)
	ds_write2_b64 v241, v[184:185], v[160:161] offset0:38 offset1:39
	ds_read_b64 v[184:185], v240
	s_waitcnt lgkmcnt(0)
	v_cmp_neq_f64_e32 vcc, 0, v[184:185]
	s_and_b64 exec, exec, vcc
	s_cbranch_execz .LBB79_59
; %bb.58:
	v_div_scale_f64 v[186:187], s[6:7], v[184:185], v[184:185], 1.0
	v_rcp_f64_e32 v[188:189], v[186:187]
	v_div_scale_f64 v[190:191], vcc, 1.0, v[184:185], 1.0
	v_fma_f64 v[192:193], -v[186:187], v[188:189], 1.0
	v_fmac_f64_e32 v[188:189], v[188:189], v[192:193]
	v_fma_f64 v[192:193], -v[186:187], v[188:189], 1.0
	v_fmac_f64_e32 v[188:189], v[188:189], v[192:193]
	v_mul_f64 v[192:193], v[190:191], v[188:189]
	v_fma_f64 v[186:187], -v[186:187], v[192:193], v[190:191]
	v_div_fmas_f64 v[186:187], v[186:187], v[188:189], v[192:193]
	v_div_fixup_f64 v[184:185], v[186:187], v[184:185], 1.0
	ds_write_b64 v240, v[184:185]
.LBB79_59:
	s_or_b64 exec, exec, s[2:3]
	s_waitcnt lgkmcnt(0)
	s_barrier
	ds_read_b64 v[184:185], v240
	v_cmp_lt_u32_e32 vcc, 11, v242
	s_and_saveexec_b64 s[2:3], vcc
	s_cbranch_execz .LBB79_61
; %bb.60:
	ds_read2_b64 v[186:189], v241 offset0:12 offset1:13
	ds_read2_b64 v[190:193], v241 offset0:14 offset1:15
	s_waitcnt vmcnt(28) lgkmcnt(2)
	v_mul_f64 v[110:111], v[184:185], v[110:111]
	ds_read2_b64 v[194:197], v241 offset0:16 offset1:17
	s_waitcnt vmcnt(27) lgkmcnt(2)
	v_fma_f64 v[148:149], -v[110:111], v[186:187], v[148:149]
	s_waitcnt vmcnt(26)
	v_fma_f64 v[108:109], -v[110:111], v[188:189], v[108:109]
	ds_read2_b64 v[186:189], v241 offset0:18 offset1:19
	s_waitcnt vmcnt(25) lgkmcnt(2)
	v_fma_f64 v[146:147], -v[110:111], v[190:191], v[146:147]
	s_waitcnt vmcnt(24)
	v_fma_f64 v[106:107], -v[110:111], v[192:193], v[106:107]
	;; [unrolled: 5-line block ×4, first 2 shown]
	s_waitcnt vmcnt(19) lgkmcnt(1)
	v_fma_f64 v[140:141], -v[110:111], v[190:191], v[140:141]
	ds_read2_b64 v[186:189], v241 offset0:24 offset1:25
	s_waitcnt vmcnt(18)
	v_fma_f64 v[100:101], -v[110:111], v[192:193], v[100:101]
	ds_read2_b64 v[190:193], v241 offset0:26 offset1:27
	s_waitcnt vmcnt(17) lgkmcnt(2)
	v_fma_f64 v[138:139], -v[110:111], v[194:195], v[138:139]
	s_waitcnt vmcnt(16)
	v_fma_f64 v[98:99], -v[110:111], v[196:197], v[98:99]
	s_waitcnt vmcnt(15) lgkmcnt(1)
	v_fma_f64 v[136:137], -v[110:111], v[186:187], v[136:137]
	ds_read2_b64 v[194:197], v241 offset0:28 offset1:29
	s_waitcnt vmcnt(14)
	v_fma_f64 v[96:97], -v[110:111], v[188:189], v[96:97]
	ds_read2_b64 v[186:189], v241 offset0:30 offset1:31
	s_waitcnt vmcnt(13) lgkmcnt(2)
	v_fma_f64 v[134:135], -v[110:111], v[190:191], v[134:135]
	s_waitcnt vmcnt(12)
	v_fma_f64 v[94:95], -v[110:111], v[192:193], v[94:95]
	ds_read2_b64 v[190:193], v241 offset0:32 offset1:33
	s_waitcnt vmcnt(11) lgkmcnt(2)
	v_fma_f64 v[132:133], -v[110:111], v[194:195], v[132:133]
	s_waitcnt vmcnt(10)
	v_fma_f64 v[92:93], -v[110:111], v[196:197], v[92:93]
	s_waitcnt vmcnt(9) lgkmcnt(1)
	v_fma_f64 v[130:131], -v[110:111], v[186:187], v[130:131]
	s_waitcnt vmcnt(8)
	v_fma_f64 v[90:91], -v[110:111], v[188:189], v[90:91]
	ds_read2_b64 v[186:189], v241 offset0:34 offset1:35
	s_waitcnt vmcnt(7) lgkmcnt(1)
	v_fma_f64 v[128:129], -v[110:111], v[190:191], v[128:129]
	ds_read2_b64 v[194:197], v241 offset0:36 offset1:37
	s_waitcnt vmcnt(6)
	v_fma_f64 v[88:89], -v[110:111], v[192:193], v[88:89]
	ds_read2_b64 v[190:193], v241 offset0:38 offset1:39
	s_waitcnt vmcnt(5) lgkmcnt(2)
	v_fma_f64 v[126:127], -v[110:111], v[186:187], v[126:127]
	s_waitcnt vmcnt(4)
	v_fma_f64 v[86:87], -v[110:111], v[188:189], v[86:87]
	s_waitcnt vmcnt(3) lgkmcnt(1)
	v_fma_f64 v[124:125], -v[110:111], v[194:195], v[124:125]
	s_waitcnt vmcnt(2)
	v_fma_f64 v[84:85], -v[110:111], v[196:197], v[84:85]
	;; [unrolled: 4-line block ×3, first 2 shown]
.LBB79_61:
	s_or_b64 exec, exec, s[2:3]
	v_cmp_eq_u32_e32 vcc, 12, v242
	s_waitcnt lgkmcnt(0)
	s_barrier
	s_and_saveexec_b64 s[2:3], vcc
	s_cbranch_execz .LBB79_64
; %bb.62:
	s_waitcnt vmcnt(27)
	ds_write_b64 v240, v[148:149]
	s_waitcnt vmcnt(25)
	ds_write2_b64 v241, v[108:109], v[146:147] offset0:13 offset1:14
	s_waitcnt vmcnt(23)
	ds_write2_b64 v241, v[106:107], v[144:145] offset0:15 offset1:16
	;; [unrolled: 2-line block ×13, first 2 shown]
	s_waitcnt vmcnt(0)
	ds_write_b64 v241, v[160:161] offset:312
	ds_read_b64 v[186:187], v240
	s_waitcnt lgkmcnt(0)
	v_cmp_neq_f64_e32 vcc, 0, v[186:187]
	s_and_b64 exec, exec, vcc
	s_cbranch_execz .LBB79_64
; %bb.63:
	v_div_scale_f64 v[188:189], s[6:7], v[186:187], v[186:187], 1.0
	v_rcp_f64_e32 v[190:191], v[188:189]
	v_div_scale_f64 v[192:193], vcc, 1.0, v[186:187], 1.0
	v_fma_f64 v[194:195], -v[188:189], v[190:191], 1.0
	v_fmac_f64_e32 v[190:191], v[190:191], v[194:195]
	v_fma_f64 v[194:195], -v[188:189], v[190:191], 1.0
	v_fmac_f64_e32 v[190:191], v[190:191], v[194:195]
	v_mul_f64 v[194:195], v[192:193], v[190:191]
	v_fma_f64 v[188:189], -v[188:189], v[194:195], v[192:193]
	v_div_fmas_f64 v[188:189], v[188:189], v[190:191], v[194:195]
	v_div_fixup_f64 v[186:187], v[188:189], v[186:187], 1.0
	ds_write_b64 v240, v[186:187]
.LBB79_64:
	s_or_b64 exec, exec, s[2:3]
	s_waitcnt lgkmcnt(0)
	s_barrier
	ds_read_b64 v[186:187], v240
	v_cmp_lt_u32_e32 vcc, 12, v242
	s_and_saveexec_b64 s[2:3], vcc
	s_cbranch_execz .LBB79_66
; %bb.65:
	ds_read2_b64 v[188:191], v241 offset0:13 offset1:14
	ds_read2_b64 v[192:195], v241 offset0:15 offset1:16
	s_waitcnt vmcnt(27) lgkmcnt(2)
	v_mul_f64 v[148:149], v[186:187], v[148:149]
	ds_read2_b64 v[196:199], v241 offset0:17 offset1:18
	s_waitcnt vmcnt(26) lgkmcnt(2)
	v_fma_f64 v[108:109], -v[148:149], v[188:189], v[108:109]
	s_waitcnt vmcnt(25)
	v_fma_f64 v[146:147], -v[148:149], v[190:191], v[146:147]
	ds_read2_b64 v[188:191], v241 offset0:19 offset1:20
	s_waitcnt vmcnt(24) lgkmcnt(2)
	v_fma_f64 v[106:107], -v[148:149], v[192:193], v[106:107]
	s_waitcnt vmcnt(23)
	v_fma_f64 v[144:145], -v[148:149], v[194:195], v[144:145]
	;; [unrolled: 5-line block ×4, first 2 shown]
	s_waitcnt vmcnt(18) lgkmcnt(1)
	v_fma_f64 v[100:101], -v[148:149], v[192:193], v[100:101]
	ds_read2_b64 v[188:191], v241 offset0:25 offset1:26
	s_waitcnt vmcnt(17)
	v_fma_f64 v[138:139], -v[148:149], v[194:195], v[138:139]
	ds_read2_b64 v[192:195], v241 offset0:27 offset1:28
	s_waitcnt vmcnt(16) lgkmcnt(2)
	v_fma_f64 v[98:99], -v[148:149], v[196:197], v[98:99]
	s_waitcnt vmcnt(15)
	v_fma_f64 v[136:137], -v[148:149], v[198:199], v[136:137]
	s_waitcnt vmcnt(14) lgkmcnt(1)
	v_fma_f64 v[96:97], -v[148:149], v[188:189], v[96:97]
	ds_read2_b64 v[196:199], v241 offset0:29 offset1:30
	s_waitcnt vmcnt(13)
	v_fma_f64 v[134:135], -v[148:149], v[190:191], v[134:135]
	ds_read2_b64 v[188:191], v241 offset0:31 offset1:32
	s_waitcnt vmcnt(12) lgkmcnt(2)
	v_fma_f64 v[94:95], -v[148:149], v[192:193], v[94:95]
	s_waitcnt vmcnt(11)
	v_fma_f64 v[132:133], -v[148:149], v[194:195], v[132:133]
	ds_read2_b64 v[192:195], v241 offset0:33 offset1:34
	s_waitcnt vmcnt(10) lgkmcnt(2)
	v_fma_f64 v[92:93], -v[148:149], v[196:197], v[92:93]
	s_waitcnt vmcnt(9)
	v_fma_f64 v[130:131], -v[148:149], v[198:199], v[130:131]
	s_waitcnt vmcnt(8) lgkmcnt(1)
	v_fma_f64 v[90:91], -v[148:149], v[188:189], v[90:91]
	s_waitcnt vmcnt(7)
	v_fma_f64 v[128:129], -v[148:149], v[190:191], v[128:129]
	ds_read2_b64 v[188:191], v241 offset0:35 offset1:36
	s_waitcnt vmcnt(6) lgkmcnt(1)
	v_fma_f64 v[88:89], -v[148:149], v[192:193], v[88:89]
	ds_read2_b64 v[196:199], v241 offset0:37 offset1:38
	ds_read_b64 v[192:193], v241 offset:312
	s_waitcnt vmcnt(5)
	v_fma_f64 v[126:127], -v[148:149], v[194:195], v[126:127]
	s_waitcnt vmcnt(4) lgkmcnt(2)
	v_fma_f64 v[86:87], -v[148:149], v[188:189], v[86:87]
	s_waitcnt vmcnt(3)
	v_fma_f64 v[124:125], -v[148:149], v[190:191], v[124:125]
	s_waitcnt vmcnt(2) lgkmcnt(1)
	v_fma_f64 v[84:85], -v[148:149], v[196:197], v[84:85]
	;; [unrolled: 4-line block ×3, first 2 shown]
.LBB79_66:
	s_or_b64 exec, exec, s[2:3]
	v_cmp_eq_u32_e32 vcc, 13, v242
	s_waitcnt lgkmcnt(0)
	s_barrier
	s_and_saveexec_b64 s[2:3], vcc
	s_cbranch_execz .LBB79_69
; %bb.67:
	s_waitcnt vmcnt(25)
	v_mov_b32_e32 v188, v146
	v_mov_b32_e32 v189, v147
	s_waitcnt vmcnt(24)
	v_mov_b32_e32 v190, v106
	v_mov_b32_e32 v191, v107
	ds_write_b64 v240, v[108:109]
	ds_write2_b64 v241, v[188:189], v[190:191] offset0:14 offset1:15
	s_waitcnt vmcnt(23)
	v_mov_b32_e32 v188, v144
	v_mov_b32_e32 v189, v145
	s_waitcnt vmcnt(22)
	v_mov_b32_e32 v190, v104
	v_mov_b32_e32 v191, v105
	ds_write2_b64 v241, v[188:189], v[190:191] offset0:16 offset1:17
	s_waitcnt vmcnt(21)
	v_mov_b32_e32 v188, v142
	v_mov_b32_e32 v189, v143
	s_waitcnt vmcnt(20)
	v_mov_b32_e32 v190, v102
	v_mov_b32_e32 v191, v103
	ds_write2_b64 v241, v[188:189], v[190:191] offset0:18 offset1:19
	s_waitcnt vmcnt(19)
	v_mov_b32_e32 v188, v140
	v_mov_b32_e32 v189, v141
	s_waitcnt vmcnt(18)
	v_mov_b32_e32 v190, v100
	v_mov_b32_e32 v191, v101
	ds_write2_b64 v241, v[188:189], v[190:191] offset0:20 offset1:21
	s_waitcnt vmcnt(17)
	v_mov_b32_e32 v188, v138
	v_mov_b32_e32 v189, v139
	s_waitcnt vmcnt(16)
	v_mov_b32_e32 v190, v98
	v_mov_b32_e32 v191, v99
	ds_write2_b64 v241, v[188:189], v[190:191] offset0:22 offset1:23
	s_waitcnt vmcnt(15)
	v_mov_b32_e32 v188, v136
	v_mov_b32_e32 v189, v137
	s_waitcnt vmcnt(14)
	v_mov_b32_e32 v190, v96
	v_mov_b32_e32 v191, v97
	ds_write2_b64 v241, v[188:189], v[190:191] offset0:24 offset1:25
	s_waitcnt vmcnt(13)
	v_mov_b32_e32 v188, v134
	v_mov_b32_e32 v189, v135
	s_waitcnt vmcnt(12)
	v_mov_b32_e32 v190, v94
	v_mov_b32_e32 v191, v95
	ds_write2_b64 v241, v[188:189], v[190:191] offset0:26 offset1:27
	s_waitcnt vmcnt(11)
	v_mov_b32_e32 v188, v132
	v_mov_b32_e32 v189, v133
	s_waitcnt vmcnt(10)
	v_mov_b32_e32 v190, v92
	v_mov_b32_e32 v191, v93
	ds_write2_b64 v241, v[188:189], v[190:191] offset0:28 offset1:29
	s_waitcnt vmcnt(9)
	v_mov_b32_e32 v188, v130
	v_mov_b32_e32 v189, v131
	s_waitcnt vmcnt(8)
	v_mov_b32_e32 v190, v90
	v_mov_b32_e32 v191, v91
	ds_write2_b64 v241, v[188:189], v[190:191] offset0:30 offset1:31
	s_waitcnt vmcnt(7)
	v_mov_b32_e32 v188, v128
	v_mov_b32_e32 v189, v129
	s_waitcnt vmcnt(6)
	v_mov_b32_e32 v190, v88
	v_mov_b32_e32 v191, v89
	ds_write2_b64 v241, v[188:189], v[190:191] offset0:32 offset1:33
	s_waitcnt vmcnt(5)
	v_mov_b32_e32 v188, v126
	v_mov_b32_e32 v189, v127
	s_waitcnt vmcnt(4)
	v_mov_b32_e32 v190, v86
	v_mov_b32_e32 v191, v87
	ds_write2_b64 v241, v[188:189], v[190:191] offset0:34 offset1:35
	s_waitcnt vmcnt(3)
	v_mov_b32_e32 v188, v124
	v_mov_b32_e32 v189, v125
	s_waitcnt vmcnt(2)
	v_mov_b32_e32 v190, v84
	v_mov_b32_e32 v191, v85
	ds_write2_b64 v241, v[188:189], v[190:191] offset0:36 offset1:37
	s_waitcnt vmcnt(1)
	v_mov_b32_e32 v188, v122
	v_mov_b32_e32 v189, v123
	s_waitcnt vmcnt(0)
	ds_write2_b64 v241, v[188:189], v[160:161] offset0:38 offset1:39
	ds_read_b64 v[188:189], v240
	s_waitcnt lgkmcnt(0)
	v_cmp_neq_f64_e32 vcc, 0, v[188:189]
	s_and_b64 exec, exec, vcc
	s_cbranch_execz .LBB79_69
; %bb.68:
	v_div_scale_f64 v[190:191], s[6:7], v[188:189], v[188:189], 1.0
	v_rcp_f64_e32 v[192:193], v[190:191]
	v_div_scale_f64 v[194:195], vcc, 1.0, v[188:189], 1.0
	v_fma_f64 v[196:197], -v[190:191], v[192:193], 1.0
	v_fmac_f64_e32 v[192:193], v[192:193], v[196:197]
	v_fma_f64 v[196:197], -v[190:191], v[192:193], 1.0
	v_fmac_f64_e32 v[192:193], v[192:193], v[196:197]
	v_mul_f64 v[196:197], v[194:195], v[192:193]
	v_fma_f64 v[190:191], -v[190:191], v[196:197], v[194:195]
	v_div_fmas_f64 v[190:191], v[190:191], v[192:193], v[196:197]
	v_div_fixup_f64 v[188:189], v[190:191], v[188:189], 1.0
	ds_write_b64 v240, v[188:189]
.LBB79_69:
	s_or_b64 exec, exec, s[2:3]
	s_waitcnt lgkmcnt(0)
	s_barrier
	ds_read_b64 v[188:189], v240
	v_cmp_lt_u32_e32 vcc, 13, v242
	s_and_saveexec_b64 s[2:3], vcc
	s_cbranch_execz .LBB79_71
; %bb.70:
	ds_read2_b64 v[190:193], v241 offset0:14 offset1:15
	ds_read2_b64 v[194:197], v241 offset0:16 offset1:17
	s_waitcnt vmcnt(26) lgkmcnt(2)
	v_mul_f64 v[108:109], v[188:189], v[108:109]
	ds_read2_b64 v[198:201], v241 offset0:18 offset1:19
	s_waitcnt vmcnt(25) lgkmcnt(2)
	v_fma_f64 v[146:147], -v[108:109], v[190:191], v[146:147]
	s_waitcnt vmcnt(24)
	v_fma_f64 v[106:107], -v[108:109], v[192:193], v[106:107]
	ds_read2_b64 v[190:193], v241 offset0:20 offset1:21
	s_waitcnt vmcnt(23) lgkmcnt(2)
	v_fma_f64 v[144:145], -v[108:109], v[194:195], v[144:145]
	s_waitcnt vmcnt(22)
	v_fma_f64 v[104:105], -v[108:109], v[196:197], v[104:105]
	s_waitcnt vmcnt(21) lgkmcnt(1)
	v_fma_f64 v[142:143], -v[108:109], v[198:199], v[142:143]
	ds_read2_b64 v[194:197], v241 offset0:22 offset1:23
	s_waitcnt vmcnt(20)
	v_fma_f64 v[102:103], -v[108:109], v[200:201], v[102:103]
	ds_read2_b64 v[198:201], v241 offset0:24 offset1:25
	s_waitcnt vmcnt(19) lgkmcnt(2)
	v_fma_f64 v[140:141], -v[108:109], v[190:191], v[140:141]
	s_waitcnt vmcnt(18)
	v_fma_f64 v[100:101], -v[108:109], v[192:193], v[100:101]
	ds_read2_b64 v[190:193], v241 offset0:26 offset1:27
	s_waitcnt vmcnt(17) lgkmcnt(2)
	v_fma_f64 v[138:139], -v[108:109], v[194:195], v[138:139]
	;; [unrolled: 5-line block ×3, first 2 shown]
	s_waitcnt vmcnt(14)
	v_fma_f64 v[96:97], -v[108:109], v[200:201], v[96:97]
	s_waitcnt vmcnt(13) lgkmcnt(1)
	v_fma_f64 v[134:135], -v[108:109], v[190:191], v[134:135]
	ds_read2_b64 v[198:201], v241 offset0:30 offset1:31
	s_waitcnt vmcnt(12)
	v_fma_f64 v[94:95], -v[108:109], v[192:193], v[94:95]
	ds_read2_b64 v[190:193], v241 offset0:32 offset1:33
	s_waitcnt vmcnt(11) lgkmcnt(2)
	v_fma_f64 v[132:133], -v[108:109], v[194:195], v[132:133]
	s_waitcnt vmcnt(10)
	v_fma_f64 v[92:93], -v[108:109], v[196:197], v[92:93]
	s_waitcnt vmcnt(9) lgkmcnt(1)
	v_fma_f64 v[130:131], -v[108:109], v[198:199], v[130:131]
	s_waitcnt vmcnt(8)
	v_fma_f64 v[90:91], -v[108:109], v[200:201], v[90:91]
	ds_read2_b64 v[194:197], v241 offset0:34 offset1:35
	ds_read2_b64 v[198:201], v241 offset0:36 offset1:37
	s_waitcnt vmcnt(7) lgkmcnt(2)
	v_fma_f64 v[128:129], -v[108:109], v[190:191], v[128:129]
	s_waitcnt vmcnt(6)
	v_fma_f64 v[88:89], -v[108:109], v[192:193], v[88:89]
	ds_read2_b64 v[190:193], v241 offset0:38 offset1:39
	s_waitcnt vmcnt(5) lgkmcnt(2)
	v_fma_f64 v[126:127], -v[108:109], v[194:195], v[126:127]
	s_waitcnt vmcnt(4)
	v_fma_f64 v[86:87], -v[108:109], v[196:197], v[86:87]
	s_waitcnt vmcnt(3) lgkmcnt(1)
	v_fma_f64 v[124:125], -v[108:109], v[198:199], v[124:125]
	s_waitcnt vmcnt(2)
	v_fma_f64 v[84:85], -v[108:109], v[200:201], v[84:85]
	;; [unrolled: 4-line block ×3, first 2 shown]
.LBB79_71:
	s_or_b64 exec, exec, s[2:3]
	v_cmp_eq_u32_e32 vcc, 14, v242
	s_waitcnt lgkmcnt(0)
	s_barrier
	s_and_saveexec_b64 s[2:3], vcc
	s_cbranch_execz .LBB79_74
; %bb.72:
	s_waitcnt vmcnt(25)
	ds_write_b64 v240, v[146:147]
	s_waitcnt vmcnt(23)
	ds_write2_b64 v241, v[106:107], v[144:145] offset0:15 offset1:16
	s_waitcnt vmcnt(21)
	ds_write2_b64 v241, v[104:105], v[142:143] offset0:17 offset1:18
	;; [unrolled: 2-line block ×12, first 2 shown]
	s_waitcnt vmcnt(0)
	ds_write_b64 v241, v[160:161] offset:312
	ds_read_b64 v[190:191], v240
	s_waitcnt lgkmcnt(0)
	v_cmp_neq_f64_e32 vcc, 0, v[190:191]
	s_and_b64 exec, exec, vcc
	s_cbranch_execz .LBB79_74
; %bb.73:
	v_div_scale_f64 v[192:193], s[6:7], v[190:191], v[190:191], 1.0
	v_rcp_f64_e32 v[194:195], v[192:193]
	v_div_scale_f64 v[196:197], vcc, 1.0, v[190:191], 1.0
	v_fma_f64 v[198:199], -v[192:193], v[194:195], 1.0
	v_fmac_f64_e32 v[194:195], v[194:195], v[198:199]
	v_fma_f64 v[198:199], -v[192:193], v[194:195], 1.0
	v_fmac_f64_e32 v[194:195], v[194:195], v[198:199]
	v_mul_f64 v[198:199], v[196:197], v[194:195]
	v_fma_f64 v[192:193], -v[192:193], v[198:199], v[196:197]
	v_div_fmas_f64 v[192:193], v[192:193], v[194:195], v[198:199]
	v_div_fixup_f64 v[190:191], v[192:193], v[190:191], 1.0
	ds_write_b64 v240, v[190:191]
.LBB79_74:
	s_or_b64 exec, exec, s[2:3]
	s_waitcnt lgkmcnt(0)
	s_barrier
	ds_read_b64 v[190:191], v240
	v_cmp_lt_u32_e32 vcc, 14, v242
	s_and_saveexec_b64 s[2:3], vcc
	s_cbranch_execz .LBB79_76
; %bb.75:
	ds_read2_b64 v[192:195], v241 offset0:15 offset1:16
	ds_read2_b64 v[196:199], v241 offset0:17 offset1:18
	s_waitcnt vmcnt(25) lgkmcnt(2)
	v_mul_f64 v[146:147], v[190:191], v[146:147]
	ds_read2_b64 v[200:203], v241 offset0:19 offset1:20
	s_waitcnt vmcnt(24) lgkmcnt(2)
	v_fma_f64 v[106:107], -v[146:147], v[192:193], v[106:107]
	s_waitcnt vmcnt(23)
	v_fma_f64 v[144:145], -v[146:147], v[194:195], v[144:145]
	ds_read2_b64 v[192:195], v241 offset0:21 offset1:22
	s_waitcnt vmcnt(22) lgkmcnt(2)
	v_fma_f64 v[104:105], -v[146:147], v[196:197], v[104:105]
	s_waitcnt vmcnt(21)
	v_fma_f64 v[142:143], -v[146:147], v[198:199], v[142:143]
	s_waitcnt vmcnt(20) lgkmcnt(1)
	v_fma_f64 v[102:103], -v[146:147], v[200:201], v[102:103]
	ds_read2_b64 v[196:199], v241 offset0:23 offset1:24
	s_waitcnt vmcnt(19)
	v_fma_f64 v[140:141], -v[146:147], v[202:203], v[140:141]
	ds_read2_b64 v[200:203], v241 offset0:25 offset1:26
	s_waitcnt vmcnt(18) lgkmcnt(2)
	v_fma_f64 v[100:101], -v[146:147], v[192:193], v[100:101]
	s_waitcnt vmcnt(17)
	v_fma_f64 v[138:139], -v[146:147], v[194:195], v[138:139]
	ds_read2_b64 v[192:195], v241 offset0:27 offset1:28
	s_waitcnt vmcnt(16) lgkmcnt(2)
	v_fma_f64 v[98:99], -v[146:147], v[196:197], v[98:99]
	;; [unrolled: 5-line block ×3, first 2 shown]
	s_waitcnt vmcnt(13)
	v_fma_f64 v[134:135], -v[146:147], v[202:203], v[134:135]
	s_waitcnt vmcnt(12) lgkmcnt(1)
	v_fma_f64 v[94:95], -v[146:147], v[192:193], v[94:95]
	ds_read2_b64 v[200:203], v241 offset0:31 offset1:32
	s_waitcnt vmcnt(11)
	v_fma_f64 v[132:133], -v[146:147], v[194:195], v[132:133]
	ds_read2_b64 v[192:195], v241 offset0:33 offset1:34
	s_waitcnt vmcnt(10) lgkmcnt(2)
	v_fma_f64 v[92:93], -v[146:147], v[196:197], v[92:93]
	s_waitcnt vmcnt(9)
	v_fma_f64 v[130:131], -v[146:147], v[198:199], v[130:131]
	s_waitcnt vmcnt(8) lgkmcnt(1)
	v_fma_f64 v[90:91], -v[146:147], v[200:201], v[90:91]
	s_waitcnt vmcnt(7)
	v_fma_f64 v[128:129], -v[146:147], v[202:203], v[128:129]
	ds_read2_b64 v[196:199], v241 offset0:35 offset1:36
	ds_read2_b64 v[200:203], v241 offset0:37 offset1:38
	s_waitcnt vmcnt(6) lgkmcnt(2)
	v_fma_f64 v[88:89], -v[146:147], v[192:193], v[88:89]
	ds_read_b64 v[192:193], v241 offset:312
	s_waitcnt vmcnt(5)
	v_fma_f64 v[126:127], -v[146:147], v[194:195], v[126:127]
	s_waitcnt vmcnt(4) lgkmcnt(2)
	v_fma_f64 v[86:87], -v[146:147], v[196:197], v[86:87]
	s_waitcnt vmcnt(3)
	v_fma_f64 v[124:125], -v[146:147], v[198:199], v[124:125]
	s_waitcnt vmcnt(2) lgkmcnt(1)
	v_fma_f64 v[84:85], -v[146:147], v[200:201], v[84:85]
	;; [unrolled: 4-line block ×3, first 2 shown]
.LBB79_76:
	s_or_b64 exec, exec, s[2:3]
	v_cmp_eq_u32_e32 vcc, 15, v242
	s_waitcnt lgkmcnt(0)
	s_barrier
	s_and_saveexec_b64 s[2:3], vcc
	s_cbranch_execz .LBB79_79
; %bb.77:
	s_waitcnt vmcnt(23)
	v_mov_b32_e32 v192, v144
	v_mov_b32_e32 v193, v145
	s_waitcnt vmcnt(22)
	v_mov_b32_e32 v194, v104
	v_mov_b32_e32 v195, v105
	ds_write_b64 v240, v[106:107]
	ds_write2_b64 v241, v[192:193], v[194:195] offset0:16 offset1:17
	s_waitcnt vmcnt(21)
	v_mov_b32_e32 v192, v142
	v_mov_b32_e32 v193, v143
	s_waitcnt vmcnt(20)
	v_mov_b32_e32 v194, v102
	v_mov_b32_e32 v195, v103
	ds_write2_b64 v241, v[192:193], v[194:195] offset0:18 offset1:19
	s_waitcnt vmcnt(19)
	v_mov_b32_e32 v192, v140
	v_mov_b32_e32 v193, v141
	s_waitcnt vmcnt(18)
	v_mov_b32_e32 v194, v100
	v_mov_b32_e32 v195, v101
	ds_write2_b64 v241, v[192:193], v[194:195] offset0:20 offset1:21
	s_waitcnt vmcnt(17)
	v_mov_b32_e32 v192, v138
	v_mov_b32_e32 v193, v139
	s_waitcnt vmcnt(16)
	v_mov_b32_e32 v194, v98
	v_mov_b32_e32 v195, v99
	ds_write2_b64 v241, v[192:193], v[194:195] offset0:22 offset1:23
	s_waitcnt vmcnt(15)
	v_mov_b32_e32 v192, v136
	v_mov_b32_e32 v193, v137
	s_waitcnt vmcnt(14)
	v_mov_b32_e32 v194, v96
	v_mov_b32_e32 v195, v97
	ds_write2_b64 v241, v[192:193], v[194:195] offset0:24 offset1:25
	s_waitcnt vmcnt(13)
	v_mov_b32_e32 v192, v134
	v_mov_b32_e32 v193, v135
	s_waitcnt vmcnt(12)
	v_mov_b32_e32 v194, v94
	v_mov_b32_e32 v195, v95
	ds_write2_b64 v241, v[192:193], v[194:195] offset0:26 offset1:27
	s_waitcnt vmcnt(11)
	v_mov_b32_e32 v192, v132
	v_mov_b32_e32 v193, v133
	s_waitcnt vmcnt(10)
	v_mov_b32_e32 v194, v92
	v_mov_b32_e32 v195, v93
	ds_write2_b64 v241, v[192:193], v[194:195] offset0:28 offset1:29
	s_waitcnt vmcnt(9)
	v_mov_b32_e32 v192, v130
	v_mov_b32_e32 v193, v131
	s_waitcnt vmcnt(8)
	v_mov_b32_e32 v194, v90
	v_mov_b32_e32 v195, v91
	ds_write2_b64 v241, v[192:193], v[194:195] offset0:30 offset1:31
	s_waitcnt vmcnt(7)
	v_mov_b32_e32 v192, v128
	v_mov_b32_e32 v193, v129
	s_waitcnt vmcnt(6)
	v_mov_b32_e32 v194, v88
	v_mov_b32_e32 v195, v89
	ds_write2_b64 v241, v[192:193], v[194:195] offset0:32 offset1:33
	s_waitcnt vmcnt(5)
	v_mov_b32_e32 v192, v126
	v_mov_b32_e32 v193, v127
	s_waitcnt vmcnt(4)
	v_mov_b32_e32 v194, v86
	v_mov_b32_e32 v195, v87
	ds_write2_b64 v241, v[192:193], v[194:195] offset0:34 offset1:35
	s_waitcnt vmcnt(3)
	v_mov_b32_e32 v192, v124
	v_mov_b32_e32 v193, v125
	s_waitcnt vmcnt(2)
	v_mov_b32_e32 v194, v84
	v_mov_b32_e32 v195, v85
	ds_write2_b64 v241, v[192:193], v[194:195] offset0:36 offset1:37
	s_waitcnt vmcnt(1)
	v_mov_b32_e32 v192, v122
	v_mov_b32_e32 v193, v123
	s_waitcnt vmcnt(0)
	ds_write2_b64 v241, v[192:193], v[160:161] offset0:38 offset1:39
	ds_read_b64 v[192:193], v240
	s_waitcnt lgkmcnt(0)
	v_cmp_neq_f64_e32 vcc, 0, v[192:193]
	s_and_b64 exec, exec, vcc
	s_cbranch_execz .LBB79_79
; %bb.78:
	v_div_scale_f64 v[194:195], s[6:7], v[192:193], v[192:193], 1.0
	v_rcp_f64_e32 v[196:197], v[194:195]
	v_div_scale_f64 v[198:199], vcc, 1.0, v[192:193], 1.0
	v_fma_f64 v[200:201], -v[194:195], v[196:197], 1.0
	v_fmac_f64_e32 v[196:197], v[196:197], v[200:201]
	v_fma_f64 v[200:201], -v[194:195], v[196:197], 1.0
	v_fmac_f64_e32 v[196:197], v[196:197], v[200:201]
	v_mul_f64 v[200:201], v[198:199], v[196:197]
	v_fma_f64 v[194:195], -v[194:195], v[200:201], v[198:199]
	v_div_fmas_f64 v[194:195], v[194:195], v[196:197], v[200:201]
	v_div_fixup_f64 v[192:193], v[194:195], v[192:193], 1.0
	ds_write_b64 v240, v[192:193]
.LBB79_79:
	s_or_b64 exec, exec, s[2:3]
	s_waitcnt lgkmcnt(0)
	s_barrier
	ds_read_b64 v[192:193], v240
	v_cmp_lt_u32_e32 vcc, 15, v242
	s_and_saveexec_b64 s[2:3], vcc
	s_cbranch_execz .LBB79_81
; %bb.80:
	ds_read2_b64 v[194:197], v241 offset0:16 offset1:17
	ds_read2_b64 v[198:201], v241 offset0:18 offset1:19
	;; [unrolled: 1-line block ×3, first 2 shown]
	s_waitcnt vmcnt(24) lgkmcnt(3)
	v_mul_f64 v[106:107], v[192:193], v[106:107]
	s_waitcnt vmcnt(23) lgkmcnt(2)
	v_fma_f64 v[144:145], -v[106:107], v[194:195], v[144:145]
	s_waitcnt vmcnt(22)
	v_fma_f64 v[104:105], -v[106:107], v[196:197], v[104:105]
	ds_read2_b64 v[194:197], v241 offset0:22 offset1:23
	s_waitcnt vmcnt(21) lgkmcnt(2)
	v_fma_f64 v[142:143], -v[106:107], v[198:199], v[142:143]
	s_waitcnt vmcnt(20)
	v_fma_f64 v[102:103], -v[106:107], v[200:201], v[102:103]
	s_waitcnt vmcnt(19) lgkmcnt(1)
	v_fma_f64 v[140:141], -v[106:107], v[202:203], v[140:141]
	ds_read2_b64 v[198:201], v241 offset0:24 offset1:25
	s_waitcnt vmcnt(18)
	v_fma_f64 v[100:101], -v[106:107], v[204:205], v[100:101]
	ds_read2_b64 v[202:205], v241 offset0:26 offset1:27
	s_waitcnt vmcnt(17) lgkmcnt(2)
	v_fma_f64 v[138:139], -v[106:107], v[194:195], v[138:139]
	s_waitcnt vmcnt(16)
	v_fma_f64 v[98:99], -v[106:107], v[196:197], v[98:99]
	s_waitcnt vmcnt(15) lgkmcnt(1)
	v_fma_f64 v[136:137], -v[106:107], v[198:199], v[136:137]
	ds_read2_b64 v[194:197], v241 offset0:28 offset1:29
	s_waitcnt vmcnt(14)
	v_fma_f64 v[96:97], -v[106:107], v[200:201], v[96:97]
	ds_read2_b64 v[198:201], v241 offset0:30 offset1:31
	s_waitcnt vmcnt(13) lgkmcnt(2)
	v_fma_f64 v[134:135], -v[106:107], v[202:203], v[134:135]
	s_waitcnt vmcnt(12)
	v_fma_f64 v[94:95], -v[106:107], v[204:205], v[94:95]
	ds_read2_b64 v[202:205], v241 offset0:32 offset1:33
	s_waitcnt vmcnt(11) lgkmcnt(2)
	v_fma_f64 v[132:133], -v[106:107], v[194:195], v[132:133]
	;; [unrolled: 5-line block ×3, first 2 shown]
	s_waitcnt vmcnt(8)
	v_fma_f64 v[90:91], -v[106:107], v[200:201], v[90:91]
	s_waitcnt vmcnt(7) lgkmcnt(1)
	v_fma_f64 v[128:129], -v[106:107], v[202:203], v[128:129]
	ds_read2_b64 v[198:201], v241 offset0:36 offset1:37
	s_waitcnt vmcnt(6)
	v_fma_f64 v[88:89], -v[106:107], v[204:205], v[88:89]
	ds_read2_b64 v[202:205], v241 offset0:38 offset1:39
	s_waitcnt vmcnt(5) lgkmcnt(2)
	v_fma_f64 v[126:127], -v[106:107], v[194:195], v[126:127]
	s_waitcnt vmcnt(4)
	v_fma_f64 v[86:87], -v[106:107], v[196:197], v[86:87]
	s_waitcnt vmcnt(3) lgkmcnt(1)
	v_fma_f64 v[124:125], -v[106:107], v[198:199], v[124:125]
	s_waitcnt vmcnt(2)
	v_fma_f64 v[84:85], -v[106:107], v[200:201], v[84:85]
	;; [unrolled: 4-line block ×3, first 2 shown]
.LBB79_81:
	s_or_b64 exec, exec, s[2:3]
	v_cmp_eq_u32_e32 vcc, 16, v242
	s_waitcnt lgkmcnt(0)
	s_barrier
	s_and_saveexec_b64 s[2:3], vcc
	s_cbranch_execz .LBB79_84
; %bb.82:
	s_waitcnt vmcnt(23)
	ds_write_b64 v240, v[144:145]
	s_waitcnt vmcnt(21)
	ds_write2_b64 v241, v[104:105], v[142:143] offset0:17 offset1:18
	s_waitcnt vmcnt(19)
	ds_write2_b64 v241, v[102:103], v[140:141] offset0:19 offset1:20
	;; [unrolled: 2-line block ×11, first 2 shown]
	s_waitcnt vmcnt(0)
	ds_write_b64 v241, v[160:161] offset:312
	ds_read_b64 v[194:195], v240
	s_waitcnt lgkmcnt(0)
	v_cmp_neq_f64_e32 vcc, 0, v[194:195]
	s_and_b64 exec, exec, vcc
	s_cbranch_execz .LBB79_84
; %bb.83:
	v_div_scale_f64 v[196:197], s[6:7], v[194:195], v[194:195], 1.0
	v_rcp_f64_e32 v[198:199], v[196:197]
	v_div_scale_f64 v[200:201], vcc, 1.0, v[194:195], 1.0
	v_fma_f64 v[202:203], -v[196:197], v[198:199], 1.0
	v_fmac_f64_e32 v[198:199], v[198:199], v[202:203]
	v_fma_f64 v[202:203], -v[196:197], v[198:199], 1.0
	v_fmac_f64_e32 v[198:199], v[198:199], v[202:203]
	v_mul_f64 v[202:203], v[200:201], v[198:199]
	v_fma_f64 v[196:197], -v[196:197], v[202:203], v[200:201]
	v_div_fmas_f64 v[196:197], v[196:197], v[198:199], v[202:203]
	v_div_fixup_f64 v[194:195], v[196:197], v[194:195], 1.0
	ds_write_b64 v240, v[194:195]
.LBB79_84:
	s_or_b64 exec, exec, s[2:3]
	s_waitcnt lgkmcnt(0)
	s_barrier
	ds_read_b64 v[194:195], v240
	v_cmp_lt_u32_e32 vcc, 16, v242
	s_and_saveexec_b64 s[2:3], vcc
	s_cbranch_execz .LBB79_86
; %bb.85:
	ds_read2_b64 v[196:199], v241 offset0:17 offset1:18
	ds_read2_b64 v[200:203], v241 offset0:19 offset1:20
	;; [unrolled: 1-line block ×3, first 2 shown]
	s_waitcnt vmcnt(23) lgkmcnt(3)
	v_mul_f64 v[144:145], v[194:195], v[144:145]
	s_waitcnt vmcnt(22) lgkmcnt(2)
	v_fma_f64 v[104:105], -v[144:145], v[196:197], v[104:105]
	s_waitcnt vmcnt(21)
	v_fma_f64 v[142:143], -v[144:145], v[198:199], v[142:143]
	ds_read2_b64 v[196:199], v241 offset0:23 offset1:24
	s_waitcnt vmcnt(20) lgkmcnt(2)
	v_fma_f64 v[102:103], -v[144:145], v[200:201], v[102:103]
	s_waitcnt vmcnt(19)
	v_fma_f64 v[140:141], -v[144:145], v[202:203], v[140:141]
	s_waitcnt vmcnt(18) lgkmcnt(1)
	v_fma_f64 v[100:101], -v[144:145], v[204:205], v[100:101]
	ds_read2_b64 v[200:203], v241 offset0:25 offset1:26
	s_waitcnt vmcnt(17)
	v_fma_f64 v[138:139], -v[144:145], v[206:207], v[138:139]
	ds_read2_b64 v[204:207], v241 offset0:27 offset1:28
	s_waitcnt vmcnt(16) lgkmcnt(2)
	v_fma_f64 v[98:99], -v[144:145], v[196:197], v[98:99]
	s_waitcnt vmcnt(15)
	v_fma_f64 v[136:137], -v[144:145], v[198:199], v[136:137]
	s_waitcnt vmcnt(14) lgkmcnt(1)
	v_fma_f64 v[96:97], -v[144:145], v[200:201], v[96:97]
	ds_read2_b64 v[196:199], v241 offset0:29 offset1:30
	s_waitcnt vmcnt(13)
	v_fma_f64 v[134:135], -v[144:145], v[202:203], v[134:135]
	ds_read2_b64 v[200:203], v241 offset0:31 offset1:32
	s_waitcnt vmcnt(12) lgkmcnt(2)
	v_fma_f64 v[94:95], -v[144:145], v[204:205], v[94:95]
	s_waitcnt vmcnt(11)
	v_fma_f64 v[132:133], -v[144:145], v[206:207], v[132:133]
	ds_read2_b64 v[204:207], v241 offset0:33 offset1:34
	s_waitcnt vmcnt(10) lgkmcnt(2)
	v_fma_f64 v[92:93], -v[144:145], v[196:197], v[92:93]
	;; [unrolled: 5-line block ×3, first 2 shown]
	s_waitcnt vmcnt(7)
	v_fma_f64 v[128:129], -v[144:145], v[202:203], v[128:129]
	s_waitcnt vmcnt(6) lgkmcnt(1)
	v_fma_f64 v[88:89], -v[144:145], v[204:205], v[88:89]
	ds_read2_b64 v[200:203], v241 offset0:37 offset1:38
	ds_read_b64 v[204:205], v241 offset:312
	s_waitcnt vmcnt(5)
	v_fma_f64 v[126:127], -v[144:145], v[206:207], v[126:127]
	s_waitcnt vmcnt(4) lgkmcnt(2)
	v_fma_f64 v[86:87], -v[144:145], v[196:197], v[86:87]
	s_waitcnt vmcnt(3)
	v_fma_f64 v[124:125], -v[144:145], v[198:199], v[124:125]
	s_waitcnt vmcnt(2) lgkmcnt(1)
	v_fma_f64 v[84:85], -v[144:145], v[200:201], v[84:85]
	;; [unrolled: 4-line block ×3, first 2 shown]
.LBB79_86:
	s_or_b64 exec, exec, s[2:3]
	v_cmp_eq_u32_e32 vcc, 17, v242
	s_waitcnt lgkmcnt(0)
	s_barrier
	s_and_saveexec_b64 s[2:3], vcc
	s_cbranch_execz .LBB79_89
; %bb.87:
	s_waitcnt vmcnt(21)
	v_mov_b32_e32 v196, v142
	v_mov_b32_e32 v197, v143
	s_waitcnt vmcnt(20)
	v_mov_b32_e32 v198, v102
	v_mov_b32_e32 v199, v103
	ds_write_b64 v240, v[104:105]
	ds_write2_b64 v241, v[196:197], v[198:199] offset0:18 offset1:19
	s_waitcnt vmcnt(19)
	v_mov_b32_e32 v196, v140
	v_mov_b32_e32 v197, v141
	s_waitcnt vmcnt(18)
	v_mov_b32_e32 v198, v100
	v_mov_b32_e32 v199, v101
	ds_write2_b64 v241, v[196:197], v[198:199] offset0:20 offset1:21
	s_waitcnt vmcnt(17)
	v_mov_b32_e32 v196, v138
	v_mov_b32_e32 v197, v139
	s_waitcnt vmcnt(16)
	v_mov_b32_e32 v198, v98
	v_mov_b32_e32 v199, v99
	;; [unrolled: 7-line block ×9, first 2 shown]
	ds_write2_b64 v241, v[196:197], v[198:199] offset0:36 offset1:37
	s_waitcnt vmcnt(1)
	v_mov_b32_e32 v196, v122
	v_mov_b32_e32 v197, v123
	s_waitcnt vmcnt(0)
	ds_write2_b64 v241, v[196:197], v[160:161] offset0:38 offset1:39
	ds_read_b64 v[196:197], v240
	s_waitcnt lgkmcnt(0)
	v_cmp_neq_f64_e32 vcc, 0, v[196:197]
	s_and_b64 exec, exec, vcc
	s_cbranch_execz .LBB79_89
; %bb.88:
	v_div_scale_f64 v[198:199], s[6:7], v[196:197], v[196:197], 1.0
	v_rcp_f64_e32 v[200:201], v[198:199]
	v_div_scale_f64 v[202:203], vcc, 1.0, v[196:197], 1.0
	v_fma_f64 v[204:205], -v[198:199], v[200:201], 1.0
	v_fmac_f64_e32 v[200:201], v[200:201], v[204:205]
	v_fma_f64 v[204:205], -v[198:199], v[200:201], 1.0
	v_fmac_f64_e32 v[200:201], v[200:201], v[204:205]
	v_mul_f64 v[204:205], v[202:203], v[200:201]
	v_fma_f64 v[198:199], -v[198:199], v[204:205], v[202:203]
	v_div_fmas_f64 v[198:199], v[198:199], v[200:201], v[204:205]
	v_div_fixup_f64 v[196:197], v[198:199], v[196:197], 1.0
	ds_write_b64 v240, v[196:197]
.LBB79_89:
	s_or_b64 exec, exec, s[2:3]
	s_waitcnt lgkmcnt(0)
	s_barrier
	ds_read_b64 v[196:197], v240
	v_cmp_lt_u32_e32 vcc, 17, v242
	s_and_saveexec_b64 s[2:3], vcc
	s_cbranch_execz .LBB79_91
; %bb.90:
	ds_read2_b64 v[198:201], v241 offset0:18 offset1:19
	ds_read2_b64 v[202:205], v241 offset0:20 offset1:21
	s_waitcnt vmcnt(22) lgkmcnt(2)
	v_mul_f64 v[104:105], v[196:197], v[104:105]
	ds_read2_b64 v[206:209], v241 offset0:22 offset1:23
	s_waitcnt vmcnt(21) lgkmcnt(2)
	v_fma_f64 v[142:143], -v[104:105], v[198:199], v[142:143]
	s_waitcnt vmcnt(20)
	v_fma_f64 v[102:103], -v[104:105], v[200:201], v[102:103]
	ds_read2_b64 v[198:201], v241 offset0:24 offset1:25
	s_waitcnt vmcnt(19) lgkmcnt(2)
	v_fma_f64 v[140:141], -v[104:105], v[202:203], v[140:141]
	s_waitcnt vmcnt(18)
	v_fma_f64 v[100:101], -v[104:105], v[204:205], v[100:101]
	;; [unrolled: 5-line block ×4, first 2 shown]
	s_waitcnt vmcnt(13) lgkmcnt(1)
	v_fma_f64 v[134:135], -v[104:105], v[202:203], v[134:135]
	ds_read2_b64 v[198:201], v241 offset0:30 offset1:31
	s_waitcnt vmcnt(12)
	v_fma_f64 v[94:95], -v[104:105], v[204:205], v[94:95]
	ds_read2_b64 v[202:205], v241 offset0:32 offset1:33
	s_waitcnt vmcnt(11) lgkmcnt(2)
	v_fma_f64 v[132:133], -v[104:105], v[206:207], v[132:133]
	s_waitcnt vmcnt(10)
	v_fma_f64 v[92:93], -v[104:105], v[208:209], v[92:93]
	s_waitcnt vmcnt(9) lgkmcnt(1)
	v_fma_f64 v[130:131], -v[104:105], v[198:199], v[130:131]
	s_waitcnt vmcnt(8)
	v_fma_f64 v[90:91], -v[104:105], v[200:201], v[90:91]
	ds_read2_b64 v[198:201], v241 offset0:34 offset1:35
	ds_read2_b64 v[206:209], v241 offset0:36 offset1:37
	s_waitcnt vmcnt(7) lgkmcnt(2)
	v_fma_f64 v[128:129], -v[104:105], v[202:203], v[128:129]
	s_waitcnt vmcnt(6)
	v_fma_f64 v[88:89], -v[104:105], v[204:205], v[88:89]
	ds_read2_b64 v[202:205], v241 offset0:38 offset1:39
	s_waitcnt vmcnt(5) lgkmcnt(2)
	v_fma_f64 v[126:127], -v[104:105], v[198:199], v[126:127]
	s_waitcnt vmcnt(4)
	v_fma_f64 v[86:87], -v[104:105], v[200:201], v[86:87]
	s_waitcnt vmcnt(3) lgkmcnt(1)
	v_fma_f64 v[124:125], -v[104:105], v[206:207], v[124:125]
	s_waitcnt vmcnt(2)
	v_fma_f64 v[84:85], -v[104:105], v[208:209], v[84:85]
	;; [unrolled: 4-line block ×3, first 2 shown]
.LBB79_91:
	s_or_b64 exec, exec, s[2:3]
	v_cmp_eq_u32_e32 vcc, 18, v242
	s_waitcnt lgkmcnt(0)
	s_barrier
	s_and_saveexec_b64 s[2:3], vcc
	s_cbranch_execz .LBB79_94
; %bb.92:
	s_waitcnt vmcnt(21)
	ds_write_b64 v240, v[142:143]
	s_waitcnt vmcnt(19)
	ds_write2_b64 v241, v[102:103], v[140:141] offset0:19 offset1:20
	s_waitcnt vmcnt(17)
	ds_write2_b64 v241, v[100:101], v[138:139] offset0:21 offset1:22
	;; [unrolled: 2-line block ×10, first 2 shown]
	s_waitcnt vmcnt(0)
	ds_write_b64 v241, v[160:161] offset:312
	ds_read_b64 v[198:199], v240
	s_waitcnt lgkmcnt(0)
	v_cmp_neq_f64_e32 vcc, 0, v[198:199]
	s_and_b64 exec, exec, vcc
	s_cbranch_execz .LBB79_94
; %bb.93:
	v_div_scale_f64 v[200:201], s[6:7], v[198:199], v[198:199], 1.0
	v_rcp_f64_e32 v[202:203], v[200:201]
	v_div_scale_f64 v[204:205], vcc, 1.0, v[198:199], 1.0
	v_fma_f64 v[206:207], -v[200:201], v[202:203], 1.0
	v_fmac_f64_e32 v[202:203], v[202:203], v[206:207]
	v_fma_f64 v[206:207], -v[200:201], v[202:203], 1.0
	v_fmac_f64_e32 v[202:203], v[202:203], v[206:207]
	v_mul_f64 v[206:207], v[204:205], v[202:203]
	v_fma_f64 v[200:201], -v[200:201], v[206:207], v[204:205]
	v_div_fmas_f64 v[200:201], v[200:201], v[202:203], v[206:207]
	v_div_fixup_f64 v[198:199], v[200:201], v[198:199], 1.0
	ds_write_b64 v240, v[198:199]
.LBB79_94:
	s_or_b64 exec, exec, s[2:3]
	s_waitcnt lgkmcnt(0)
	s_barrier
	ds_read_b64 v[198:199], v240
	v_cmp_lt_u32_e32 vcc, 18, v242
	s_and_saveexec_b64 s[2:3], vcc
	s_cbranch_execz .LBB79_96
; %bb.95:
	ds_read2_b64 v[200:203], v241 offset0:19 offset1:20
	ds_read2_b64 v[204:207], v241 offset0:21 offset1:22
	s_waitcnt vmcnt(21) lgkmcnt(2)
	v_mul_f64 v[142:143], v[198:199], v[142:143]
	ds_read2_b64 v[208:211], v241 offset0:23 offset1:24
	s_waitcnt vmcnt(20) lgkmcnt(2)
	v_fma_f64 v[102:103], -v[142:143], v[200:201], v[102:103]
	s_waitcnt vmcnt(19)
	v_fma_f64 v[140:141], -v[142:143], v[202:203], v[140:141]
	ds_read2_b64 v[200:203], v241 offset0:25 offset1:26
	s_waitcnt vmcnt(18) lgkmcnt(2)
	v_fma_f64 v[100:101], -v[142:143], v[204:205], v[100:101]
	s_waitcnt vmcnt(17)
	v_fma_f64 v[138:139], -v[142:143], v[206:207], v[138:139]
	;; [unrolled: 5-line block ×4, first 2 shown]
	s_waitcnt vmcnt(12) lgkmcnt(1)
	v_fma_f64 v[94:95], -v[142:143], v[204:205], v[94:95]
	ds_read2_b64 v[200:203], v241 offset0:31 offset1:32
	s_waitcnt vmcnt(11)
	v_fma_f64 v[132:133], -v[142:143], v[206:207], v[132:133]
	ds_read2_b64 v[204:207], v241 offset0:33 offset1:34
	s_waitcnt vmcnt(10) lgkmcnt(2)
	v_fma_f64 v[92:93], -v[142:143], v[208:209], v[92:93]
	s_waitcnt vmcnt(9)
	v_fma_f64 v[130:131], -v[142:143], v[210:211], v[130:131]
	s_waitcnt vmcnt(8) lgkmcnt(1)
	v_fma_f64 v[90:91], -v[142:143], v[200:201], v[90:91]
	s_waitcnt vmcnt(7)
	v_fma_f64 v[128:129], -v[142:143], v[202:203], v[128:129]
	ds_read2_b64 v[200:203], v241 offset0:35 offset1:36
	ds_read2_b64 v[208:211], v241 offset0:37 offset1:38
	s_waitcnt vmcnt(6) lgkmcnt(2)
	v_fma_f64 v[88:89], -v[142:143], v[204:205], v[88:89]
	ds_read_b64 v[204:205], v241 offset:312
	s_waitcnt vmcnt(5)
	v_fma_f64 v[126:127], -v[142:143], v[206:207], v[126:127]
	s_waitcnt vmcnt(4) lgkmcnt(2)
	v_fma_f64 v[86:87], -v[142:143], v[200:201], v[86:87]
	s_waitcnt vmcnt(3)
	v_fma_f64 v[124:125], -v[142:143], v[202:203], v[124:125]
	s_waitcnt vmcnt(2) lgkmcnt(1)
	v_fma_f64 v[84:85], -v[142:143], v[208:209], v[84:85]
	;; [unrolled: 4-line block ×3, first 2 shown]
.LBB79_96:
	s_or_b64 exec, exec, s[2:3]
	v_cmp_eq_u32_e32 vcc, 19, v242
	s_waitcnt lgkmcnt(0)
	s_barrier
	s_and_saveexec_b64 s[2:3], vcc
	s_cbranch_execz .LBB79_99
; %bb.97:
	s_waitcnt vmcnt(19)
	v_mov_b32_e32 v200, v140
	v_mov_b32_e32 v201, v141
	s_waitcnt vmcnt(18)
	v_mov_b32_e32 v202, v100
	v_mov_b32_e32 v203, v101
	ds_write_b64 v240, v[102:103]
	ds_write2_b64 v241, v[200:201], v[202:203] offset0:20 offset1:21
	s_waitcnt vmcnt(17)
	v_mov_b32_e32 v200, v138
	v_mov_b32_e32 v201, v139
	s_waitcnt vmcnt(16)
	v_mov_b32_e32 v202, v98
	v_mov_b32_e32 v203, v99
	ds_write2_b64 v241, v[200:201], v[202:203] offset0:22 offset1:23
	s_waitcnt vmcnt(15)
	v_mov_b32_e32 v200, v136
	v_mov_b32_e32 v201, v137
	s_waitcnt vmcnt(14)
	v_mov_b32_e32 v202, v96
	v_mov_b32_e32 v203, v97
	;; [unrolled: 7-line block ×8, first 2 shown]
	ds_write2_b64 v241, v[200:201], v[202:203] offset0:36 offset1:37
	s_waitcnt vmcnt(1)
	v_mov_b32_e32 v200, v122
	v_mov_b32_e32 v201, v123
	s_waitcnt vmcnt(0)
	ds_write2_b64 v241, v[200:201], v[160:161] offset0:38 offset1:39
	ds_read_b64 v[200:201], v240
	s_waitcnt lgkmcnt(0)
	v_cmp_neq_f64_e32 vcc, 0, v[200:201]
	s_and_b64 exec, exec, vcc
	s_cbranch_execz .LBB79_99
; %bb.98:
	v_div_scale_f64 v[202:203], s[6:7], v[200:201], v[200:201], 1.0
	v_rcp_f64_e32 v[204:205], v[202:203]
	v_div_scale_f64 v[206:207], vcc, 1.0, v[200:201], 1.0
	v_fma_f64 v[208:209], -v[202:203], v[204:205], 1.0
	v_fmac_f64_e32 v[204:205], v[204:205], v[208:209]
	v_fma_f64 v[208:209], -v[202:203], v[204:205], 1.0
	v_fmac_f64_e32 v[204:205], v[204:205], v[208:209]
	v_mul_f64 v[208:209], v[206:207], v[204:205]
	v_fma_f64 v[202:203], -v[202:203], v[208:209], v[206:207]
	v_div_fmas_f64 v[202:203], v[202:203], v[204:205], v[208:209]
	v_div_fixup_f64 v[200:201], v[202:203], v[200:201], 1.0
	ds_write_b64 v240, v[200:201]
.LBB79_99:
	s_or_b64 exec, exec, s[2:3]
	s_waitcnt lgkmcnt(0)
	s_barrier
	ds_read_b64 v[200:201], v240
	v_cmp_lt_u32_e32 vcc, 19, v242
	s_and_saveexec_b64 s[2:3], vcc
	s_cbranch_execz .LBB79_101
; %bb.100:
	ds_read2_b64 v[202:205], v241 offset0:20 offset1:21
	ds_read2_b64 v[206:209], v241 offset0:22 offset1:23
	s_waitcnt vmcnt(20) lgkmcnt(2)
	v_mul_f64 v[102:103], v[200:201], v[102:103]
	ds_read2_b64 v[210:213], v241 offset0:24 offset1:25
	s_waitcnt vmcnt(19) lgkmcnt(2)
	v_fma_f64 v[140:141], -v[102:103], v[202:203], v[140:141]
	s_waitcnt vmcnt(18)
	v_fma_f64 v[100:101], -v[102:103], v[204:205], v[100:101]
	ds_read2_b64 v[202:205], v241 offset0:26 offset1:27
	s_waitcnt vmcnt(17) lgkmcnt(2)
	v_fma_f64 v[138:139], -v[102:103], v[206:207], v[138:139]
	s_waitcnt vmcnt(16)
	v_fma_f64 v[98:99], -v[102:103], v[208:209], v[98:99]
	s_waitcnt vmcnt(15) lgkmcnt(1)
	v_fma_f64 v[136:137], -v[102:103], v[210:211], v[136:137]
	ds_read2_b64 v[206:209], v241 offset0:28 offset1:29
	s_waitcnt vmcnt(14)
	v_fma_f64 v[96:97], -v[102:103], v[212:213], v[96:97]
	ds_read2_b64 v[210:213], v241 offset0:30 offset1:31
	s_waitcnt vmcnt(13) lgkmcnt(2)
	v_fma_f64 v[134:135], -v[102:103], v[202:203], v[134:135]
	s_waitcnt vmcnt(12)
	v_fma_f64 v[94:95], -v[102:103], v[204:205], v[94:95]
	ds_read2_b64 v[202:205], v241 offset0:32 offset1:33
	s_waitcnt vmcnt(11) lgkmcnt(2)
	v_fma_f64 v[132:133], -v[102:103], v[206:207], v[132:133]
	;; [unrolled: 5-line block ×3, first 2 shown]
	s_waitcnt vmcnt(8)
	v_fma_f64 v[90:91], -v[102:103], v[212:213], v[90:91]
	s_waitcnt vmcnt(7) lgkmcnt(1)
	v_fma_f64 v[128:129], -v[102:103], v[202:203], v[128:129]
	ds_read2_b64 v[210:213], v241 offset0:36 offset1:37
	s_waitcnt vmcnt(6)
	v_fma_f64 v[88:89], -v[102:103], v[204:205], v[88:89]
	ds_read2_b64 v[202:205], v241 offset0:38 offset1:39
	s_waitcnt vmcnt(5) lgkmcnt(2)
	v_fma_f64 v[126:127], -v[102:103], v[206:207], v[126:127]
	s_waitcnt vmcnt(4)
	v_fma_f64 v[86:87], -v[102:103], v[208:209], v[86:87]
	s_waitcnt vmcnt(3) lgkmcnt(1)
	v_fma_f64 v[124:125], -v[102:103], v[210:211], v[124:125]
	s_waitcnt vmcnt(2)
	v_fma_f64 v[84:85], -v[102:103], v[212:213], v[84:85]
	;; [unrolled: 4-line block ×3, first 2 shown]
.LBB79_101:
	s_or_b64 exec, exec, s[2:3]
	v_cmp_eq_u32_e32 vcc, 20, v242
	s_waitcnt lgkmcnt(0)
	s_barrier
	s_and_saveexec_b64 s[2:3], vcc
	s_cbranch_execz .LBB79_104
; %bb.102:
	s_waitcnt vmcnt(19)
	ds_write_b64 v240, v[140:141]
	s_waitcnt vmcnt(17)
	ds_write2_b64 v241, v[100:101], v[138:139] offset0:21 offset1:22
	s_waitcnt vmcnt(15)
	ds_write2_b64 v241, v[98:99], v[136:137] offset0:23 offset1:24
	;; [unrolled: 2-line block ×9, first 2 shown]
	s_waitcnt vmcnt(0)
	ds_write_b64 v241, v[160:161] offset:312
	ds_read_b64 v[202:203], v240
	s_waitcnt lgkmcnt(0)
	v_cmp_neq_f64_e32 vcc, 0, v[202:203]
	s_and_b64 exec, exec, vcc
	s_cbranch_execz .LBB79_104
; %bb.103:
	v_div_scale_f64 v[204:205], s[6:7], v[202:203], v[202:203], 1.0
	v_rcp_f64_e32 v[206:207], v[204:205]
	v_div_scale_f64 v[208:209], vcc, 1.0, v[202:203], 1.0
	v_fma_f64 v[210:211], -v[204:205], v[206:207], 1.0
	v_fmac_f64_e32 v[206:207], v[206:207], v[210:211]
	v_fma_f64 v[210:211], -v[204:205], v[206:207], 1.0
	v_fmac_f64_e32 v[206:207], v[206:207], v[210:211]
	v_mul_f64 v[210:211], v[208:209], v[206:207]
	v_fma_f64 v[204:205], -v[204:205], v[210:211], v[208:209]
	v_div_fmas_f64 v[204:205], v[204:205], v[206:207], v[210:211]
	v_div_fixup_f64 v[202:203], v[204:205], v[202:203], 1.0
	ds_write_b64 v240, v[202:203]
.LBB79_104:
	s_or_b64 exec, exec, s[2:3]
	s_waitcnt lgkmcnt(0)
	s_barrier
	ds_read_b64 v[202:203], v240
	v_cmp_lt_u32_e32 vcc, 20, v242
	s_and_saveexec_b64 s[2:3], vcc
	s_cbranch_execz .LBB79_106
; %bb.105:
	ds_read2_b64 v[204:207], v241 offset0:21 offset1:22
	ds_read2_b64 v[208:211], v241 offset0:23 offset1:24
	s_waitcnt vmcnt(19) lgkmcnt(2)
	v_mul_f64 v[140:141], v[202:203], v[140:141]
	ds_read2_b64 v[212:215], v241 offset0:25 offset1:26
	s_waitcnt vmcnt(18) lgkmcnt(2)
	v_fma_f64 v[100:101], -v[140:141], v[204:205], v[100:101]
	s_waitcnt vmcnt(17)
	v_fma_f64 v[138:139], -v[140:141], v[206:207], v[138:139]
	ds_read2_b64 v[204:207], v241 offset0:27 offset1:28
	s_waitcnt vmcnt(16) lgkmcnt(2)
	v_fma_f64 v[98:99], -v[140:141], v[208:209], v[98:99]
	s_waitcnt vmcnt(15)
	v_fma_f64 v[136:137], -v[140:141], v[210:211], v[136:137]
	s_waitcnt vmcnt(14) lgkmcnt(1)
	v_fma_f64 v[96:97], -v[140:141], v[212:213], v[96:97]
	ds_read2_b64 v[208:211], v241 offset0:29 offset1:30
	s_waitcnt vmcnt(13)
	v_fma_f64 v[134:135], -v[140:141], v[214:215], v[134:135]
	ds_read2_b64 v[212:215], v241 offset0:31 offset1:32
	s_waitcnt vmcnt(12) lgkmcnt(2)
	v_fma_f64 v[94:95], -v[140:141], v[204:205], v[94:95]
	s_waitcnt vmcnt(11)
	v_fma_f64 v[132:133], -v[140:141], v[206:207], v[132:133]
	ds_read2_b64 v[204:207], v241 offset0:33 offset1:34
	s_waitcnt vmcnt(10) lgkmcnt(2)
	v_fma_f64 v[92:93], -v[140:141], v[208:209], v[92:93]
	;; [unrolled: 5-line block ×3, first 2 shown]
	s_waitcnt vmcnt(7)
	v_fma_f64 v[128:129], -v[140:141], v[214:215], v[128:129]
	s_waitcnt vmcnt(6) lgkmcnt(1)
	v_fma_f64 v[88:89], -v[140:141], v[204:205], v[88:89]
	ds_read2_b64 v[212:215], v241 offset0:37 offset1:38
	ds_read_b64 v[204:205], v241 offset:312
	s_waitcnt vmcnt(5)
	v_fma_f64 v[126:127], -v[140:141], v[206:207], v[126:127]
	s_waitcnt vmcnt(4) lgkmcnt(2)
	v_fma_f64 v[86:87], -v[140:141], v[208:209], v[86:87]
	s_waitcnt vmcnt(3)
	v_fma_f64 v[124:125], -v[140:141], v[210:211], v[124:125]
	s_waitcnt vmcnt(2) lgkmcnt(1)
	v_fma_f64 v[84:85], -v[140:141], v[212:213], v[84:85]
	;; [unrolled: 4-line block ×3, first 2 shown]
.LBB79_106:
	s_or_b64 exec, exec, s[2:3]
	v_cmp_eq_u32_e32 vcc, 21, v242
	s_waitcnt lgkmcnt(0)
	s_barrier
	s_and_saveexec_b64 s[2:3], vcc
	s_cbranch_execz .LBB79_109
; %bb.107:
	s_waitcnt vmcnt(17)
	v_mov_b32_e32 v204, v138
	v_mov_b32_e32 v205, v139
	s_waitcnt vmcnt(16)
	v_mov_b32_e32 v206, v98
	v_mov_b32_e32 v207, v99
	ds_write_b64 v240, v[100:101]
	ds_write2_b64 v241, v[204:205], v[206:207] offset0:22 offset1:23
	s_waitcnt vmcnt(15)
	v_mov_b32_e32 v204, v136
	v_mov_b32_e32 v205, v137
	s_waitcnt vmcnt(14)
	v_mov_b32_e32 v206, v96
	v_mov_b32_e32 v207, v97
	ds_write2_b64 v241, v[204:205], v[206:207] offset0:24 offset1:25
	s_waitcnt vmcnt(13)
	v_mov_b32_e32 v204, v134
	v_mov_b32_e32 v205, v135
	s_waitcnt vmcnt(12)
	v_mov_b32_e32 v206, v94
	v_mov_b32_e32 v207, v95
	;; [unrolled: 7-line block ×7, first 2 shown]
	ds_write2_b64 v241, v[204:205], v[206:207] offset0:36 offset1:37
	s_waitcnt vmcnt(1)
	v_mov_b32_e32 v204, v122
	v_mov_b32_e32 v205, v123
	s_waitcnt vmcnt(0)
	ds_write2_b64 v241, v[204:205], v[160:161] offset0:38 offset1:39
	ds_read_b64 v[204:205], v240
	s_waitcnt lgkmcnt(0)
	v_cmp_neq_f64_e32 vcc, 0, v[204:205]
	s_and_b64 exec, exec, vcc
	s_cbranch_execz .LBB79_109
; %bb.108:
	v_div_scale_f64 v[206:207], s[6:7], v[204:205], v[204:205], 1.0
	v_rcp_f64_e32 v[208:209], v[206:207]
	v_div_scale_f64 v[210:211], vcc, 1.0, v[204:205], 1.0
	v_fma_f64 v[212:213], -v[206:207], v[208:209], 1.0
	v_fmac_f64_e32 v[208:209], v[208:209], v[212:213]
	v_fma_f64 v[212:213], -v[206:207], v[208:209], 1.0
	v_fmac_f64_e32 v[208:209], v[208:209], v[212:213]
	v_mul_f64 v[212:213], v[210:211], v[208:209]
	v_fma_f64 v[206:207], -v[206:207], v[212:213], v[210:211]
	v_div_fmas_f64 v[206:207], v[206:207], v[208:209], v[212:213]
	v_div_fixup_f64 v[204:205], v[206:207], v[204:205], 1.0
	ds_write_b64 v240, v[204:205]
.LBB79_109:
	s_or_b64 exec, exec, s[2:3]
	s_waitcnt lgkmcnt(0)
	s_barrier
	ds_read_b64 v[204:205], v240
	v_cmp_lt_u32_e32 vcc, 21, v242
	s_and_saveexec_b64 s[2:3], vcc
	s_cbranch_execz .LBB79_111
; %bb.110:
	ds_read2_b64 v[206:209], v241 offset0:22 offset1:23
	ds_read2_b64 v[210:213], v241 offset0:24 offset1:25
	;; [unrolled: 1-line block ×3, first 2 shown]
	s_waitcnt vmcnt(18) lgkmcnt(3)
	v_mul_f64 v[100:101], v[204:205], v[100:101]
	s_waitcnt vmcnt(17) lgkmcnt(2)
	v_fma_f64 v[138:139], -v[100:101], v[206:207], v[138:139]
	s_waitcnt vmcnt(16)
	v_fma_f64 v[98:99], -v[100:101], v[208:209], v[98:99]
	ds_read2_b64 v[206:209], v241 offset0:28 offset1:29
	s_waitcnt vmcnt(15) lgkmcnt(2)
	v_fma_f64 v[136:137], -v[100:101], v[210:211], v[136:137]
	s_waitcnt vmcnt(14)
	v_fma_f64 v[96:97], -v[100:101], v[212:213], v[96:97]
	s_waitcnt vmcnt(13) lgkmcnt(1)
	v_fma_f64 v[134:135], -v[100:101], v[214:215], v[134:135]
	ds_read2_b64 v[210:213], v241 offset0:30 offset1:31
	s_waitcnt vmcnt(12)
	v_fma_f64 v[94:95], -v[100:101], v[216:217], v[94:95]
	ds_read2_b64 v[214:217], v241 offset0:32 offset1:33
	s_waitcnt vmcnt(11) lgkmcnt(2)
	v_fma_f64 v[132:133], -v[100:101], v[206:207], v[132:133]
	s_waitcnt vmcnt(10)
	v_fma_f64 v[92:93], -v[100:101], v[208:209], v[92:93]
	s_waitcnt vmcnt(9) lgkmcnt(1)
	v_fma_f64 v[130:131], -v[100:101], v[210:211], v[130:131]
	s_waitcnt vmcnt(8)
	v_fma_f64 v[90:91], -v[100:101], v[212:213], v[90:91]
	ds_read2_b64 v[206:209], v241 offset0:34 offset1:35
	ds_read2_b64 v[210:213], v241 offset0:36 offset1:37
	s_waitcnt vmcnt(7) lgkmcnt(2)
	v_fma_f64 v[128:129], -v[100:101], v[214:215], v[128:129]
	s_waitcnt vmcnt(6)
	v_fma_f64 v[88:89], -v[100:101], v[216:217], v[88:89]
	ds_read2_b64 v[214:217], v241 offset0:38 offset1:39
	s_waitcnt vmcnt(5) lgkmcnt(2)
	v_fma_f64 v[126:127], -v[100:101], v[206:207], v[126:127]
	s_waitcnt vmcnt(4)
	v_fma_f64 v[86:87], -v[100:101], v[208:209], v[86:87]
	s_waitcnt vmcnt(3) lgkmcnt(1)
	v_fma_f64 v[124:125], -v[100:101], v[210:211], v[124:125]
	s_waitcnt vmcnt(2)
	v_fma_f64 v[84:85], -v[100:101], v[212:213], v[84:85]
	;; [unrolled: 4-line block ×3, first 2 shown]
.LBB79_111:
	s_or_b64 exec, exec, s[2:3]
	v_cmp_eq_u32_e32 vcc, 22, v242
	s_waitcnt lgkmcnt(0)
	s_barrier
	s_and_saveexec_b64 s[2:3], vcc
	s_cbranch_execz .LBB79_114
; %bb.112:
	s_waitcnt vmcnt(17)
	ds_write_b64 v240, v[138:139]
	s_waitcnt vmcnt(15)
	ds_write2_b64 v241, v[98:99], v[136:137] offset0:23 offset1:24
	s_waitcnt vmcnt(13)
	ds_write2_b64 v241, v[96:97], v[134:135] offset0:25 offset1:26
	;; [unrolled: 2-line block ×8, first 2 shown]
	s_waitcnt vmcnt(0)
	ds_write_b64 v241, v[160:161] offset:312
	ds_read_b64 v[206:207], v240
	s_waitcnt lgkmcnt(0)
	v_cmp_neq_f64_e32 vcc, 0, v[206:207]
	s_and_b64 exec, exec, vcc
	s_cbranch_execz .LBB79_114
; %bb.113:
	v_div_scale_f64 v[208:209], s[6:7], v[206:207], v[206:207], 1.0
	v_rcp_f64_e32 v[210:211], v[208:209]
	v_div_scale_f64 v[212:213], vcc, 1.0, v[206:207], 1.0
	v_fma_f64 v[214:215], -v[208:209], v[210:211], 1.0
	v_fmac_f64_e32 v[210:211], v[210:211], v[214:215]
	v_fma_f64 v[214:215], -v[208:209], v[210:211], 1.0
	v_fmac_f64_e32 v[210:211], v[210:211], v[214:215]
	v_mul_f64 v[214:215], v[212:213], v[210:211]
	v_fma_f64 v[208:209], -v[208:209], v[214:215], v[212:213]
	v_div_fmas_f64 v[208:209], v[208:209], v[210:211], v[214:215]
	v_div_fixup_f64 v[206:207], v[208:209], v[206:207], 1.0
	ds_write_b64 v240, v[206:207]
.LBB79_114:
	s_or_b64 exec, exec, s[2:3]
	s_waitcnt lgkmcnt(0)
	s_barrier
	ds_read_b64 v[206:207], v240
	v_cmp_lt_u32_e32 vcc, 22, v242
	s_and_saveexec_b64 s[2:3], vcc
	s_cbranch_execz .LBB79_116
; %bb.115:
	ds_read2_b64 v[208:211], v241 offset0:23 offset1:24
	ds_read2_b64 v[212:215], v241 offset0:25 offset1:26
	;; [unrolled: 1-line block ×3, first 2 shown]
	s_waitcnt vmcnt(17) lgkmcnt(3)
	v_mul_f64 v[138:139], v[206:207], v[138:139]
	s_waitcnt vmcnt(16) lgkmcnt(2)
	v_fma_f64 v[98:99], -v[138:139], v[208:209], v[98:99]
	s_waitcnt vmcnt(15)
	v_fma_f64 v[136:137], -v[138:139], v[210:211], v[136:137]
	ds_read2_b64 v[208:211], v241 offset0:29 offset1:30
	s_waitcnt vmcnt(14) lgkmcnt(2)
	v_fma_f64 v[96:97], -v[138:139], v[212:213], v[96:97]
	s_waitcnt vmcnt(13)
	v_fma_f64 v[134:135], -v[138:139], v[214:215], v[134:135]
	s_waitcnt vmcnt(12) lgkmcnt(1)
	v_fma_f64 v[94:95], -v[138:139], v[216:217], v[94:95]
	ds_read2_b64 v[212:215], v241 offset0:31 offset1:32
	s_waitcnt vmcnt(11)
	v_fma_f64 v[132:133], -v[138:139], v[218:219], v[132:133]
	ds_read2_b64 v[216:219], v241 offset0:33 offset1:34
	s_waitcnt vmcnt(10) lgkmcnt(2)
	v_fma_f64 v[92:93], -v[138:139], v[208:209], v[92:93]
	s_waitcnt vmcnt(9)
	v_fma_f64 v[130:131], -v[138:139], v[210:211], v[130:131]
	s_waitcnt vmcnt(8) lgkmcnt(1)
	v_fma_f64 v[90:91], -v[138:139], v[212:213], v[90:91]
	s_waitcnt vmcnt(7)
	v_fma_f64 v[128:129], -v[138:139], v[214:215], v[128:129]
	ds_read2_b64 v[208:211], v241 offset0:35 offset1:36
	ds_read2_b64 v[212:215], v241 offset0:37 offset1:38
	s_waitcnt vmcnt(6) lgkmcnt(2)
	v_fma_f64 v[88:89], -v[138:139], v[216:217], v[88:89]
	ds_read_b64 v[216:217], v241 offset:312
	s_waitcnt vmcnt(5)
	v_fma_f64 v[126:127], -v[138:139], v[218:219], v[126:127]
	s_waitcnt vmcnt(4) lgkmcnt(2)
	v_fma_f64 v[86:87], -v[138:139], v[208:209], v[86:87]
	s_waitcnt vmcnt(3)
	v_fma_f64 v[124:125], -v[138:139], v[210:211], v[124:125]
	s_waitcnt vmcnt(2) lgkmcnt(1)
	v_fma_f64 v[84:85], -v[138:139], v[212:213], v[84:85]
	;; [unrolled: 4-line block ×3, first 2 shown]
.LBB79_116:
	s_or_b64 exec, exec, s[2:3]
	v_cmp_eq_u32_e32 vcc, 23, v242
	s_waitcnt lgkmcnt(0)
	s_barrier
	s_and_saveexec_b64 s[2:3], vcc
	s_cbranch_execz .LBB79_119
; %bb.117:
	s_waitcnt vmcnt(15)
	v_mov_b32_e32 v208, v136
	v_mov_b32_e32 v209, v137
	s_waitcnt vmcnt(14)
	v_mov_b32_e32 v210, v96
	v_mov_b32_e32 v211, v97
	ds_write_b64 v240, v[98:99]
	ds_write2_b64 v241, v[208:209], v[210:211] offset0:24 offset1:25
	s_waitcnt vmcnt(13)
	v_mov_b32_e32 v208, v134
	v_mov_b32_e32 v209, v135
	s_waitcnt vmcnt(12)
	v_mov_b32_e32 v210, v94
	v_mov_b32_e32 v211, v95
	ds_write2_b64 v241, v[208:209], v[210:211] offset0:26 offset1:27
	s_waitcnt vmcnt(11)
	v_mov_b32_e32 v208, v132
	v_mov_b32_e32 v209, v133
	s_waitcnt vmcnt(10)
	v_mov_b32_e32 v210, v92
	v_mov_b32_e32 v211, v93
	ds_write2_b64 v241, v[208:209], v[210:211] offset0:28 offset1:29
	s_waitcnt vmcnt(9)
	v_mov_b32_e32 v208, v130
	v_mov_b32_e32 v209, v131
	s_waitcnt vmcnt(8)
	v_mov_b32_e32 v210, v90
	v_mov_b32_e32 v211, v91
	ds_write2_b64 v241, v[208:209], v[210:211] offset0:30 offset1:31
	s_waitcnt vmcnt(7)
	v_mov_b32_e32 v208, v128
	v_mov_b32_e32 v209, v129
	s_waitcnt vmcnt(6)
	v_mov_b32_e32 v210, v88
	v_mov_b32_e32 v211, v89
	ds_write2_b64 v241, v[208:209], v[210:211] offset0:32 offset1:33
	s_waitcnt vmcnt(5)
	v_mov_b32_e32 v208, v126
	v_mov_b32_e32 v209, v127
	s_waitcnt vmcnt(4)
	v_mov_b32_e32 v210, v86
	v_mov_b32_e32 v211, v87
	ds_write2_b64 v241, v[208:209], v[210:211] offset0:34 offset1:35
	s_waitcnt vmcnt(3)
	v_mov_b32_e32 v208, v124
	v_mov_b32_e32 v209, v125
	s_waitcnt vmcnt(2)
	v_mov_b32_e32 v210, v84
	v_mov_b32_e32 v211, v85
	ds_write2_b64 v241, v[208:209], v[210:211] offset0:36 offset1:37
	s_waitcnt vmcnt(1)
	v_mov_b32_e32 v208, v122
	v_mov_b32_e32 v209, v123
	s_waitcnt vmcnt(0)
	ds_write2_b64 v241, v[208:209], v[160:161] offset0:38 offset1:39
	ds_read_b64 v[208:209], v240
	s_waitcnt lgkmcnt(0)
	v_cmp_neq_f64_e32 vcc, 0, v[208:209]
	s_and_b64 exec, exec, vcc
	s_cbranch_execz .LBB79_119
; %bb.118:
	v_div_scale_f64 v[210:211], s[6:7], v[208:209], v[208:209], 1.0
	v_rcp_f64_e32 v[212:213], v[210:211]
	v_div_scale_f64 v[214:215], vcc, 1.0, v[208:209], 1.0
	v_fma_f64 v[216:217], -v[210:211], v[212:213], 1.0
	v_fmac_f64_e32 v[212:213], v[212:213], v[216:217]
	v_fma_f64 v[216:217], -v[210:211], v[212:213], 1.0
	v_fmac_f64_e32 v[212:213], v[212:213], v[216:217]
	v_mul_f64 v[216:217], v[214:215], v[212:213]
	v_fma_f64 v[210:211], -v[210:211], v[216:217], v[214:215]
	v_div_fmas_f64 v[210:211], v[210:211], v[212:213], v[216:217]
	v_div_fixup_f64 v[208:209], v[210:211], v[208:209], 1.0
	ds_write_b64 v240, v[208:209]
.LBB79_119:
	s_or_b64 exec, exec, s[2:3]
	s_waitcnt lgkmcnt(0)
	s_barrier
	ds_read_b64 v[208:209], v240
	v_cmp_lt_u32_e32 vcc, 23, v242
	s_and_saveexec_b64 s[2:3], vcc
	s_cbranch_execz .LBB79_121
; %bb.120:
	ds_read2_b64 v[210:213], v241 offset0:24 offset1:25
	ds_read2_b64 v[214:217], v241 offset0:26 offset1:27
	s_waitcnt vmcnt(16) lgkmcnt(2)
	v_mul_f64 v[98:99], v[208:209], v[98:99]
	ds_read2_b64 v[218:221], v241 offset0:28 offset1:29
	s_waitcnt vmcnt(15) lgkmcnt(2)
	v_fma_f64 v[136:137], -v[98:99], v[210:211], v[136:137]
	s_waitcnt vmcnt(14)
	v_fma_f64 v[96:97], -v[98:99], v[212:213], v[96:97]
	ds_read2_b64 v[210:213], v241 offset0:30 offset1:31
	s_waitcnt vmcnt(13) lgkmcnt(2)
	v_fma_f64 v[134:135], -v[98:99], v[214:215], v[134:135]
	s_waitcnt vmcnt(12)
	v_fma_f64 v[94:95], -v[98:99], v[216:217], v[94:95]
	;; [unrolled: 5-line block ×3, first 2 shown]
	s_waitcnt vmcnt(9) lgkmcnt(1)
	v_fma_f64 v[130:131], -v[98:99], v[210:211], v[130:131]
	s_waitcnt vmcnt(8)
	v_fma_f64 v[90:91], -v[98:99], v[212:213], v[90:91]
	ds_read2_b64 v[210:213], v241 offset0:34 offset1:35
	s_waitcnt vmcnt(7) lgkmcnt(1)
	v_fma_f64 v[128:129], -v[98:99], v[214:215], v[128:129]
	ds_read2_b64 v[218:221], v241 offset0:36 offset1:37
	s_waitcnt vmcnt(6)
	v_fma_f64 v[88:89], -v[98:99], v[216:217], v[88:89]
	ds_read2_b64 v[214:217], v241 offset0:38 offset1:39
	s_waitcnt vmcnt(5) lgkmcnt(2)
	v_fma_f64 v[126:127], -v[98:99], v[210:211], v[126:127]
	s_waitcnt vmcnt(4)
	v_fma_f64 v[86:87], -v[98:99], v[212:213], v[86:87]
	s_waitcnt vmcnt(3) lgkmcnt(1)
	v_fma_f64 v[124:125], -v[98:99], v[218:219], v[124:125]
	s_waitcnt vmcnt(2)
	v_fma_f64 v[84:85], -v[98:99], v[220:221], v[84:85]
	s_waitcnt vmcnt(1) lgkmcnt(0)
	v_fma_f64 v[122:123], -v[98:99], v[214:215], v[122:123]
	s_waitcnt vmcnt(0)
	v_fma_f64 v[160:161], -v[98:99], v[216:217], v[160:161]
.LBB79_121:
	s_or_b64 exec, exec, s[2:3]
	v_cmp_eq_u32_e32 vcc, 24, v242
	s_waitcnt lgkmcnt(0)
	s_barrier
	s_and_saveexec_b64 s[2:3], vcc
	s_cbranch_execz .LBB79_124
; %bb.122:
	s_waitcnt vmcnt(15)
	ds_write_b64 v240, v[136:137]
	s_waitcnt vmcnt(13)
	ds_write2_b64 v241, v[96:97], v[134:135] offset0:25 offset1:26
	s_waitcnt vmcnt(11)
	ds_write2_b64 v241, v[94:95], v[132:133] offset0:27 offset1:28
	;; [unrolled: 2-line block ×7, first 2 shown]
	s_waitcnt vmcnt(0)
	ds_write_b64 v241, v[160:161] offset:312
	ds_read_b64 v[210:211], v240
	s_waitcnt lgkmcnt(0)
	v_cmp_neq_f64_e32 vcc, 0, v[210:211]
	s_and_b64 exec, exec, vcc
	s_cbranch_execz .LBB79_124
; %bb.123:
	v_div_scale_f64 v[212:213], s[6:7], v[210:211], v[210:211], 1.0
	v_rcp_f64_e32 v[214:215], v[212:213]
	v_div_scale_f64 v[216:217], vcc, 1.0, v[210:211], 1.0
	v_fma_f64 v[218:219], -v[212:213], v[214:215], 1.0
	v_fmac_f64_e32 v[214:215], v[214:215], v[218:219]
	v_fma_f64 v[218:219], -v[212:213], v[214:215], 1.0
	v_fmac_f64_e32 v[214:215], v[214:215], v[218:219]
	v_mul_f64 v[218:219], v[216:217], v[214:215]
	v_fma_f64 v[212:213], -v[212:213], v[218:219], v[216:217]
	v_div_fmas_f64 v[212:213], v[212:213], v[214:215], v[218:219]
	v_div_fixup_f64 v[210:211], v[212:213], v[210:211], 1.0
	ds_write_b64 v240, v[210:211]
.LBB79_124:
	s_or_b64 exec, exec, s[2:3]
	s_waitcnt lgkmcnt(0)
	s_barrier
	ds_read_b64 v[210:211], v240
	v_cmp_lt_u32_e32 vcc, 24, v242
	s_and_saveexec_b64 s[2:3], vcc
	s_cbranch_execz .LBB79_126
; %bb.125:
	ds_read2_b64 v[212:215], v241 offset0:25 offset1:26
	ds_read2_b64 v[216:219], v241 offset0:27 offset1:28
	s_waitcnt vmcnt(15) lgkmcnt(2)
	v_mul_f64 v[136:137], v[210:211], v[136:137]
	ds_read2_b64 v[220:223], v241 offset0:29 offset1:30
	s_waitcnt vmcnt(14) lgkmcnt(2)
	v_fma_f64 v[96:97], -v[136:137], v[212:213], v[96:97]
	s_waitcnt vmcnt(13)
	v_fma_f64 v[134:135], -v[136:137], v[214:215], v[134:135]
	ds_read2_b64 v[212:215], v241 offset0:31 offset1:32
	s_waitcnt vmcnt(12) lgkmcnt(2)
	v_fma_f64 v[94:95], -v[136:137], v[216:217], v[94:95]
	s_waitcnt vmcnt(11)
	v_fma_f64 v[132:133], -v[136:137], v[218:219], v[132:133]
	;; [unrolled: 5-line block ×3, first 2 shown]
	s_waitcnt vmcnt(8) lgkmcnt(1)
	v_fma_f64 v[90:91], -v[136:137], v[212:213], v[90:91]
	s_waitcnt vmcnt(7)
	v_fma_f64 v[128:129], -v[136:137], v[214:215], v[128:129]
	ds_read2_b64 v[212:215], v241 offset0:35 offset1:36
	s_waitcnt vmcnt(6) lgkmcnt(1)
	v_fma_f64 v[88:89], -v[136:137], v[216:217], v[88:89]
	ds_read2_b64 v[220:223], v241 offset0:37 offset1:38
	ds_read_b64 v[216:217], v241 offset:312
	s_waitcnt vmcnt(5)
	v_fma_f64 v[126:127], -v[136:137], v[218:219], v[126:127]
	s_waitcnt vmcnt(4) lgkmcnt(2)
	v_fma_f64 v[86:87], -v[136:137], v[212:213], v[86:87]
	s_waitcnt vmcnt(3)
	v_fma_f64 v[124:125], -v[136:137], v[214:215], v[124:125]
	s_waitcnt vmcnt(2) lgkmcnt(1)
	v_fma_f64 v[84:85], -v[136:137], v[220:221], v[84:85]
	;; [unrolled: 4-line block ×3, first 2 shown]
.LBB79_126:
	s_or_b64 exec, exec, s[2:3]
	v_cmp_eq_u32_e32 vcc, 25, v242
	s_waitcnt lgkmcnt(0)
	s_barrier
	s_and_saveexec_b64 s[2:3], vcc
	s_cbranch_execz .LBB79_129
; %bb.127:
	s_waitcnt vmcnt(13)
	v_mov_b32_e32 v212, v134
	v_mov_b32_e32 v213, v135
	s_waitcnt vmcnt(12)
	v_mov_b32_e32 v214, v94
	v_mov_b32_e32 v215, v95
	ds_write_b64 v240, v[96:97]
	ds_write2_b64 v241, v[212:213], v[214:215] offset0:26 offset1:27
	s_waitcnt vmcnt(11)
	v_mov_b32_e32 v212, v132
	v_mov_b32_e32 v213, v133
	s_waitcnt vmcnt(10)
	v_mov_b32_e32 v214, v92
	v_mov_b32_e32 v215, v93
	ds_write2_b64 v241, v[212:213], v[214:215] offset0:28 offset1:29
	s_waitcnt vmcnt(9)
	v_mov_b32_e32 v212, v130
	v_mov_b32_e32 v213, v131
	s_waitcnt vmcnt(8)
	v_mov_b32_e32 v214, v90
	v_mov_b32_e32 v215, v91
	;; [unrolled: 7-line block ×5, first 2 shown]
	ds_write2_b64 v241, v[212:213], v[214:215] offset0:36 offset1:37
	s_waitcnt vmcnt(1)
	v_mov_b32_e32 v212, v122
	v_mov_b32_e32 v213, v123
	s_waitcnt vmcnt(0)
	ds_write2_b64 v241, v[212:213], v[160:161] offset0:38 offset1:39
	ds_read_b64 v[212:213], v240
	s_waitcnt lgkmcnt(0)
	v_cmp_neq_f64_e32 vcc, 0, v[212:213]
	s_and_b64 exec, exec, vcc
	s_cbranch_execz .LBB79_129
; %bb.128:
	v_div_scale_f64 v[214:215], s[6:7], v[212:213], v[212:213], 1.0
	v_rcp_f64_e32 v[216:217], v[214:215]
	v_div_scale_f64 v[218:219], vcc, 1.0, v[212:213], 1.0
	v_fma_f64 v[220:221], -v[214:215], v[216:217], 1.0
	v_fmac_f64_e32 v[216:217], v[216:217], v[220:221]
	v_fma_f64 v[220:221], -v[214:215], v[216:217], 1.0
	v_fmac_f64_e32 v[216:217], v[216:217], v[220:221]
	v_mul_f64 v[220:221], v[218:219], v[216:217]
	v_fma_f64 v[214:215], -v[214:215], v[220:221], v[218:219]
	v_div_fmas_f64 v[214:215], v[214:215], v[216:217], v[220:221]
	v_div_fixup_f64 v[212:213], v[214:215], v[212:213], 1.0
	ds_write_b64 v240, v[212:213]
.LBB79_129:
	s_or_b64 exec, exec, s[2:3]
	s_waitcnt lgkmcnt(0)
	s_barrier
	ds_read_b64 v[212:213], v240
	v_cmp_lt_u32_e32 vcc, 25, v242
	s_and_saveexec_b64 s[2:3], vcc
	s_cbranch_execz .LBB79_131
; %bb.130:
	ds_read2_b64 v[214:217], v241 offset0:26 offset1:27
	ds_read2_b64 v[218:221], v241 offset0:28 offset1:29
	s_waitcnt vmcnt(14) lgkmcnt(2)
	v_mul_f64 v[96:97], v[212:213], v[96:97]
	ds_read2_b64 v[222:225], v241 offset0:30 offset1:31
	s_waitcnt vmcnt(13) lgkmcnt(2)
	v_fma_f64 v[134:135], -v[96:97], v[214:215], v[134:135]
	s_waitcnt vmcnt(12)
	v_fma_f64 v[94:95], -v[96:97], v[216:217], v[94:95]
	ds_read2_b64 v[214:217], v241 offset0:32 offset1:33
	s_waitcnt vmcnt(11) lgkmcnt(2)
	v_fma_f64 v[132:133], -v[96:97], v[218:219], v[132:133]
	s_waitcnt vmcnt(10)
	v_fma_f64 v[92:93], -v[96:97], v[220:221], v[92:93]
	s_waitcnt vmcnt(9) lgkmcnt(1)
	v_fma_f64 v[130:131], -v[96:97], v[222:223], v[130:131]
	s_waitcnt vmcnt(8)
	v_fma_f64 v[90:91], -v[96:97], v[224:225], v[90:91]
	ds_read2_b64 v[218:221], v241 offset0:34 offset1:35
	ds_read2_b64 v[222:225], v241 offset0:36 offset1:37
	s_waitcnt vmcnt(7) lgkmcnt(2)
	v_fma_f64 v[128:129], -v[96:97], v[214:215], v[128:129]
	s_waitcnt vmcnt(6)
	v_fma_f64 v[88:89], -v[96:97], v[216:217], v[88:89]
	ds_read2_b64 v[214:217], v241 offset0:38 offset1:39
	s_waitcnt vmcnt(5) lgkmcnt(2)
	v_fma_f64 v[126:127], -v[96:97], v[218:219], v[126:127]
	s_waitcnt vmcnt(4)
	v_fma_f64 v[86:87], -v[96:97], v[220:221], v[86:87]
	s_waitcnt vmcnt(3) lgkmcnt(1)
	v_fma_f64 v[124:125], -v[96:97], v[222:223], v[124:125]
	s_waitcnt vmcnt(2)
	v_fma_f64 v[84:85], -v[96:97], v[224:225], v[84:85]
	;; [unrolled: 4-line block ×3, first 2 shown]
.LBB79_131:
	s_or_b64 exec, exec, s[2:3]
	v_cmp_eq_u32_e32 vcc, 26, v242
	s_waitcnt lgkmcnt(0)
	s_barrier
	s_and_saveexec_b64 s[2:3], vcc
	s_cbranch_execz .LBB79_134
; %bb.132:
	s_waitcnt vmcnt(13)
	ds_write_b64 v240, v[134:135]
	s_waitcnt vmcnt(11)
	ds_write2_b64 v241, v[94:95], v[132:133] offset0:27 offset1:28
	s_waitcnt vmcnt(9)
	ds_write2_b64 v241, v[92:93], v[130:131] offset0:29 offset1:30
	;; [unrolled: 2-line block ×6, first 2 shown]
	s_waitcnt vmcnt(0)
	ds_write_b64 v241, v[160:161] offset:312
	ds_read_b64 v[214:215], v240
	s_waitcnt lgkmcnt(0)
	v_cmp_neq_f64_e32 vcc, 0, v[214:215]
	s_and_b64 exec, exec, vcc
	s_cbranch_execz .LBB79_134
; %bb.133:
	v_div_scale_f64 v[216:217], s[6:7], v[214:215], v[214:215], 1.0
	v_rcp_f64_e32 v[218:219], v[216:217]
	v_div_scale_f64 v[220:221], vcc, 1.0, v[214:215], 1.0
	v_fma_f64 v[222:223], -v[216:217], v[218:219], 1.0
	v_fmac_f64_e32 v[218:219], v[218:219], v[222:223]
	v_fma_f64 v[222:223], -v[216:217], v[218:219], 1.0
	v_fmac_f64_e32 v[218:219], v[218:219], v[222:223]
	v_mul_f64 v[222:223], v[220:221], v[218:219]
	v_fma_f64 v[216:217], -v[216:217], v[222:223], v[220:221]
	v_div_fmas_f64 v[216:217], v[216:217], v[218:219], v[222:223]
	v_div_fixup_f64 v[214:215], v[216:217], v[214:215], 1.0
	ds_write_b64 v240, v[214:215]
.LBB79_134:
	s_or_b64 exec, exec, s[2:3]
	s_waitcnt lgkmcnt(0)
	s_barrier
	ds_read_b64 v[214:215], v240
	v_cmp_lt_u32_e32 vcc, 26, v242
	s_and_saveexec_b64 s[2:3], vcc
	s_cbranch_execz .LBB79_136
; %bb.135:
	ds_read2_b64 v[216:219], v241 offset0:27 offset1:28
	ds_read2_b64 v[220:223], v241 offset0:29 offset1:30
	s_waitcnt vmcnt(13) lgkmcnt(2)
	v_mul_f64 v[134:135], v[214:215], v[134:135]
	ds_read2_b64 v[224:227], v241 offset0:31 offset1:32
	s_waitcnt vmcnt(12) lgkmcnt(2)
	v_fma_f64 v[94:95], -v[134:135], v[216:217], v[94:95]
	s_waitcnt vmcnt(11)
	v_fma_f64 v[132:133], -v[134:135], v[218:219], v[132:133]
	ds_read2_b64 v[216:219], v241 offset0:33 offset1:34
	s_waitcnt vmcnt(10) lgkmcnt(2)
	v_fma_f64 v[92:93], -v[134:135], v[220:221], v[92:93]
	s_waitcnt vmcnt(9)
	v_fma_f64 v[130:131], -v[134:135], v[222:223], v[130:131]
	s_waitcnt vmcnt(8) lgkmcnt(1)
	v_fma_f64 v[90:91], -v[134:135], v[224:225], v[90:91]
	s_waitcnt vmcnt(7)
	v_fma_f64 v[128:129], -v[134:135], v[226:227], v[128:129]
	ds_read2_b64 v[220:223], v241 offset0:35 offset1:36
	ds_read2_b64 v[224:227], v241 offset0:37 offset1:38
	s_waitcnt vmcnt(6) lgkmcnt(2)
	v_fma_f64 v[88:89], -v[134:135], v[216:217], v[88:89]
	ds_read_b64 v[216:217], v241 offset:312
	s_waitcnt vmcnt(5)
	v_fma_f64 v[126:127], -v[134:135], v[218:219], v[126:127]
	s_waitcnt vmcnt(4) lgkmcnt(2)
	v_fma_f64 v[86:87], -v[134:135], v[220:221], v[86:87]
	s_waitcnt vmcnt(3)
	v_fma_f64 v[124:125], -v[134:135], v[222:223], v[124:125]
	s_waitcnt vmcnt(2) lgkmcnt(1)
	v_fma_f64 v[84:85], -v[134:135], v[224:225], v[84:85]
	;; [unrolled: 4-line block ×3, first 2 shown]
.LBB79_136:
	s_or_b64 exec, exec, s[2:3]
	v_cmp_eq_u32_e32 vcc, 27, v242
	s_waitcnt lgkmcnt(0)
	s_barrier
	s_and_saveexec_b64 s[2:3], vcc
	s_cbranch_execz .LBB79_139
; %bb.137:
	s_waitcnt vmcnt(11)
	v_mov_b32_e32 v216, v132
	v_mov_b32_e32 v217, v133
	s_waitcnt vmcnt(10)
	v_mov_b32_e32 v218, v92
	v_mov_b32_e32 v219, v93
	ds_write_b64 v240, v[94:95]
	ds_write2_b64 v241, v[216:217], v[218:219] offset0:28 offset1:29
	s_waitcnt vmcnt(9)
	v_mov_b32_e32 v216, v130
	v_mov_b32_e32 v217, v131
	s_waitcnt vmcnt(8)
	v_mov_b32_e32 v218, v90
	v_mov_b32_e32 v219, v91
	ds_write2_b64 v241, v[216:217], v[218:219] offset0:30 offset1:31
	s_waitcnt vmcnt(7)
	v_mov_b32_e32 v216, v128
	v_mov_b32_e32 v217, v129
	s_waitcnt vmcnt(6)
	v_mov_b32_e32 v218, v88
	v_mov_b32_e32 v219, v89
	;; [unrolled: 7-line block ×4, first 2 shown]
	ds_write2_b64 v241, v[216:217], v[218:219] offset0:36 offset1:37
	s_waitcnt vmcnt(1)
	v_mov_b32_e32 v216, v122
	v_mov_b32_e32 v217, v123
	s_waitcnt vmcnt(0)
	ds_write2_b64 v241, v[216:217], v[160:161] offset0:38 offset1:39
	ds_read_b64 v[216:217], v240
	s_waitcnt lgkmcnt(0)
	v_cmp_neq_f64_e32 vcc, 0, v[216:217]
	s_and_b64 exec, exec, vcc
	s_cbranch_execz .LBB79_139
; %bb.138:
	v_div_scale_f64 v[218:219], s[6:7], v[216:217], v[216:217], 1.0
	v_rcp_f64_e32 v[220:221], v[218:219]
	v_div_scale_f64 v[222:223], vcc, 1.0, v[216:217], 1.0
	v_fma_f64 v[224:225], -v[218:219], v[220:221], 1.0
	v_fmac_f64_e32 v[220:221], v[220:221], v[224:225]
	v_fma_f64 v[224:225], -v[218:219], v[220:221], 1.0
	v_fmac_f64_e32 v[220:221], v[220:221], v[224:225]
	v_mul_f64 v[224:225], v[222:223], v[220:221]
	v_fma_f64 v[218:219], -v[218:219], v[224:225], v[222:223]
	v_div_fmas_f64 v[218:219], v[218:219], v[220:221], v[224:225]
	v_div_fixup_f64 v[216:217], v[218:219], v[216:217], 1.0
	ds_write_b64 v240, v[216:217]
.LBB79_139:
	s_or_b64 exec, exec, s[2:3]
	s_waitcnt lgkmcnt(0)
	s_barrier
	ds_read_b64 v[216:217], v240
	v_cmp_lt_u32_e32 vcc, 27, v242
	s_and_saveexec_b64 s[2:3], vcc
	s_cbranch_execz .LBB79_141
; %bb.140:
	ds_read2_b64 v[218:221], v241 offset0:28 offset1:29
	ds_read2_b64 v[222:225], v241 offset0:30 offset1:31
	;; [unrolled: 1-line block ×3, first 2 shown]
	s_waitcnt vmcnt(12) lgkmcnt(3)
	v_mul_f64 v[94:95], v[216:217], v[94:95]
	s_waitcnt vmcnt(11) lgkmcnt(2)
	v_fma_f64 v[132:133], -v[94:95], v[218:219], v[132:133]
	s_waitcnt vmcnt(10)
	v_fma_f64 v[92:93], -v[94:95], v[220:221], v[92:93]
	ds_read2_b64 v[218:221], v241 offset0:34 offset1:35
	s_waitcnt vmcnt(9) lgkmcnt(2)
	v_fma_f64 v[130:131], -v[94:95], v[222:223], v[130:131]
	s_waitcnt vmcnt(8)
	v_fma_f64 v[90:91], -v[94:95], v[224:225], v[90:91]
	s_waitcnt vmcnt(7) lgkmcnt(1)
	v_fma_f64 v[128:129], -v[94:95], v[226:227], v[128:129]
	ds_read2_b64 v[222:225], v241 offset0:36 offset1:37
	s_waitcnt vmcnt(6)
	v_fma_f64 v[88:89], -v[94:95], v[228:229], v[88:89]
	ds_read2_b64 v[226:229], v241 offset0:38 offset1:39
	s_waitcnt vmcnt(5) lgkmcnt(2)
	v_fma_f64 v[126:127], -v[94:95], v[218:219], v[126:127]
	s_waitcnt vmcnt(4)
	v_fma_f64 v[86:87], -v[94:95], v[220:221], v[86:87]
	s_waitcnt vmcnt(3) lgkmcnt(1)
	v_fma_f64 v[124:125], -v[94:95], v[222:223], v[124:125]
	s_waitcnt vmcnt(2)
	v_fma_f64 v[84:85], -v[94:95], v[224:225], v[84:85]
	;; [unrolled: 4-line block ×3, first 2 shown]
.LBB79_141:
	s_or_b64 exec, exec, s[2:3]
	v_cmp_eq_u32_e32 vcc, 28, v242
	s_waitcnt lgkmcnt(0)
	s_barrier
	s_and_saveexec_b64 s[2:3], vcc
	s_cbranch_execz .LBB79_144
; %bb.142:
	s_waitcnt vmcnt(11)
	ds_write_b64 v240, v[132:133]
	s_waitcnt vmcnt(9)
	ds_write2_b64 v241, v[92:93], v[130:131] offset0:29 offset1:30
	s_waitcnt vmcnt(7)
	ds_write2_b64 v241, v[90:91], v[128:129] offset0:31 offset1:32
	;; [unrolled: 2-line block ×5, first 2 shown]
	s_waitcnt vmcnt(0)
	ds_write_b64 v241, v[160:161] offset:312
	ds_read_b64 v[218:219], v240
	s_waitcnt lgkmcnt(0)
	v_cmp_neq_f64_e32 vcc, 0, v[218:219]
	s_and_b64 exec, exec, vcc
	s_cbranch_execz .LBB79_144
; %bb.143:
	v_div_scale_f64 v[220:221], s[6:7], v[218:219], v[218:219], 1.0
	v_rcp_f64_e32 v[222:223], v[220:221]
	v_div_scale_f64 v[224:225], vcc, 1.0, v[218:219], 1.0
	v_fma_f64 v[226:227], -v[220:221], v[222:223], 1.0
	v_fmac_f64_e32 v[222:223], v[222:223], v[226:227]
	v_fma_f64 v[226:227], -v[220:221], v[222:223], 1.0
	v_fmac_f64_e32 v[222:223], v[222:223], v[226:227]
	v_mul_f64 v[226:227], v[224:225], v[222:223]
	v_fma_f64 v[220:221], -v[220:221], v[226:227], v[224:225]
	v_div_fmas_f64 v[220:221], v[220:221], v[222:223], v[226:227]
	v_div_fixup_f64 v[218:219], v[220:221], v[218:219], 1.0
	ds_write_b64 v240, v[218:219]
.LBB79_144:
	s_or_b64 exec, exec, s[2:3]
	s_waitcnt lgkmcnt(0)
	s_barrier
	ds_read_b64 v[218:219], v240
	v_cmp_lt_u32_e32 vcc, 28, v242
	s_and_saveexec_b64 s[2:3], vcc
	s_cbranch_execz .LBB79_146
; %bb.145:
	ds_read2_b64 v[220:223], v241 offset0:29 offset1:30
	ds_read2_b64 v[224:227], v241 offset0:31 offset1:32
	;; [unrolled: 1-line block ×3, first 2 shown]
	s_waitcnt vmcnt(11) lgkmcnt(3)
	v_mul_f64 v[132:133], v[218:219], v[132:133]
	s_waitcnt vmcnt(10) lgkmcnt(2)
	v_fma_f64 v[92:93], -v[132:133], v[220:221], v[92:93]
	s_waitcnt vmcnt(9)
	v_fma_f64 v[130:131], -v[132:133], v[222:223], v[130:131]
	ds_read2_b64 v[220:223], v241 offset0:35 offset1:36
	s_waitcnt vmcnt(8) lgkmcnt(2)
	v_fma_f64 v[90:91], -v[132:133], v[224:225], v[90:91]
	s_waitcnt vmcnt(7)
	v_fma_f64 v[128:129], -v[132:133], v[226:227], v[128:129]
	s_waitcnt vmcnt(6) lgkmcnt(1)
	v_fma_f64 v[88:89], -v[132:133], v[228:229], v[88:89]
	ds_read2_b64 v[224:227], v241 offset0:37 offset1:38
	ds_read_b64 v[228:229], v241 offset:312
	s_waitcnt vmcnt(5)
	v_fma_f64 v[126:127], -v[132:133], v[230:231], v[126:127]
	s_waitcnt vmcnt(4) lgkmcnt(2)
	v_fma_f64 v[86:87], -v[132:133], v[220:221], v[86:87]
	s_waitcnt vmcnt(3)
	v_fma_f64 v[124:125], -v[132:133], v[222:223], v[124:125]
	s_waitcnt vmcnt(2) lgkmcnt(1)
	v_fma_f64 v[84:85], -v[132:133], v[224:225], v[84:85]
	;; [unrolled: 4-line block ×3, first 2 shown]
.LBB79_146:
	s_or_b64 exec, exec, s[2:3]
	v_cmp_eq_u32_e32 vcc, 29, v242
	s_waitcnt lgkmcnt(0)
	s_barrier
	s_and_saveexec_b64 s[2:3], vcc
	s_cbranch_execz .LBB79_149
; %bb.147:
	s_waitcnt vmcnt(9)
	v_mov_b32_e32 v220, v130
	v_mov_b32_e32 v221, v131
	s_waitcnt vmcnt(8)
	v_mov_b32_e32 v222, v90
	v_mov_b32_e32 v223, v91
	ds_write_b64 v240, v[92:93]
	ds_write2_b64 v241, v[220:221], v[222:223] offset0:30 offset1:31
	s_waitcnt vmcnt(7)
	v_mov_b32_e32 v220, v128
	v_mov_b32_e32 v221, v129
	s_waitcnt vmcnt(6)
	v_mov_b32_e32 v222, v88
	v_mov_b32_e32 v223, v89
	ds_write2_b64 v241, v[220:221], v[222:223] offset0:32 offset1:33
	s_waitcnt vmcnt(5)
	v_mov_b32_e32 v220, v126
	v_mov_b32_e32 v221, v127
	s_waitcnt vmcnt(4)
	v_mov_b32_e32 v222, v86
	v_mov_b32_e32 v223, v87
	;; [unrolled: 7-line block ×3, first 2 shown]
	ds_write2_b64 v241, v[220:221], v[222:223] offset0:36 offset1:37
	s_waitcnt vmcnt(1)
	v_mov_b32_e32 v220, v122
	v_mov_b32_e32 v221, v123
	s_waitcnt vmcnt(0)
	ds_write2_b64 v241, v[220:221], v[160:161] offset0:38 offset1:39
	ds_read_b64 v[220:221], v240
	s_waitcnt lgkmcnt(0)
	v_cmp_neq_f64_e32 vcc, 0, v[220:221]
	s_and_b64 exec, exec, vcc
	s_cbranch_execz .LBB79_149
; %bb.148:
	v_div_scale_f64 v[222:223], s[6:7], v[220:221], v[220:221], 1.0
	v_rcp_f64_e32 v[224:225], v[222:223]
	v_div_scale_f64 v[226:227], vcc, 1.0, v[220:221], 1.0
	v_fma_f64 v[228:229], -v[222:223], v[224:225], 1.0
	v_fmac_f64_e32 v[224:225], v[224:225], v[228:229]
	v_fma_f64 v[228:229], -v[222:223], v[224:225], 1.0
	v_fmac_f64_e32 v[224:225], v[224:225], v[228:229]
	v_mul_f64 v[228:229], v[226:227], v[224:225]
	v_fma_f64 v[222:223], -v[222:223], v[228:229], v[226:227]
	v_div_fmas_f64 v[222:223], v[222:223], v[224:225], v[228:229]
	v_div_fixup_f64 v[220:221], v[222:223], v[220:221], 1.0
	ds_write_b64 v240, v[220:221]
.LBB79_149:
	s_or_b64 exec, exec, s[2:3]
	s_waitcnt lgkmcnt(0)
	s_barrier
	ds_read_b64 v[220:221], v240
	v_cmp_lt_u32_e32 vcc, 29, v242
	s_and_saveexec_b64 s[2:3], vcc
	s_cbranch_execz .LBB79_151
; %bb.150:
	ds_read2_b64 v[222:225], v241 offset0:30 offset1:31
	ds_read2_b64 v[226:229], v241 offset0:32 offset1:33
	s_waitcnt vmcnt(10) lgkmcnt(2)
	v_mul_f64 v[92:93], v[220:221], v[92:93]
	ds_read2_b64 v[230:233], v241 offset0:36 offset1:37
	s_waitcnt vmcnt(9) lgkmcnt(2)
	v_fma_f64 v[130:131], -v[92:93], v[222:223], v[130:131]
	s_waitcnt vmcnt(8)
	v_fma_f64 v[90:91], -v[92:93], v[224:225], v[90:91]
	ds_read2_b64 v[222:225], v241 offset0:34 offset1:35
	s_waitcnt vmcnt(7) lgkmcnt(2)
	v_fma_f64 v[128:129], -v[92:93], v[226:227], v[128:129]
	s_waitcnt vmcnt(6)
	v_fma_f64 v[88:89], -v[92:93], v[228:229], v[88:89]
	ds_read2_b64 v[226:229], v241 offset0:38 offset1:39
	s_waitcnt vmcnt(3) lgkmcnt(2)
	v_fma_f64 v[124:125], -v[92:93], v[230:231], v[124:125]
	s_waitcnt lgkmcnt(1)
	v_fma_f64 v[126:127], -v[92:93], v[222:223], v[126:127]
	v_fma_f64 v[86:87], -v[92:93], v[224:225], v[86:87]
	s_waitcnt vmcnt(2)
	v_fma_f64 v[84:85], -v[92:93], v[232:233], v[84:85]
	s_waitcnt vmcnt(1) lgkmcnt(0)
	v_fma_f64 v[122:123], -v[92:93], v[226:227], v[122:123]
	s_waitcnt vmcnt(0)
	v_fma_f64 v[160:161], -v[92:93], v[228:229], v[160:161]
.LBB79_151:
	s_or_b64 exec, exec, s[2:3]
	v_cmp_eq_u32_e32 vcc, 30, v242
	s_waitcnt lgkmcnt(0)
	s_barrier
	s_and_saveexec_b64 s[2:3], vcc
	s_cbranch_execz .LBB79_154
; %bb.152:
	s_waitcnt vmcnt(9)
	ds_write_b64 v240, v[130:131]
	s_waitcnt vmcnt(7)
	ds_write2_b64 v241, v[90:91], v[128:129] offset0:31 offset1:32
	s_waitcnt vmcnt(5)
	ds_write2_b64 v241, v[88:89], v[126:127] offset0:33 offset1:34
	;; [unrolled: 2-line block ×4, first 2 shown]
	s_waitcnt vmcnt(0)
	ds_write_b64 v241, v[160:161] offset:312
	ds_read_b64 v[222:223], v240
	s_waitcnt lgkmcnt(0)
	v_cmp_neq_f64_e32 vcc, 0, v[222:223]
	s_and_b64 exec, exec, vcc
	s_cbranch_execz .LBB79_154
; %bb.153:
	v_div_scale_f64 v[224:225], s[6:7], v[222:223], v[222:223], 1.0
	v_rcp_f64_e32 v[226:227], v[224:225]
	v_div_scale_f64 v[228:229], vcc, 1.0, v[222:223], 1.0
	v_fma_f64 v[230:231], -v[224:225], v[226:227], 1.0
	v_fmac_f64_e32 v[226:227], v[226:227], v[230:231]
	v_fma_f64 v[230:231], -v[224:225], v[226:227], 1.0
	v_fmac_f64_e32 v[226:227], v[226:227], v[230:231]
	v_mul_f64 v[230:231], v[228:229], v[226:227]
	v_fma_f64 v[224:225], -v[224:225], v[230:231], v[228:229]
	v_div_fmas_f64 v[224:225], v[224:225], v[226:227], v[230:231]
	v_div_fixup_f64 v[222:223], v[224:225], v[222:223], 1.0
	ds_write_b64 v240, v[222:223]
.LBB79_154:
	s_or_b64 exec, exec, s[2:3]
	s_waitcnt lgkmcnt(0)
	s_barrier
	ds_read_b64 v[222:223], v240
	v_cmp_lt_u32_e32 vcc, 30, v242
	s_and_saveexec_b64 s[2:3], vcc
	s_cbranch_execz .LBB79_156
; %bb.155:
	ds_read2_b64 v[224:227], v241 offset0:31 offset1:32
	ds_read2_b64 v[228:231], v241 offset0:33 offset1:34
	s_waitcnt vmcnt(9) lgkmcnt(2)
	v_mul_f64 v[130:131], v[222:223], v[130:131]
	ds_read2_b64 v[232:235], v241 offset0:37 offset1:38
	s_waitcnt vmcnt(8) lgkmcnt(2)
	v_fma_f64 v[90:91], -v[130:131], v[224:225], v[90:91]
	s_waitcnt vmcnt(7)
	v_fma_f64 v[128:129], -v[130:131], v[226:227], v[128:129]
	ds_read2_b64 v[224:227], v241 offset0:35 offset1:36
	s_waitcnt vmcnt(6) lgkmcnt(2)
	v_fma_f64 v[88:89], -v[130:131], v[228:229], v[88:89]
	ds_read_b64 v[228:229], v241 offset:312
	s_waitcnt vmcnt(5)
	v_fma_f64 v[126:127], -v[130:131], v[230:231], v[126:127]
	s_waitcnt vmcnt(2) lgkmcnt(2)
	v_fma_f64 v[84:85], -v[130:131], v[232:233], v[84:85]
	s_waitcnt lgkmcnt(1)
	v_fma_f64 v[86:87], -v[130:131], v[224:225], v[86:87]
	v_fma_f64 v[124:125], -v[130:131], v[226:227], v[124:125]
	s_waitcnt vmcnt(1)
	v_fma_f64 v[122:123], -v[130:131], v[234:235], v[122:123]
	s_waitcnt vmcnt(0) lgkmcnt(0)
	v_fma_f64 v[160:161], -v[130:131], v[228:229], v[160:161]
.LBB79_156:
	s_or_b64 exec, exec, s[2:3]
	v_cmp_eq_u32_e32 vcc, 31, v242
	s_waitcnt lgkmcnt(0)
	s_barrier
	s_and_saveexec_b64 s[2:3], vcc
	s_cbranch_execz .LBB79_159
; %bb.157:
	s_waitcnt vmcnt(7)
	v_mov_b32_e32 v224, v128
	v_mov_b32_e32 v225, v129
	s_waitcnt vmcnt(6)
	v_mov_b32_e32 v226, v88
	v_mov_b32_e32 v227, v89
	ds_write_b64 v240, v[90:91]
	ds_write2_b64 v241, v[224:225], v[226:227] offset0:32 offset1:33
	s_waitcnt vmcnt(5)
	v_mov_b32_e32 v224, v126
	v_mov_b32_e32 v225, v127
	s_waitcnt vmcnt(4)
	v_mov_b32_e32 v226, v86
	v_mov_b32_e32 v227, v87
	ds_write2_b64 v241, v[224:225], v[226:227] offset0:34 offset1:35
	s_waitcnt vmcnt(3)
	v_mov_b32_e32 v224, v124
	v_mov_b32_e32 v225, v125
	s_waitcnt vmcnt(2)
	v_mov_b32_e32 v226, v84
	v_mov_b32_e32 v227, v85
	ds_write2_b64 v241, v[224:225], v[226:227] offset0:36 offset1:37
	s_waitcnt vmcnt(1)
	v_mov_b32_e32 v224, v122
	v_mov_b32_e32 v225, v123
	s_waitcnt vmcnt(0)
	ds_write2_b64 v241, v[224:225], v[160:161] offset0:38 offset1:39
	ds_read_b64 v[224:225], v240
	s_waitcnt lgkmcnt(0)
	v_cmp_neq_f64_e32 vcc, 0, v[224:225]
	s_and_b64 exec, exec, vcc
	s_cbranch_execz .LBB79_159
; %bb.158:
	v_div_scale_f64 v[226:227], s[6:7], v[224:225], v[224:225], 1.0
	v_rcp_f64_e32 v[228:229], v[226:227]
	v_div_scale_f64 v[230:231], vcc, 1.0, v[224:225], 1.0
	v_fma_f64 v[232:233], -v[226:227], v[228:229], 1.0
	v_fmac_f64_e32 v[228:229], v[228:229], v[232:233]
	v_fma_f64 v[232:233], -v[226:227], v[228:229], 1.0
	v_fmac_f64_e32 v[228:229], v[228:229], v[232:233]
	v_mul_f64 v[232:233], v[230:231], v[228:229]
	v_fma_f64 v[226:227], -v[226:227], v[232:233], v[230:231]
	v_div_fmas_f64 v[226:227], v[226:227], v[228:229], v[232:233]
	v_div_fixup_f64 v[224:225], v[226:227], v[224:225], 1.0
	ds_write_b64 v240, v[224:225]
.LBB79_159:
	s_or_b64 exec, exec, s[2:3]
	s_waitcnt lgkmcnt(0)
	s_barrier
	ds_read_b64 v[224:225], v240
	v_cmp_lt_u32_e32 vcc, 31, v242
	s_and_saveexec_b64 s[2:3], vcc
	s_cbranch_execz .LBB79_161
; %bb.160:
	ds_read2_b64 v[226:229], v241 offset0:32 offset1:33
	ds_read2_b64 v[230:233], v241 offset0:34 offset1:35
	s_waitcnt vmcnt(8) lgkmcnt(2)
	v_mul_f64 v[90:91], v[224:225], v[90:91]
	ds_read2_b64 v[234:237], v241 offset0:36 offset1:37
	s_waitcnt vmcnt(7) lgkmcnt(2)
	v_fma_f64 v[128:129], -v[90:91], v[226:227], v[128:129]
	s_waitcnt vmcnt(6)
	v_fma_f64 v[88:89], -v[90:91], v[228:229], v[88:89]
	ds_read2_b64 v[226:229], v241 offset0:38 offset1:39
	s_waitcnt vmcnt(5) lgkmcnt(2)
	v_fma_f64 v[126:127], -v[90:91], v[230:231], v[126:127]
	s_waitcnt vmcnt(4)
	v_fma_f64 v[86:87], -v[90:91], v[232:233], v[86:87]
	s_waitcnt vmcnt(3) lgkmcnt(1)
	v_fma_f64 v[124:125], -v[90:91], v[234:235], v[124:125]
	s_waitcnt vmcnt(2)
	v_fma_f64 v[84:85], -v[90:91], v[236:237], v[84:85]
	s_waitcnt vmcnt(1) lgkmcnt(0)
	v_fma_f64 v[122:123], -v[90:91], v[226:227], v[122:123]
	s_waitcnt vmcnt(0)
	v_fma_f64 v[160:161], -v[90:91], v[228:229], v[160:161]
.LBB79_161:
	s_or_b64 exec, exec, s[2:3]
	v_cmp_eq_u32_e32 vcc, 32, v242
	s_waitcnt lgkmcnt(0)
	s_barrier
	s_and_saveexec_b64 s[2:3], vcc
	s_cbranch_execz .LBB79_164
; %bb.162:
	s_waitcnt vmcnt(7)
	ds_write_b64 v240, v[128:129]
	s_waitcnt vmcnt(5)
	ds_write2_b64 v241, v[88:89], v[126:127] offset0:33 offset1:34
	s_waitcnt vmcnt(3)
	ds_write2_b64 v241, v[86:87], v[124:125] offset0:35 offset1:36
	;; [unrolled: 2-line block ×3, first 2 shown]
	s_waitcnt vmcnt(0)
	ds_write_b64 v241, v[160:161] offset:312
	ds_read_b64 v[226:227], v240
	s_waitcnt lgkmcnt(0)
	v_cmp_neq_f64_e32 vcc, 0, v[226:227]
	s_and_b64 exec, exec, vcc
	s_cbranch_execz .LBB79_164
; %bb.163:
	v_div_scale_f64 v[228:229], s[6:7], v[226:227], v[226:227], 1.0
	v_rcp_f64_e32 v[230:231], v[228:229]
	v_div_scale_f64 v[232:233], vcc, 1.0, v[226:227], 1.0
	v_fma_f64 v[234:235], -v[228:229], v[230:231], 1.0
	v_fmac_f64_e32 v[230:231], v[230:231], v[234:235]
	v_fma_f64 v[234:235], -v[228:229], v[230:231], 1.0
	v_fmac_f64_e32 v[230:231], v[230:231], v[234:235]
	v_mul_f64 v[234:235], v[232:233], v[230:231]
	v_fma_f64 v[228:229], -v[228:229], v[234:235], v[232:233]
	v_div_fmas_f64 v[228:229], v[228:229], v[230:231], v[234:235]
	v_div_fixup_f64 v[226:227], v[228:229], v[226:227], 1.0
	ds_write_b64 v240, v[226:227]
.LBB79_164:
	s_or_b64 exec, exec, s[2:3]
	s_waitcnt lgkmcnt(0)
	s_barrier
	ds_read_b64 v[226:227], v240
	v_cmp_lt_u32_e32 vcc, 32, v242
	s_and_saveexec_b64 s[2:3], vcc
	s_cbranch_execz .LBB79_166
; %bb.165:
	ds_read2_b64 v[228:231], v241 offset0:33 offset1:34
	ds_read2_b64 v[232:235], v241 offset0:35 offset1:36
	s_waitcnt vmcnt(7) lgkmcnt(2)
	v_mul_f64 v[128:129], v[226:227], v[128:129]
	ds_read2_b64 v[236:239], v241 offset0:37 offset1:38
	s_waitcnt vmcnt(6) lgkmcnt(2)
	v_fma_f64 v[88:89], -v[128:129], v[228:229], v[88:89]
	ds_read_b64 v[228:229], v241 offset:312
	s_waitcnt vmcnt(5)
	v_fma_f64 v[126:127], -v[128:129], v[230:231], v[126:127]
	s_waitcnt vmcnt(4) lgkmcnt(2)
	v_fma_f64 v[86:87], -v[128:129], v[232:233], v[86:87]
	s_waitcnt vmcnt(3)
	v_fma_f64 v[124:125], -v[128:129], v[234:235], v[124:125]
	s_waitcnt vmcnt(2) lgkmcnt(1)
	v_fma_f64 v[84:85], -v[128:129], v[236:237], v[84:85]
	;; [unrolled: 4-line block ×3, first 2 shown]
.LBB79_166:
	s_or_b64 exec, exec, s[2:3]
	v_cmp_eq_u32_e32 vcc, 33, v242
	s_waitcnt lgkmcnt(0)
	s_barrier
	s_and_saveexec_b64 s[2:3], vcc
	s_cbranch_execz .LBB79_169
; %bb.167:
	s_waitcnt vmcnt(5)
	v_mov_b32_e32 v228, v126
	v_mov_b32_e32 v229, v127
	s_waitcnt vmcnt(4)
	v_mov_b32_e32 v230, v86
	v_mov_b32_e32 v231, v87
	ds_write_b64 v240, v[88:89]
	ds_write2_b64 v241, v[228:229], v[230:231] offset0:34 offset1:35
	s_waitcnt vmcnt(3)
	v_mov_b32_e32 v228, v124
	v_mov_b32_e32 v229, v125
	s_waitcnt vmcnt(2)
	v_mov_b32_e32 v230, v84
	v_mov_b32_e32 v231, v85
	ds_write2_b64 v241, v[228:229], v[230:231] offset0:36 offset1:37
	s_waitcnt vmcnt(1)
	v_mov_b32_e32 v228, v122
	v_mov_b32_e32 v229, v123
	s_waitcnt vmcnt(0)
	ds_write2_b64 v241, v[228:229], v[160:161] offset0:38 offset1:39
	ds_read_b64 v[228:229], v240
	s_waitcnt lgkmcnt(0)
	v_cmp_neq_f64_e32 vcc, 0, v[228:229]
	s_and_b64 exec, exec, vcc
	s_cbranch_execz .LBB79_169
; %bb.168:
	v_div_scale_f64 v[230:231], s[6:7], v[228:229], v[228:229], 1.0
	v_rcp_f64_e32 v[232:233], v[230:231]
	v_div_scale_f64 v[234:235], vcc, 1.0, v[228:229], 1.0
	v_fma_f64 v[236:237], -v[230:231], v[232:233], 1.0
	v_fmac_f64_e32 v[232:233], v[232:233], v[236:237]
	v_fma_f64 v[236:237], -v[230:231], v[232:233], 1.0
	v_fmac_f64_e32 v[232:233], v[232:233], v[236:237]
	v_mul_f64 v[236:237], v[234:235], v[232:233]
	v_fma_f64 v[230:231], -v[230:231], v[236:237], v[234:235]
	v_div_fmas_f64 v[230:231], v[230:231], v[232:233], v[236:237]
	v_div_fixup_f64 v[228:229], v[230:231], v[228:229], 1.0
	ds_write_b64 v240, v[228:229]
.LBB79_169:
	s_or_b64 exec, exec, s[2:3]
	s_waitcnt lgkmcnt(0)
	s_barrier
	ds_read_b64 v[228:229], v240
	v_cmp_lt_u32_e32 vcc, 33, v242
	s_and_saveexec_b64 s[2:3], vcc
	s_cbranch_execz .LBB79_171
; %bb.170:
	ds_read2_b64 v[230:233], v241 offset0:34 offset1:35
	ds_read2_b64 v[234:237], v241 offset0:36 offset1:37
	;; [unrolled: 1-line block ×3, first 2 shown]
	s_waitcnt vmcnt(6) lgkmcnt(3)
	v_mul_f64 v[88:89], v[228:229], v[88:89]
	s_waitcnt vmcnt(5) lgkmcnt(2)
	v_fma_f64 v[126:127], -v[88:89], v[230:231], v[126:127]
	s_waitcnt vmcnt(4)
	v_fma_f64 v[86:87], -v[88:89], v[232:233], v[86:87]
	s_waitcnt vmcnt(3) lgkmcnt(1)
	v_fma_f64 v[124:125], -v[88:89], v[234:235], v[124:125]
	s_waitcnt vmcnt(2)
	v_fma_f64 v[84:85], -v[88:89], v[236:237], v[84:85]
	;; [unrolled: 4-line block ×3, first 2 shown]
.LBB79_171:
	s_or_b64 exec, exec, s[2:3]
	v_cmp_eq_u32_e32 vcc, 34, v242
	s_waitcnt lgkmcnt(0)
	s_barrier
	s_and_saveexec_b64 s[2:3], vcc
	s_cbranch_execz .LBB79_174
; %bb.172:
	s_waitcnt vmcnt(5)
	ds_write_b64 v240, v[126:127]
	s_waitcnt vmcnt(3)
	ds_write2_b64 v241, v[86:87], v[124:125] offset0:35 offset1:36
	s_waitcnt vmcnt(1)
	ds_write2_b64 v241, v[84:85], v[122:123] offset0:37 offset1:38
	s_waitcnt vmcnt(0)
	ds_write_b64 v241, v[160:161] offset:312
	ds_read_b64 v[230:231], v240
	s_waitcnt lgkmcnt(0)
	v_cmp_neq_f64_e32 vcc, 0, v[230:231]
	s_and_b64 exec, exec, vcc
	s_cbranch_execz .LBB79_174
; %bb.173:
	v_div_scale_f64 v[232:233], s[6:7], v[230:231], v[230:231], 1.0
	v_rcp_f64_e32 v[234:235], v[232:233]
	v_div_scale_f64 v[236:237], vcc, 1.0, v[230:231], 1.0
	v_fma_f64 v[238:239], -v[232:233], v[234:235], 1.0
	v_fmac_f64_e32 v[234:235], v[234:235], v[238:239]
	v_fma_f64 v[238:239], -v[232:233], v[234:235], 1.0
	v_fmac_f64_e32 v[234:235], v[234:235], v[238:239]
	v_mul_f64 v[238:239], v[236:237], v[234:235]
	v_fma_f64 v[232:233], -v[232:233], v[238:239], v[236:237]
	v_div_fmas_f64 v[232:233], v[232:233], v[234:235], v[238:239]
	v_div_fixup_f64 v[230:231], v[232:233], v[230:231], 1.0
	ds_write_b64 v240, v[230:231]
.LBB79_174:
	s_or_b64 exec, exec, s[2:3]
	s_waitcnt lgkmcnt(0)
	s_barrier
	ds_read_b64 v[230:231], v240
	v_cmp_lt_u32_e32 vcc, 34, v242
	s_and_saveexec_b64 s[2:3], vcc
	s_cbranch_execz .LBB79_176
; %bb.175:
	ds_read2_b64 v[232:235], v241 offset0:35 offset1:36
	ds_read2_b64 v[236:239], v241 offset0:37 offset1:38
	ds_read_b64 v[244:245], v241 offset:312
	s_waitcnt vmcnt(5) lgkmcnt(3)
	v_mul_f64 v[126:127], v[230:231], v[126:127]
	s_waitcnt vmcnt(4) lgkmcnt(2)
	v_fma_f64 v[86:87], -v[126:127], v[232:233], v[86:87]
	s_waitcnt vmcnt(3)
	v_fma_f64 v[124:125], -v[126:127], v[234:235], v[124:125]
	s_waitcnt vmcnt(2) lgkmcnt(1)
	v_fma_f64 v[84:85], -v[126:127], v[236:237], v[84:85]
	s_waitcnt vmcnt(1)
	v_fma_f64 v[122:123], -v[126:127], v[238:239], v[122:123]
	s_waitcnt vmcnt(0) lgkmcnt(0)
	v_fma_f64 v[160:161], -v[126:127], v[244:245], v[160:161]
.LBB79_176:
	s_or_b64 exec, exec, s[2:3]
	v_cmp_eq_u32_e32 vcc, 35, v242
	s_waitcnt lgkmcnt(0)
	s_barrier
	s_and_saveexec_b64 s[2:3], vcc
	s_cbranch_execz .LBB79_179
; %bb.177:
	s_waitcnt vmcnt(3)
	v_mov_b32_e32 v232, v124
	v_mov_b32_e32 v233, v125
	s_waitcnt vmcnt(2)
	v_mov_b32_e32 v234, v84
	v_mov_b32_e32 v235, v85
	ds_write_b64 v240, v[86:87]
	ds_write2_b64 v241, v[232:233], v[234:235] offset0:36 offset1:37
	s_waitcnt vmcnt(1)
	v_mov_b32_e32 v232, v122
	v_mov_b32_e32 v233, v123
	s_waitcnt vmcnt(0)
	ds_write2_b64 v241, v[232:233], v[160:161] offset0:38 offset1:39
	ds_read_b64 v[232:233], v240
	s_waitcnt lgkmcnt(0)
	v_cmp_neq_f64_e32 vcc, 0, v[232:233]
	s_and_b64 exec, exec, vcc
	s_cbranch_execz .LBB79_179
; %bb.178:
	v_div_scale_f64 v[234:235], s[6:7], v[232:233], v[232:233], 1.0
	v_rcp_f64_e32 v[236:237], v[234:235]
	v_div_scale_f64 v[238:239], vcc, 1.0, v[232:233], 1.0
	v_fma_f64 v[244:245], -v[234:235], v[236:237], 1.0
	v_fmac_f64_e32 v[236:237], v[236:237], v[244:245]
	v_fma_f64 v[244:245], -v[234:235], v[236:237], 1.0
	v_fmac_f64_e32 v[236:237], v[236:237], v[244:245]
	v_mul_f64 v[244:245], v[238:239], v[236:237]
	v_fma_f64 v[234:235], -v[234:235], v[244:245], v[238:239]
	v_div_fmas_f64 v[234:235], v[234:235], v[236:237], v[244:245]
	v_div_fixup_f64 v[232:233], v[234:235], v[232:233], 1.0
	ds_write_b64 v240, v[232:233]
.LBB79_179:
	s_or_b64 exec, exec, s[2:3]
	s_waitcnt lgkmcnt(0)
	s_barrier
	ds_read_b64 v[232:233], v240
	v_cmp_lt_u32_e32 vcc, 35, v242
	s_and_saveexec_b64 s[2:3], vcc
	s_cbranch_execz .LBB79_181
; %bb.180:
	ds_read2_b64 v[234:237], v241 offset0:36 offset1:37
	ds_read2_b64 v[244:247], v241 offset0:38 offset1:39
	s_waitcnt vmcnt(4) lgkmcnt(2)
	v_mul_f64 v[86:87], v[232:233], v[86:87]
	s_waitcnt vmcnt(3) lgkmcnt(1)
	v_fma_f64 v[124:125], -v[86:87], v[234:235], v[124:125]
	s_waitcnt vmcnt(2)
	v_fma_f64 v[84:85], -v[86:87], v[236:237], v[84:85]
	s_waitcnt vmcnt(1) lgkmcnt(0)
	v_fma_f64 v[122:123], -v[86:87], v[244:245], v[122:123]
	s_waitcnt vmcnt(0)
	v_fma_f64 v[160:161], -v[86:87], v[246:247], v[160:161]
.LBB79_181:
	s_or_b64 exec, exec, s[2:3]
	v_cmp_eq_u32_e32 vcc, 36, v242
	s_waitcnt lgkmcnt(0)
	s_barrier
	s_and_saveexec_b64 s[2:3], vcc
	s_cbranch_execz .LBB79_184
; %bb.182:
	s_waitcnt vmcnt(3)
	ds_write_b64 v240, v[124:125]
	s_waitcnt vmcnt(1)
	ds_write2_b64 v241, v[84:85], v[122:123] offset0:37 offset1:38
	s_waitcnt vmcnt(0)
	ds_write_b64 v241, v[160:161] offset:312
	ds_read_b64 v[234:235], v240
	s_waitcnt lgkmcnt(0)
	v_cmp_neq_f64_e32 vcc, 0, v[234:235]
	s_and_b64 exec, exec, vcc
	s_cbranch_execz .LBB79_184
; %bb.183:
	v_div_scale_f64 v[236:237], s[6:7], v[234:235], v[234:235], 1.0
	v_rcp_f64_e32 v[238:239], v[236:237]
	v_div_scale_f64 v[244:245], vcc, 1.0, v[234:235], 1.0
	v_fma_f64 v[246:247], -v[236:237], v[238:239], 1.0
	v_fmac_f64_e32 v[238:239], v[238:239], v[246:247]
	v_fma_f64 v[246:247], -v[236:237], v[238:239], 1.0
	v_fmac_f64_e32 v[238:239], v[238:239], v[246:247]
	v_mul_f64 v[246:247], v[244:245], v[238:239]
	v_fma_f64 v[236:237], -v[236:237], v[246:247], v[244:245]
	v_div_fmas_f64 v[236:237], v[236:237], v[238:239], v[246:247]
	v_div_fixup_f64 v[234:235], v[236:237], v[234:235], 1.0
	ds_write_b64 v240, v[234:235]
.LBB79_184:
	s_or_b64 exec, exec, s[2:3]
	s_waitcnt lgkmcnt(0)
	s_barrier
	ds_read_b64 v[234:235], v240
	v_cmp_lt_u32_e32 vcc, 36, v242
	s_and_saveexec_b64 s[2:3], vcc
	s_cbranch_execz .LBB79_186
; %bb.185:
	ds_read2_b64 v[236:239], v241 offset0:37 offset1:38
	ds_read_b64 v[244:245], v241 offset:312
	s_waitcnt vmcnt(3) lgkmcnt(2)
	v_mul_f64 v[124:125], v[234:235], v[124:125]
	s_waitcnt vmcnt(2) lgkmcnt(1)
	v_fma_f64 v[84:85], -v[124:125], v[236:237], v[84:85]
	s_waitcnt vmcnt(1)
	v_fma_f64 v[122:123], -v[124:125], v[238:239], v[122:123]
	s_waitcnt vmcnt(0) lgkmcnt(0)
	v_fma_f64 v[160:161], -v[124:125], v[244:245], v[160:161]
.LBB79_186:
	s_or_b64 exec, exec, s[2:3]
	v_cmp_eq_u32_e32 vcc, 37, v242
	s_waitcnt lgkmcnt(0)
	s_barrier
	s_and_saveexec_b64 s[2:3], vcc
	s_cbranch_execz .LBB79_189
; %bb.187:
	s_waitcnt vmcnt(1)
	v_mov_b32_e32 v236, v122
	v_mov_b32_e32 v237, v123
	ds_write_b64 v240, v[84:85]
	s_waitcnt vmcnt(0)
	ds_write2_b64 v241, v[236:237], v[160:161] offset0:38 offset1:39
	ds_read_b64 v[236:237], v240
	s_waitcnt lgkmcnt(0)
	v_cmp_neq_f64_e32 vcc, 0, v[236:237]
	s_and_b64 exec, exec, vcc
	s_cbranch_execz .LBB79_189
; %bb.188:
	v_div_scale_f64 v[238:239], s[6:7], v[236:237], v[236:237], 1.0
	v_rcp_f64_e32 v[244:245], v[238:239]
	v_div_scale_f64 v[246:247], vcc, 1.0, v[236:237], 1.0
	v_fma_f64 v[248:249], -v[238:239], v[244:245], 1.0
	v_fmac_f64_e32 v[244:245], v[244:245], v[248:249]
	v_fma_f64 v[248:249], -v[238:239], v[244:245], 1.0
	v_fmac_f64_e32 v[244:245], v[244:245], v[248:249]
	v_mul_f64 v[248:249], v[246:247], v[244:245]
	v_fma_f64 v[238:239], -v[238:239], v[248:249], v[246:247]
	v_div_fmas_f64 v[238:239], v[238:239], v[244:245], v[248:249]
	v_div_fixup_f64 v[236:237], v[238:239], v[236:237], 1.0
	ds_write_b64 v240, v[236:237]
.LBB79_189:
	s_or_b64 exec, exec, s[2:3]
	s_waitcnt lgkmcnt(0)
	s_barrier
	ds_read_b64 v[236:237], v240
	v_cmp_lt_u32_e32 vcc, 37, v242
	s_and_saveexec_b64 s[2:3], vcc
	s_cbranch_execz .LBB79_191
; %bb.190:
	ds_read2_b64 v[244:247], v241 offset0:38 offset1:39
	s_waitcnt vmcnt(2) lgkmcnt(1)
	v_mul_f64 v[84:85], v[236:237], v[84:85]
	s_waitcnt vmcnt(1) lgkmcnt(0)
	v_fma_f64 v[122:123], -v[84:85], v[244:245], v[122:123]
	s_waitcnt vmcnt(0)
	v_fma_f64 v[160:161], -v[84:85], v[246:247], v[160:161]
.LBB79_191:
	s_or_b64 exec, exec, s[2:3]
	v_cmp_eq_u32_e32 vcc, 38, v242
	s_waitcnt lgkmcnt(0)
	s_barrier
	s_and_saveexec_b64 s[2:3], vcc
	s_cbranch_execz .LBB79_194
; %bb.192:
	s_waitcnt vmcnt(1)
	ds_write_b64 v240, v[122:123]
	s_waitcnt vmcnt(0)
	ds_write_b64 v241, v[160:161] offset:312
	ds_read_b64 v[238:239], v240
	s_waitcnt lgkmcnt(0)
	v_cmp_neq_f64_e32 vcc, 0, v[238:239]
	s_and_b64 exec, exec, vcc
	s_cbranch_execz .LBB79_194
; %bb.193:
	v_div_scale_f64 v[244:245], s[6:7], v[238:239], v[238:239], 1.0
	v_rcp_f64_e32 v[246:247], v[244:245]
	v_div_scale_f64 v[248:249], vcc, 1.0, v[238:239], 1.0
	v_fma_f64 v[250:251], -v[244:245], v[246:247], 1.0
	v_fmac_f64_e32 v[246:247], v[246:247], v[250:251]
	v_fma_f64 v[250:251], -v[244:245], v[246:247], 1.0
	v_fmac_f64_e32 v[246:247], v[246:247], v[250:251]
	v_mul_f64 v[250:251], v[248:249], v[246:247]
	v_fma_f64 v[244:245], -v[244:245], v[250:251], v[248:249]
	v_div_fmas_f64 v[244:245], v[244:245], v[246:247], v[250:251]
	v_div_fixup_f64 v[238:239], v[244:245], v[238:239], 1.0
	ds_write_b64 v240, v[238:239]
.LBB79_194:
	s_or_b64 exec, exec, s[2:3]
	s_waitcnt lgkmcnt(0)
	s_barrier
	ds_read_b64 v[238:239], v240
	v_cmp_lt_u32_e32 vcc, 38, v242
	s_and_saveexec_b64 s[2:3], vcc
	s_cbranch_execz .LBB79_196
; %bb.195:
	ds_read_b64 v[244:245], v241 offset:312
	s_waitcnt vmcnt(1) lgkmcnt(1)
	v_mul_f64 v[122:123], v[238:239], v[122:123]
	s_waitcnt vmcnt(0) lgkmcnt(0)
	v_fma_f64 v[160:161], -v[122:123], v[244:245], v[160:161]
.LBB79_196:
	s_or_b64 exec, exec, s[2:3]
	v_cmp_eq_u32_e32 vcc, 39, v242
	s_waitcnt lgkmcnt(0)
	s_barrier
	s_and_saveexec_b64 s[2:3], vcc
	s_cbranch_execz .LBB79_199
; %bb.197:
	s_waitcnt vmcnt(0)
	v_cmp_neq_f64_e32 vcc, 0, v[160:161]
	ds_write_b64 v240, v[160:161]
	s_and_b64 exec, exec, vcc
	s_cbranch_execz .LBB79_199
; %bb.198:
	v_div_scale_f64 v[244:245], s[6:7], v[160:161], v[160:161], 1.0
	v_rcp_f64_e32 v[246:247], v[244:245]
	v_div_scale_f64 v[248:249], vcc, 1.0, v[160:161], 1.0
	v_fma_f64 v[250:251], -v[244:245], v[246:247], 1.0
	v_fmac_f64_e32 v[246:247], v[246:247], v[250:251]
	v_fma_f64 v[250:251], -v[244:245], v[246:247], 1.0
	v_fmac_f64_e32 v[246:247], v[246:247], v[250:251]
	v_mul_f64 v[250:251], v[248:249], v[246:247]
	v_fma_f64 v[244:245], -v[244:245], v[250:251], v[248:249]
	v_div_fmas_f64 v[244:245], v[244:245], v[246:247], v[250:251]
	v_div_fixup_f64 v[244:245], v[244:245], v[160:161], 1.0
	ds_write_b64 v240, v[244:245]
.LBB79_199:
	s_or_b64 exec, exec, s[2:3]
	s_waitcnt lgkmcnt(0)
	s_barrier
	ds_read_b64 v[240:241], v240
	s_waitcnt lgkmcnt(0)
	s_barrier
	s_and_saveexec_b64 s[2:3], s[0:1]
	s_cbranch_execz .LBB79_202
; %bb.200:
	v_cmp_eq_f64_e32 vcc, 0, v[162:163]
	v_cmp_neq_f64_e64 s[0:1], 0, v[164:165]
	v_cndmask_b32_e64 v162, 0, 1, vcc
	s_or_b64 vcc, s[0:1], vcc
	v_cndmask_b32_e32 v162, 2, v162, vcc
	v_cmp_eq_f64_e32 vcc, 0, v[166:167]
	v_cmp_eq_u32_e64 s[0:1], 0, v162
	s_and_b64 s[0:1], vcc, s[0:1]
	v_cndmask_b32_e64 v162, v162, 3, s[0:1]
	v_cmp_eq_f64_e32 vcc, 0, v[168:169]
	v_cmp_eq_u32_e64 s[0:1], 0, v162
	s_and_b64 s[0:1], vcc, s[0:1]
	v_cndmask_b32_e64 v162, v162, 4, s[0:1]
	;; [unrolled: 4-line block ×16, first 2 shown]
	v_cmp_eq_f64_e32 vcc, 0, v[198:199]
	v_cmp_eq_u32_e64 s[0:1], 0, v162
	s_load_dwordx2 s[4:5], s[4:5], 0x28
	s_and_b64 s[0:1], vcc, s[0:1]
	v_cndmask_b32_e64 v162, v162, 19, s[0:1]
	v_cmp_eq_f64_e32 vcc, 0, v[200:201]
	v_cmp_eq_u32_e64 s[0:1], 0, v162
	s_and_b64 s[0:1], vcc, s[0:1]
	v_lshlrev_b64 v[2:3], 2, v[2:3]
	v_cndmask_b32_e64 v162, v162, 20, s[0:1]
	s_waitcnt lgkmcnt(0)
	v_mov_b32_e32 v163, s5
	v_add_co_u32_e64 v2, s[0:1], s4, v2
	v_addc_co_u32_e64 v3, s[0:1], v163, v3, s[0:1]
	global_load_dword v163, v[2:3], off
	v_cmp_eq_f64_e32 vcc, 0, v[202:203]
	v_cmp_eq_u32_e64 s[0:1], 0, v162
	s_and_b64 s[0:1], vcc, s[0:1]
	v_cndmask_b32_e64 v162, v162, 21, s[0:1]
	v_cmp_eq_f64_e32 vcc, 0, v[204:205]
	v_cmp_eq_u32_e64 s[0:1], 0, v162
	s_and_b64 s[0:1], vcc, s[0:1]
	v_cndmask_b32_e64 v162, v162, 22, s[0:1]
	v_cmp_eq_f64_e32 vcc, 0, v[206:207]
	v_cmp_eq_u32_e64 s[0:1], 0, v162
	s_and_b64 s[0:1], vcc, s[0:1]
	v_cndmask_b32_e64 v162, v162, 23, s[0:1]
	v_cmp_eq_f64_e32 vcc, 0, v[208:209]
	v_cmp_eq_u32_e64 s[0:1], 0, v162
	s_and_b64 s[0:1], vcc, s[0:1]
	v_cndmask_b32_e64 v162, v162, 24, s[0:1]
	v_cmp_eq_f64_e32 vcc, 0, v[210:211]
	v_cmp_eq_u32_e64 s[0:1], 0, v162
	s_and_b64 s[0:1], vcc, s[0:1]
	v_cndmask_b32_e64 v162, v162, 25, s[0:1]
	v_cmp_eq_f64_e32 vcc, 0, v[212:213]
	v_cmp_eq_u32_e64 s[0:1], 0, v162
	s_and_b64 s[0:1], vcc, s[0:1]
	v_cndmask_b32_e64 v162, v162, 26, s[0:1]
	v_cmp_eq_f64_e32 vcc, 0, v[214:215]
	v_cmp_eq_u32_e64 s[0:1], 0, v162
	s_and_b64 s[0:1], vcc, s[0:1]
	v_cndmask_b32_e64 v162, v162, 27, s[0:1]
	v_cmp_eq_f64_e32 vcc, 0, v[216:217]
	v_cmp_eq_u32_e64 s[0:1], 0, v162
	s_and_b64 s[0:1], vcc, s[0:1]
	v_cndmask_b32_e64 v162, v162, 28, s[0:1]
	v_cmp_eq_f64_e32 vcc, 0, v[218:219]
	v_cmp_eq_u32_e64 s[0:1], 0, v162
	s_and_b64 s[0:1], vcc, s[0:1]
	v_cndmask_b32_e64 v162, v162, 29, s[0:1]
	v_cmp_eq_f64_e32 vcc, 0, v[220:221]
	v_cmp_eq_u32_e64 s[0:1], 0, v162
	s_and_b64 s[0:1], vcc, s[0:1]
	v_cndmask_b32_e64 v162, v162, 30, s[0:1]
	v_cmp_eq_f64_e32 vcc, 0, v[222:223]
	v_cmp_eq_u32_e64 s[0:1], 0, v162
	s_and_b64 s[0:1], vcc, s[0:1]
	v_cndmask_b32_e64 v162, v162, 31, s[0:1]
	v_cmp_eq_f64_e32 vcc, 0, v[224:225]
	v_cmp_eq_u32_e64 s[0:1], 0, v162
	s_and_b64 s[0:1], vcc, s[0:1]
	v_cndmask_b32_e64 v162, v162, 32, s[0:1]
	v_cmp_eq_f64_e32 vcc, 0, v[226:227]
	v_cmp_eq_u32_e64 s[0:1], 0, v162
	s_and_b64 s[0:1], vcc, s[0:1]
	v_cndmask_b32_e64 v162, v162, 33, s[0:1]
	v_cmp_eq_f64_e32 vcc, 0, v[228:229]
	v_cmp_eq_u32_e64 s[0:1], 0, v162
	s_and_b64 s[0:1], vcc, s[0:1]
	v_cndmask_b32_e64 v162, v162, 34, s[0:1]
	v_cmp_eq_f64_e32 vcc, 0, v[230:231]
	v_cmp_eq_u32_e64 s[0:1], 0, v162
	s_and_b64 s[0:1], vcc, s[0:1]
	v_cndmask_b32_e64 v162, v162, 35, s[0:1]
	v_cmp_eq_f64_e32 vcc, 0, v[232:233]
	v_cmp_eq_u32_e64 s[0:1], 0, v162
	s_and_b64 s[0:1], vcc, s[0:1]
	v_cndmask_b32_e64 v162, v162, 36, s[0:1]
	v_cmp_eq_f64_e32 vcc, 0, v[234:235]
	v_cmp_eq_u32_e64 s[0:1], 0, v162
	s_and_b64 s[0:1], vcc, s[0:1]
	v_cndmask_b32_e64 v162, v162, 37, s[0:1]
	v_cmp_eq_f64_e32 vcc, 0, v[236:237]
	v_cmp_eq_u32_e64 s[0:1], 0, v162
	s_and_b64 s[0:1], vcc, s[0:1]
	v_cndmask_b32_e64 v162, v162, 38, s[0:1]
	v_cmp_eq_f64_e32 vcc, 0, v[238:239]
	v_cmp_eq_u32_e64 s[0:1], 0, v162
	s_and_b64 s[0:1], vcc, s[0:1]
	v_cndmask_b32_e64 v162, v162, 39, s[0:1]
	v_cmp_eq_f64_e32 vcc, 0, v[240:241]
	v_cmp_eq_u32_e64 s[0:1], 0, v162
	s_and_b64 s[0:1], vcc, s[0:1]
	v_cndmask_b32_e64 v162, v162, 40, s[0:1]
	s_waitcnt vmcnt(0)
	v_cmp_eq_u32_e32 vcc, 0, v163
	v_cmp_ne_u32_e64 s[0:1], 0, v162
	s_and_b64 s[0:1], vcc, s[0:1]
	s_and_b64 exec, exec, s[0:1]
	s_cbranch_execz .LBB79_202
; %bb.201:
	v_add_u32_e32 v162, s9, v162
	global_store_dword v[2:3], v162, off
.LBB79_202:
	s_or_b64 exec, exec, s[2:3]
	s_waitcnt vmcnt(0)
	v_mul_f64 v[2:3], v[240:241], v[160:161]
	v_cmp_lt_u32_e32 vcc, 39, v242
	v_cndmask_b32_e32 v3, v161, v3, vcc
	v_cndmask_b32_e32 v2, v160, v2, vcc
	global_store_dwordx2 v[78:79], v[82:83], off
	global_store_dwordx2 v[80:81], v[120:121], off
	;; [unrolled: 1-line block ×40, first 2 shown]
.LBB79_203:
	s_endpgm
	.section	.rodata,"a",@progbits
	.p2align	6, 0x0
	.amdhsa_kernel _ZN9rocsolver6v33100L23getf2_npvt_small_kernelILi40EdiiPKPdEEvT1_T3_lS5_lPT2_S5_S5_
		.amdhsa_group_segment_fixed_size 0
		.amdhsa_private_segment_fixed_size 0
		.amdhsa_kernarg_size 312
		.amdhsa_user_sgpr_count 6
		.amdhsa_user_sgpr_private_segment_buffer 1
		.amdhsa_user_sgpr_dispatch_ptr 0
		.amdhsa_user_sgpr_queue_ptr 0
		.amdhsa_user_sgpr_kernarg_segment_ptr 1
		.amdhsa_user_sgpr_dispatch_id 0
		.amdhsa_user_sgpr_flat_scratch_init 0
		.amdhsa_user_sgpr_kernarg_preload_length 0
		.amdhsa_user_sgpr_kernarg_preload_offset 0
		.amdhsa_user_sgpr_private_segment_size 0
		.amdhsa_uses_dynamic_stack 0
		.amdhsa_system_sgpr_private_segment_wavefront_offset 0
		.amdhsa_system_sgpr_workgroup_id_x 1
		.amdhsa_system_sgpr_workgroup_id_y 1
		.amdhsa_system_sgpr_workgroup_id_z 0
		.amdhsa_system_sgpr_workgroup_info 0
		.amdhsa_system_vgpr_workitem_id 1
		.amdhsa_next_free_vgpr 252
		.amdhsa_next_free_sgpr 16
		.amdhsa_accum_offset 252
		.amdhsa_reserve_vcc 1
		.amdhsa_reserve_flat_scratch 0
		.amdhsa_float_round_mode_32 0
		.amdhsa_float_round_mode_16_64 0
		.amdhsa_float_denorm_mode_32 3
		.amdhsa_float_denorm_mode_16_64 3
		.amdhsa_dx10_clamp 1
		.amdhsa_ieee_mode 1
		.amdhsa_fp16_overflow 0
		.amdhsa_tg_split 0
		.amdhsa_exception_fp_ieee_invalid_op 0
		.amdhsa_exception_fp_denorm_src 0
		.amdhsa_exception_fp_ieee_div_zero 0
		.amdhsa_exception_fp_ieee_overflow 0
		.amdhsa_exception_fp_ieee_underflow 0
		.amdhsa_exception_fp_ieee_inexact 0
		.amdhsa_exception_int_div_zero 0
	.end_amdhsa_kernel
	.section	.text._ZN9rocsolver6v33100L23getf2_npvt_small_kernelILi40EdiiPKPdEEvT1_T3_lS5_lPT2_S5_S5_,"axG",@progbits,_ZN9rocsolver6v33100L23getf2_npvt_small_kernelILi40EdiiPKPdEEvT1_T3_lS5_lPT2_S5_S5_,comdat
.Lfunc_end79:
	.size	_ZN9rocsolver6v33100L23getf2_npvt_small_kernelILi40EdiiPKPdEEvT1_T3_lS5_lPT2_S5_S5_, .Lfunc_end79-_ZN9rocsolver6v33100L23getf2_npvt_small_kernelILi40EdiiPKPdEEvT1_T3_lS5_lPT2_S5_S5_
                                        ; -- End function
	.section	.AMDGPU.csdata,"",@progbits
; Kernel info:
; codeLenInByte = 31228
; NumSgprs: 20
; NumVgprs: 252
; NumAgprs: 0
; TotalNumVgprs: 252
; ScratchSize: 0
; MemoryBound: 0
; FloatMode: 240
; IeeeMode: 1
; LDSByteSize: 0 bytes/workgroup (compile time only)
; SGPRBlocks: 2
; VGPRBlocks: 31
; NumSGPRsForWavesPerEU: 20
; NumVGPRsForWavesPerEU: 252
; AccumOffset: 252
; Occupancy: 2
; WaveLimiterHint : 1
; COMPUTE_PGM_RSRC2:SCRATCH_EN: 0
; COMPUTE_PGM_RSRC2:USER_SGPR: 6
; COMPUTE_PGM_RSRC2:TRAP_HANDLER: 0
; COMPUTE_PGM_RSRC2:TGID_X_EN: 1
; COMPUTE_PGM_RSRC2:TGID_Y_EN: 1
; COMPUTE_PGM_RSRC2:TGID_Z_EN: 0
; COMPUTE_PGM_RSRC2:TIDIG_COMP_CNT: 1
; COMPUTE_PGM_RSRC3_GFX90A:ACCUM_OFFSET: 62
; COMPUTE_PGM_RSRC3_GFX90A:TG_SPLIT: 0
	.section	.text._ZN9rocsolver6v33100L18getf2_small_kernelILi41EdiiPKPdEEvT1_T3_lS5_lPS5_llPT2_S5_S5_S7_l,"axG",@progbits,_ZN9rocsolver6v33100L18getf2_small_kernelILi41EdiiPKPdEEvT1_T3_lS5_lPS5_llPT2_S5_S5_S7_l,comdat
	.globl	_ZN9rocsolver6v33100L18getf2_small_kernelILi41EdiiPKPdEEvT1_T3_lS5_lPS5_llPT2_S5_S5_S7_l ; -- Begin function _ZN9rocsolver6v33100L18getf2_small_kernelILi41EdiiPKPdEEvT1_T3_lS5_lPS5_llPT2_S5_S5_S7_l
	.p2align	8
	.type	_ZN9rocsolver6v33100L18getf2_small_kernelILi41EdiiPKPdEEvT1_T3_lS5_lPS5_llPT2_S5_S5_S7_l,@function
_ZN9rocsolver6v33100L18getf2_small_kernelILi41EdiiPKPdEEvT1_T3_lS5_lPS5_llPT2_S5_S5_S7_l: ; @_ZN9rocsolver6v33100L18getf2_small_kernelILi41EdiiPKPdEEvT1_T3_lS5_lPS5_llPT2_S5_S5_S7_l
; %bb.0:
	s_load_dword s0, s[4:5], 0x6c
	s_load_dwordx2 s[12:13], s[4:5], 0x48
	v_bfe_u32 v86, v0, 10, 10
	s_waitcnt lgkmcnt(0)
	s_lshr_b32 s0, s0, 16
	s_mul_i32 s7, s7, s0
	v_add_u32_e32 v2, s7, v86
	v_cmp_gt_i32_e32 vcc, s12, v2
	s_and_saveexec_b64 s[0:1], vcc
	s_cbranch_execz .LBB80_694
; %bb.1:
	s_load_dwordx4 s[0:3], s[4:5], 0x8
	s_load_dwordx4 s[8:11], s[4:5], 0x50
	v_ashrrev_i32_e32 v3, 31, v2
	v_lshlrev_b64 v[4:5], 3, v[2:3]
	s_waitcnt lgkmcnt(0)
	v_mov_b32_e32 v1, s1
	v_add_co_u32_e32 v4, vcc, s0, v4
	v_addc_co_u32_e32 v5, vcc, v1, v5, vcc
	global_load_dwordx2 v[6:7], v[4:5], off
	s_cmp_eq_u64 s[8:9], 0
	s_cselect_b64 s[6:7], -1, 0
	s_and_b64 vcc, exec, s[6:7]
	v_pk_mov_b32 v[4:5], 0, 0
	s_cbranch_vccnz .LBB80_3
; %bb.2:
	v_mul_lo_u32 v1, v3, s10
	v_mul_lo_u32 v8, v2, s11
	v_mad_u64_u32 v[4:5], s[0:1], v2, s10, 0
	v_add3_u32 v5, v5, v8, v1
	v_lshlrev_b64 v[4:5], 2, v[4:5]
	v_mov_b32_e32 v1, s9
	v_add_co_u32_e32 v4, vcc, s8, v4
	v_addc_co_u32_e32 v5, vcc, v1, v5, vcc
.LBB80_3:
	s_load_dword s8, s[4:5], 0x18
	s_load_dword s18, s[4:5], 0x0
	s_lshl_b64 s[0:1], s[2:3], 3
	v_and_b32_e32 v94, 0x3ff, v0
	v_mov_b32_e32 v1, s1
	s_waitcnt lgkmcnt(0)
	s_add_i32 s12, s8, s8
	s_waitcnt vmcnt(0)
	v_add_co_u32_e32 v92, vcc, s0, v6
	v_add_u32_e32 v0, s12, v94
	v_addc_co_u32_e32 v93, vcc, v7, v1, vcc
	v_ashrrev_i32_e32 v1, 31, v0
	v_lshlrev_b64 v[6:7], 3, v[0:1]
	v_add_u32_e32 v0, s8, v0
	v_add_co_u32_e32 v6, vcc, v92, v6
	v_ashrrev_i32_e32 v1, 31, v0
	v_addc_co_u32_e32 v7, vcc, v93, v7, vcc
	v_lshlrev_b64 v[8:9], 3, v[0:1]
	v_add_u32_e32 v0, s8, v0
	v_add_co_u32_e32 v8, vcc, v92, v8
	v_ashrrev_i32_e32 v1, 31, v0
	v_addc_co_u32_e32 v9, vcc, v93, v9, vcc
	;; [unrolled: 5-line block ×38, first 2 shown]
	v_lshlrev_b64 v[0:1], 3, v[0:1]
	v_add_co_u32_e32 v140, vcc, v92, v0
	v_addc_co_u32_e32 v141, vcc, v93, v1, vcc
	v_lshlrev_b32_e32 v87, 3, v94
	v_add_co_u32_e32 v0, vcc, v92, v87
	s_ashr_i32 s9, s8, 31
	v_addc_co_u32_e32 v1, vcc, 0, v93, vcc
	s_lshl_b64 s[10:11], s[8:9], 3
	v_mov_b32_e32 v33, s11
	v_add_co_u32_e32 v32, vcc, s10, v0
	v_addc_co_u32_e32 v33, vcc, v1, v33, vcc
	global_load_dwordx2 v[82:83], v[0:1], off
	global_load_dwordx2 v[80:81], v[32:33], off
	;; [unrolled: 1-line block ×15, first 2 shown]
                                        ; kill: killed $vgpr8 killed $vgpr9
                                        ; kill: killed $vgpr12 killed $vgpr13
                                        ; kill: killed $vgpr16 killed $vgpr17
                                        ; kill: killed $vgpr20 killed $vgpr21
                                        ; kill: killed $vgpr24 killed $vgpr25
                                        ; kill: killed $vgpr28 killed $vgpr29
                                        ; kill: killed $vgpr0 killed $vgpr1
                                        ; kill: killed $vgpr6 killed $vgpr7
                                        ; kill: killed $vgpr32 killed $vgpr33
                                        ; kill: killed $vgpr10 killed $vgpr11
                                        ; kill: killed $vgpr14 killed $vgpr15
                                        ; kill: killed $vgpr18 killed $vgpr19
                                        ; kill: killed $vgpr22 killed $vgpr23
                                        ; kill: killed $vgpr26 killed $vgpr27
                                        ; kill: killed $vgpr30 killed $vgpr31
	global_load_dwordx2 v[54:55], v[84:85], off
	global_load_dwordx2 v[50:51], v[88:89], off
	;; [unrolled: 1-line block ×15, first 2 shown]
                                        ; kill: killed $vgpr88 killed $vgpr89
                                        ; kill: killed $vgpr96 killed $vgpr97
                                        ; kill: killed $vgpr100 killed $vgpr101
                                        ; kill: killed $vgpr104 killed $vgpr105
                                        ; kill: killed $vgpr108 killed $vgpr109
                                        ; kill: killed $vgpr112 killed $vgpr113
                                        ; kill: killed $vgpr116 killed $vgpr117
                                        ; kill: killed $vgpr84 killed $vgpr85
                                        ; kill: killed $vgpr90 killed $vgpr91
                                        ; kill: killed $vgpr98 killed $vgpr99
                                        ; kill: killed $vgpr102 killed $vgpr103
                                        ; kill: killed $vgpr106 killed $vgpr107
                                        ; kill: killed $vgpr110 killed $vgpr111
                                        ; kill: killed $vgpr114 killed $vgpr115
                                        ; kill: killed $vgpr118 killed $vgpr119
	global_load_dwordx2 v[24:25], v[120:121], off
	global_load_dwordx2 v[20:21], v[122:123], off
	;; [unrolled: 1-line block ×11, first 2 shown]
	s_max_i32 s0, s18, 41
	v_mul_lo_u32 v88, s0, v86
	v_lshl_add_u32 v90, v88, 3, 0
	v_add_u32_e32 v86, v90, v87
	s_cmp_lt_i32 s18, 2
	v_lshlrev_b32_e32 v95, 3, v88
	v_mov_b32_e32 v88, 0
	s_waitcnt vmcnt(40)
	ds_write_b64 v86, v[82:83]
	s_waitcnt lgkmcnt(0)
	s_barrier
	ds_read_b64 v[86:87], v90
	s_cbranch_scc1 .LBB80_6
; %bb.4:
	v_add3_u32 v89, v95, 0, 8
	s_mov_b32 s0, 1
	v_mov_b32_e32 v88, 0
.LBB80_5:                               ; =>This Inner Loop Header: Depth=1
	ds_read_b64 v[96:97], v89
	v_mov_b32_e32 v91, s0
	s_add_i32 s0, s0, 1
	v_add_u32_e32 v89, 8, v89
	s_cmp_eq_u32 s18, s0
	s_waitcnt lgkmcnt(0)
	v_cmp_lt_f64_e64 vcc, |v[86:87]|, |v[96:97]|
	v_cndmask_b32_e32 v87, v87, v97, vcc
	v_cndmask_b32_e32 v86, v86, v96, vcc
	;; [unrolled: 1-line block ×3, first 2 shown]
	s_cbranch_scc0 .LBB80_5
.LBB80_6:
	v_cmp_ne_u32_e32 vcc, v94, v88
                                        ; implicit-def: $vgpr91
	s_and_saveexec_b64 s[0:1], vcc
	s_xor_b64 s[0:1], exec, s[0:1]
	s_cbranch_execz .LBB80_12
; %bb.7:
	v_cmp_eq_u32_e32 vcc, 0, v94
	s_and_saveexec_b64 s[2:3], vcc
	s_cbranch_execz .LBB80_11
; %bb.8:
	v_cmp_ne_u32_e32 vcc, 0, v88
	s_xor_b64 s[14:15], s[6:7], -1
	s_and_b64 s[16:17], s[14:15], vcc
	s_and_saveexec_b64 s[14:15], s[16:17]
	s_cbranch_execz .LBB80_10
; %bb.9:
	v_ashrrev_i32_e32 v89, 31, v88
	v_lshlrev_b64 v[96:97], 2, v[88:89]
	v_add_co_u32_e32 v96, vcc, v4, v96
	v_addc_co_u32_e32 v97, vcc, v5, v97, vcc
	flat_load_dword v89, v[96:97]
	flat_load_dword v91, v[4:5]
	s_waitcnt vmcnt(0) lgkmcnt(0)
	flat_store_dword v[4:5], v89
	flat_store_dword v[96:97], v91
.LBB80_10:
	s_or_b64 exec, exec, s[14:15]
	v_mov_b32_e32 v94, v88
.LBB80_11:
	s_or_b64 exec, exec, s[2:3]
	v_mov_b32_e32 v91, v94
                                        ; implicit-def: $vgpr94
.LBB80_12:
	s_or_saveexec_b64 s[0:1], s[0:1]
	v_mov_b32_e32 v89, v91
	s_xor_b64 exec, exec, s[0:1]
	s_cbranch_execz .LBB80_14
; %bb.13:
	v_mov_b32_e32 v91, 0
	v_mov_b32_e32 v89, v94
	s_waitcnt vmcnt(0)
	ds_write2_b64 v90, v[80:81], v[78:79] offset0:1 offset1:2
	ds_write2_b64 v90, v[76:77], v[74:75] offset0:3 offset1:4
	;; [unrolled: 1-line block ×20, first 2 shown]
.LBB80_14:
	s_or_b64 exec, exec, s[0:1]
	s_waitcnt lgkmcnt(0)
	v_cmp_eq_f64_e64 s[0:1], 0, v[86:87]
	v_cmp_lt_i32_e32 vcc, 0, v91
	s_barrier
	s_and_saveexec_b64 s[2:3], vcc
	s_cbranch_execz .LBB80_16
; %bb.15:
	v_div_scale_f64 v[96:97], s[14:15], v[86:87], v[86:87], 1.0
	v_rcp_f64_e32 v[98:99], v[96:97]
	v_div_scale_f64 v[100:101], vcc, 1.0, v[86:87], 1.0
	ds_read2_b64 v[104:107], v90 offset0:5 offset1:6
	v_fma_f64 v[102:103], -v[96:97], v[98:99], 1.0
	v_fmac_f64_e32 v[98:99], v[98:99], v[102:103]
	v_fma_f64 v[102:103], -v[96:97], v[98:99], 1.0
	v_fmac_f64_e32 v[98:99], v[98:99], v[102:103]
	v_mul_f64 v[102:103], v[100:101], v[98:99]
	v_fma_f64 v[96:97], -v[96:97], v[102:103], v[100:101]
	v_div_fmas_f64 v[96:97], v[96:97], v[98:99], v[102:103]
	v_div_fixup_f64 v[100:101], v[96:97], v[86:87], 1.0
	ds_read2_b64 v[96:99], v90 offset0:1 offset1:2
	v_cndmask_b32_e64 v87, v101, v87, s[0:1]
	v_cndmask_b32_e64 v86, v100, v86, s[0:1]
	ds_read2_b64 v[100:103], v90 offset0:3 offset1:4
	v_mul_f64 v[82:83], v[86:87], v[82:83]
	s_waitcnt vmcnt(0) lgkmcnt(0)
	v_fma_f64 v[80:81], -v[82:83], v[96:97], v[80:81]
	v_fma_f64 v[78:79], -v[82:83], v[98:99], v[78:79]
	ds_read2_b64 v[96:99], v90 offset0:7 offset1:8
	v_fma_f64 v[76:77], -v[82:83], v[100:101], v[76:77]
	v_fma_f64 v[74:75], -v[82:83], v[102:103], v[74:75]
	ds_read2_b64 v[100:103], v90 offset0:9 offset1:10
	;; [unrolled: 3-line block ×3, first 2 shown]
	s_waitcnt lgkmcnt(2)
	v_fma_f64 v[68:69], -v[82:83], v[96:97], v[68:69]
	v_fma_f64 v[66:67], -v[82:83], v[98:99], v[66:67]
	s_waitcnt lgkmcnt(1)
	v_fma_f64 v[64:65], -v[82:83], v[100:101], v[64:65]
	ds_read2_b64 v[96:99], v90 offset0:13 offset1:14
	v_fma_f64 v[62:63], -v[82:83], v[102:103], v[62:63]
	ds_read2_b64 v[100:103], v90 offset0:15 offset1:16
	s_waitcnt lgkmcnt(2)
	v_fma_f64 v[60:61], -v[82:83], v[104:105], v[60:61]
	v_fma_f64 v[58:59], -v[82:83], v[106:107], v[58:59]
	s_waitcnt lgkmcnt(1)
	v_fma_f64 v[56:57], -v[82:83], v[96:97], v[56:57]
	ds_read2_b64 v[104:107], v90 offset0:17 offset1:18
	v_fma_f64 v[52:53], -v[82:83], v[98:99], v[52:53]
	ds_read2_b64 v[96:99], v90 offset0:19 offset1:20
	s_waitcnt lgkmcnt(2)
	v_fma_f64 v[54:55], -v[82:83], v[100:101], v[54:55]
	v_fma_f64 v[50:51], -v[82:83], v[102:103], v[50:51]
	ds_read2_b64 v[100:103], v90 offset0:21 offset1:22
	s_waitcnt lgkmcnt(2)
	v_fma_f64 v[48:49], -v[82:83], v[104:105], v[48:49]
	;; [unrolled: 4-line block ×3, first 2 shown]
	v_fma_f64 v[42:43], -v[82:83], v[98:99], v[42:43]
	s_waitcnt lgkmcnt(1)
	v_fma_f64 v[40:41], -v[82:83], v[100:101], v[40:41]
	ds_read2_b64 v[96:99], v90 offset0:25 offset1:26
	v_fma_f64 v[38:39], -v[82:83], v[102:103], v[38:39]
	ds_read2_b64 v[100:103], v90 offset0:27 offset1:28
	s_waitcnt lgkmcnt(2)
	v_fma_f64 v[36:37], -v[82:83], v[104:105], v[36:37]
	v_fma_f64 v[34:35], -v[82:83], v[106:107], v[34:35]
	s_waitcnt lgkmcnt(1)
	v_fma_f64 v[32:33], -v[82:83], v[96:97], v[32:33]
	ds_read2_b64 v[104:107], v90 offset0:29 offset1:30
	v_fma_f64 v[30:31], -v[82:83], v[98:99], v[30:31]
	ds_read2_b64 v[96:99], v90 offset0:31 offset1:32
	s_waitcnt lgkmcnt(2)
	v_fma_f64 v[28:29], -v[82:83], v[100:101], v[28:29]
	v_fma_f64 v[26:27], -v[82:83], v[102:103], v[26:27]
	ds_read2_b64 v[100:103], v90 offset0:33 offset1:34
	s_waitcnt lgkmcnt(2)
	v_fma_f64 v[22:23], -v[82:83], v[104:105], v[22:23]
	v_fma_f64 v[24:25], -v[82:83], v[106:107], v[24:25]
	s_waitcnt lgkmcnt(1)
	v_fma_f64 v[20:21], -v[82:83], v[96:97], v[20:21]
	v_fma_f64 v[18:19], -v[82:83], v[98:99], v[18:19]
	ds_read2_b64 v[96:99], v90 offset0:35 offset1:36
	s_waitcnt lgkmcnt(1)
	v_fma_f64 v[16:17], -v[82:83], v[100:101], v[16:17]
	ds_read2_b64 v[104:107], v90 offset0:37 offset1:38
	v_fma_f64 v[14:15], -v[82:83], v[102:103], v[14:15]
	ds_read2_b64 v[100:103], v90 offset0:39 offset1:40
	s_waitcnt lgkmcnt(2)
	v_fma_f64 v[12:13], -v[82:83], v[96:97], v[12:13]
	v_fma_f64 v[10:11], -v[82:83], v[98:99], v[10:11]
	s_waitcnt lgkmcnt(1)
	v_fma_f64 v[8:9], -v[82:83], v[104:105], v[8:9]
	v_fma_f64 v[6:7], -v[82:83], v[106:107], v[6:7]
	;; [unrolled: 3-line block ×3, first 2 shown]
.LBB80_16:
	s_or_b64 exec, exec, s[2:3]
	v_lshl_add_u32 v86, v91, 3, v90
	s_barrier
	s_waitcnt vmcnt(0)
	ds_write_b64 v86, v[80:81]
	s_waitcnt lgkmcnt(0)
	s_barrier
	ds_read_b64 v[86:87], v90 offset:8
	s_cmp_lt_i32 s18, 3
	v_mov_b32_e32 v88, 1
	s_cbranch_scc1 .LBB80_19
; %bb.17:
	v_add3_u32 v94, v95, 0, 16
	s_mov_b32 s2, 2
	v_mov_b32_e32 v88, 1
.LBB80_18:                              ; =>This Inner Loop Header: Depth=1
	ds_read_b64 v[96:97], v94
	v_mov_b32_e32 v98, s2
	s_add_i32 s2, s2, 1
	v_add_u32_e32 v94, 8, v94
	s_cmp_lg_u32 s18, s2
	s_waitcnt lgkmcnt(0)
	v_cmp_lt_f64_e64 vcc, |v[86:87]|, |v[96:97]|
	v_cndmask_b32_e32 v87, v87, v97, vcc
	v_cndmask_b32_e32 v86, v86, v96, vcc
	;; [unrolled: 1-line block ×3, first 2 shown]
	s_cbranch_scc1 .LBB80_18
.LBB80_19:
	v_cmp_ne_u32_e32 vcc, v91, v88
	s_and_saveexec_b64 s[2:3], vcc
	s_xor_b64 s[2:3], exec, s[2:3]
	s_cbranch_execz .LBB80_25
; %bb.20:
	v_cmp_eq_u32_e32 vcc, 1, v91
	s_and_saveexec_b64 s[14:15], vcc
	s_cbranch_execz .LBB80_24
; %bb.21:
	v_cmp_ne_u32_e32 vcc, 1, v88
	s_xor_b64 s[16:17], s[6:7], -1
	s_and_b64 s[20:21], s[16:17], vcc
	s_and_saveexec_b64 s[16:17], s[20:21]
	s_cbranch_execz .LBB80_23
; %bb.22:
	v_ashrrev_i32_e32 v89, 31, v88
	v_lshlrev_b64 v[96:97], 2, v[88:89]
	v_add_co_u32_e32 v96, vcc, v4, v96
	v_addc_co_u32_e32 v97, vcc, v5, v97, vcc
	flat_load_dword v89, v[96:97]
	flat_load_dword v91, v[4:5] offset:4
	s_waitcnt vmcnt(0) lgkmcnt(0)
	flat_store_dword v[4:5], v89 offset:4
	flat_store_dword v[96:97], v91
.LBB80_23:
	s_or_b64 exec, exec, s[16:17]
	v_mov_b32_e32 v89, v88
	v_mov_b32_e32 v91, v88
.LBB80_24:
	s_or_b64 exec, exec, s[14:15]
.LBB80_25:
	s_andn2_saveexec_b64 s[2:3], s[2:3]
	s_cbranch_execz .LBB80_27
; %bb.26:
	v_mov_b32_e32 v96, v78
	v_mov_b32_e32 v97, v79
	v_mov_b32_e32 v98, v76
	v_mov_b32_e32 v99, v77
	ds_write2_b64 v90, v[96:97], v[98:99] offset0:2 offset1:3
	v_mov_b32_e32 v96, v74
	v_mov_b32_e32 v97, v75
	v_mov_b32_e32 v98, v72
	v_mov_b32_e32 v99, v73
	ds_write2_b64 v90, v[96:97], v[98:99] offset0:4 offset1:5
	;; [unrolled: 5-line block ×18, first 2 shown]
	v_mov_b32_e32 v96, v6
	v_mov_b32_e32 v97, v7
	;; [unrolled: 1-line block ×5, first 2 shown]
	ds_write2_b64 v90, v[96:97], v[98:99] offset0:38 offset1:39
	ds_write_b64 v90, v[84:85] offset:320
.LBB80_27:
	s_or_b64 exec, exec, s[2:3]
	s_waitcnt lgkmcnt(0)
	v_cmp_neq_f64_e64 s[2:3], 0, v[86:87]
	v_cmp_lt_i32_e32 vcc, 1, v91
	s_barrier
	s_and_saveexec_b64 s[14:15], vcc
	s_cbranch_execz .LBB80_29
; %bb.28:
	v_div_scale_f64 v[96:97], s[16:17], v[86:87], v[86:87], 1.0
	v_rcp_f64_e32 v[98:99], v[96:97]
	v_div_scale_f64 v[100:101], vcc, 1.0, v[86:87], 1.0
	ds_read2_b64 v[104:107], v90 offset0:6 offset1:7
	v_fma_f64 v[102:103], -v[96:97], v[98:99], 1.0
	v_fmac_f64_e32 v[98:99], v[98:99], v[102:103]
	v_fma_f64 v[102:103], -v[96:97], v[98:99], 1.0
	v_fmac_f64_e32 v[98:99], v[98:99], v[102:103]
	v_mul_f64 v[102:103], v[100:101], v[98:99]
	v_fma_f64 v[96:97], -v[96:97], v[102:103], v[100:101]
	v_div_fmas_f64 v[96:97], v[96:97], v[98:99], v[102:103]
	v_div_fixup_f64 v[100:101], v[96:97], v[86:87], 1.0
	ds_read2_b64 v[96:99], v90 offset0:2 offset1:3
	v_cndmask_b32_e64 v87, v87, v101, s[2:3]
	v_cndmask_b32_e64 v86, v86, v100, s[2:3]
	ds_read2_b64 v[100:103], v90 offset0:4 offset1:5
	v_mul_f64 v[80:81], v[86:87], v[80:81]
	s_waitcnt lgkmcnt(0)
	v_fma_f64 v[78:79], -v[80:81], v[96:97], v[78:79]
	v_fma_f64 v[76:77], -v[80:81], v[98:99], v[76:77]
	ds_read2_b64 v[96:99], v90 offset0:8 offset1:9
	v_fma_f64 v[74:75], -v[80:81], v[100:101], v[74:75]
	v_fma_f64 v[72:73], -v[80:81], v[102:103], v[72:73]
	;; [unrolled: 1-line block ×3, first 2 shown]
	ds_read2_b64 v[100:103], v90 offset0:10 offset1:11
	v_fma_f64 v[68:69], -v[80:81], v[106:107], v[68:69]
	ds_read2_b64 v[104:107], v90 offset0:12 offset1:13
	s_waitcnt lgkmcnt(0)
	v_fma_f64 v[66:67], -v[80:81], v[96:97], v[66:67]
	v_fma_f64 v[64:65], -v[80:81], v[98:99], v[64:65]
	ds_read2_b64 v[96:99], v90 offset0:14 offset1:15
	v_fma_f64 v[62:63], -v[80:81], v[100:101], v[62:63]
	v_fma_f64 v[60:61], -v[80:81], v[102:103], v[60:61]
	ds_read2_b64 v[100:103], v90 offset0:16 offset1:17
	v_fma_f64 v[58:59], -v[80:81], v[104:105], v[58:59]
	v_fma_f64 v[56:57], -v[80:81], v[106:107], v[56:57]
	s_waitcnt lgkmcnt(0)
	v_fma_f64 v[52:53], -v[80:81], v[96:97], v[52:53]
	ds_read2_b64 v[104:107], v90 offset0:18 offset1:19
	v_fma_f64 v[54:55], -v[80:81], v[98:99], v[54:55]
	ds_read2_b64 v[96:99], v90 offset0:20 offset1:21
	v_fma_f64 v[50:51], -v[80:81], v[100:101], v[50:51]
	v_fma_f64 v[48:49], -v[80:81], v[102:103], v[48:49]
	s_waitcnt lgkmcnt(0)
	v_fma_f64 v[46:47], -v[80:81], v[104:105], v[46:47]
	ds_read2_b64 v[100:103], v90 offset0:22 offset1:23
	v_fma_f64 v[44:45], -v[80:81], v[106:107], v[44:45]
	ds_read2_b64 v[104:107], v90 offset0:24 offset1:25
	v_fma_f64 v[42:43], -v[80:81], v[96:97], v[42:43]
	v_fma_f64 v[40:41], -v[80:81], v[98:99], v[40:41]
	ds_read2_b64 v[96:99], v90 offset0:26 offset1:27
	s_waitcnt lgkmcnt(0)
	v_fma_f64 v[38:39], -v[80:81], v[100:101], v[38:39]
	v_fma_f64 v[36:37], -v[80:81], v[102:103], v[36:37]
	ds_read2_b64 v[100:103], v90 offset0:28 offset1:29
	v_fma_f64 v[34:35], -v[80:81], v[104:105], v[34:35]
	v_fma_f64 v[32:33], -v[80:81], v[106:107], v[32:33]
	;; [unrolled: 1-line block ×3, first 2 shown]
	ds_read2_b64 v[104:107], v90 offset0:30 offset1:31
	v_fma_f64 v[28:29], -v[80:81], v[98:99], v[28:29]
	ds_read2_b64 v[96:99], v90 offset0:32 offset1:33
	s_waitcnt lgkmcnt(0)
	v_fma_f64 v[26:27], -v[80:81], v[100:101], v[26:27]
	v_fma_f64 v[22:23], -v[80:81], v[102:103], v[22:23]
	;; [unrolled: 1-line block ×3, first 2 shown]
	ds_read2_b64 v[100:103], v90 offset0:34 offset1:35
	v_fma_f64 v[20:21], -v[80:81], v[106:107], v[20:21]
	v_fma_f64 v[18:19], -v[80:81], v[96:97], v[18:19]
	;; [unrolled: 1-line block ×3, first 2 shown]
	ds_read2_b64 v[96:99], v90 offset0:36 offset1:37
	ds_read2_b64 v[104:107], v90 offset0:38 offset1:39
	ds_read_b64 v[86:87], v90 offset:320
	s_waitcnt lgkmcnt(0)
	v_fma_f64 v[14:15], -v[80:81], v[100:101], v[14:15]
	v_fma_f64 v[12:13], -v[80:81], v[102:103], v[12:13]
	;; [unrolled: 1-line block ×7, first 2 shown]
.LBB80_29:
	s_or_b64 exec, exec, s[14:15]
	v_lshl_add_u32 v86, v91, 3, v90
	s_barrier
	ds_write_b64 v86, v[78:79]
	s_waitcnt lgkmcnt(0)
	s_barrier
	ds_read_b64 v[86:87], v90 offset:16
	s_mov_b32 s9, 3
	s_cmp_lt_i32 s18, 4
	v_mov_b32_e32 v88, 2
	s_cbranch_scc1 .LBB80_32
; %bb.30:
	v_add3_u32 v94, v95, 0, 24
	v_mov_b32_e32 v88, 2
.LBB80_31:                              ; =>This Inner Loop Header: Depth=1
	ds_read_b64 v[96:97], v94
	v_mov_b32_e32 v98, s9
	s_add_i32 s9, s9, 1
	v_add_u32_e32 v94, 8, v94
	s_cmp_lg_u32 s18, s9
	s_waitcnt lgkmcnt(0)
	v_cmp_lt_f64_e64 vcc, |v[86:87]|, |v[96:97]|
	v_cndmask_b32_e32 v87, v87, v97, vcc
	v_cndmask_b32_e32 v86, v86, v96, vcc
	;; [unrolled: 1-line block ×3, first 2 shown]
	s_cbranch_scc1 .LBB80_31
.LBB80_32:
	v_cndmask_b32_e64 v94, 2, 1, s[0:1]
	v_cndmask_b32_e64 v96, 0, 1, s[0:1]
	;; [unrolled: 1-line block ×3, first 2 shown]
	s_waitcnt lgkmcnt(0)
	v_cmp_eq_f64_e32 vcc, 0, v[86:87]
	s_and_saveexec_b64 s[0:1], vcc
	s_xor_b64 s[0:1], exec, s[0:1]
; %bb.33:
	v_cmp_ne_u32_e32 vcc, 0, v94
	v_cndmask_b32_e32 v94, 3, v94, vcc
; %bb.34:
	s_andn2_saveexec_b64 s[0:1], s[0:1]
; %bb.35:
	v_div_scale_f64 v[96:97], s[2:3], v[86:87], v[86:87], 1.0
	v_rcp_f64_e32 v[98:99], v[96:97]
	v_div_scale_f64 v[100:101], vcc, 1.0, v[86:87], 1.0
	v_fma_f64 v[102:103], -v[96:97], v[98:99], 1.0
	v_fmac_f64_e32 v[98:99], v[98:99], v[102:103]
	v_fma_f64 v[102:103], -v[96:97], v[98:99], 1.0
	v_fmac_f64_e32 v[98:99], v[98:99], v[102:103]
	v_mul_f64 v[102:103], v[100:101], v[98:99]
	v_fma_f64 v[96:97], -v[96:97], v[102:103], v[100:101]
	v_div_fmas_f64 v[96:97], v[96:97], v[98:99], v[102:103]
	v_div_fixup_f64 v[86:87], v[96:97], v[86:87], 1.0
; %bb.36:
	s_or_b64 exec, exec, s[0:1]
	v_cmp_ne_u32_e32 vcc, v91, v88
	s_and_saveexec_b64 s[0:1], vcc
	s_xor_b64 s[0:1], exec, s[0:1]
	s_cbranch_execz .LBB80_42
; %bb.37:
	v_cmp_eq_u32_e32 vcc, 2, v91
	s_and_saveexec_b64 s[2:3], vcc
	s_cbranch_execz .LBB80_41
; %bb.38:
	v_cmp_ne_u32_e32 vcc, 2, v88
	s_xor_b64 s[14:15], s[6:7], -1
	s_and_b64 s[16:17], s[14:15], vcc
	s_and_saveexec_b64 s[14:15], s[16:17]
	s_cbranch_execz .LBB80_40
; %bb.39:
	v_ashrrev_i32_e32 v89, 31, v88
	v_lshlrev_b64 v[96:97], 2, v[88:89]
	v_add_co_u32_e32 v96, vcc, v4, v96
	v_addc_co_u32_e32 v97, vcc, v5, v97, vcc
	flat_load_dword v89, v[96:97]
	flat_load_dword v91, v[4:5] offset:8
	s_waitcnt vmcnt(0) lgkmcnt(0)
	flat_store_dword v[4:5], v89 offset:8
	flat_store_dword v[96:97], v91
.LBB80_40:
	s_or_b64 exec, exec, s[14:15]
	v_mov_b32_e32 v89, v88
	v_mov_b32_e32 v91, v88
.LBB80_41:
	s_or_b64 exec, exec, s[2:3]
.LBB80_42:
	s_andn2_saveexec_b64 s[0:1], s[0:1]
	s_cbranch_execz .LBB80_44
; %bb.43:
	v_mov_b32_e32 v91, 2
	ds_write2_b64 v90, v[76:77], v[74:75] offset0:3 offset1:4
	ds_write2_b64 v90, v[72:73], v[70:71] offset0:5 offset1:6
	;; [unrolled: 1-line block ×19, first 2 shown]
.LBB80_44:
	s_or_b64 exec, exec, s[0:1]
	v_cmp_lt_i32_e32 vcc, 2, v91
	s_waitcnt lgkmcnt(0)
	s_barrier
	s_and_saveexec_b64 s[0:1], vcc
	s_cbranch_execz .LBB80_46
; %bb.45:
	ds_read2_b64 v[96:99], v90 offset0:3 offset1:4
	ds_read2_b64 v[100:103], v90 offset0:5 offset1:6
	v_mul_f64 v[78:79], v[86:87], v[78:79]
	ds_read2_b64 v[104:107], v90 offset0:7 offset1:8
	s_waitcnt lgkmcnt(0)
	v_fma_f64 v[76:77], -v[78:79], v[96:97], v[76:77]
	v_fma_f64 v[74:75], -v[78:79], v[98:99], v[74:75]
	ds_read2_b64 v[96:99], v90 offset0:9 offset1:10
	v_fma_f64 v[72:73], -v[78:79], v[100:101], v[72:73]
	v_fma_f64 v[70:71], -v[78:79], v[102:103], v[70:71]
	;; [unrolled: 1-line block ×3, first 2 shown]
	ds_read2_b64 v[100:103], v90 offset0:11 offset1:12
	v_fma_f64 v[66:67], -v[78:79], v[106:107], v[66:67]
	ds_read2_b64 v[104:107], v90 offset0:13 offset1:14
	s_waitcnt lgkmcnt(0)
	v_fma_f64 v[64:65], -v[78:79], v[96:97], v[64:65]
	v_fma_f64 v[62:63], -v[78:79], v[98:99], v[62:63]
	ds_read2_b64 v[96:99], v90 offset0:15 offset1:16
	v_fma_f64 v[60:61], -v[78:79], v[100:101], v[60:61]
	v_fma_f64 v[58:59], -v[78:79], v[102:103], v[58:59]
	ds_read2_b64 v[100:103], v90 offset0:17 offset1:18
	v_fma_f64 v[56:57], -v[78:79], v[104:105], v[56:57]
	v_fma_f64 v[52:53], -v[78:79], v[106:107], v[52:53]
	s_waitcnt lgkmcnt(0)
	v_fma_f64 v[54:55], -v[78:79], v[96:97], v[54:55]
	ds_read2_b64 v[104:107], v90 offset0:19 offset1:20
	v_fma_f64 v[50:51], -v[78:79], v[98:99], v[50:51]
	ds_read2_b64 v[96:99], v90 offset0:21 offset1:22
	v_fma_f64 v[48:49], -v[78:79], v[100:101], v[48:49]
	v_fma_f64 v[46:47], -v[78:79], v[102:103], v[46:47]
	s_waitcnt lgkmcnt(0)
	v_fma_f64 v[44:45], -v[78:79], v[104:105], v[44:45]
	ds_read2_b64 v[100:103], v90 offset0:23 offset1:24
	v_fma_f64 v[42:43], -v[78:79], v[106:107], v[42:43]
	ds_read2_b64 v[104:107], v90 offset0:25 offset1:26
	v_fma_f64 v[40:41], -v[78:79], v[96:97], v[40:41]
	v_fma_f64 v[38:39], -v[78:79], v[98:99], v[38:39]
	ds_read2_b64 v[96:99], v90 offset0:27 offset1:28
	s_waitcnt lgkmcnt(0)
	v_fma_f64 v[36:37], -v[78:79], v[100:101], v[36:37]
	v_fma_f64 v[34:35], -v[78:79], v[102:103], v[34:35]
	ds_read2_b64 v[100:103], v90 offset0:29 offset1:30
	v_fma_f64 v[32:33], -v[78:79], v[104:105], v[32:33]
	v_fma_f64 v[30:31], -v[78:79], v[106:107], v[30:31]
	v_fma_f64 v[28:29], -v[78:79], v[96:97], v[28:29]
	ds_read2_b64 v[104:107], v90 offset0:31 offset1:32
	v_fma_f64 v[26:27], -v[78:79], v[98:99], v[26:27]
	ds_read2_b64 v[96:99], v90 offset0:33 offset1:34
	s_waitcnt lgkmcnt(0)
	v_fma_f64 v[22:23], -v[78:79], v[100:101], v[22:23]
	v_fma_f64 v[24:25], -v[78:79], v[102:103], v[24:25]
	;; [unrolled: 1-line block ×4, first 2 shown]
	ds_read2_b64 v[100:103], v90 offset0:35 offset1:36
	ds_read2_b64 v[104:107], v90 offset0:37 offset1:38
	v_fma_f64 v[16:17], -v[78:79], v[96:97], v[16:17]
	v_fma_f64 v[14:15], -v[78:79], v[98:99], v[14:15]
	ds_read2_b64 v[96:99], v90 offset0:39 offset1:40
	s_waitcnt lgkmcnt(0)
	v_fma_f64 v[12:13], -v[78:79], v[100:101], v[12:13]
	v_fma_f64 v[10:11], -v[78:79], v[102:103], v[10:11]
	;; [unrolled: 1-line block ×6, first 2 shown]
.LBB80_46:
	s_or_b64 exec, exec, s[0:1]
	v_lshl_add_u32 v86, v91, 3, v90
	s_barrier
	ds_write_b64 v86, v[76:77]
	s_waitcnt lgkmcnt(0)
	s_barrier
	ds_read_b64 v[86:87], v90 offset:24
	s_cmp_lt_i32 s18, 5
	v_mov_b32_e32 v88, 3
	s_cbranch_scc1 .LBB80_49
; %bb.47:
	v_add3_u32 v96, v95, 0, 32
	s_mov_b32 s0, 4
	v_mov_b32_e32 v88, 3
.LBB80_48:                              ; =>This Inner Loop Header: Depth=1
	ds_read_b64 v[98:99], v96
	v_mov_b32_e32 v97, s0
	s_add_i32 s0, s0, 1
	v_add_u32_e32 v96, 8, v96
	s_cmp_lg_u32 s18, s0
	s_waitcnt lgkmcnt(0)
	v_cmp_lt_f64_e64 vcc, |v[86:87]|, |v[98:99]|
	v_cndmask_b32_e32 v87, v87, v99, vcc
	v_cndmask_b32_e32 v86, v86, v98, vcc
	;; [unrolled: 1-line block ×3, first 2 shown]
	s_cbranch_scc1 .LBB80_48
.LBB80_49:
	s_waitcnt lgkmcnt(0)
	v_cmp_eq_f64_e32 vcc, 0, v[86:87]
	s_and_saveexec_b64 s[0:1], vcc
	s_xor_b64 s[0:1], exec, s[0:1]
; %bb.50:
	v_cmp_ne_u32_e32 vcc, 0, v94
	v_cndmask_b32_e32 v94, 4, v94, vcc
; %bb.51:
	s_andn2_saveexec_b64 s[0:1], s[0:1]
; %bb.52:
	v_div_scale_f64 v[96:97], s[2:3], v[86:87], v[86:87], 1.0
	v_rcp_f64_e32 v[98:99], v[96:97]
	v_div_scale_f64 v[100:101], vcc, 1.0, v[86:87], 1.0
	v_fma_f64 v[102:103], -v[96:97], v[98:99], 1.0
	v_fmac_f64_e32 v[98:99], v[98:99], v[102:103]
	v_fma_f64 v[102:103], -v[96:97], v[98:99], 1.0
	v_fmac_f64_e32 v[98:99], v[98:99], v[102:103]
	v_mul_f64 v[102:103], v[100:101], v[98:99]
	v_fma_f64 v[96:97], -v[96:97], v[102:103], v[100:101]
	v_div_fmas_f64 v[96:97], v[96:97], v[98:99], v[102:103]
	v_div_fixup_f64 v[86:87], v[96:97], v[86:87], 1.0
; %bb.53:
	s_or_b64 exec, exec, s[0:1]
	v_cmp_ne_u32_e32 vcc, v91, v88
	s_and_saveexec_b64 s[0:1], vcc
	s_xor_b64 s[0:1], exec, s[0:1]
	s_cbranch_execz .LBB80_59
; %bb.54:
	v_cmp_eq_u32_e32 vcc, 3, v91
	s_and_saveexec_b64 s[2:3], vcc
	s_cbranch_execz .LBB80_58
; %bb.55:
	v_cmp_ne_u32_e32 vcc, 3, v88
	s_xor_b64 s[14:15], s[6:7], -1
	s_and_b64 s[16:17], s[14:15], vcc
	s_and_saveexec_b64 s[14:15], s[16:17]
	s_cbranch_execz .LBB80_57
; %bb.56:
	v_ashrrev_i32_e32 v89, 31, v88
	v_lshlrev_b64 v[96:97], 2, v[88:89]
	v_add_co_u32_e32 v96, vcc, v4, v96
	v_addc_co_u32_e32 v97, vcc, v5, v97, vcc
	flat_load_dword v89, v[96:97]
	flat_load_dword v91, v[4:5] offset:12
	s_waitcnt vmcnt(0) lgkmcnt(0)
	flat_store_dword v[4:5], v89 offset:12
	flat_store_dword v[96:97], v91
.LBB80_57:
	s_or_b64 exec, exec, s[14:15]
	v_mov_b32_e32 v89, v88
	v_mov_b32_e32 v91, v88
.LBB80_58:
	s_or_b64 exec, exec, s[2:3]
.LBB80_59:
	s_andn2_saveexec_b64 s[0:1], s[0:1]
	s_cbranch_execz .LBB80_61
; %bb.60:
	v_mov_b32_e32 v96, v74
	v_mov_b32_e32 v97, v75
	v_mov_b32_e32 v98, v72
	v_mov_b32_e32 v99, v73
	ds_write2_b64 v90, v[96:97], v[98:99] offset0:4 offset1:5
	v_mov_b32_e32 v96, v70
	v_mov_b32_e32 v97, v71
	v_mov_b32_e32 v98, v68
	v_mov_b32_e32 v99, v69
	ds_write2_b64 v90, v[96:97], v[98:99] offset0:6 offset1:7
	;; [unrolled: 5-line block ×17, first 2 shown]
	v_mov_b32_e32 v96, v6
	v_mov_b32_e32 v97, v7
	;; [unrolled: 1-line block ×5, first 2 shown]
	ds_write2_b64 v90, v[96:97], v[98:99] offset0:38 offset1:39
	ds_write_b64 v90, v[84:85] offset:320
.LBB80_61:
	s_or_b64 exec, exec, s[0:1]
	v_cmp_lt_i32_e32 vcc, 3, v91
	s_waitcnt lgkmcnt(0)
	s_barrier
	s_and_saveexec_b64 s[0:1], vcc
	s_cbranch_execz .LBB80_63
; %bb.62:
	ds_read2_b64 v[96:99], v90 offset0:4 offset1:5
	ds_read2_b64 v[100:103], v90 offset0:6 offset1:7
	;; [unrolled: 1-line block ×3, first 2 shown]
	v_mul_f64 v[76:77], v[86:87], v[76:77]
	ds_read_b64 v[86:87], v90 offset:320
	s_waitcnt lgkmcnt(0)
	v_fma_f64 v[74:75], -v[76:77], v[96:97], v[74:75]
	v_fma_f64 v[72:73], -v[76:77], v[98:99], v[72:73]
	ds_read2_b64 v[96:99], v90 offset0:10 offset1:11
	v_fma_f64 v[70:71], -v[76:77], v[100:101], v[70:71]
	v_fma_f64 v[68:69], -v[76:77], v[102:103], v[68:69]
	;; [unrolled: 1-line block ×3, first 2 shown]
	ds_read2_b64 v[100:103], v90 offset0:12 offset1:13
	v_fma_f64 v[64:65], -v[76:77], v[106:107], v[64:65]
	ds_read2_b64 v[104:107], v90 offset0:14 offset1:15
	s_waitcnt lgkmcnt(0)
	v_fma_f64 v[62:63], -v[76:77], v[96:97], v[62:63]
	v_fma_f64 v[60:61], -v[76:77], v[98:99], v[60:61]
	;; [unrolled: 1-line block ×3, first 2 shown]
	ds_read2_b64 v[96:99], v90 offset0:16 offset1:17
	v_fma_f64 v[56:57], -v[76:77], v[102:103], v[56:57]
	ds_read2_b64 v[100:103], v90 offset0:18 offset1:19
	v_fma_f64 v[52:53], -v[76:77], v[104:105], v[52:53]
	v_fma_f64 v[54:55], -v[76:77], v[106:107], v[54:55]
	ds_read2_b64 v[104:107], v90 offset0:20 offset1:21
	s_waitcnt lgkmcnt(0)
	v_fma_f64 v[50:51], -v[76:77], v[96:97], v[50:51]
	v_fma_f64 v[48:49], -v[76:77], v[98:99], v[48:49]
	ds_read2_b64 v[96:99], v90 offset0:22 offset1:23
	v_fma_f64 v[46:47], -v[76:77], v[100:101], v[46:47]
	v_fma_f64 v[44:45], -v[76:77], v[102:103], v[44:45]
	;; [unrolled: 1-line block ×3, first 2 shown]
	ds_read2_b64 v[100:103], v90 offset0:24 offset1:25
	v_fma_f64 v[40:41], -v[76:77], v[106:107], v[40:41]
	ds_read2_b64 v[104:107], v90 offset0:26 offset1:27
	s_waitcnt lgkmcnt(0)
	v_fma_f64 v[38:39], -v[76:77], v[96:97], v[38:39]
	v_fma_f64 v[36:37], -v[76:77], v[98:99], v[36:37]
	v_fma_f64 v[34:35], -v[76:77], v[100:101], v[34:35]
	ds_read2_b64 v[96:99], v90 offset0:28 offset1:29
	v_fma_f64 v[32:33], -v[76:77], v[102:103], v[32:33]
	ds_read2_b64 v[100:103], v90 offset0:30 offset1:31
	v_fma_f64 v[30:31], -v[76:77], v[104:105], v[30:31]
	v_fma_f64 v[28:29], -v[76:77], v[106:107], v[28:29]
	ds_read2_b64 v[104:107], v90 offset0:32 offset1:33
	s_waitcnt lgkmcnt(0)
	v_fma_f64 v[26:27], -v[76:77], v[96:97], v[26:27]
	v_fma_f64 v[22:23], -v[76:77], v[98:99], v[22:23]
	ds_read2_b64 v[96:99], v90 offset0:34 offset1:35
	v_fma_f64 v[24:25], -v[76:77], v[100:101], v[24:25]
	v_fma_f64 v[20:21], -v[76:77], v[102:103], v[20:21]
	;; [unrolled: 1-line block ×4, first 2 shown]
	ds_read2_b64 v[100:103], v90 offset0:36 offset1:37
	ds_read2_b64 v[104:107], v90 offset0:38 offset1:39
	s_waitcnt lgkmcnt(0)
	v_fma_f64 v[14:15], -v[76:77], v[96:97], v[14:15]
	v_fma_f64 v[12:13], -v[76:77], v[98:99], v[12:13]
	;; [unrolled: 1-line block ×7, first 2 shown]
.LBB80_63:
	s_or_b64 exec, exec, s[0:1]
	v_lshl_add_u32 v86, v91, 3, v90
	s_barrier
	ds_write_b64 v86, v[74:75]
	s_waitcnt lgkmcnt(0)
	s_barrier
	ds_read_b64 v[86:87], v90 offset:32
	s_cmp_lt_i32 s18, 6
	v_mov_b32_e32 v88, 4
	s_cbranch_scc1 .LBB80_66
; %bb.64:
	v_add3_u32 v96, v95, 0, 40
	s_mov_b32 s0, 5
	v_mov_b32_e32 v88, 4
.LBB80_65:                              ; =>This Inner Loop Header: Depth=1
	ds_read_b64 v[98:99], v96
	v_mov_b32_e32 v97, s0
	s_add_i32 s0, s0, 1
	v_add_u32_e32 v96, 8, v96
	s_cmp_lg_u32 s18, s0
	s_waitcnt lgkmcnt(0)
	v_cmp_lt_f64_e64 vcc, |v[86:87]|, |v[98:99]|
	v_cndmask_b32_e32 v87, v87, v99, vcc
	v_cndmask_b32_e32 v86, v86, v98, vcc
	;; [unrolled: 1-line block ×3, first 2 shown]
	s_cbranch_scc1 .LBB80_65
.LBB80_66:
	s_waitcnt lgkmcnt(0)
	v_cmp_eq_f64_e32 vcc, 0, v[86:87]
	s_and_saveexec_b64 s[0:1], vcc
	s_xor_b64 s[0:1], exec, s[0:1]
; %bb.67:
	v_cmp_ne_u32_e32 vcc, 0, v94
	v_cndmask_b32_e32 v94, 5, v94, vcc
; %bb.68:
	s_andn2_saveexec_b64 s[0:1], s[0:1]
; %bb.69:
	v_div_scale_f64 v[96:97], s[2:3], v[86:87], v[86:87], 1.0
	v_rcp_f64_e32 v[98:99], v[96:97]
	v_div_scale_f64 v[100:101], vcc, 1.0, v[86:87], 1.0
	v_fma_f64 v[102:103], -v[96:97], v[98:99], 1.0
	v_fmac_f64_e32 v[98:99], v[98:99], v[102:103]
	v_fma_f64 v[102:103], -v[96:97], v[98:99], 1.0
	v_fmac_f64_e32 v[98:99], v[98:99], v[102:103]
	v_mul_f64 v[102:103], v[100:101], v[98:99]
	v_fma_f64 v[96:97], -v[96:97], v[102:103], v[100:101]
	v_div_fmas_f64 v[96:97], v[96:97], v[98:99], v[102:103]
	v_div_fixup_f64 v[86:87], v[96:97], v[86:87], 1.0
; %bb.70:
	s_or_b64 exec, exec, s[0:1]
	v_cmp_ne_u32_e32 vcc, v91, v88
	s_and_saveexec_b64 s[0:1], vcc
	s_xor_b64 s[0:1], exec, s[0:1]
	s_cbranch_execz .LBB80_76
; %bb.71:
	v_cmp_eq_u32_e32 vcc, 4, v91
	s_and_saveexec_b64 s[2:3], vcc
	s_cbranch_execz .LBB80_75
; %bb.72:
	v_cmp_ne_u32_e32 vcc, 4, v88
	s_xor_b64 s[14:15], s[6:7], -1
	s_and_b64 s[16:17], s[14:15], vcc
	s_and_saveexec_b64 s[14:15], s[16:17]
	s_cbranch_execz .LBB80_74
; %bb.73:
	v_ashrrev_i32_e32 v89, 31, v88
	v_lshlrev_b64 v[96:97], 2, v[88:89]
	v_add_co_u32_e32 v96, vcc, v4, v96
	v_addc_co_u32_e32 v97, vcc, v5, v97, vcc
	flat_load_dword v89, v[96:97]
	flat_load_dword v91, v[4:5] offset:16
	s_waitcnt vmcnt(0) lgkmcnt(0)
	flat_store_dword v[4:5], v89 offset:16
	flat_store_dword v[96:97], v91
.LBB80_74:
	s_or_b64 exec, exec, s[14:15]
	v_mov_b32_e32 v89, v88
	v_mov_b32_e32 v91, v88
.LBB80_75:
	s_or_b64 exec, exec, s[2:3]
.LBB80_76:
	s_andn2_saveexec_b64 s[0:1], s[0:1]
	s_cbranch_execz .LBB80_78
; %bb.77:
	v_mov_b32_e32 v91, 4
	ds_write2_b64 v90, v[72:73], v[70:71] offset0:5 offset1:6
	ds_write2_b64 v90, v[68:69], v[66:67] offset0:7 offset1:8
	;; [unrolled: 1-line block ×18, first 2 shown]
.LBB80_78:
	s_or_b64 exec, exec, s[0:1]
	v_cmp_lt_i32_e32 vcc, 4, v91
	s_waitcnt lgkmcnt(0)
	s_barrier
	s_and_saveexec_b64 s[0:1], vcc
	s_cbranch_execz .LBB80_80
; %bb.79:
	ds_read2_b64 v[96:99], v90 offset0:5 offset1:6
	ds_read2_b64 v[100:103], v90 offset0:7 offset1:8
	;; [unrolled: 1-line block ×3, first 2 shown]
	v_mul_f64 v[74:75], v[86:87], v[74:75]
	s_waitcnt lgkmcnt(0)
	v_fma_f64 v[72:73], -v[74:75], v[96:97], v[72:73]
	v_fma_f64 v[70:71], -v[74:75], v[98:99], v[70:71]
	ds_read2_b64 v[96:99], v90 offset0:11 offset1:12
	v_fma_f64 v[68:69], -v[74:75], v[100:101], v[68:69]
	v_fma_f64 v[66:67], -v[74:75], v[102:103], v[66:67]
	;; [unrolled: 1-line block ×3, first 2 shown]
	ds_read2_b64 v[100:103], v90 offset0:13 offset1:14
	v_fma_f64 v[62:63], -v[74:75], v[106:107], v[62:63]
	ds_read2_b64 v[104:107], v90 offset0:15 offset1:16
	s_waitcnt lgkmcnt(0)
	v_fma_f64 v[60:61], -v[74:75], v[96:97], v[60:61]
	v_fma_f64 v[58:59], -v[74:75], v[98:99], v[58:59]
	;; [unrolled: 1-line block ×3, first 2 shown]
	ds_read2_b64 v[96:99], v90 offset0:17 offset1:18
	v_fma_f64 v[52:53], -v[74:75], v[102:103], v[52:53]
	ds_read2_b64 v[100:103], v90 offset0:19 offset1:20
	v_fma_f64 v[54:55], -v[74:75], v[104:105], v[54:55]
	v_fma_f64 v[50:51], -v[74:75], v[106:107], v[50:51]
	ds_read2_b64 v[104:107], v90 offset0:21 offset1:22
	s_waitcnt lgkmcnt(0)
	v_fma_f64 v[48:49], -v[74:75], v[96:97], v[48:49]
	v_fma_f64 v[46:47], -v[74:75], v[98:99], v[46:47]
	ds_read2_b64 v[96:99], v90 offset0:23 offset1:24
	v_fma_f64 v[44:45], -v[74:75], v[100:101], v[44:45]
	v_fma_f64 v[42:43], -v[74:75], v[102:103], v[42:43]
	;; [unrolled: 1-line block ×3, first 2 shown]
	ds_read2_b64 v[100:103], v90 offset0:25 offset1:26
	v_fma_f64 v[38:39], -v[74:75], v[106:107], v[38:39]
	ds_read2_b64 v[104:107], v90 offset0:27 offset1:28
	s_waitcnt lgkmcnt(0)
	v_fma_f64 v[36:37], -v[74:75], v[96:97], v[36:37]
	v_fma_f64 v[34:35], -v[74:75], v[98:99], v[34:35]
	;; [unrolled: 1-line block ×3, first 2 shown]
	ds_read2_b64 v[96:99], v90 offset0:29 offset1:30
	v_fma_f64 v[30:31], -v[74:75], v[102:103], v[30:31]
	ds_read2_b64 v[100:103], v90 offset0:31 offset1:32
	v_fma_f64 v[28:29], -v[74:75], v[104:105], v[28:29]
	v_fma_f64 v[26:27], -v[74:75], v[106:107], v[26:27]
	ds_read2_b64 v[104:107], v90 offset0:33 offset1:34
	s_waitcnt lgkmcnt(0)
	v_fma_f64 v[22:23], -v[74:75], v[96:97], v[22:23]
	v_fma_f64 v[24:25], -v[74:75], v[98:99], v[24:25]
	ds_read2_b64 v[96:99], v90 offset0:35 offset1:36
	v_fma_f64 v[20:21], -v[74:75], v[100:101], v[20:21]
	v_fma_f64 v[18:19], -v[74:75], v[102:103], v[18:19]
	;; [unrolled: 1-line block ×3, first 2 shown]
	ds_read2_b64 v[100:103], v90 offset0:37 offset1:38
	v_fma_f64 v[14:15], -v[74:75], v[106:107], v[14:15]
	ds_read2_b64 v[104:107], v90 offset0:39 offset1:40
	s_waitcnt lgkmcnt(0)
	v_fma_f64 v[12:13], -v[74:75], v[96:97], v[12:13]
	v_fma_f64 v[10:11], -v[74:75], v[98:99], v[10:11]
	;; [unrolled: 1-line block ×6, first 2 shown]
.LBB80_80:
	s_or_b64 exec, exec, s[0:1]
	v_lshl_add_u32 v86, v91, 3, v90
	s_barrier
	ds_write_b64 v86, v[72:73]
	s_waitcnt lgkmcnt(0)
	s_barrier
	ds_read_b64 v[86:87], v90 offset:40
	s_cmp_lt_i32 s18, 7
	v_mov_b32_e32 v88, 5
	s_cbranch_scc1 .LBB80_83
; %bb.81:
	v_add3_u32 v96, v95, 0, 48
	s_mov_b32 s0, 6
	v_mov_b32_e32 v88, 5
.LBB80_82:                              ; =>This Inner Loop Header: Depth=1
	ds_read_b64 v[98:99], v96
	v_mov_b32_e32 v97, s0
	s_add_i32 s0, s0, 1
	v_add_u32_e32 v96, 8, v96
	s_cmp_lg_u32 s18, s0
	s_waitcnt lgkmcnt(0)
	v_cmp_lt_f64_e64 vcc, |v[86:87]|, |v[98:99]|
	v_cndmask_b32_e32 v87, v87, v99, vcc
	v_cndmask_b32_e32 v86, v86, v98, vcc
	v_cndmask_b32_e32 v88, v88, v97, vcc
	s_cbranch_scc1 .LBB80_82
.LBB80_83:
	s_waitcnt lgkmcnt(0)
	v_cmp_eq_f64_e32 vcc, 0, v[86:87]
	s_and_saveexec_b64 s[0:1], vcc
	s_xor_b64 s[0:1], exec, s[0:1]
; %bb.84:
	v_cmp_ne_u32_e32 vcc, 0, v94
	v_cndmask_b32_e32 v94, 6, v94, vcc
; %bb.85:
	s_andn2_saveexec_b64 s[0:1], s[0:1]
; %bb.86:
	v_div_scale_f64 v[96:97], s[2:3], v[86:87], v[86:87], 1.0
	v_rcp_f64_e32 v[98:99], v[96:97]
	v_div_scale_f64 v[100:101], vcc, 1.0, v[86:87], 1.0
	v_fma_f64 v[102:103], -v[96:97], v[98:99], 1.0
	v_fmac_f64_e32 v[98:99], v[98:99], v[102:103]
	v_fma_f64 v[102:103], -v[96:97], v[98:99], 1.0
	v_fmac_f64_e32 v[98:99], v[98:99], v[102:103]
	v_mul_f64 v[102:103], v[100:101], v[98:99]
	v_fma_f64 v[96:97], -v[96:97], v[102:103], v[100:101]
	v_div_fmas_f64 v[96:97], v[96:97], v[98:99], v[102:103]
	v_div_fixup_f64 v[86:87], v[96:97], v[86:87], 1.0
; %bb.87:
	s_or_b64 exec, exec, s[0:1]
	v_cmp_ne_u32_e32 vcc, v91, v88
	s_and_saveexec_b64 s[0:1], vcc
	s_xor_b64 s[0:1], exec, s[0:1]
	s_cbranch_execz .LBB80_93
; %bb.88:
	v_cmp_eq_u32_e32 vcc, 5, v91
	s_and_saveexec_b64 s[2:3], vcc
	s_cbranch_execz .LBB80_92
; %bb.89:
	v_cmp_ne_u32_e32 vcc, 5, v88
	s_xor_b64 s[14:15], s[6:7], -1
	s_and_b64 s[16:17], s[14:15], vcc
	s_and_saveexec_b64 s[14:15], s[16:17]
	s_cbranch_execz .LBB80_91
; %bb.90:
	v_ashrrev_i32_e32 v89, 31, v88
	v_lshlrev_b64 v[96:97], 2, v[88:89]
	v_add_co_u32_e32 v96, vcc, v4, v96
	v_addc_co_u32_e32 v97, vcc, v5, v97, vcc
	flat_load_dword v89, v[96:97]
	flat_load_dword v91, v[4:5] offset:20
	s_waitcnt vmcnt(0) lgkmcnt(0)
	flat_store_dword v[4:5], v89 offset:20
	flat_store_dword v[96:97], v91
.LBB80_91:
	s_or_b64 exec, exec, s[14:15]
	v_mov_b32_e32 v89, v88
	v_mov_b32_e32 v91, v88
.LBB80_92:
	s_or_b64 exec, exec, s[2:3]
.LBB80_93:
	s_andn2_saveexec_b64 s[0:1], s[0:1]
	s_cbranch_execz .LBB80_95
; %bb.94:
	v_mov_b32_e32 v96, v70
	v_mov_b32_e32 v97, v71
	v_mov_b32_e32 v98, v68
	v_mov_b32_e32 v99, v69
	ds_write2_b64 v90, v[96:97], v[98:99] offset0:6 offset1:7
	v_mov_b32_e32 v96, v66
	v_mov_b32_e32 v97, v67
	v_mov_b32_e32 v98, v64
	v_mov_b32_e32 v99, v65
	ds_write2_b64 v90, v[96:97], v[98:99] offset0:8 offset1:9
	;; [unrolled: 5-line block ×16, first 2 shown]
	v_mov_b32_e32 v96, v6
	v_mov_b32_e32 v97, v7
	v_mov_b32_e32 v98, v0
	v_mov_b32_e32 v99, v1
	v_mov_b32_e32 v91, 5
	ds_write2_b64 v90, v[96:97], v[98:99] offset0:38 offset1:39
	ds_write_b64 v90, v[84:85] offset:320
.LBB80_95:
	s_or_b64 exec, exec, s[0:1]
	v_cmp_lt_i32_e32 vcc, 5, v91
	s_waitcnt lgkmcnt(0)
	s_barrier
	s_and_saveexec_b64 s[0:1], vcc
	s_cbranch_execz .LBB80_97
; %bb.96:
	ds_read2_b64 v[96:99], v90 offset0:6 offset1:7
	ds_read2_b64 v[100:103], v90 offset0:8 offset1:9
	v_mul_f64 v[72:73], v[86:87], v[72:73]
	ds_read2_b64 v[104:107], v90 offset0:10 offset1:11
	ds_read_b64 v[86:87], v90 offset:320
	s_waitcnt lgkmcnt(0)
	v_fma_f64 v[70:71], -v[72:73], v[96:97], v[70:71]
	v_fma_f64 v[68:69], -v[72:73], v[98:99], v[68:69]
	ds_read2_b64 v[96:99], v90 offset0:12 offset1:13
	v_fma_f64 v[66:67], -v[72:73], v[100:101], v[66:67]
	v_fma_f64 v[64:65], -v[72:73], v[102:103], v[64:65]
	ds_read2_b64 v[100:103], v90 offset0:14 offset1:15
	v_fma_f64 v[62:63], -v[72:73], v[104:105], v[62:63]
	v_fma_f64 v[60:61], -v[72:73], v[106:107], v[60:61]
	ds_read2_b64 v[104:107], v90 offset0:16 offset1:17
	s_waitcnt lgkmcnt(0)
	v_fma_f64 v[58:59], -v[72:73], v[96:97], v[58:59]
	v_fma_f64 v[56:57], -v[72:73], v[98:99], v[56:57]
	;; [unrolled: 1-line block ×3, first 2 shown]
	ds_read2_b64 v[96:99], v90 offset0:18 offset1:19
	v_fma_f64 v[54:55], -v[72:73], v[102:103], v[54:55]
	ds_read2_b64 v[100:103], v90 offset0:20 offset1:21
	v_fma_f64 v[50:51], -v[72:73], v[104:105], v[50:51]
	v_fma_f64 v[48:49], -v[72:73], v[106:107], v[48:49]
	s_waitcnt lgkmcnt(0)
	v_fma_f64 v[46:47], -v[72:73], v[96:97], v[46:47]
	ds_read2_b64 v[104:107], v90 offset0:22 offset1:23
	v_fma_f64 v[44:45], -v[72:73], v[98:99], v[44:45]
	ds_read2_b64 v[96:99], v90 offset0:24 offset1:25
	v_fma_f64 v[42:43], -v[72:73], v[100:101], v[42:43]
	v_fma_f64 v[40:41], -v[72:73], v[102:103], v[40:41]
	ds_read2_b64 v[100:103], v90 offset0:26 offset1:27
	s_waitcnt lgkmcnt(0)
	v_fma_f64 v[38:39], -v[72:73], v[104:105], v[38:39]
	v_fma_f64 v[36:37], -v[72:73], v[106:107], v[36:37]
	ds_read2_b64 v[104:107], v90 offset0:28 offset1:29
	v_fma_f64 v[34:35], -v[72:73], v[96:97], v[34:35]
	v_fma_f64 v[32:33], -v[72:73], v[98:99], v[32:33]
	;; [unrolled: 1-line block ×3, first 2 shown]
	ds_read2_b64 v[96:99], v90 offset0:30 offset1:31
	v_fma_f64 v[28:29], -v[72:73], v[102:103], v[28:29]
	ds_read2_b64 v[100:103], v90 offset0:32 offset1:33
	s_waitcnt lgkmcnt(0)
	v_fma_f64 v[26:27], -v[72:73], v[104:105], v[26:27]
	v_fma_f64 v[22:23], -v[72:73], v[106:107], v[22:23]
	;; [unrolled: 1-line block ×3, first 2 shown]
	ds_read2_b64 v[104:107], v90 offset0:34 offset1:35
	v_fma_f64 v[20:21], -v[72:73], v[98:99], v[20:21]
	ds_read2_b64 v[96:99], v90 offset0:36 offset1:37
	v_fma_f64 v[18:19], -v[72:73], v[100:101], v[18:19]
	v_fma_f64 v[16:17], -v[72:73], v[102:103], v[16:17]
	ds_read2_b64 v[100:103], v90 offset0:38 offset1:39
	s_waitcnt lgkmcnt(0)
	v_fma_f64 v[14:15], -v[72:73], v[104:105], v[14:15]
	v_fma_f64 v[12:13], -v[72:73], v[106:107], v[12:13]
	;; [unrolled: 1-line block ×7, first 2 shown]
.LBB80_97:
	s_or_b64 exec, exec, s[0:1]
	v_lshl_add_u32 v86, v91, 3, v90
	s_barrier
	ds_write_b64 v86, v[70:71]
	s_waitcnt lgkmcnt(0)
	s_barrier
	ds_read_b64 v[86:87], v90 offset:48
	s_cmp_lt_i32 s18, 8
	v_mov_b32_e32 v88, 6
	s_cbranch_scc1 .LBB80_100
; %bb.98:
	v_add3_u32 v96, v95, 0, 56
	s_mov_b32 s0, 7
	v_mov_b32_e32 v88, 6
.LBB80_99:                              ; =>This Inner Loop Header: Depth=1
	ds_read_b64 v[98:99], v96
	v_mov_b32_e32 v97, s0
	s_add_i32 s0, s0, 1
	v_add_u32_e32 v96, 8, v96
	s_cmp_lg_u32 s18, s0
	s_waitcnt lgkmcnt(0)
	v_cmp_lt_f64_e64 vcc, |v[86:87]|, |v[98:99]|
	v_cndmask_b32_e32 v87, v87, v99, vcc
	v_cndmask_b32_e32 v86, v86, v98, vcc
	;; [unrolled: 1-line block ×3, first 2 shown]
	s_cbranch_scc1 .LBB80_99
.LBB80_100:
	s_waitcnt lgkmcnt(0)
	v_cmp_eq_f64_e32 vcc, 0, v[86:87]
	s_and_saveexec_b64 s[0:1], vcc
	s_xor_b64 s[0:1], exec, s[0:1]
; %bb.101:
	v_cmp_ne_u32_e32 vcc, 0, v94
	v_cndmask_b32_e32 v94, 7, v94, vcc
; %bb.102:
	s_andn2_saveexec_b64 s[0:1], s[0:1]
; %bb.103:
	v_div_scale_f64 v[96:97], s[2:3], v[86:87], v[86:87], 1.0
	v_rcp_f64_e32 v[98:99], v[96:97]
	v_div_scale_f64 v[100:101], vcc, 1.0, v[86:87], 1.0
	v_fma_f64 v[102:103], -v[96:97], v[98:99], 1.0
	v_fmac_f64_e32 v[98:99], v[98:99], v[102:103]
	v_fma_f64 v[102:103], -v[96:97], v[98:99], 1.0
	v_fmac_f64_e32 v[98:99], v[98:99], v[102:103]
	v_mul_f64 v[102:103], v[100:101], v[98:99]
	v_fma_f64 v[96:97], -v[96:97], v[102:103], v[100:101]
	v_div_fmas_f64 v[96:97], v[96:97], v[98:99], v[102:103]
	v_div_fixup_f64 v[86:87], v[96:97], v[86:87], 1.0
; %bb.104:
	s_or_b64 exec, exec, s[0:1]
	v_cmp_ne_u32_e32 vcc, v91, v88
	s_and_saveexec_b64 s[0:1], vcc
	s_xor_b64 s[0:1], exec, s[0:1]
	s_cbranch_execz .LBB80_110
; %bb.105:
	v_cmp_eq_u32_e32 vcc, 6, v91
	s_and_saveexec_b64 s[2:3], vcc
	s_cbranch_execz .LBB80_109
; %bb.106:
	v_cmp_ne_u32_e32 vcc, 6, v88
	s_xor_b64 s[14:15], s[6:7], -1
	s_and_b64 s[16:17], s[14:15], vcc
	s_and_saveexec_b64 s[14:15], s[16:17]
	s_cbranch_execz .LBB80_108
; %bb.107:
	v_ashrrev_i32_e32 v89, 31, v88
	v_lshlrev_b64 v[96:97], 2, v[88:89]
	v_add_co_u32_e32 v96, vcc, v4, v96
	v_addc_co_u32_e32 v97, vcc, v5, v97, vcc
	flat_load_dword v89, v[96:97]
	flat_load_dword v91, v[4:5] offset:24
	s_waitcnt vmcnt(0) lgkmcnt(0)
	flat_store_dword v[4:5], v89 offset:24
	flat_store_dword v[96:97], v91
.LBB80_108:
	s_or_b64 exec, exec, s[14:15]
	v_mov_b32_e32 v89, v88
	v_mov_b32_e32 v91, v88
.LBB80_109:
	s_or_b64 exec, exec, s[2:3]
.LBB80_110:
	s_andn2_saveexec_b64 s[0:1], s[0:1]
	s_cbranch_execz .LBB80_112
; %bb.111:
	v_mov_b32_e32 v91, 6
	ds_write2_b64 v90, v[68:69], v[66:67] offset0:7 offset1:8
	ds_write2_b64 v90, v[64:65], v[62:63] offset0:9 offset1:10
	;; [unrolled: 1-line block ×17, first 2 shown]
.LBB80_112:
	s_or_b64 exec, exec, s[0:1]
	v_cmp_lt_i32_e32 vcc, 6, v91
	s_waitcnt lgkmcnt(0)
	s_barrier
	s_and_saveexec_b64 s[0:1], vcc
	s_cbranch_execz .LBB80_114
; %bb.113:
	ds_read2_b64 v[96:99], v90 offset0:7 offset1:8
	ds_read2_b64 v[100:103], v90 offset0:9 offset1:10
	v_mul_f64 v[70:71], v[86:87], v[70:71]
	ds_read2_b64 v[104:107], v90 offset0:11 offset1:12
	s_waitcnt lgkmcnt(0)
	v_fma_f64 v[68:69], -v[70:71], v[96:97], v[68:69]
	v_fma_f64 v[66:67], -v[70:71], v[98:99], v[66:67]
	ds_read2_b64 v[96:99], v90 offset0:13 offset1:14
	v_fma_f64 v[64:65], -v[70:71], v[100:101], v[64:65]
	v_fma_f64 v[62:63], -v[70:71], v[102:103], v[62:63]
	ds_read2_b64 v[100:103], v90 offset0:15 offset1:16
	;; [unrolled: 3-line block ×3, first 2 shown]
	s_waitcnt lgkmcnt(0)
	v_fma_f64 v[56:57], -v[70:71], v[96:97], v[56:57]
	v_fma_f64 v[52:53], -v[70:71], v[98:99], v[52:53]
	;; [unrolled: 1-line block ×3, first 2 shown]
	ds_read2_b64 v[96:99], v90 offset0:19 offset1:20
	v_fma_f64 v[50:51], -v[70:71], v[102:103], v[50:51]
	ds_read2_b64 v[100:103], v90 offset0:21 offset1:22
	v_fma_f64 v[48:49], -v[70:71], v[104:105], v[48:49]
	v_fma_f64 v[46:47], -v[70:71], v[106:107], v[46:47]
	s_waitcnt lgkmcnt(0)
	v_fma_f64 v[44:45], -v[70:71], v[96:97], v[44:45]
	ds_read2_b64 v[104:107], v90 offset0:23 offset1:24
	v_fma_f64 v[42:43], -v[70:71], v[98:99], v[42:43]
	ds_read2_b64 v[96:99], v90 offset0:25 offset1:26
	v_fma_f64 v[40:41], -v[70:71], v[100:101], v[40:41]
	v_fma_f64 v[38:39], -v[70:71], v[102:103], v[38:39]
	ds_read2_b64 v[100:103], v90 offset0:27 offset1:28
	s_waitcnt lgkmcnt(0)
	v_fma_f64 v[36:37], -v[70:71], v[104:105], v[36:37]
	v_fma_f64 v[34:35], -v[70:71], v[106:107], v[34:35]
	ds_read2_b64 v[104:107], v90 offset0:29 offset1:30
	v_fma_f64 v[32:33], -v[70:71], v[96:97], v[32:33]
	v_fma_f64 v[30:31], -v[70:71], v[98:99], v[30:31]
	;; [unrolled: 1-line block ×3, first 2 shown]
	ds_read2_b64 v[96:99], v90 offset0:31 offset1:32
	v_fma_f64 v[26:27], -v[70:71], v[102:103], v[26:27]
	ds_read2_b64 v[100:103], v90 offset0:33 offset1:34
	s_waitcnt lgkmcnt(0)
	v_fma_f64 v[22:23], -v[70:71], v[104:105], v[22:23]
	v_fma_f64 v[24:25], -v[70:71], v[106:107], v[24:25]
	;; [unrolled: 1-line block ×4, first 2 shown]
	ds_read2_b64 v[96:99], v90 offset0:35 offset1:36
	ds_read2_b64 v[104:107], v90 offset0:37 offset1:38
	v_fma_f64 v[16:17], -v[70:71], v[100:101], v[16:17]
	v_fma_f64 v[14:15], -v[70:71], v[102:103], v[14:15]
	ds_read2_b64 v[100:103], v90 offset0:39 offset1:40
	s_waitcnt lgkmcnt(0)
	v_fma_f64 v[12:13], -v[70:71], v[96:97], v[12:13]
	v_fma_f64 v[10:11], -v[70:71], v[98:99], v[10:11]
	;; [unrolled: 1-line block ×6, first 2 shown]
.LBB80_114:
	s_or_b64 exec, exec, s[0:1]
	v_lshl_add_u32 v86, v91, 3, v90
	s_barrier
	ds_write_b64 v86, v[68:69]
	s_waitcnt lgkmcnt(0)
	s_barrier
	ds_read_b64 v[86:87], v90 offset:56
	s_cmp_lt_i32 s18, 9
	v_mov_b32_e32 v88, 7
	s_cbranch_scc1 .LBB80_117
; %bb.115:
	v_add3_u32 v95, v95, 0, 64
	s_mov_b32 s0, 8
	v_mov_b32_e32 v88, 7
.LBB80_116:                             ; =>This Inner Loop Header: Depth=1
	ds_read_b64 v[96:97], v95
	v_mov_b32_e32 v98, s0
	s_add_i32 s0, s0, 1
	v_add_u32_e32 v95, 8, v95
	s_cmp_lg_u32 s18, s0
	s_waitcnt lgkmcnt(0)
	v_cmp_lt_f64_e64 vcc, |v[86:87]|, |v[96:97]|
	v_cndmask_b32_e32 v87, v87, v97, vcc
	v_cndmask_b32_e32 v86, v86, v96, vcc
	;; [unrolled: 1-line block ×3, first 2 shown]
	s_cbranch_scc1 .LBB80_116
.LBB80_117:
	s_waitcnt lgkmcnt(0)
	v_cmp_eq_f64_e32 vcc, 0, v[86:87]
	s_and_saveexec_b64 s[0:1], vcc
	s_xor_b64 s[0:1], exec, s[0:1]
; %bb.118:
	v_cmp_ne_u32_e32 vcc, 0, v94
	v_cndmask_b32_e32 v94, 8, v94, vcc
; %bb.119:
	s_andn2_saveexec_b64 s[0:1], s[0:1]
; %bb.120:
	v_div_scale_f64 v[96:97], s[2:3], v[86:87], v[86:87], 1.0
	v_rcp_f64_e32 v[98:99], v[96:97]
	v_div_scale_f64 v[100:101], vcc, 1.0, v[86:87], 1.0
	v_fma_f64 v[102:103], -v[96:97], v[98:99], 1.0
	v_fmac_f64_e32 v[98:99], v[98:99], v[102:103]
	v_fma_f64 v[102:103], -v[96:97], v[98:99], 1.0
	v_fmac_f64_e32 v[98:99], v[98:99], v[102:103]
	v_mul_f64 v[102:103], v[100:101], v[98:99]
	v_fma_f64 v[96:97], -v[96:97], v[102:103], v[100:101]
	v_div_fmas_f64 v[96:97], v[96:97], v[98:99], v[102:103]
	v_div_fixup_f64 v[86:87], v[96:97], v[86:87], 1.0
; %bb.121:
	s_or_b64 exec, exec, s[0:1]
	v_cmp_ne_u32_e32 vcc, v91, v88
	s_and_saveexec_b64 s[0:1], vcc
	s_xor_b64 s[0:1], exec, s[0:1]
	s_cbranch_execz .LBB80_127
; %bb.122:
	v_cmp_eq_u32_e32 vcc, 7, v91
	s_and_saveexec_b64 s[2:3], vcc
	s_cbranch_execz .LBB80_126
; %bb.123:
	v_cmp_ne_u32_e32 vcc, 7, v88
	s_xor_b64 s[14:15], s[6:7], -1
	s_and_b64 s[16:17], s[14:15], vcc
	s_and_saveexec_b64 s[14:15], s[16:17]
	s_cbranch_execz .LBB80_125
; %bb.124:
	v_ashrrev_i32_e32 v89, 31, v88
	v_lshlrev_b64 v[96:97], 2, v[88:89]
	v_add_co_u32_e32 v96, vcc, v4, v96
	v_addc_co_u32_e32 v97, vcc, v5, v97, vcc
	flat_load_dword v89, v[96:97]
	flat_load_dword v91, v[4:5] offset:28
	s_waitcnt vmcnt(0) lgkmcnt(0)
	flat_store_dword v[4:5], v89 offset:28
	flat_store_dword v[96:97], v91
.LBB80_125:
	s_or_b64 exec, exec, s[14:15]
	v_mov_b32_e32 v89, v88
	v_mov_b32_e32 v91, v88
.LBB80_126:
	s_or_b64 exec, exec, s[2:3]
.LBB80_127:
	s_andn2_saveexec_b64 s[0:1], s[0:1]
	s_cbranch_execz .LBB80_129
; %bb.128:
	v_mov_b32_e32 v96, v66
	v_mov_b32_e32 v97, v67
	v_mov_b32_e32 v98, v64
	v_mov_b32_e32 v99, v65
	ds_write2_b64 v90, v[96:97], v[98:99] offset0:8 offset1:9
	v_mov_b32_e32 v96, v62
	v_mov_b32_e32 v97, v63
	v_mov_b32_e32 v98, v60
	v_mov_b32_e32 v99, v61
	ds_write2_b64 v90, v[96:97], v[98:99] offset0:10 offset1:11
	;; [unrolled: 5-line block ×15, first 2 shown]
	v_mov_b32_e32 v96, v6
	v_mov_b32_e32 v97, v7
	;; [unrolled: 1-line block ×5, first 2 shown]
	ds_write2_b64 v90, v[96:97], v[98:99] offset0:38 offset1:39
	ds_write_b64 v90, v[84:85] offset:320
.LBB80_129:
	s_or_b64 exec, exec, s[0:1]
	v_cmp_lt_i32_e32 vcc, 7, v91
	s_waitcnt lgkmcnt(0)
	s_barrier
	s_and_saveexec_b64 s[0:1], vcc
	s_cbranch_execz .LBB80_131
; %bb.130:
	ds_read2_b64 v[96:99], v90 offset0:8 offset1:9
	ds_read2_b64 v[100:103], v90 offset0:10 offset1:11
	v_mul_f64 v[68:69], v[86:87], v[68:69]
	ds_read2_b64 v[104:107], v90 offset0:12 offset1:13
	ds_read_b64 v[86:87], v90 offset:320
	s_waitcnt lgkmcnt(0)
	v_fma_f64 v[66:67], -v[68:69], v[96:97], v[66:67]
	v_fma_f64 v[64:65], -v[68:69], v[98:99], v[64:65]
	ds_read2_b64 v[96:99], v90 offset0:14 offset1:15
	v_fma_f64 v[62:63], -v[68:69], v[100:101], v[62:63]
	v_fma_f64 v[60:61], -v[68:69], v[102:103], v[60:61]
	;; [unrolled: 1-line block ×3, first 2 shown]
	ds_read2_b64 v[100:103], v90 offset0:16 offset1:17
	v_fma_f64 v[56:57], -v[68:69], v[106:107], v[56:57]
	ds_read2_b64 v[104:107], v90 offset0:18 offset1:19
	s_waitcnt lgkmcnt(0)
	v_fma_f64 v[52:53], -v[68:69], v[96:97], v[52:53]
	v_fma_f64 v[54:55], -v[68:69], v[98:99], v[54:55]
	ds_read2_b64 v[96:99], v90 offset0:20 offset1:21
	v_fma_f64 v[50:51], -v[68:69], v[100:101], v[50:51]
	v_fma_f64 v[48:49], -v[68:69], v[102:103], v[48:49]
	ds_read2_b64 v[100:103], v90 offset0:22 offset1:23
	v_fma_f64 v[46:47], -v[68:69], v[104:105], v[46:47]
	v_fma_f64 v[44:45], -v[68:69], v[106:107], v[44:45]
	s_waitcnt lgkmcnt(0)
	v_fma_f64 v[42:43], -v[68:69], v[96:97], v[42:43]
	ds_read2_b64 v[104:107], v90 offset0:24 offset1:25
	v_fma_f64 v[40:41], -v[68:69], v[98:99], v[40:41]
	ds_read2_b64 v[96:99], v90 offset0:26 offset1:27
	v_fma_f64 v[38:39], -v[68:69], v[100:101], v[38:39]
	v_fma_f64 v[36:37], -v[68:69], v[102:103], v[36:37]
	s_waitcnt lgkmcnt(0)
	v_fma_f64 v[34:35], -v[68:69], v[104:105], v[34:35]
	ds_read2_b64 v[100:103], v90 offset0:28 offset1:29
	v_fma_f64 v[32:33], -v[68:69], v[106:107], v[32:33]
	ds_read2_b64 v[104:107], v90 offset0:30 offset1:31
	v_fma_f64 v[30:31], -v[68:69], v[96:97], v[30:31]
	v_fma_f64 v[28:29], -v[68:69], v[98:99], v[28:29]
	ds_read2_b64 v[96:99], v90 offset0:32 offset1:33
	s_waitcnt lgkmcnt(0)
	v_fma_f64 v[26:27], -v[68:69], v[100:101], v[26:27]
	v_fma_f64 v[22:23], -v[68:69], v[102:103], v[22:23]
	ds_read2_b64 v[100:103], v90 offset0:34 offset1:35
	v_fma_f64 v[24:25], -v[68:69], v[104:105], v[24:25]
	v_fma_f64 v[20:21], -v[68:69], v[106:107], v[20:21]
	v_fma_f64 v[18:19], -v[68:69], v[96:97], v[18:19]
	v_fma_f64 v[16:17], -v[68:69], v[98:99], v[16:17]
	ds_read2_b64 v[96:99], v90 offset0:36 offset1:37
	ds_read2_b64 v[104:107], v90 offset0:38 offset1:39
	s_waitcnt lgkmcnt(0)
	v_fma_f64 v[14:15], -v[68:69], v[100:101], v[14:15]
	v_fma_f64 v[12:13], -v[68:69], v[102:103], v[12:13]
	v_fma_f64 v[84:85], -v[68:69], v[86:87], v[84:85]
	v_fma_f64 v[10:11], -v[68:69], v[96:97], v[10:11]
	v_fma_f64 v[8:9], -v[68:69], v[98:99], v[8:9]
	v_fma_f64 v[6:7], -v[68:69], v[104:105], v[6:7]
	v_fma_f64 v[0:1], -v[68:69], v[106:107], v[0:1]
.LBB80_131:
	s_or_b64 exec, exec, s[0:1]
	v_lshl_add_u32 v86, v91, 3, v90
	s_barrier
	ds_write_b64 v86, v[66:67]
	s_waitcnt lgkmcnt(0)
	s_barrier
	ds_read_b64 v[86:87], v90 offset:64
	s_cmp_lt_i32 s18, 10
	v_mov_b32_e32 v88, 8
	s_cbranch_scc1 .LBB80_134
; %bb.132:
	v_add_u32_e32 v95, 0x48, v90
	s_mov_b32 s0, 9
	v_mov_b32_e32 v88, 8
.LBB80_133:                             ; =>This Inner Loop Header: Depth=1
	ds_read_b64 v[96:97], v95
	v_mov_b32_e32 v98, s0
	s_add_i32 s0, s0, 1
	v_add_u32_e32 v95, 8, v95
	s_cmp_lg_u32 s18, s0
	s_waitcnt lgkmcnt(0)
	v_cmp_lt_f64_e64 vcc, |v[86:87]|, |v[96:97]|
	v_cndmask_b32_e32 v87, v87, v97, vcc
	v_cndmask_b32_e32 v86, v86, v96, vcc
	v_cndmask_b32_e32 v88, v88, v98, vcc
	s_cbranch_scc1 .LBB80_133
.LBB80_134:
	s_waitcnt lgkmcnt(0)
	v_cmp_eq_f64_e32 vcc, 0, v[86:87]
	s_and_saveexec_b64 s[0:1], vcc
	s_xor_b64 s[0:1], exec, s[0:1]
; %bb.135:
	v_cmp_ne_u32_e32 vcc, 0, v94
	v_cndmask_b32_e32 v94, 9, v94, vcc
; %bb.136:
	s_andn2_saveexec_b64 s[0:1], s[0:1]
; %bb.137:
	v_div_scale_f64 v[96:97], s[2:3], v[86:87], v[86:87], 1.0
	v_rcp_f64_e32 v[98:99], v[96:97]
	v_div_scale_f64 v[100:101], vcc, 1.0, v[86:87], 1.0
	v_fma_f64 v[102:103], -v[96:97], v[98:99], 1.0
	v_fmac_f64_e32 v[98:99], v[98:99], v[102:103]
	v_fma_f64 v[102:103], -v[96:97], v[98:99], 1.0
	v_fmac_f64_e32 v[98:99], v[98:99], v[102:103]
	v_mul_f64 v[102:103], v[100:101], v[98:99]
	v_fma_f64 v[96:97], -v[96:97], v[102:103], v[100:101]
	v_div_fmas_f64 v[96:97], v[96:97], v[98:99], v[102:103]
	v_div_fixup_f64 v[86:87], v[96:97], v[86:87], 1.0
; %bb.138:
	s_or_b64 exec, exec, s[0:1]
	v_cmp_ne_u32_e32 vcc, v91, v88
	s_and_saveexec_b64 s[0:1], vcc
	s_xor_b64 s[0:1], exec, s[0:1]
	s_cbranch_execz .LBB80_144
; %bb.139:
	v_cmp_eq_u32_e32 vcc, 8, v91
	s_and_saveexec_b64 s[2:3], vcc
	s_cbranch_execz .LBB80_143
; %bb.140:
	v_cmp_ne_u32_e32 vcc, 8, v88
	s_xor_b64 s[14:15], s[6:7], -1
	s_and_b64 s[16:17], s[14:15], vcc
	s_and_saveexec_b64 s[14:15], s[16:17]
	s_cbranch_execz .LBB80_142
; %bb.141:
	v_ashrrev_i32_e32 v89, 31, v88
	v_lshlrev_b64 v[96:97], 2, v[88:89]
	v_add_co_u32_e32 v96, vcc, v4, v96
	v_addc_co_u32_e32 v97, vcc, v5, v97, vcc
	flat_load_dword v89, v[96:97]
	flat_load_dword v91, v[4:5] offset:32
	s_waitcnt vmcnt(0) lgkmcnt(0)
	flat_store_dword v[4:5], v89 offset:32
	flat_store_dword v[96:97], v91
.LBB80_142:
	s_or_b64 exec, exec, s[14:15]
	v_mov_b32_e32 v89, v88
	v_mov_b32_e32 v91, v88
.LBB80_143:
	s_or_b64 exec, exec, s[2:3]
.LBB80_144:
	s_andn2_saveexec_b64 s[0:1], s[0:1]
	s_cbranch_execz .LBB80_146
; %bb.145:
	v_mov_b32_e32 v91, 8
	ds_write2_b64 v90, v[64:65], v[62:63] offset0:9 offset1:10
	ds_write2_b64 v90, v[60:61], v[58:59] offset0:11 offset1:12
	ds_write2_b64 v90, v[56:57], v[52:53] offset0:13 offset1:14
	ds_write2_b64 v90, v[54:55], v[50:51] offset0:15 offset1:16
	ds_write2_b64 v90, v[48:49], v[46:47] offset0:17 offset1:18
	ds_write2_b64 v90, v[44:45], v[42:43] offset0:19 offset1:20
	ds_write2_b64 v90, v[40:41], v[38:39] offset0:21 offset1:22
	ds_write2_b64 v90, v[36:37], v[34:35] offset0:23 offset1:24
	ds_write2_b64 v90, v[32:33], v[30:31] offset0:25 offset1:26
	ds_write2_b64 v90, v[28:29], v[26:27] offset0:27 offset1:28
	ds_write2_b64 v90, v[22:23], v[24:25] offset0:29 offset1:30
	ds_write2_b64 v90, v[20:21], v[18:19] offset0:31 offset1:32
	ds_write2_b64 v90, v[16:17], v[14:15] offset0:33 offset1:34
	ds_write2_b64 v90, v[12:13], v[10:11] offset0:35 offset1:36
	ds_write2_b64 v90, v[8:9], v[6:7] offset0:37 offset1:38
	ds_write2_b64 v90, v[0:1], v[84:85] offset0:39 offset1:40
.LBB80_146:
	s_or_b64 exec, exec, s[0:1]
	v_cmp_lt_i32_e32 vcc, 8, v91
	s_waitcnt lgkmcnt(0)
	s_barrier
	s_and_saveexec_b64 s[0:1], vcc
	s_cbranch_execz .LBB80_148
; %bb.147:
	ds_read2_b64 v[96:99], v90 offset0:9 offset1:10
	ds_read2_b64 v[100:103], v90 offset0:11 offset1:12
	v_mul_f64 v[66:67], v[86:87], v[66:67]
	ds_read2_b64 v[104:107], v90 offset0:13 offset1:14
	s_waitcnt lgkmcnt(0)
	v_fma_f64 v[64:65], -v[66:67], v[96:97], v[64:65]
	v_fma_f64 v[62:63], -v[66:67], v[98:99], v[62:63]
	ds_read2_b64 v[96:99], v90 offset0:15 offset1:16
	v_fma_f64 v[60:61], -v[66:67], v[100:101], v[60:61]
	v_fma_f64 v[58:59], -v[66:67], v[102:103], v[58:59]
	;; [unrolled: 1-line block ×3, first 2 shown]
	ds_read2_b64 v[100:103], v90 offset0:17 offset1:18
	v_fma_f64 v[52:53], -v[66:67], v[106:107], v[52:53]
	ds_read2_b64 v[104:107], v90 offset0:19 offset1:20
	s_waitcnt lgkmcnt(0)
	v_fma_f64 v[54:55], -v[66:67], v[96:97], v[54:55]
	v_fma_f64 v[50:51], -v[66:67], v[98:99], v[50:51]
	ds_read2_b64 v[96:99], v90 offset0:21 offset1:22
	v_fma_f64 v[48:49], -v[66:67], v[100:101], v[48:49]
	v_fma_f64 v[46:47], -v[66:67], v[102:103], v[46:47]
	ds_read2_b64 v[100:103], v90 offset0:23 offset1:24
	v_fma_f64 v[44:45], -v[66:67], v[104:105], v[44:45]
	v_fma_f64 v[42:43], -v[66:67], v[106:107], v[42:43]
	s_waitcnt lgkmcnt(0)
	v_fma_f64 v[40:41], -v[66:67], v[96:97], v[40:41]
	ds_read2_b64 v[104:107], v90 offset0:25 offset1:26
	v_fma_f64 v[38:39], -v[66:67], v[98:99], v[38:39]
	ds_read2_b64 v[96:99], v90 offset0:27 offset1:28
	v_fma_f64 v[36:37], -v[66:67], v[100:101], v[36:37]
	v_fma_f64 v[34:35], -v[66:67], v[102:103], v[34:35]
	s_waitcnt lgkmcnt(0)
	v_fma_f64 v[32:33], -v[66:67], v[104:105], v[32:33]
	ds_read2_b64 v[100:103], v90 offset0:29 offset1:30
	v_fma_f64 v[30:31], -v[66:67], v[106:107], v[30:31]
	ds_read2_b64 v[104:107], v90 offset0:31 offset1:32
	v_fma_f64 v[28:29], -v[66:67], v[96:97], v[28:29]
	v_fma_f64 v[26:27], -v[66:67], v[98:99], v[26:27]
	ds_read2_b64 v[96:99], v90 offset0:33 offset1:34
	s_waitcnt lgkmcnt(0)
	v_fma_f64 v[22:23], -v[66:67], v[100:101], v[22:23]
	v_fma_f64 v[24:25], -v[66:67], v[102:103], v[24:25]
	ds_read2_b64 v[100:103], v90 offset0:35 offset1:36
	v_fma_f64 v[20:21], -v[66:67], v[104:105], v[20:21]
	v_fma_f64 v[18:19], -v[66:67], v[106:107], v[18:19]
	;; [unrolled: 1-line block ×3, first 2 shown]
	ds_read2_b64 v[104:107], v90 offset0:37 offset1:38
	v_fma_f64 v[14:15], -v[66:67], v[98:99], v[14:15]
	ds_read2_b64 v[96:99], v90 offset0:39 offset1:40
	s_waitcnt lgkmcnt(0)
	v_fma_f64 v[12:13], -v[66:67], v[100:101], v[12:13]
	v_fma_f64 v[10:11], -v[66:67], v[102:103], v[10:11]
	;; [unrolled: 1-line block ×6, first 2 shown]
.LBB80_148:
	s_or_b64 exec, exec, s[0:1]
	v_lshl_add_u32 v86, v91, 3, v90
	s_barrier
	ds_write_b64 v86, v[64:65]
	s_waitcnt lgkmcnt(0)
	s_barrier
	ds_read_b64 v[86:87], v90 offset:72
	s_cmp_lt_i32 s18, 11
	v_mov_b32_e32 v88, 9
	s_cbranch_scc1 .LBB80_151
; %bb.149:
	v_add_u32_e32 v95, 0x50, v90
	s_mov_b32 s0, 10
	v_mov_b32_e32 v88, 9
.LBB80_150:                             ; =>This Inner Loop Header: Depth=1
	ds_read_b64 v[96:97], v95
	v_mov_b32_e32 v98, s0
	s_add_i32 s0, s0, 1
	v_add_u32_e32 v95, 8, v95
	s_cmp_lg_u32 s18, s0
	s_waitcnt lgkmcnt(0)
	v_cmp_lt_f64_e64 vcc, |v[86:87]|, |v[96:97]|
	v_cndmask_b32_e32 v87, v87, v97, vcc
	v_cndmask_b32_e32 v86, v86, v96, vcc
	;; [unrolled: 1-line block ×3, first 2 shown]
	s_cbranch_scc1 .LBB80_150
.LBB80_151:
	s_waitcnt lgkmcnt(0)
	v_cmp_eq_f64_e32 vcc, 0, v[86:87]
	s_and_saveexec_b64 s[0:1], vcc
	s_xor_b64 s[0:1], exec, s[0:1]
; %bb.152:
	v_cmp_ne_u32_e32 vcc, 0, v94
	v_cndmask_b32_e32 v94, 10, v94, vcc
; %bb.153:
	s_andn2_saveexec_b64 s[0:1], s[0:1]
; %bb.154:
	v_div_scale_f64 v[96:97], s[2:3], v[86:87], v[86:87], 1.0
	v_rcp_f64_e32 v[98:99], v[96:97]
	v_div_scale_f64 v[100:101], vcc, 1.0, v[86:87], 1.0
	v_fma_f64 v[102:103], -v[96:97], v[98:99], 1.0
	v_fmac_f64_e32 v[98:99], v[98:99], v[102:103]
	v_fma_f64 v[102:103], -v[96:97], v[98:99], 1.0
	v_fmac_f64_e32 v[98:99], v[98:99], v[102:103]
	v_mul_f64 v[102:103], v[100:101], v[98:99]
	v_fma_f64 v[96:97], -v[96:97], v[102:103], v[100:101]
	v_div_fmas_f64 v[96:97], v[96:97], v[98:99], v[102:103]
	v_div_fixup_f64 v[86:87], v[96:97], v[86:87], 1.0
; %bb.155:
	s_or_b64 exec, exec, s[0:1]
	v_cmp_ne_u32_e32 vcc, v91, v88
	s_and_saveexec_b64 s[0:1], vcc
	s_xor_b64 s[0:1], exec, s[0:1]
	s_cbranch_execz .LBB80_161
; %bb.156:
	v_cmp_eq_u32_e32 vcc, 9, v91
	s_and_saveexec_b64 s[2:3], vcc
	s_cbranch_execz .LBB80_160
; %bb.157:
	v_cmp_ne_u32_e32 vcc, 9, v88
	s_xor_b64 s[14:15], s[6:7], -1
	s_and_b64 s[16:17], s[14:15], vcc
	s_and_saveexec_b64 s[14:15], s[16:17]
	s_cbranch_execz .LBB80_159
; %bb.158:
	v_ashrrev_i32_e32 v89, 31, v88
	v_lshlrev_b64 v[96:97], 2, v[88:89]
	v_add_co_u32_e32 v96, vcc, v4, v96
	v_addc_co_u32_e32 v97, vcc, v5, v97, vcc
	flat_load_dword v89, v[96:97]
	flat_load_dword v91, v[4:5] offset:36
	s_waitcnt vmcnt(0) lgkmcnt(0)
	flat_store_dword v[4:5], v89 offset:36
	flat_store_dword v[96:97], v91
.LBB80_159:
	s_or_b64 exec, exec, s[14:15]
	v_mov_b32_e32 v89, v88
	v_mov_b32_e32 v91, v88
.LBB80_160:
	s_or_b64 exec, exec, s[2:3]
.LBB80_161:
	s_andn2_saveexec_b64 s[0:1], s[0:1]
	s_cbranch_execz .LBB80_163
; %bb.162:
	v_mov_b32_e32 v96, v62
	v_mov_b32_e32 v97, v63
	v_mov_b32_e32 v98, v60
	v_mov_b32_e32 v99, v61
	ds_write2_b64 v90, v[96:97], v[98:99] offset0:10 offset1:11
	v_mov_b32_e32 v96, v58
	v_mov_b32_e32 v97, v59
	v_mov_b32_e32 v98, v56
	v_mov_b32_e32 v99, v57
	ds_write2_b64 v90, v[96:97], v[98:99] offset0:12 offset1:13
	;; [unrolled: 5-line block ×14, first 2 shown]
	v_mov_b32_e32 v96, v6
	v_mov_b32_e32 v97, v7
	;; [unrolled: 1-line block ×5, first 2 shown]
	ds_write2_b64 v90, v[96:97], v[98:99] offset0:38 offset1:39
	ds_write_b64 v90, v[84:85] offset:320
.LBB80_163:
	s_or_b64 exec, exec, s[0:1]
	v_cmp_lt_i32_e32 vcc, 9, v91
	s_waitcnt lgkmcnt(0)
	s_barrier
	s_and_saveexec_b64 s[0:1], vcc
	s_cbranch_execz .LBB80_165
; %bb.164:
	ds_read2_b64 v[96:99], v90 offset0:10 offset1:11
	ds_read2_b64 v[100:103], v90 offset0:12 offset1:13
	ds_read2_b64 v[104:107], v90 offset0:14 offset1:15
	v_mul_f64 v[64:65], v[86:87], v[64:65]
	ds_read_b64 v[86:87], v90 offset:320
	s_waitcnt lgkmcnt(0)
	v_fma_f64 v[62:63], -v[64:65], v[96:97], v[62:63]
	v_fma_f64 v[60:61], -v[64:65], v[98:99], v[60:61]
	ds_read2_b64 v[96:99], v90 offset0:16 offset1:17
	v_fma_f64 v[58:59], -v[64:65], v[100:101], v[58:59]
	v_fma_f64 v[56:57], -v[64:65], v[102:103], v[56:57]
	;; [unrolled: 1-line block ×3, first 2 shown]
	ds_read2_b64 v[100:103], v90 offset0:18 offset1:19
	v_fma_f64 v[54:55], -v[64:65], v[106:107], v[54:55]
	ds_read2_b64 v[104:107], v90 offset0:20 offset1:21
	s_waitcnt lgkmcnt(0)
	v_fma_f64 v[50:51], -v[64:65], v[96:97], v[50:51]
	v_fma_f64 v[48:49], -v[64:65], v[98:99], v[48:49]
	;; [unrolled: 1-line block ×3, first 2 shown]
	ds_read2_b64 v[96:99], v90 offset0:22 offset1:23
	v_fma_f64 v[44:45], -v[64:65], v[102:103], v[44:45]
	ds_read2_b64 v[100:103], v90 offset0:24 offset1:25
	v_fma_f64 v[42:43], -v[64:65], v[104:105], v[42:43]
	v_fma_f64 v[40:41], -v[64:65], v[106:107], v[40:41]
	ds_read2_b64 v[104:107], v90 offset0:26 offset1:27
	s_waitcnt lgkmcnt(0)
	v_fma_f64 v[38:39], -v[64:65], v[96:97], v[38:39]
	v_fma_f64 v[36:37], -v[64:65], v[98:99], v[36:37]
	ds_read2_b64 v[96:99], v90 offset0:28 offset1:29
	v_fma_f64 v[34:35], -v[64:65], v[100:101], v[34:35]
	v_fma_f64 v[32:33], -v[64:65], v[102:103], v[32:33]
	;; [unrolled: 1-line block ×3, first 2 shown]
	ds_read2_b64 v[100:103], v90 offset0:30 offset1:31
	v_fma_f64 v[28:29], -v[64:65], v[106:107], v[28:29]
	ds_read2_b64 v[104:107], v90 offset0:32 offset1:33
	s_waitcnt lgkmcnt(0)
	v_fma_f64 v[26:27], -v[64:65], v[96:97], v[26:27]
	v_fma_f64 v[22:23], -v[64:65], v[98:99], v[22:23]
	;; [unrolled: 1-line block ×3, first 2 shown]
	ds_read2_b64 v[96:99], v90 offset0:34 offset1:35
	v_fma_f64 v[20:21], -v[64:65], v[102:103], v[20:21]
	ds_read2_b64 v[100:103], v90 offset0:36 offset1:37
	v_fma_f64 v[18:19], -v[64:65], v[104:105], v[18:19]
	v_fma_f64 v[16:17], -v[64:65], v[106:107], v[16:17]
	ds_read2_b64 v[104:107], v90 offset0:38 offset1:39
	s_waitcnt lgkmcnt(0)
	v_fma_f64 v[14:15], -v[64:65], v[96:97], v[14:15]
	v_fma_f64 v[12:13], -v[64:65], v[98:99], v[12:13]
	;; [unrolled: 1-line block ×7, first 2 shown]
.LBB80_165:
	s_or_b64 exec, exec, s[0:1]
	v_lshl_add_u32 v86, v91, 3, v90
	s_barrier
	ds_write_b64 v86, v[62:63]
	s_waitcnt lgkmcnt(0)
	s_barrier
	ds_read_b64 v[86:87], v90 offset:80
	s_cmp_lt_i32 s18, 12
	v_mov_b32_e32 v88, 10
	s_cbranch_scc1 .LBB80_168
; %bb.166:
	v_add_u32_e32 v95, 0x58, v90
	s_mov_b32 s0, 11
	v_mov_b32_e32 v88, 10
.LBB80_167:                             ; =>This Inner Loop Header: Depth=1
	ds_read_b64 v[96:97], v95
	v_mov_b32_e32 v98, s0
	s_add_i32 s0, s0, 1
	v_add_u32_e32 v95, 8, v95
	s_cmp_lg_u32 s18, s0
	s_waitcnt lgkmcnt(0)
	v_cmp_lt_f64_e64 vcc, |v[86:87]|, |v[96:97]|
	v_cndmask_b32_e32 v87, v87, v97, vcc
	v_cndmask_b32_e32 v86, v86, v96, vcc
	v_cndmask_b32_e32 v88, v88, v98, vcc
	s_cbranch_scc1 .LBB80_167
.LBB80_168:
	s_waitcnt lgkmcnt(0)
	v_cmp_eq_f64_e32 vcc, 0, v[86:87]
	s_and_saveexec_b64 s[0:1], vcc
	s_xor_b64 s[0:1], exec, s[0:1]
; %bb.169:
	v_cmp_ne_u32_e32 vcc, 0, v94
	v_cndmask_b32_e32 v94, 11, v94, vcc
; %bb.170:
	s_andn2_saveexec_b64 s[0:1], s[0:1]
; %bb.171:
	v_div_scale_f64 v[96:97], s[2:3], v[86:87], v[86:87], 1.0
	v_rcp_f64_e32 v[98:99], v[96:97]
	v_div_scale_f64 v[100:101], vcc, 1.0, v[86:87], 1.0
	v_fma_f64 v[102:103], -v[96:97], v[98:99], 1.0
	v_fmac_f64_e32 v[98:99], v[98:99], v[102:103]
	v_fma_f64 v[102:103], -v[96:97], v[98:99], 1.0
	v_fmac_f64_e32 v[98:99], v[98:99], v[102:103]
	v_mul_f64 v[102:103], v[100:101], v[98:99]
	v_fma_f64 v[96:97], -v[96:97], v[102:103], v[100:101]
	v_div_fmas_f64 v[96:97], v[96:97], v[98:99], v[102:103]
	v_div_fixup_f64 v[86:87], v[96:97], v[86:87], 1.0
; %bb.172:
	s_or_b64 exec, exec, s[0:1]
	v_cmp_ne_u32_e32 vcc, v91, v88
	s_and_saveexec_b64 s[0:1], vcc
	s_xor_b64 s[0:1], exec, s[0:1]
	s_cbranch_execz .LBB80_178
; %bb.173:
	v_cmp_eq_u32_e32 vcc, 10, v91
	s_and_saveexec_b64 s[2:3], vcc
	s_cbranch_execz .LBB80_177
; %bb.174:
	v_cmp_ne_u32_e32 vcc, 10, v88
	s_xor_b64 s[14:15], s[6:7], -1
	s_and_b64 s[16:17], s[14:15], vcc
	s_and_saveexec_b64 s[14:15], s[16:17]
	s_cbranch_execz .LBB80_176
; %bb.175:
	v_ashrrev_i32_e32 v89, 31, v88
	v_lshlrev_b64 v[96:97], 2, v[88:89]
	v_add_co_u32_e32 v96, vcc, v4, v96
	v_addc_co_u32_e32 v97, vcc, v5, v97, vcc
	flat_load_dword v89, v[96:97]
	flat_load_dword v91, v[4:5] offset:40
	s_waitcnt vmcnt(0) lgkmcnt(0)
	flat_store_dword v[4:5], v89 offset:40
	flat_store_dword v[96:97], v91
.LBB80_176:
	s_or_b64 exec, exec, s[14:15]
	v_mov_b32_e32 v89, v88
	v_mov_b32_e32 v91, v88
.LBB80_177:
	s_or_b64 exec, exec, s[2:3]
.LBB80_178:
	s_andn2_saveexec_b64 s[0:1], s[0:1]
	s_cbranch_execz .LBB80_180
; %bb.179:
	v_mov_b32_e32 v91, 10
	ds_write2_b64 v90, v[60:61], v[58:59] offset0:11 offset1:12
	ds_write2_b64 v90, v[56:57], v[52:53] offset0:13 offset1:14
	;; [unrolled: 1-line block ×15, first 2 shown]
.LBB80_180:
	s_or_b64 exec, exec, s[0:1]
	v_cmp_lt_i32_e32 vcc, 10, v91
	s_waitcnt lgkmcnt(0)
	s_barrier
	s_and_saveexec_b64 s[0:1], vcc
	s_cbranch_execz .LBB80_182
; %bb.181:
	ds_read2_b64 v[96:99], v90 offset0:11 offset1:12
	ds_read2_b64 v[100:103], v90 offset0:13 offset1:14
	;; [unrolled: 1-line block ×3, first 2 shown]
	v_mul_f64 v[62:63], v[86:87], v[62:63]
	s_waitcnt lgkmcnt(0)
	v_fma_f64 v[60:61], -v[62:63], v[96:97], v[60:61]
	v_fma_f64 v[58:59], -v[62:63], v[98:99], v[58:59]
	ds_read2_b64 v[96:99], v90 offset0:17 offset1:18
	v_fma_f64 v[56:57], -v[62:63], v[100:101], v[56:57]
	v_fma_f64 v[52:53], -v[62:63], v[102:103], v[52:53]
	;; [unrolled: 1-line block ×3, first 2 shown]
	ds_read2_b64 v[100:103], v90 offset0:19 offset1:20
	v_fma_f64 v[50:51], -v[62:63], v[106:107], v[50:51]
	ds_read2_b64 v[104:107], v90 offset0:21 offset1:22
	s_waitcnt lgkmcnt(0)
	v_fma_f64 v[48:49], -v[62:63], v[96:97], v[48:49]
	v_fma_f64 v[46:47], -v[62:63], v[98:99], v[46:47]
	;; [unrolled: 1-line block ×3, first 2 shown]
	ds_read2_b64 v[96:99], v90 offset0:23 offset1:24
	v_fma_f64 v[42:43], -v[62:63], v[102:103], v[42:43]
	ds_read2_b64 v[100:103], v90 offset0:25 offset1:26
	v_fma_f64 v[40:41], -v[62:63], v[104:105], v[40:41]
	v_fma_f64 v[38:39], -v[62:63], v[106:107], v[38:39]
	ds_read2_b64 v[104:107], v90 offset0:27 offset1:28
	s_waitcnt lgkmcnt(0)
	v_fma_f64 v[36:37], -v[62:63], v[96:97], v[36:37]
	v_fma_f64 v[34:35], -v[62:63], v[98:99], v[34:35]
	ds_read2_b64 v[96:99], v90 offset0:29 offset1:30
	v_fma_f64 v[32:33], -v[62:63], v[100:101], v[32:33]
	v_fma_f64 v[30:31], -v[62:63], v[102:103], v[30:31]
	;; [unrolled: 1-line block ×3, first 2 shown]
	ds_read2_b64 v[100:103], v90 offset0:31 offset1:32
	v_fma_f64 v[26:27], -v[62:63], v[106:107], v[26:27]
	ds_read2_b64 v[104:107], v90 offset0:33 offset1:34
	s_waitcnt lgkmcnt(0)
	v_fma_f64 v[22:23], -v[62:63], v[96:97], v[22:23]
	v_fma_f64 v[24:25], -v[62:63], v[98:99], v[24:25]
	;; [unrolled: 1-line block ×4, first 2 shown]
	ds_read2_b64 v[96:99], v90 offset0:35 offset1:36
	ds_read2_b64 v[100:103], v90 offset0:37 offset1:38
	v_fma_f64 v[16:17], -v[62:63], v[104:105], v[16:17]
	v_fma_f64 v[14:15], -v[62:63], v[106:107], v[14:15]
	ds_read2_b64 v[104:107], v90 offset0:39 offset1:40
	s_waitcnt lgkmcnt(0)
	v_fma_f64 v[12:13], -v[62:63], v[96:97], v[12:13]
	v_fma_f64 v[10:11], -v[62:63], v[98:99], v[10:11]
	;; [unrolled: 1-line block ×6, first 2 shown]
.LBB80_182:
	s_or_b64 exec, exec, s[0:1]
	v_lshl_add_u32 v86, v91, 3, v90
	s_barrier
	ds_write_b64 v86, v[60:61]
	s_waitcnt lgkmcnt(0)
	s_barrier
	ds_read_b64 v[86:87], v90 offset:88
	s_cmp_lt_i32 s18, 13
	v_mov_b32_e32 v88, 11
	s_cbranch_scc1 .LBB80_185
; %bb.183:
	v_add_u32_e32 v95, 0x60, v90
	s_mov_b32 s0, 12
	v_mov_b32_e32 v88, 11
.LBB80_184:                             ; =>This Inner Loop Header: Depth=1
	ds_read_b64 v[96:97], v95
	v_mov_b32_e32 v98, s0
	s_add_i32 s0, s0, 1
	v_add_u32_e32 v95, 8, v95
	s_cmp_lg_u32 s18, s0
	s_waitcnt lgkmcnt(0)
	v_cmp_lt_f64_e64 vcc, |v[86:87]|, |v[96:97]|
	v_cndmask_b32_e32 v87, v87, v97, vcc
	v_cndmask_b32_e32 v86, v86, v96, vcc
	v_cndmask_b32_e32 v88, v88, v98, vcc
	s_cbranch_scc1 .LBB80_184
.LBB80_185:
	s_waitcnt lgkmcnt(0)
	v_cmp_eq_f64_e32 vcc, 0, v[86:87]
	s_and_saveexec_b64 s[0:1], vcc
	s_xor_b64 s[0:1], exec, s[0:1]
; %bb.186:
	v_cmp_ne_u32_e32 vcc, 0, v94
	v_cndmask_b32_e32 v94, 12, v94, vcc
; %bb.187:
	s_andn2_saveexec_b64 s[0:1], s[0:1]
; %bb.188:
	v_div_scale_f64 v[96:97], s[2:3], v[86:87], v[86:87], 1.0
	v_rcp_f64_e32 v[98:99], v[96:97]
	v_div_scale_f64 v[100:101], vcc, 1.0, v[86:87], 1.0
	v_fma_f64 v[102:103], -v[96:97], v[98:99], 1.0
	v_fmac_f64_e32 v[98:99], v[98:99], v[102:103]
	v_fma_f64 v[102:103], -v[96:97], v[98:99], 1.0
	v_fmac_f64_e32 v[98:99], v[98:99], v[102:103]
	v_mul_f64 v[102:103], v[100:101], v[98:99]
	v_fma_f64 v[96:97], -v[96:97], v[102:103], v[100:101]
	v_div_fmas_f64 v[96:97], v[96:97], v[98:99], v[102:103]
	v_div_fixup_f64 v[86:87], v[96:97], v[86:87], 1.0
; %bb.189:
	s_or_b64 exec, exec, s[0:1]
	v_cmp_ne_u32_e32 vcc, v91, v88
	s_and_saveexec_b64 s[0:1], vcc
	s_xor_b64 s[0:1], exec, s[0:1]
	s_cbranch_execz .LBB80_195
; %bb.190:
	v_cmp_eq_u32_e32 vcc, 11, v91
	s_and_saveexec_b64 s[2:3], vcc
	s_cbranch_execz .LBB80_194
; %bb.191:
	v_cmp_ne_u32_e32 vcc, 11, v88
	s_xor_b64 s[14:15], s[6:7], -1
	s_and_b64 s[16:17], s[14:15], vcc
	s_and_saveexec_b64 s[14:15], s[16:17]
	s_cbranch_execz .LBB80_193
; %bb.192:
	v_ashrrev_i32_e32 v89, 31, v88
	v_lshlrev_b64 v[96:97], 2, v[88:89]
	v_add_co_u32_e32 v96, vcc, v4, v96
	v_addc_co_u32_e32 v97, vcc, v5, v97, vcc
	flat_load_dword v89, v[96:97]
	flat_load_dword v91, v[4:5] offset:44
	s_waitcnt vmcnt(0) lgkmcnt(0)
	flat_store_dword v[4:5], v89 offset:44
	flat_store_dword v[96:97], v91
.LBB80_193:
	s_or_b64 exec, exec, s[14:15]
	v_mov_b32_e32 v89, v88
	v_mov_b32_e32 v91, v88
.LBB80_194:
	s_or_b64 exec, exec, s[2:3]
.LBB80_195:
	s_andn2_saveexec_b64 s[0:1], s[0:1]
	s_cbranch_execz .LBB80_197
; %bb.196:
	v_mov_b32_e32 v96, v58
	v_mov_b32_e32 v97, v59
	v_mov_b32_e32 v98, v56
	v_mov_b32_e32 v99, v57
	ds_write2_b64 v90, v[96:97], v[98:99] offset0:12 offset1:13
	v_mov_b32_e32 v96, v52
	v_mov_b32_e32 v97, v53
	v_mov_b32_e32 v98, v54
	v_mov_b32_e32 v99, v55
	ds_write2_b64 v90, v[96:97], v[98:99] offset0:14 offset1:15
	;; [unrolled: 5-line block ×13, first 2 shown]
	v_mov_b32_e32 v96, v6
	v_mov_b32_e32 v97, v7
	;; [unrolled: 1-line block ×5, first 2 shown]
	ds_write2_b64 v90, v[96:97], v[98:99] offset0:38 offset1:39
	ds_write_b64 v90, v[84:85] offset:320
.LBB80_197:
	s_or_b64 exec, exec, s[0:1]
	v_cmp_lt_i32_e32 vcc, 11, v91
	s_waitcnt lgkmcnt(0)
	s_barrier
	s_and_saveexec_b64 s[0:1], vcc
	s_cbranch_execz .LBB80_199
; %bb.198:
	ds_read2_b64 v[96:99], v90 offset0:12 offset1:13
	ds_read2_b64 v[100:103], v90 offset0:14 offset1:15
	v_mul_f64 v[60:61], v[86:87], v[60:61]
	ds_read2_b64 v[104:107], v90 offset0:16 offset1:17
	ds_read_b64 v[86:87], v90 offset:320
	s_waitcnt lgkmcnt(0)
	v_fma_f64 v[58:59], -v[60:61], v[96:97], v[58:59]
	v_fma_f64 v[56:57], -v[60:61], v[98:99], v[56:57]
	ds_read2_b64 v[96:99], v90 offset0:18 offset1:19
	v_fma_f64 v[52:53], -v[60:61], v[100:101], v[52:53]
	v_fma_f64 v[54:55], -v[60:61], v[102:103], v[54:55]
	ds_read2_b64 v[100:103], v90 offset0:20 offset1:21
	;; [unrolled: 3-line block ×3, first 2 shown]
	s_waitcnt lgkmcnt(0)
	v_fma_f64 v[46:47], -v[60:61], v[96:97], v[46:47]
	v_fma_f64 v[44:45], -v[60:61], v[98:99], v[44:45]
	;; [unrolled: 1-line block ×3, first 2 shown]
	ds_read2_b64 v[96:99], v90 offset0:24 offset1:25
	v_fma_f64 v[40:41], -v[60:61], v[102:103], v[40:41]
	ds_read2_b64 v[100:103], v90 offset0:26 offset1:27
	v_fma_f64 v[38:39], -v[60:61], v[104:105], v[38:39]
	v_fma_f64 v[36:37], -v[60:61], v[106:107], v[36:37]
	s_waitcnt lgkmcnt(0)
	v_fma_f64 v[34:35], -v[60:61], v[96:97], v[34:35]
	ds_read2_b64 v[104:107], v90 offset0:28 offset1:29
	v_fma_f64 v[32:33], -v[60:61], v[98:99], v[32:33]
	ds_read2_b64 v[96:99], v90 offset0:30 offset1:31
	v_fma_f64 v[30:31], -v[60:61], v[100:101], v[30:31]
	v_fma_f64 v[28:29], -v[60:61], v[102:103], v[28:29]
	ds_read2_b64 v[100:103], v90 offset0:32 offset1:33
	s_waitcnt lgkmcnt(0)
	v_fma_f64 v[26:27], -v[60:61], v[104:105], v[26:27]
	v_fma_f64 v[22:23], -v[60:61], v[106:107], v[22:23]
	ds_read2_b64 v[104:107], v90 offset0:34 offset1:35
	v_fma_f64 v[24:25], -v[60:61], v[96:97], v[24:25]
	v_fma_f64 v[20:21], -v[60:61], v[98:99], v[20:21]
	;; [unrolled: 1-line block ×4, first 2 shown]
	ds_read2_b64 v[96:99], v90 offset0:36 offset1:37
	ds_read2_b64 v[100:103], v90 offset0:38 offset1:39
	s_waitcnt lgkmcnt(0)
	v_fma_f64 v[14:15], -v[60:61], v[104:105], v[14:15]
	v_fma_f64 v[12:13], -v[60:61], v[106:107], v[12:13]
	;; [unrolled: 1-line block ×7, first 2 shown]
.LBB80_199:
	s_or_b64 exec, exec, s[0:1]
	v_lshl_add_u32 v86, v91, 3, v90
	s_barrier
	ds_write_b64 v86, v[58:59]
	s_waitcnt lgkmcnt(0)
	s_barrier
	ds_read_b64 v[86:87], v90 offset:96
	s_cmp_lt_i32 s18, 14
	v_mov_b32_e32 v88, 12
	s_cbranch_scc1 .LBB80_202
; %bb.200:
	v_add_u32_e32 v95, 0x68, v90
	s_mov_b32 s0, 13
	v_mov_b32_e32 v88, 12
.LBB80_201:                             ; =>This Inner Loop Header: Depth=1
	ds_read_b64 v[96:97], v95
	v_mov_b32_e32 v98, s0
	s_add_i32 s0, s0, 1
	v_add_u32_e32 v95, 8, v95
	s_cmp_lg_u32 s18, s0
	s_waitcnt lgkmcnt(0)
	v_cmp_lt_f64_e64 vcc, |v[86:87]|, |v[96:97]|
	v_cndmask_b32_e32 v87, v87, v97, vcc
	v_cndmask_b32_e32 v86, v86, v96, vcc
	;; [unrolled: 1-line block ×3, first 2 shown]
	s_cbranch_scc1 .LBB80_201
.LBB80_202:
	s_waitcnt lgkmcnt(0)
	v_cmp_eq_f64_e32 vcc, 0, v[86:87]
	s_and_saveexec_b64 s[0:1], vcc
	s_xor_b64 s[0:1], exec, s[0:1]
; %bb.203:
	v_cmp_ne_u32_e32 vcc, 0, v94
	v_cndmask_b32_e32 v94, 13, v94, vcc
; %bb.204:
	s_andn2_saveexec_b64 s[0:1], s[0:1]
; %bb.205:
	v_div_scale_f64 v[96:97], s[2:3], v[86:87], v[86:87], 1.0
	v_rcp_f64_e32 v[98:99], v[96:97]
	v_div_scale_f64 v[100:101], vcc, 1.0, v[86:87], 1.0
	v_fma_f64 v[102:103], -v[96:97], v[98:99], 1.0
	v_fmac_f64_e32 v[98:99], v[98:99], v[102:103]
	v_fma_f64 v[102:103], -v[96:97], v[98:99], 1.0
	v_fmac_f64_e32 v[98:99], v[98:99], v[102:103]
	v_mul_f64 v[102:103], v[100:101], v[98:99]
	v_fma_f64 v[96:97], -v[96:97], v[102:103], v[100:101]
	v_div_fmas_f64 v[96:97], v[96:97], v[98:99], v[102:103]
	v_div_fixup_f64 v[86:87], v[96:97], v[86:87], 1.0
; %bb.206:
	s_or_b64 exec, exec, s[0:1]
	v_cmp_ne_u32_e32 vcc, v91, v88
	s_and_saveexec_b64 s[0:1], vcc
	s_xor_b64 s[0:1], exec, s[0:1]
	s_cbranch_execz .LBB80_212
; %bb.207:
	v_cmp_eq_u32_e32 vcc, 12, v91
	s_and_saveexec_b64 s[2:3], vcc
	s_cbranch_execz .LBB80_211
; %bb.208:
	v_cmp_ne_u32_e32 vcc, 12, v88
	s_xor_b64 s[14:15], s[6:7], -1
	s_and_b64 s[16:17], s[14:15], vcc
	s_and_saveexec_b64 s[14:15], s[16:17]
	s_cbranch_execz .LBB80_210
; %bb.209:
	v_ashrrev_i32_e32 v89, 31, v88
	v_lshlrev_b64 v[96:97], 2, v[88:89]
	v_add_co_u32_e32 v96, vcc, v4, v96
	v_addc_co_u32_e32 v97, vcc, v5, v97, vcc
	flat_load_dword v89, v[96:97]
	flat_load_dword v91, v[4:5] offset:48
	s_waitcnt vmcnt(0) lgkmcnt(0)
	flat_store_dword v[4:5], v89 offset:48
	flat_store_dword v[96:97], v91
.LBB80_210:
	s_or_b64 exec, exec, s[14:15]
	v_mov_b32_e32 v89, v88
	v_mov_b32_e32 v91, v88
.LBB80_211:
	s_or_b64 exec, exec, s[2:3]
.LBB80_212:
	s_andn2_saveexec_b64 s[0:1], s[0:1]
	s_cbranch_execz .LBB80_214
; %bb.213:
	v_mov_b32_e32 v91, 12
	ds_write2_b64 v90, v[56:57], v[52:53] offset0:13 offset1:14
	ds_write2_b64 v90, v[54:55], v[50:51] offset0:15 offset1:16
	;; [unrolled: 1-line block ×14, first 2 shown]
.LBB80_214:
	s_or_b64 exec, exec, s[0:1]
	v_cmp_lt_i32_e32 vcc, 12, v91
	s_waitcnt lgkmcnt(0)
	s_barrier
	s_and_saveexec_b64 s[0:1], vcc
	s_cbranch_execz .LBB80_216
; %bb.215:
	ds_read2_b64 v[96:99], v90 offset0:13 offset1:14
	ds_read2_b64 v[100:103], v90 offset0:15 offset1:16
	v_mul_f64 v[58:59], v[86:87], v[58:59]
	ds_read2_b64 v[104:107], v90 offset0:17 offset1:18
	s_waitcnt lgkmcnt(0)
	v_fma_f64 v[56:57], -v[58:59], v[96:97], v[56:57]
	v_fma_f64 v[52:53], -v[58:59], v[98:99], v[52:53]
	ds_read2_b64 v[96:99], v90 offset0:19 offset1:20
	v_fma_f64 v[54:55], -v[58:59], v[100:101], v[54:55]
	v_fma_f64 v[50:51], -v[58:59], v[102:103], v[50:51]
	ds_read2_b64 v[100:103], v90 offset0:21 offset1:22
	v_fma_f64 v[48:49], -v[58:59], v[104:105], v[48:49]
	v_fma_f64 v[46:47], -v[58:59], v[106:107], v[46:47]
	ds_read2_b64 v[104:107], v90 offset0:23 offset1:24
	s_waitcnt lgkmcnt(0)
	v_fma_f64 v[44:45], -v[58:59], v[96:97], v[44:45]
	v_fma_f64 v[42:43], -v[58:59], v[98:99], v[42:43]
	;; [unrolled: 1-line block ×3, first 2 shown]
	ds_read2_b64 v[96:99], v90 offset0:25 offset1:26
	v_fma_f64 v[38:39], -v[58:59], v[102:103], v[38:39]
	ds_read2_b64 v[100:103], v90 offset0:27 offset1:28
	v_fma_f64 v[36:37], -v[58:59], v[104:105], v[36:37]
	v_fma_f64 v[34:35], -v[58:59], v[106:107], v[34:35]
	s_waitcnt lgkmcnt(0)
	v_fma_f64 v[32:33], -v[58:59], v[96:97], v[32:33]
	ds_read2_b64 v[104:107], v90 offset0:29 offset1:30
	v_fma_f64 v[30:31], -v[58:59], v[98:99], v[30:31]
	ds_read2_b64 v[96:99], v90 offset0:31 offset1:32
	v_fma_f64 v[28:29], -v[58:59], v[100:101], v[28:29]
	v_fma_f64 v[26:27], -v[58:59], v[102:103], v[26:27]
	ds_read2_b64 v[100:103], v90 offset0:33 offset1:34
	s_waitcnt lgkmcnt(0)
	v_fma_f64 v[22:23], -v[58:59], v[104:105], v[22:23]
	v_fma_f64 v[24:25], -v[58:59], v[106:107], v[24:25]
	v_fma_f64 v[20:21], -v[58:59], v[96:97], v[20:21]
	v_fma_f64 v[18:19], -v[58:59], v[98:99], v[18:19]
	ds_read2_b64 v[96:99], v90 offset0:35 offset1:36
	v_fma_f64 v[16:17], -v[58:59], v[100:101], v[16:17]
	ds_read2_b64 v[104:107], v90 offset0:37 offset1:38
	v_fma_f64 v[14:15], -v[58:59], v[102:103], v[14:15]
	ds_read2_b64 v[100:103], v90 offset0:39 offset1:40
	s_waitcnt lgkmcnt(0)
	v_fma_f64 v[12:13], -v[58:59], v[96:97], v[12:13]
	v_fma_f64 v[10:11], -v[58:59], v[98:99], v[10:11]
	;; [unrolled: 1-line block ×6, first 2 shown]
.LBB80_216:
	s_or_b64 exec, exec, s[0:1]
	v_lshl_add_u32 v86, v91, 3, v90
	s_barrier
	ds_write_b64 v86, v[56:57]
	s_waitcnt lgkmcnt(0)
	s_barrier
	ds_read_b64 v[86:87], v90 offset:104
	s_cmp_lt_i32 s18, 15
	v_mov_b32_e32 v88, 13
	s_cbranch_scc1 .LBB80_219
; %bb.217:
	v_add_u32_e32 v95, 0x70, v90
	s_mov_b32 s0, 14
	v_mov_b32_e32 v88, 13
.LBB80_218:                             ; =>This Inner Loop Header: Depth=1
	ds_read_b64 v[96:97], v95
	v_mov_b32_e32 v98, s0
	s_add_i32 s0, s0, 1
	v_add_u32_e32 v95, 8, v95
	s_cmp_lg_u32 s18, s0
	s_waitcnt lgkmcnt(0)
	v_cmp_lt_f64_e64 vcc, |v[86:87]|, |v[96:97]|
	v_cndmask_b32_e32 v87, v87, v97, vcc
	v_cndmask_b32_e32 v86, v86, v96, vcc
	v_cndmask_b32_e32 v88, v88, v98, vcc
	s_cbranch_scc1 .LBB80_218
.LBB80_219:
	s_waitcnt lgkmcnt(0)
	v_cmp_eq_f64_e32 vcc, 0, v[86:87]
	s_and_saveexec_b64 s[0:1], vcc
	s_xor_b64 s[0:1], exec, s[0:1]
; %bb.220:
	v_cmp_ne_u32_e32 vcc, 0, v94
	v_cndmask_b32_e32 v94, 14, v94, vcc
; %bb.221:
	s_andn2_saveexec_b64 s[0:1], s[0:1]
; %bb.222:
	v_div_scale_f64 v[96:97], s[2:3], v[86:87], v[86:87], 1.0
	v_rcp_f64_e32 v[98:99], v[96:97]
	v_div_scale_f64 v[100:101], vcc, 1.0, v[86:87], 1.0
	v_fma_f64 v[102:103], -v[96:97], v[98:99], 1.0
	v_fmac_f64_e32 v[98:99], v[98:99], v[102:103]
	v_fma_f64 v[102:103], -v[96:97], v[98:99], 1.0
	v_fmac_f64_e32 v[98:99], v[98:99], v[102:103]
	v_mul_f64 v[102:103], v[100:101], v[98:99]
	v_fma_f64 v[96:97], -v[96:97], v[102:103], v[100:101]
	v_div_fmas_f64 v[96:97], v[96:97], v[98:99], v[102:103]
	v_div_fixup_f64 v[86:87], v[96:97], v[86:87], 1.0
; %bb.223:
	s_or_b64 exec, exec, s[0:1]
	v_cmp_ne_u32_e32 vcc, v91, v88
	s_and_saveexec_b64 s[0:1], vcc
	s_xor_b64 s[0:1], exec, s[0:1]
	s_cbranch_execz .LBB80_229
; %bb.224:
	v_cmp_eq_u32_e32 vcc, 13, v91
	s_and_saveexec_b64 s[2:3], vcc
	s_cbranch_execz .LBB80_228
; %bb.225:
	v_cmp_ne_u32_e32 vcc, 13, v88
	s_xor_b64 s[14:15], s[6:7], -1
	s_and_b64 s[16:17], s[14:15], vcc
	s_and_saveexec_b64 s[14:15], s[16:17]
	s_cbranch_execz .LBB80_227
; %bb.226:
	v_ashrrev_i32_e32 v89, 31, v88
	v_lshlrev_b64 v[96:97], 2, v[88:89]
	v_add_co_u32_e32 v96, vcc, v4, v96
	v_addc_co_u32_e32 v97, vcc, v5, v97, vcc
	flat_load_dword v89, v[96:97]
	flat_load_dword v91, v[4:5] offset:52
	s_waitcnt vmcnt(0) lgkmcnt(0)
	flat_store_dword v[4:5], v89 offset:52
	flat_store_dword v[96:97], v91
.LBB80_227:
	s_or_b64 exec, exec, s[14:15]
	v_mov_b32_e32 v89, v88
	v_mov_b32_e32 v91, v88
.LBB80_228:
	s_or_b64 exec, exec, s[2:3]
.LBB80_229:
	s_andn2_saveexec_b64 s[0:1], s[0:1]
	s_cbranch_execz .LBB80_231
; %bb.230:
	v_mov_b32_e32 v96, v52
	v_mov_b32_e32 v97, v53
	v_mov_b32_e32 v98, v54
	v_mov_b32_e32 v99, v55
	ds_write2_b64 v90, v[96:97], v[98:99] offset0:14 offset1:15
	v_mov_b32_e32 v96, v50
	v_mov_b32_e32 v97, v51
	v_mov_b32_e32 v98, v48
	v_mov_b32_e32 v99, v49
	ds_write2_b64 v90, v[96:97], v[98:99] offset0:16 offset1:17
	;; [unrolled: 5-line block ×12, first 2 shown]
	v_mov_b32_e32 v96, v6
	v_mov_b32_e32 v97, v7
	;; [unrolled: 1-line block ×5, first 2 shown]
	ds_write2_b64 v90, v[96:97], v[98:99] offset0:38 offset1:39
	ds_write_b64 v90, v[84:85] offset:320
.LBB80_231:
	s_or_b64 exec, exec, s[0:1]
	v_cmp_lt_i32_e32 vcc, 13, v91
	s_waitcnt lgkmcnt(0)
	s_barrier
	s_and_saveexec_b64 s[0:1], vcc
	s_cbranch_execz .LBB80_233
; %bb.232:
	ds_read2_b64 v[96:99], v90 offset0:14 offset1:15
	ds_read2_b64 v[100:103], v90 offset0:16 offset1:17
	v_mul_f64 v[56:57], v[86:87], v[56:57]
	ds_read2_b64 v[104:107], v90 offset0:18 offset1:19
	ds_read_b64 v[86:87], v90 offset:320
	s_waitcnt lgkmcnt(0)
	v_fma_f64 v[52:53], -v[56:57], v[96:97], v[52:53]
	v_fma_f64 v[54:55], -v[56:57], v[98:99], v[54:55]
	ds_read2_b64 v[96:99], v90 offset0:20 offset1:21
	v_fma_f64 v[50:51], -v[56:57], v[100:101], v[50:51]
	v_fma_f64 v[48:49], -v[56:57], v[102:103], v[48:49]
	;; [unrolled: 1-line block ×3, first 2 shown]
	ds_read2_b64 v[100:103], v90 offset0:22 offset1:23
	v_fma_f64 v[44:45], -v[56:57], v[106:107], v[44:45]
	ds_read2_b64 v[104:107], v90 offset0:24 offset1:25
	s_waitcnt lgkmcnt(0)
	v_fma_f64 v[42:43], -v[56:57], v[96:97], v[42:43]
	v_fma_f64 v[40:41], -v[56:57], v[98:99], v[40:41]
	ds_read2_b64 v[96:99], v90 offset0:26 offset1:27
	v_fma_f64 v[38:39], -v[56:57], v[100:101], v[38:39]
	v_fma_f64 v[36:37], -v[56:57], v[102:103], v[36:37]
	ds_read2_b64 v[100:103], v90 offset0:28 offset1:29
	v_fma_f64 v[34:35], -v[56:57], v[104:105], v[34:35]
	v_fma_f64 v[32:33], -v[56:57], v[106:107], v[32:33]
	s_waitcnt lgkmcnt(0)
	v_fma_f64 v[30:31], -v[56:57], v[96:97], v[30:31]
	ds_read2_b64 v[104:107], v90 offset0:30 offset1:31
	v_fma_f64 v[28:29], -v[56:57], v[98:99], v[28:29]
	ds_read2_b64 v[96:99], v90 offset0:32 offset1:33
	v_fma_f64 v[26:27], -v[56:57], v[100:101], v[26:27]
	v_fma_f64 v[22:23], -v[56:57], v[102:103], v[22:23]
	s_waitcnt lgkmcnt(0)
	v_fma_f64 v[24:25], -v[56:57], v[104:105], v[24:25]
	ds_read2_b64 v[100:103], v90 offset0:34 offset1:35
	v_fma_f64 v[20:21], -v[56:57], v[106:107], v[20:21]
	v_fma_f64 v[18:19], -v[56:57], v[96:97], v[18:19]
	;; [unrolled: 1-line block ×3, first 2 shown]
	ds_read2_b64 v[96:99], v90 offset0:36 offset1:37
	ds_read2_b64 v[104:107], v90 offset0:38 offset1:39
	s_waitcnt lgkmcnt(0)
	v_fma_f64 v[14:15], -v[56:57], v[100:101], v[14:15]
	v_fma_f64 v[12:13], -v[56:57], v[102:103], v[12:13]
	;; [unrolled: 1-line block ×7, first 2 shown]
.LBB80_233:
	s_or_b64 exec, exec, s[0:1]
	v_lshl_add_u32 v86, v91, 3, v90
	s_barrier
	ds_write_b64 v86, v[52:53]
	s_waitcnt lgkmcnt(0)
	s_barrier
	ds_read_b64 v[86:87], v90 offset:112
	s_cmp_lt_i32 s18, 16
	v_mov_b32_e32 v88, 14
	s_cbranch_scc1 .LBB80_236
; %bb.234:
	v_add_u32_e32 v95, 0x78, v90
	s_mov_b32 s0, 15
	v_mov_b32_e32 v88, 14
.LBB80_235:                             ; =>This Inner Loop Header: Depth=1
	ds_read_b64 v[96:97], v95
	v_mov_b32_e32 v98, s0
	s_add_i32 s0, s0, 1
	v_add_u32_e32 v95, 8, v95
	s_cmp_lg_u32 s18, s0
	s_waitcnt lgkmcnt(0)
	v_cmp_lt_f64_e64 vcc, |v[86:87]|, |v[96:97]|
	v_cndmask_b32_e32 v87, v87, v97, vcc
	v_cndmask_b32_e32 v86, v86, v96, vcc
	;; [unrolled: 1-line block ×3, first 2 shown]
	s_cbranch_scc1 .LBB80_235
.LBB80_236:
	s_waitcnt lgkmcnt(0)
	v_cmp_eq_f64_e32 vcc, 0, v[86:87]
	s_and_saveexec_b64 s[0:1], vcc
	s_xor_b64 s[0:1], exec, s[0:1]
; %bb.237:
	v_cmp_ne_u32_e32 vcc, 0, v94
	v_cndmask_b32_e32 v94, 15, v94, vcc
; %bb.238:
	s_andn2_saveexec_b64 s[0:1], s[0:1]
; %bb.239:
	v_div_scale_f64 v[96:97], s[2:3], v[86:87], v[86:87], 1.0
	v_rcp_f64_e32 v[98:99], v[96:97]
	v_div_scale_f64 v[100:101], vcc, 1.0, v[86:87], 1.0
	v_fma_f64 v[102:103], -v[96:97], v[98:99], 1.0
	v_fmac_f64_e32 v[98:99], v[98:99], v[102:103]
	v_fma_f64 v[102:103], -v[96:97], v[98:99], 1.0
	v_fmac_f64_e32 v[98:99], v[98:99], v[102:103]
	v_mul_f64 v[102:103], v[100:101], v[98:99]
	v_fma_f64 v[96:97], -v[96:97], v[102:103], v[100:101]
	v_div_fmas_f64 v[96:97], v[96:97], v[98:99], v[102:103]
	v_div_fixup_f64 v[86:87], v[96:97], v[86:87], 1.0
; %bb.240:
	s_or_b64 exec, exec, s[0:1]
	v_cmp_ne_u32_e32 vcc, v91, v88
	s_and_saveexec_b64 s[0:1], vcc
	s_xor_b64 s[0:1], exec, s[0:1]
	s_cbranch_execz .LBB80_246
; %bb.241:
	v_cmp_eq_u32_e32 vcc, 14, v91
	s_and_saveexec_b64 s[2:3], vcc
	s_cbranch_execz .LBB80_245
; %bb.242:
	v_cmp_ne_u32_e32 vcc, 14, v88
	s_xor_b64 s[14:15], s[6:7], -1
	s_and_b64 s[16:17], s[14:15], vcc
	s_and_saveexec_b64 s[14:15], s[16:17]
	s_cbranch_execz .LBB80_244
; %bb.243:
	v_ashrrev_i32_e32 v89, 31, v88
	v_lshlrev_b64 v[96:97], 2, v[88:89]
	v_add_co_u32_e32 v96, vcc, v4, v96
	v_addc_co_u32_e32 v97, vcc, v5, v97, vcc
	flat_load_dword v89, v[96:97]
	flat_load_dword v91, v[4:5] offset:56
	s_waitcnt vmcnt(0) lgkmcnt(0)
	flat_store_dword v[4:5], v89 offset:56
	flat_store_dword v[96:97], v91
.LBB80_244:
	s_or_b64 exec, exec, s[14:15]
	v_mov_b32_e32 v89, v88
	v_mov_b32_e32 v91, v88
.LBB80_245:
	s_or_b64 exec, exec, s[2:3]
.LBB80_246:
	s_andn2_saveexec_b64 s[0:1], s[0:1]
	s_cbranch_execz .LBB80_248
; %bb.247:
	v_mov_b32_e32 v91, 14
	ds_write2_b64 v90, v[54:55], v[50:51] offset0:15 offset1:16
	ds_write2_b64 v90, v[48:49], v[46:47] offset0:17 offset1:18
	;; [unrolled: 1-line block ×13, first 2 shown]
.LBB80_248:
	s_or_b64 exec, exec, s[0:1]
	v_cmp_lt_i32_e32 vcc, 14, v91
	s_waitcnt lgkmcnt(0)
	s_barrier
	s_and_saveexec_b64 s[0:1], vcc
	s_cbranch_execz .LBB80_250
; %bb.249:
	ds_read2_b64 v[96:99], v90 offset0:15 offset1:16
	ds_read2_b64 v[100:103], v90 offset0:17 offset1:18
	v_mul_f64 v[52:53], v[86:87], v[52:53]
	ds_read2_b64 v[104:107], v90 offset0:19 offset1:20
	s_waitcnt lgkmcnt(0)
	v_fma_f64 v[54:55], -v[52:53], v[96:97], v[54:55]
	v_fma_f64 v[50:51], -v[52:53], v[98:99], v[50:51]
	ds_read2_b64 v[96:99], v90 offset0:21 offset1:22
	v_fma_f64 v[48:49], -v[52:53], v[100:101], v[48:49]
	v_fma_f64 v[46:47], -v[52:53], v[102:103], v[46:47]
	;; [unrolled: 1-line block ×3, first 2 shown]
	ds_read2_b64 v[100:103], v90 offset0:23 offset1:24
	v_fma_f64 v[42:43], -v[52:53], v[106:107], v[42:43]
	ds_read2_b64 v[104:107], v90 offset0:25 offset1:26
	s_waitcnt lgkmcnt(0)
	v_fma_f64 v[40:41], -v[52:53], v[96:97], v[40:41]
	v_fma_f64 v[38:39], -v[52:53], v[98:99], v[38:39]
	ds_read2_b64 v[96:99], v90 offset0:27 offset1:28
	v_fma_f64 v[36:37], -v[52:53], v[100:101], v[36:37]
	v_fma_f64 v[34:35], -v[52:53], v[102:103], v[34:35]
	ds_read2_b64 v[100:103], v90 offset0:29 offset1:30
	v_fma_f64 v[32:33], -v[52:53], v[104:105], v[32:33]
	v_fma_f64 v[30:31], -v[52:53], v[106:107], v[30:31]
	s_waitcnt lgkmcnt(0)
	v_fma_f64 v[28:29], -v[52:53], v[96:97], v[28:29]
	ds_read2_b64 v[104:107], v90 offset0:31 offset1:32
	v_fma_f64 v[26:27], -v[52:53], v[98:99], v[26:27]
	ds_read2_b64 v[96:99], v90 offset0:33 offset1:34
	v_fma_f64 v[22:23], -v[52:53], v[100:101], v[22:23]
	v_fma_f64 v[24:25], -v[52:53], v[102:103], v[24:25]
	s_waitcnt lgkmcnt(0)
	v_fma_f64 v[20:21], -v[52:53], v[104:105], v[20:21]
	v_fma_f64 v[18:19], -v[52:53], v[106:107], v[18:19]
	ds_read2_b64 v[100:103], v90 offset0:35 offset1:36
	ds_read2_b64 v[104:107], v90 offset0:37 offset1:38
	v_fma_f64 v[16:17], -v[52:53], v[96:97], v[16:17]
	v_fma_f64 v[14:15], -v[52:53], v[98:99], v[14:15]
	ds_read2_b64 v[96:99], v90 offset0:39 offset1:40
	s_waitcnt lgkmcnt(0)
	v_fma_f64 v[12:13], -v[52:53], v[100:101], v[12:13]
	v_fma_f64 v[10:11], -v[52:53], v[102:103], v[10:11]
	;; [unrolled: 1-line block ×6, first 2 shown]
.LBB80_250:
	s_or_b64 exec, exec, s[0:1]
	v_lshl_add_u32 v86, v91, 3, v90
	s_barrier
	ds_write_b64 v86, v[54:55]
	s_waitcnt lgkmcnt(0)
	s_barrier
	ds_read_b64 v[86:87], v90 offset:120
	s_cmp_lt_i32 s18, 17
	v_mov_b32_e32 v88, 15
	s_cbranch_scc1 .LBB80_253
; %bb.251:
	v_add_u32_e32 v95, 0x80, v90
	s_mov_b32 s0, 16
	v_mov_b32_e32 v88, 15
.LBB80_252:                             ; =>This Inner Loop Header: Depth=1
	ds_read_b64 v[96:97], v95
	v_mov_b32_e32 v98, s0
	s_add_i32 s0, s0, 1
	v_add_u32_e32 v95, 8, v95
	s_cmp_lg_u32 s18, s0
	s_waitcnt lgkmcnt(0)
	v_cmp_lt_f64_e64 vcc, |v[86:87]|, |v[96:97]|
	v_cndmask_b32_e32 v87, v87, v97, vcc
	v_cndmask_b32_e32 v86, v86, v96, vcc
	;; [unrolled: 1-line block ×3, first 2 shown]
	s_cbranch_scc1 .LBB80_252
.LBB80_253:
	s_waitcnt lgkmcnt(0)
	v_cmp_eq_f64_e32 vcc, 0, v[86:87]
	s_and_saveexec_b64 s[0:1], vcc
	s_xor_b64 s[0:1], exec, s[0:1]
; %bb.254:
	v_cmp_ne_u32_e32 vcc, 0, v94
	v_cndmask_b32_e32 v94, 16, v94, vcc
; %bb.255:
	s_andn2_saveexec_b64 s[0:1], s[0:1]
; %bb.256:
	v_div_scale_f64 v[96:97], s[2:3], v[86:87], v[86:87], 1.0
	v_rcp_f64_e32 v[98:99], v[96:97]
	v_div_scale_f64 v[100:101], vcc, 1.0, v[86:87], 1.0
	v_fma_f64 v[102:103], -v[96:97], v[98:99], 1.0
	v_fmac_f64_e32 v[98:99], v[98:99], v[102:103]
	v_fma_f64 v[102:103], -v[96:97], v[98:99], 1.0
	v_fmac_f64_e32 v[98:99], v[98:99], v[102:103]
	v_mul_f64 v[102:103], v[100:101], v[98:99]
	v_fma_f64 v[96:97], -v[96:97], v[102:103], v[100:101]
	v_div_fmas_f64 v[96:97], v[96:97], v[98:99], v[102:103]
	v_div_fixup_f64 v[86:87], v[96:97], v[86:87], 1.0
; %bb.257:
	s_or_b64 exec, exec, s[0:1]
	v_cmp_ne_u32_e32 vcc, v91, v88
	s_and_saveexec_b64 s[0:1], vcc
	s_xor_b64 s[0:1], exec, s[0:1]
	s_cbranch_execz .LBB80_263
; %bb.258:
	v_cmp_eq_u32_e32 vcc, 15, v91
	s_and_saveexec_b64 s[2:3], vcc
	s_cbranch_execz .LBB80_262
; %bb.259:
	v_cmp_ne_u32_e32 vcc, 15, v88
	s_xor_b64 s[14:15], s[6:7], -1
	s_and_b64 s[16:17], s[14:15], vcc
	s_and_saveexec_b64 s[14:15], s[16:17]
	s_cbranch_execz .LBB80_261
; %bb.260:
	v_ashrrev_i32_e32 v89, 31, v88
	v_lshlrev_b64 v[96:97], 2, v[88:89]
	v_add_co_u32_e32 v96, vcc, v4, v96
	v_addc_co_u32_e32 v97, vcc, v5, v97, vcc
	flat_load_dword v89, v[96:97]
	flat_load_dword v91, v[4:5] offset:60
	s_waitcnt vmcnt(0) lgkmcnt(0)
	flat_store_dword v[4:5], v89 offset:60
	flat_store_dword v[96:97], v91
.LBB80_261:
	s_or_b64 exec, exec, s[14:15]
	v_mov_b32_e32 v89, v88
	v_mov_b32_e32 v91, v88
.LBB80_262:
	s_or_b64 exec, exec, s[2:3]
.LBB80_263:
	s_andn2_saveexec_b64 s[0:1], s[0:1]
	s_cbranch_execz .LBB80_265
; %bb.264:
	v_mov_b32_e32 v96, v50
	v_mov_b32_e32 v97, v51
	v_mov_b32_e32 v98, v48
	v_mov_b32_e32 v99, v49
	ds_write2_b64 v90, v[96:97], v[98:99] offset0:16 offset1:17
	v_mov_b32_e32 v96, v46
	v_mov_b32_e32 v97, v47
	v_mov_b32_e32 v98, v44
	v_mov_b32_e32 v99, v45
	ds_write2_b64 v90, v[96:97], v[98:99] offset0:18 offset1:19
	;; [unrolled: 5-line block ×11, first 2 shown]
	v_mov_b32_e32 v96, v6
	v_mov_b32_e32 v97, v7
	;; [unrolled: 1-line block ×5, first 2 shown]
	ds_write2_b64 v90, v[96:97], v[98:99] offset0:38 offset1:39
	ds_write_b64 v90, v[84:85] offset:320
.LBB80_265:
	s_or_b64 exec, exec, s[0:1]
	v_cmp_lt_i32_e32 vcc, 15, v91
	s_waitcnt lgkmcnt(0)
	s_barrier
	s_and_saveexec_b64 s[0:1], vcc
	s_cbranch_execz .LBB80_267
; %bb.266:
	ds_read2_b64 v[96:99], v90 offset0:16 offset1:17
	ds_read2_b64 v[100:103], v90 offset0:18 offset1:19
	;; [unrolled: 1-line block ×3, first 2 shown]
	v_mul_f64 v[54:55], v[86:87], v[54:55]
	ds_read_b64 v[86:87], v90 offset:320
	s_waitcnt lgkmcnt(0)
	v_fma_f64 v[50:51], -v[54:55], v[96:97], v[50:51]
	v_fma_f64 v[48:49], -v[54:55], v[98:99], v[48:49]
	ds_read2_b64 v[96:99], v90 offset0:22 offset1:23
	v_fma_f64 v[46:47], -v[54:55], v[100:101], v[46:47]
	v_fma_f64 v[44:45], -v[54:55], v[102:103], v[44:45]
	;; [unrolled: 1-line block ×3, first 2 shown]
	ds_read2_b64 v[100:103], v90 offset0:24 offset1:25
	v_fma_f64 v[40:41], -v[54:55], v[106:107], v[40:41]
	ds_read2_b64 v[104:107], v90 offset0:26 offset1:27
	s_waitcnt lgkmcnt(0)
	v_fma_f64 v[38:39], -v[54:55], v[96:97], v[38:39]
	v_fma_f64 v[36:37], -v[54:55], v[98:99], v[36:37]
	;; [unrolled: 1-line block ×3, first 2 shown]
	ds_read2_b64 v[96:99], v90 offset0:28 offset1:29
	v_fma_f64 v[32:33], -v[54:55], v[102:103], v[32:33]
	ds_read2_b64 v[100:103], v90 offset0:30 offset1:31
	v_fma_f64 v[30:31], -v[54:55], v[104:105], v[30:31]
	v_fma_f64 v[28:29], -v[54:55], v[106:107], v[28:29]
	ds_read2_b64 v[104:107], v90 offset0:32 offset1:33
	s_waitcnt lgkmcnt(0)
	v_fma_f64 v[26:27], -v[54:55], v[96:97], v[26:27]
	v_fma_f64 v[22:23], -v[54:55], v[98:99], v[22:23]
	ds_read2_b64 v[96:99], v90 offset0:34 offset1:35
	v_fma_f64 v[24:25], -v[54:55], v[100:101], v[24:25]
	v_fma_f64 v[20:21], -v[54:55], v[102:103], v[20:21]
	;; [unrolled: 1-line block ×4, first 2 shown]
	ds_read2_b64 v[100:103], v90 offset0:36 offset1:37
	ds_read2_b64 v[104:107], v90 offset0:38 offset1:39
	s_waitcnt lgkmcnt(0)
	v_fma_f64 v[14:15], -v[54:55], v[96:97], v[14:15]
	v_fma_f64 v[12:13], -v[54:55], v[98:99], v[12:13]
	;; [unrolled: 1-line block ×7, first 2 shown]
.LBB80_267:
	s_or_b64 exec, exec, s[0:1]
	v_lshl_add_u32 v86, v91, 3, v90
	s_barrier
	ds_write_b64 v86, v[50:51]
	s_waitcnt lgkmcnt(0)
	s_barrier
	ds_read_b64 v[86:87], v90 offset:128
	s_cmp_lt_i32 s18, 18
	v_mov_b32_e32 v88, 16
	s_cbranch_scc1 .LBB80_270
; %bb.268:
	v_add_u32_e32 v95, 0x88, v90
	s_mov_b32 s0, 17
	v_mov_b32_e32 v88, 16
.LBB80_269:                             ; =>This Inner Loop Header: Depth=1
	ds_read_b64 v[96:97], v95
	v_mov_b32_e32 v98, s0
	s_add_i32 s0, s0, 1
	v_add_u32_e32 v95, 8, v95
	s_cmp_lg_u32 s18, s0
	s_waitcnt lgkmcnt(0)
	v_cmp_lt_f64_e64 vcc, |v[86:87]|, |v[96:97]|
	v_cndmask_b32_e32 v87, v87, v97, vcc
	v_cndmask_b32_e32 v86, v86, v96, vcc
	;; [unrolled: 1-line block ×3, first 2 shown]
	s_cbranch_scc1 .LBB80_269
.LBB80_270:
	s_waitcnt lgkmcnt(0)
	v_cmp_eq_f64_e32 vcc, 0, v[86:87]
	s_and_saveexec_b64 s[0:1], vcc
	s_xor_b64 s[0:1], exec, s[0:1]
; %bb.271:
	v_cmp_ne_u32_e32 vcc, 0, v94
	v_cndmask_b32_e32 v94, 17, v94, vcc
; %bb.272:
	s_andn2_saveexec_b64 s[0:1], s[0:1]
; %bb.273:
	v_div_scale_f64 v[96:97], s[2:3], v[86:87], v[86:87], 1.0
	v_rcp_f64_e32 v[98:99], v[96:97]
	v_div_scale_f64 v[100:101], vcc, 1.0, v[86:87], 1.0
	v_fma_f64 v[102:103], -v[96:97], v[98:99], 1.0
	v_fmac_f64_e32 v[98:99], v[98:99], v[102:103]
	v_fma_f64 v[102:103], -v[96:97], v[98:99], 1.0
	v_fmac_f64_e32 v[98:99], v[98:99], v[102:103]
	v_mul_f64 v[102:103], v[100:101], v[98:99]
	v_fma_f64 v[96:97], -v[96:97], v[102:103], v[100:101]
	v_div_fmas_f64 v[96:97], v[96:97], v[98:99], v[102:103]
	v_div_fixup_f64 v[86:87], v[96:97], v[86:87], 1.0
; %bb.274:
	s_or_b64 exec, exec, s[0:1]
	v_cmp_ne_u32_e32 vcc, v91, v88
	s_and_saveexec_b64 s[0:1], vcc
	s_xor_b64 s[0:1], exec, s[0:1]
	s_cbranch_execz .LBB80_280
; %bb.275:
	v_cmp_eq_u32_e32 vcc, 16, v91
	s_and_saveexec_b64 s[2:3], vcc
	s_cbranch_execz .LBB80_279
; %bb.276:
	v_cmp_ne_u32_e32 vcc, 16, v88
	s_xor_b64 s[14:15], s[6:7], -1
	s_and_b64 s[16:17], s[14:15], vcc
	s_and_saveexec_b64 s[14:15], s[16:17]
	s_cbranch_execz .LBB80_278
; %bb.277:
	v_ashrrev_i32_e32 v89, 31, v88
	v_lshlrev_b64 v[96:97], 2, v[88:89]
	v_add_co_u32_e32 v96, vcc, v4, v96
	v_addc_co_u32_e32 v97, vcc, v5, v97, vcc
	flat_load_dword v89, v[96:97]
	flat_load_dword v91, v[4:5] offset:64
	s_waitcnt vmcnt(0) lgkmcnt(0)
	flat_store_dword v[4:5], v89 offset:64
	flat_store_dword v[96:97], v91
.LBB80_278:
	s_or_b64 exec, exec, s[14:15]
	v_mov_b32_e32 v89, v88
	v_mov_b32_e32 v91, v88
.LBB80_279:
	s_or_b64 exec, exec, s[2:3]
.LBB80_280:
	s_andn2_saveexec_b64 s[0:1], s[0:1]
	s_cbranch_execz .LBB80_282
; %bb.281:
	v_mov_b32_e32 v91, 16
	ds_write2_b64 v90, v[48:49], v[46:47] offset0:17 offset1:18
	ds_write2_b64 v90, v[44:45], v[42:43] offset0:19 offset1:20
	;; [unrolled: 1-line block ×12, first 2 shown]
.LBB80_282:
	s_or_b64 exec, exec, s[0:1]
	v_cmp_lt_i32_e32 vcc, 16, v91
	s_waitcnt lgkmcnt(0)
	s_barrier
	s_and_saveexec_b64 s[0:1], vcc
	s_cbranch_execz .LBB80_284
; %bb.283:
	ds_read2_b64 v[96:99], v90 offset0:17 offset1:18
	ds_read2_b64 v[100:103], v90 offset0:19 offset1:20
	;; [unrolled: 1-line block ×3, first 2 shown]
	v_mul_f64 v[50:51], v[86:87], v[50:51]
	s_waitcnt lgkmcnt(0)
	v_fma_f64 v[48:49], -v[50:51], v[96:97], v[48:49]
	v_fma_f64 v[46:47], -v[50:51], v[98:99], v[46:47]
	ds_read2_b64 v[96:99], v90 offset0:23 offset1:24
	v_fma_f64 v[44:45], -v[50:51], v[100:101], v[44:45]
	v_fma_f64 v[42:43], -v[50:51], v[102:103], v[42:43]
	;; [unrolled: 1-line block ×3, first 2 shown]
	ds_read2_b64 v[100:103], v90 offset0:25 offset1:26
	v_fma_f64 v[38:39], -v[50:51], v[106:107], v[38:39]
	ds_read2_b64 v[104:107], v90 offset0:27 offset1:28
	s_waitcnt lgkmcnt(0)
	v_fma_f64 v[36:37], -v[50:51], v[96:97], v[36:37]
	v_fma_f64 v[34:35], -v[50:51], v[98:99], v[34:35]
	;; [unrolled: 1-line block ×3, first 2 shown]
	ds_read2_b64 v[96:99], v90 offset0:29 offset1:30
	v_fma_f64 v[30:31], -v[50:51], v[102:103], v[30:31]
	ds_read2_b64 v[100:103], v90 offset0:31 offset1:32
	v_fma_f64 v[28:29], -v[50:51], v[104:105], v[28:29]
	v_fma_f64 v[26:27], -v[50:51], v[106:107], v[26:27]
	ds_read2_b64 v[104:107], v90 offset0:33 offset1:34
	s_waitcnt lgkmcnt(0)
	v_fma_f64 v[22:23], -v[50:51], v[96:97], v[22:23]
	v_fma_f64 v[24:25], -v[50:51], v[98:99], v[24:25]
	ds_read2_b64 v[96:99], v90 offset0:35 offset1:36
	v_fma_f64 v[20:21], -v[50:51], v[100:101], v[20:21]
	v_fma_f64 v[18:19], -v[50:51], v[102:103], v[18:19]
	;; [unrolled: 1-line block ×3, first 2 shown]
	ds_read2_b64 v[100:103], v90 offset0:37 offset1:38
	v_fma_f64 v[14:15], -v[50:51], v[106:107], v[14:15]
	ds_read2_b64 v[104:107], v90 offset0:39 offset1:40
	s_waitcnt lgkmcnt(0)
	v_fma_f64 v[12:13], -v[50:51], v[96:97], v[12:13]
	v_fma_f64 v[10:11], -v[50:51], v[98:99], v[10:11]
	;; [unrolled: 1-line block ×6, first 2 shown]
.LBB80_284:
	s_or_b64 exec, exec, s[0:1]
	v_lshl_add_u32 v86, v91, 3, v90
	s_barrier
	ds_write_b64 v86, v[48:49]
	s_waitcnt lgkmcnt(0)
	s_barrier
	ds_read_b64 v[86:87], v90 offset:136
	s_cmp_lt_i32 s18, 19
	v_mov_b32_e32 v88, 17
	s_cbranch_scc1 .LBB80_287
; %bb.285:
	v_add_u32_e32 v95, 0x90, v90
	s_mov_b32 s0, 18
	v_mov_b32_e32 v88, 17
.LBB80_286:                             ; =>This Inner Loop Header: Depth=1
	ds_read_b64 v[96:97], v95
	v_mov_b32_e32 v98, s0
	s_add_i32 s0, s0, 1
	v_add_u32_e32 v95, 8, v95
	s_cmp_lg_u32 s18, s0
	s_waitcnt lgkmcnt(0)
	v_cmp_lt_f64_e64 vcc, |v[86:87]|, |v[96:97]|
	v_cndmask_b32_e32 v87, v87, v97, vcc
	v_cndmask_b32_e32 v86, v86, v96, vcc
	;; [unrolled: 1-line block ×3, first 2 shown]
	s_cbranch_scc1 .LBB80_286
.LBB80_287:
	s_waitcnt lgkmcnt(0)
	v_cmp_eq_f64_e32 vcc, 0, v[86:87]
	s_and_saveexec_b64 s[0:1], vcc
	s_xor_b64 s[0:1], exec, s[0:1]
; %bb.288:
	v_cmp_ne_u32_e32 vcc, 0, v94
	v_cndmask_b32_e32 v94, 18, v94, vcc
; %bb.289:
	s_andn2_saveexec_b64 s[0:1], s[0:1]
; %bb.290:
	v_div_scale_f64 v[96:97], s[2:3], v[86:87], v[86:87], 1.0
	v_rcp_f64_e32 v[98:99], v[96:97]
	v_div_scale_f64 v[100:101], vcc, 1.0, v[86:87], 1.0
	v_fma_f64 v[102:103], -v[96:97], v[98:99], 1.0
	v_fmac_f64_e32 v[98:99], v[98:99], v[102:103]
	v_fma_f64 v[102:103], -v[96:97], v[98:99], 1.0
	v_fmac_f64_e32 v[98:99], v[98:99], v[102:103]
	v_mul_f64 v[102:103], v[100:101], v[98:99]
	v_fma_f64 v[96:97], -v[96:97], v[102:103], v[100:101]
	v_div_fmas_f64 v[96:97], v[96:97], v[98:99], v[102:103]
	v_div_fixup_f64 v[86:87], v[96:97], v[86:87], 1.0
; %bb.291:
	s_or_b64 exec, exec, s[0:1]
	v_cmp_ne_u32_e32 vcc, v91, v88
	s_and_saveexec_b64 s[0:1], vcc
	s_xor_b64 s[0:1], exec, s[0:1]
	s_cbranch_execz .LBB80_297
; %bb.292:
	v_cmp_eq_u32_e32 vcc, 17, v91
	s_and_saveexec_b64 s[2:3], vcc
	s_cbranch_execz .LBB80_296
; %bb.293:
	v_cmp_ne_u32_e32 vcc, 17, v88
	s_xor_b64 s[14:15], s[6:7], -1
	s_and_b64 s[16:17], s[14:15], vcc
	s_and_saveexec_b64 s[14:15], s[16:17]
	s_cbranch_execz .LBB80_295
; %bb.294:
	v_ashrrev_i32_e32 v89, 31, v88
	v_lshlrev_b64 v[96:97], 2, v[88:89]
	v_add_co_u32_e32 v96, vcc, v4, v96
	v_addc_co_u32_e32 v97, vcc, v5, v97, vcc
	flat_load_dword v89, v[96:97]
	flat_load_dword v91, v[4:5] offset:68
	s_waitcnt vmcnt(0) lgkmcnt(0)
	flat_store_dword v[4:5], v89 offset:68
	flat_store_dword v[96:97], v91
.LBB80_295:
	s_or_b64 exec, exec, s[14:15]
	v_mov_b32_e32 v89, v88
	v_mov_b32_e32 v91, v88
.LBB80_296:
	s_or_b64 exec, exec, s[2:3]
.LBB80_297:
	s_andn2_saveexec_b64 s[0:1], s[0:1]
	s_cbranch_execz .LBB80_299
; %bb.298:
	v_mov_b32_e32 v96, v46
	v_mov_b32_e32 v97, v47
	v_mov_b32_e32 v98, v44
	v_mov_b32_e32 v99, v45
	ds_write2_b64 v90, v[96:97], v[98:99] offset0:18 offset1:19
	v_mov_b32_e32 v96, v42
	v_mov_b32_e32 v97, v43
	v_mov_b32_e32 v98, v40
	v_mov_b32_e32 v99, v41
	ds_write2_b64 v90, v[96:97], v[98:99] offset0:20 offset1:21
	;; [unrolled: 5-line block ×10, first 2 shown]
	v_mov_b32_e32 v96, v6
	v_mov_b32_e32 v97, v7
	v_mov_b32_e32 v98, v0
	v_mov_b32_e32 v99, v1
	v_mov_b32_e32 v91, 17
	ds_write2_b64 v90, v[96:97], v[98:99] offset0:38 offset1:39
	ds_write_b64 v90, v[84:85] offset:320
.LBB80_299:
	s_or_b64 exec, exec, s[0:1]
	v_cmp_lt_i32_e32 vcc, 17, v91
	s_waitcnt lgkmcnt(0)
	s_barrier
	s_and_saveexec_b64 s[0:1], vcc
	s_cbranch_execz .LBB80_301
; %bb.300:
	ds_read2_b64 v[96:99], v90 offset0:18 offset1:19
	ds_read2_b64 v[100:103], v90 offset0:20 offset1:21
	v_mul_f64 v[48:49], v[86:87], v[48:49]
	ds_read2_b64 v[104:107], v90 offset0:22 offset1:23
	ds_read_b64 v[86:87], v90 offset:320
	s_waitcnt lgkmcnt(0)
	v_fma_f64 v[46:47], -v[48:49], v[96:97], v[46:47]
	v_fma_f64 v[44:45], -v[48:49], v[98:99], v[44:45]
	ds_read2_b64 v[96:99], v90 offset0:24 offset1:25
	v_fma_f64 v[42:43], -v[48:49], v[100:101], v[42:43]
	v_fma_f64 v[40:41], -v[48:49], v[102:103], v[40:41]
	ds_read2_b64 v[100:103], v90 offset0:26 offset1:27
	;; [unrolled: 3-line block ×3, first 2 shown]
	s_waitcnt lgkmcnt(0)
	v_fma_f64 v[34:35], -v[48:49], v[96:97], v[34:35]
	v_fma_f64 v[32:33], -v[48:49], v[98:99], v[32:33]
	;; [unrolled: 1-line block ×3, first 2 shown]
	ds_read2_b64 v[96:99], v90 offset0:30 offset1:31
	v_fma_f64 v[28:29], -v[48:49], v[102:103], v[28:29]
	ds_read2_b64 v[100:103], v90 offset0:32 offset1:33
	v_fma_f64 v[26:27], -v[48:49], v[104:105], v[26:27]
	v_fma_f64 v[22:23], -v[48:49], v[106:107], v[22:23]
	s_waitcnt lgkmcnt(0)
	v_fma_f64 v[24:25], -v[48:49], v[96:97], v[24:25]
	ds_read2_b64 v[104:107], v90 offset0:34 offset1:35
	v_fma_f64 v[20:21], -v[48:49], v[98:99], v[20:21]
	ds_read2_b64 v[96:99], v90 offset0:36 offset1:37
	v_fma_f64 v[18:19], -v[48:49], v[100:101], v[18:19]
	v_fma_f64 v[16:17], -v[48:49], v[102:103], v[16:17]
	ds_read2_b64 v[100:103], v90 offset0:38 offset1:39
	s_waitcnt lgkmcnt(0)
	v_fma_f64 v[14:15], -v[48:49], v[104:105], v[14:15]
	v_fma_f64 v[12:13], -v[48:49], v[106:107], v[12:13]
	;; [unrolled: 1-line block ×7, first 2 shown]
.LBB80_301:
	s_or_b64 exec, exec, s[0:1]
	v_lshl_add_u32 v86, v91, 3, v90
	s_barrier
	ds_write_b64 v86, v[46:47]
	s_waitcnt lgkmcnt(0)
	s_barrier
	ds_read_b64 v[86:87], v90 offset:144
	s_cmp_lt_i32 s18, 20
	v_mov_b32_e32 v88, 18
	s_cbranch_scc1 .LBB80_304
; %bb.302:
	v_add_u32_e32 v95, 0x98, v90
	s_mov_b32 s0, 19
	v_mov_b32_e32 v88, 18
.LBB80_303:                             ; =>This Inner Loop Header: Depth=1
	ds_read_b64 v[96:97], v95
	v_mov_b32_e32 v98, s0
	s_add_i32 s0, s0, 1
	v_add_u32_e32 v95, 8, v95
	s_cmp_lg_u32 s18, s0
	s_waitcnt lgkmcnt(0)
	v_cmp_lt_f64_e64 vcc, |v[86:87]|, |v[96:97]|
	v_cndmask_b32_e32 v87, v87, v97, vcc
	v_cndmask_b32_e32 v86, v86, v96, vcc
	;; [unrolled: 1-line block ×3, first 2 shown]
	s_cbranch_scc1 .LBB80_303
.LBB80_304:
	s_waitcnt lgkmcnt(0)
	v_cmp_eq_f64_e32 vcc, 0, v[86:87]
	s_and_saveexec_b64 s[0:1], vcc
	s_xor_b64 s[0:1], exec, s[0:1]
; %bb.305:
	v_cmp_ne_u32_e32 vcc, 0, v94
	v_cndmask_b32_e32 v94, 19, v94, vcc
; %bb.306:
	s_andn2_saveexec_b64 s[0:1], s[0:1]
; %bb.307:
	v_div_scale_f64 v[96:97], s[2:3], v[86:87], v[86:87], 1.0
	v_rcp_f64_e32 v[98:99], v[96:97]
	v_div_scale_f64 v[100:101], vcc, 1.0, v[86:87], 1.0
	v_fma_f64 v[102:103], -v[96:97], v[98:99], 1.0
	v_fmac_f64_e32 v[98:99], v[98:99], v[102:103]
	v_fma_f64 v[102:103], -v[96:97], v[98:99], 1.0
	v_fmac_f64_e32 v[98:99], v[98:99], v[102:103]
	v_mul_f64 v[102:103], v[100:101], v[98:99]
	v_fma_f64 v[96:97], -v[96:97], v[102:103], v[100:101]
	v_div_fmas_f64 v[96:97], v[96:97], v[98:99], v[102:103]
	v_div_fixup_f64 v[86:87], v[96:97], v[86:87], 1.0
; %bb.308:
	s_or_b64 exec, exec, s[0:1]
	v_cmp_ne_u32_e32 vcc, v91, v88
	s_and_saveexec_b64 s[0:1], vcc
	s_xor_b64 s[0:1], exec, s[0:1]
	s_cbranch_execz .LBB80_314
; %bb.309:
	v_cmp_eq_u32_e32 vcc, 18, v91
	s_and_saveexec_b64 s[2:3], vcc
	s_cbranch_execz .LBB80_313
; %bb.310:
	v_cmp_ne_u32_e32 vcc, 18, v88
	s_xor_b64 s[14:15], s[6:7], -1
	s_and_b64 s[16:17], s[14:15], vcc
	s_and_saveexec_b64 s[14:15], s[16:17]
	s_cbranch_execz .LBB80_312
; %bb.311:
	v_ashrrev_i32_e32 v89, 31, v88
	v_lshlrev_b64 v[96:97], 2, v[88:89]
	v_add_co_u32_e32 v96, vcc, v4, v96
	v_addc_co_u32_e32 v97, vcc, v5, v97, vcc
	flat_load_dword v89, v[96:97]
	flat_load_dword v91, v[4:5] offset:72
	s_waitcnt vmcnt(0) lgkmcnt(0)
	flat_store_dword v[4:5], v89 offset:72
	flat_store_dword v[96:97], v91
.LBB80_312:
	s_or_b64 exec, exec, s[14:15]
	v_mov_b32_e32 v89, v88
	v_mov_b32_e32 v91, v88
.LBB80_313:
	s_or_b64 exec, exec, s[2:3]
.LBB80_314:
	s_andn2_saveexec_b64 s[0:1], s[0:1]
	s_cbranch_execz .LBB80_316
; %bb.315:
	v_mov_b32_e32 v91, 18
	ds_write2_b64 v90, v[44:45], v[42:43] offset0:19 offset1:20
	ds_write2_b64 v90, v[40:41], v[38:39] offset0:21 offset1:22
	;; [unrolled: 1-line block ×11, first 2 shown]
.LBB80_316:
	s_or_b64 exec, exec, s[0:1]
	v_cmp_lt_i32_e32 vcc, 18, v91
	s_waitcnt lgkmcnt(0)
	s_barrier
	s_and_saveexec_b64 s[0:1], vcc
	s_cbranch_execz .LBB80_318
; %bb.317:
	ds_read2_b64 v[96:99], v90 offset0:19 offset1:20
	ds_read2_b64 v[100:103], v90 offset0:21 offset1:22
	v_mul_f64 v[46:47], v[86:87], v[46:47]
	ds_read2_b64 v[104:107], v90 offset0:23 offset1:24
	s_waitcnt lgkmcnt(0)
	v_fma_f64 v[44:45], -v[46:47], v[96:97], v[44:45]
	v_fma_f64 v[42:43], -v[46:47], v[98:99], v[42:43]
	ds_read2_b64 v[96:99], v90 offset0:25 offset1:26
	v_fma_f64 v[40:41], -v[46:47], v[100:101], v[40:41]
	v_fma_f64 v[38:39], -v[46:47], v[102:103], v[38:39]
	ds_read2_b64 v[100:103], v90 offset0:27 offset1:28
	;; [unrolled: 3-line block ×3, first 2 shown]
	s_waitcnt lgkmcnt(0)
	v_fma_f64 v[32:33], -v[46:47], v[96:97], v[32:33]
	v_fma_f64 v[30:31], -v[46:47], v[98:99], v[30:31]
	;; [unrolled: 1-line block ×3, first 2 shown]
	ds_read2_b64 v[96:99], v90 offset0:31 offset1:32
	v_fma_f64 v[26:27], -v[46:47], v[102:103], v[26:27]
	ds_read2_b64 v[100:103], v90 offset0:33 offset1:34
	v_fma_f64 v[22:23], -v[46:47], v[104:105], v[22:23]
	v_fma_f64 v[24:25], -v[46:47], v[106:107], v[24:25]
	s_waitcnt lgkmcnt(0)
	v_fma_f64 v[20:21], -v[46:47], v[96:97], v[20:21]
	v_fma_f64 v[18:19], -v[46:47], v[98:99], v[18:19]
	ds_read2_b64 v[96:99], v90 offset0:35 offset1:36
	ds_read2_b64 v[104:107], v90 offset0:37 offset1:38
	v_fma_f64 v[16:17], -v[46:47], v[100:101], v[16:17]
	v_fma_f64 v[14:15], -v[46:47], v[102:103], v[14:15]
	ds_read2_b64 v[100:103], v90 offset0:39 offset1:40
	s_waitcnt lgkmcnt(0)
	v_fma_f64 v[12:13], -v[46:47], v[96:97], v[12:13]
	v_fma_f64 v[10:11], -v[46:47], v[98:99], v[10:11]
	;; [unrolled: 1-line block ×6, first 2 shown]
.LBB80_318:
	s_or_b64 exec, exec, s[0:1]
	v_lshl_add_u32 v86, v91, 3, v90
	s_barrier
	ds_write_b64 v86, v[44:45]
	s_waitcnt lgkmcnt(0)
	s_barrier
	ds_read_b64 v[86:87], v90 offset:152
	s_cmp_lt_i32 s18, 21
	v_mov_b32_e32 v88, 19
	s_cbranch_scc1 .LBB80_321
; %bb.319:
	v_add_u32_e32 v95, 0xa0, v90
	s_mov_b32 s0, 20
	v_mov_b32_e32 v88, 19
.LBB80_320:                             ; =>This Inner Loop Header: Depth=1
	ds_read_b64 v[96:97], v95
	v_mov_b32_e32 v98, s0
	s_add_i32 s0, s0, 1
	v_add_u32_e32 v95, 8, v95
	s_cmp_lg_u32 s18, s0
	s_waitcnt lgkmcnt(0)
	v_cmp_lt_f64_e64 vcc, |v[86:87]|, |v[96:97]|
	v_cndmask_b32_e32 v87, v87, v97, vcc
	v_cndmask_b32_e32 v86, v86, v96, vcc
	;; [unrolled: 1-line block ×3, first 2 shown]
	s_cbranch_scc1 .LBB80_320
.LBB80_321:
	s_waitcnt lgkmcnt(0)
	v_cmp_eq_f64_e32 vcc, 0, v[86:87]
	s_and_saveexec_b64 s[0:1], vcc
	s_xor_b64 s[0:1], exec, s[0:1]
; %bb.322:
	v_cmp_ne_u32_e32 vcc, 0, v94
	v_cndmask_b32_e32 v94, 20, v94, vcc
; %bb.323:
	s_andn2_saveexec_b64 s[0:1], s[0:1]
; %bb.324:
	v_div_scale_f64 v[96:97], s[2:3], v[86:87], v[86:87], 1.0
	v_rcp_f64_e32 v[98:99], v[96:97]
	v_div_scale_f64 v[100:101], vcc, 1.0, v[86:87], 1.0
	v_fma_f64 v[102:103], -v[96:97], v[98:99], 1.0
	v_fmac_f64_e32 v[98:99], v[98:99], v[102:103]
	v_fma_f64 v[102:103], -v[96:97], v[98:99], 1.0
	v_fmac_f64_e32 v[98:99], v[98:99], v[102:103]
	v_mul_f64 v[102:103], v[100:101], v[98:99]
	v_fma_f64 v[96:97], -v[96:97], v[102:103], v[100:101]
	v_div_fmas_f64 v[96:97], v[96:97], v[98:99], v[102:103]
	v_div_fixup_f64 v[86:87], v[96:97], v[86:87], 1.0
; %bb.325:
	s_or_b64 exec, exec, s[0:1]
	v_cmp_ne_u32_e32 vcc, v91, v88
	s_and_saveexec_b64 s[0:1], vcc
	s_xor_b64 s[0:1], exec, s[0:1]
	s_cbranch_execz .LBB80_331
; %bb.326:
	v_cmp_eq_u32_e32 vcc, 19, v91
	s_and_saveexec_b64 s[2:3], vcc
	s_cbranch_execz .LBB80_330
; %bb.327:
	v_cmp_ne_u32_e32 vcc, 19, v88
	s_xor_b64 s[14:15], s[6:7], -1
	s_and_b64 s[16:17], s[14:15], vcc
	s_and_saveexec_b64 s[14:15], s[16:17]
	s_cbranch_execz .LBB80_329
; %bb.328:
	v_ashrrev_i32_e32 v89, 31, v88
	v_lshlrev_b64 v[96:97], 2, v[88:89]
	v_add_co_u32_e32 v96, vcc, v4, v96
	v_addc_co_u32_e32 v97, vcc, v5, v97, vcc
	flat_load_dword v89, v[96:97]
	flat_load_dword v91, v[4:5] offset:76
	s_waitcnt vmcnt(0) lgkmcnt(0)
	flat_store_dword v[4:5], v89 offset:76
	flat_store_dword v[96:97], v91
.LBB80_329:
	s_or_b64 exec, exec, s[14:15]
	v_mov_b32_e32 v89, v88
	v_mov_b32_e32 v91, v88
.LBB80_330:
	s_or_b64 exec, exec, s[2:3]
.LBB80_331:
	s_andn2_saveexec_b64 s[0:1], s[0:1]
	s_cbranch_execz .LBB80_333
; %bb.332:
	v_mov_b32_e32 v96, v42
	v_mov_b32_e32 v97, v43
	v_mov_b32_e32 v98, v40
	v_mov_b32_e32 v99, v41
	ds_write2_b64 v90, v[96:97], v[98:99] offset0:20 offset1:21
	v_mov_b32_e32 v96, v38
	v_mov_b32_e32 v97, v39
	v_mov_b32_e32 v98, v36
	v_mov_b32_e32 v99, v37
	ds_write2_b64 v90, v[96:97], v[98:99] offset0:22 offset1:23
	;; [unrolled: 5-line block ×9, first 2 shown]
	v_mov_b32_e32 v96, v6
	v_mov_b32_e32 v97, v7
	;; [unrolled: 1-line block ×5, first 2 shown]
	ds_write2_b64 v90, v[96:97], v[98:99] offset0:38 offset1:39
	ds_write_b64 v90, v[84:85] offset:320
.LBB80_333:
	s_or_b64 exec, exec, s[0:1]
	v_cmp_lt_i32_e32 vcc, 19, v91
	s_waitcnt lgkmcnt(0)
	s_barrier
	s_and_saveexec_b64 s[0:1], vcc
	s_cbranch_execz .LBB80_335
; %bb.334:
	ds_read2_b64 v[96:99], v90 offset0:20 offset1:21
	ds_read2_b64 v[100:103], v90 offset0:22 offset1:23
	v_mul_f64 v[44:45], v[86:87], v[44:45]
	ds_read2_b64 v[104:107], v90 offset0:24 offset1:25
	ds_read_b64 v[86:87], v90 offset:320
	s_waitcnt lgkmcnt(0)
	v_fma_f64 v[42:43], -v[44:45], v[96:97], v[42:43]
	v_fma_f64 v[40:41], -v[44:45], v[98:99], v[40:41]
	ds_read2_b64 v[96:99], v90 offset0:26 offset1:27
	v_fma_f64 v[38:39], -v[44:45], v[100:101], v[38:39]
	v_fma_f64 v[36:37], -v[44:45], v[102:103], v[36:37]
	;; [unrolled: 1-line block ×3, first 2 shown]
	ds_read2_b64 v[100:103], v90 offset0:28 offset1:29
	v_fma_f64 v[32:33], -v[44:45], v[106:107], v[32:33]
	ds_read2_b64 v[104:107], v90 offset0:30 offset1:31
	s_waitcnt lgkmcnt(0)
	v_fma_f64 v[30:31], -v[44:45], v[96:97], v[30:31]
	v_fma_f64 v[28:29], -v[44:45], v[98:99], v[28:29]
	ds_read2_b64 v[96:99], v90 offset0:32 offset1:33
	v_fma_f64 v[26:27], -v[44:45], v[100:101], v[26:27]
	v_fma_f64 v[22:23], -v[44:45], v[102:103], v[22:23]
	ds_read2_b64 v[100:103], v90 offset0:34 offset1:35
	v_fma_f64 v[24:25], -v[44:45], v[104:105], v[24:25]
	v_fma_f64 v[20:21], -v[44:45], v[106:107], v[20:21]
	s_waitcnt lgkmcnt(0)
	v_fma_f64 v[18:19], -v[44:45], v[96:97], v[18:19]
	v_fma_f64 v[16:17], -v[44:45], v[98:99], v[16:17]
	ds_read2_b64 v[96:99], v90 offset0:36 offset1:37
	ds_read2_b64 v[104:107], v90 offset0:38 offset1:39
	v_fma_f64 v[14:15], -v[44:45], v[100:101], v[14:15]
	v_fma_f64 v[12:13], -v[44:45], v[102:103], v[12:13]
	;; [unrolled: 1-line block ×3, first 2 shown]
	s_waitcnt lgkmcnt(0)
	v_fma_f64 v[10:11], -v[44:45], v[96:97], v[10:11]
	v_fma_f64 v[8:9], -v[44:45], v[98:99], v[8:9]
	;; [unrolled: 1-line block ×4, first 2 shown]
.LBB80_335:
	s_or_b64 exec, exec, s[0:1]
	v_lshl_add_u32 v86, v91, 3, v90
	s_barrier
	ds_write_b64 v86, v[42:43]
	s_waitcnt lgkmcnt(0)
	s_barrier
	ds_read_b64 v[86:87], v90 offset:160
	s_cmp_lt_i32 s18, 22
	v_mov_b32_e32 v88, 20
	s_cbranch_scc1 .LBB80_338
; %bb.336:
	v_add_u32_e32 v95, 0xa8, v90
	s_mov_b32 s0, 21
	v_mov_b32_e32 v88, 20
.LBB80_337:                             ; =>This Inner Loop Header: Depth=1
	ds_read_b64 v[96:97], v95
	v_mov_b32_e32 v98, s0
	s_add_i32 s0, s0, 1
	v_add_u32_e32 v95, 8, v95
	s_cmp_lg_u32 s18, s0
	s_waitcnt lgkmcnt(0)
	v_cmp_lt_f64_e64 vcc, |v[86:87]|, |v[96:97]|
	v_cndmask_b32_e32 v87, v87, v97, vcc
	v_cndmask_b32_e32 v86, v86, v96, vcc
	;; [unrolled: 1-line block ×3, first 2 shown]
	s_cbranch_scc1 .LBB80_337
.LBB80_338:
	s_waitcnt lgkmcnt(0)
	v_cmp_eq_f64_e32 vcc, 0, v[86:87]
	s_and_saveexec_b64 s[0:1], vcc
	s_xor_b64 s[0:1], exec, s[0:1]
; %bb.339:
	v_cmp_ne_u32_e32 vcc, 0, v94
	v_cndmask_b32_e32 v94, 21, v94, vcc
; %bb.340:
	s_andn2_saveexec_b64 s[0:1], s[0:1]
; %bb.341:
	v_div_scale_f64 v[96:97], s[2:3], v[86:87], v[86:87], 1.0
	v_rcp_f64_e32 v[98:99], v[96:97]
	v_div_scale_f64 v[100:101], vcc, 1.0, v[86:87], 1.0
	v_fma_f64 v[102:103], -v[96:97], v[98:99], 1.0
	v_fmac_f64_e32 v[98:99], v[98:99], v[102:103]
	v_fma_f64 v[102:103], -v[96:97], v[98:99], 1.0
	v_fmac_f64_e32 v[98:99], v[98:99], v[102:103]
	v_mul_f64 v[102:103], v[100:101], v[98:99]
	v_fma_f64 v[96:97], -v[96:97], v[102:103], v[100:101]
	v_div_fmas_f64 v[96:97], v[96:97], v[98:99], v[102:103]
	v_div_fixup_f64 v[86:87], v[96:97], v[86:87], 1.0
; %bb.342:
	s_or_b64 exec, exec, s[0:1]
	v_cmp_ne_u32_e32 vcc, v91, v88
	s_and_saveexec_b64 s[0:1], vcc
	s_xor_b64 s[0:1], exec, s[0:1]
	s_cbranch_execz .LBB80_348
; %bb.343:
	v_cmp_eq_u32_e32 vcc, 20, v91
	s_and_saveexec_b64 s[2:3], vcc
	s_cbranch_execz .LBB80_347
; %bb.344:
	v_cmp_ne_u32_e32 vcc, 20, v88
	s_xor_b64 s[14:15], s[6:7], -1
	s_and_b64 s[16:17], s[14:15], vcc
	s_and_saveexec_b64 s[14:15], s[16:17]
	s_cbranch_execz .LBB80_346
; %bb.345:
	v_ashrrev_i32_e32 v89, 31, v88
	v_lshlrev_b64 v[96:97], 2, v[88:89]
	v_add_co_u32_e32 v96, vcc, v4, v96
	v_addc_co_u32_e32 v97, vcc, v5, v97, vcc
	flat_load_dword v89, v[96:97]
	flat_load_dword v91, v[4:5] offset:80
	s_waitcnt vmcnt(0) lgkmcnt(0)
	flat_store_dword v[4:5], v89 offset:80
	flat_store_dword v[96:97], v91
.LBB80_346:
	s_or_b64 exec, exec, s[14:15]
	v_mov_b32_e32 v89, v88
	v_mov_b32_e32 v91, v88
.LBB80_347:
	s_or_b64 exec, exec, s[2:3]
.LBB80_348:
	s_andn2_saveexec_b64 s[0:1], s[0:1]
	s_cbranch_execz .LBB80_350
; %bb.349:
	v_mov_b32_e32 v91, 20
	ds_write2_b64 v90, v[40:41], v[38:39] offset0:21 offset1:22
	ds_write2_b64 v90, v[36:37], v[34:35] offset0:23 offset1:24
	;; [unrolled: 1-line block ×10, first 2 shown]
.LBB80_350:
	s_or_b64 exec, exec, s[0:1]
	v_cmp_lt_i32_e32 vcc, 20, v91
	s_waitcnt lgkmcnt(0)
	s_barrier
	s_and_saveexec_b64 s[0:1], vcc
	s_cbranch_execz .LBB80_352
; %bb.351:
	ds_read2_b64 v[96:99], v90 offset0:21 offset1:22
	ds_read2_b64 v[100:103], v90 offset0:23 offset1:24
	v_mul_f64 v[42:43], v[86:87], v[42:43]
	ds_read2_b64 v[104:107], v90 offset0:25 offset1:26
	s_waitcnt lgkmcnt(0)
	v_fma_f64 v[40:41], -v[42:43], v[96:97], v[40:41]
	v_fma_f64 v[38:39], -v[42:43], v[98:99], v[38:39]
	ds_read2_b64 v[96:99], v90 offset0:27 offset1:28
	v_fma_f64 v[36:37], -v[42:43], v[100:101], v[36:37]
	v_fma_f64 v[34:35], -v[42:43], v[102:103], v[34:35]
	v_fma_f64 v[32:33], -v[42:43], v[104:105], v[32:33]
	ds_read2_b64 v[100:103], v90 offset0:29 offset1:30
	v_fma_f64 v[30:31], -v[42:43], v[106:107], v[30:31]
	ds_read2_b64 v[104:107], v90 offset0:31 offset1:32
	s_waitcnt lgkmcnt(0)
	v_fma_f64 v[28:29], -v[42:43], v[96:97], v[28:29]
	v_fma_f64 v[26:27], -v[42:43], v[98:99], v[26:27]
	ds_read2_b64 v[96:99], v90 offset0:33 offset1:34
	v_fma_f64 v[22:23], -v[42:43], v[100:101], v[22:23]
	v_fma_f64 v[24:25], -v[42:43], v[102:103], v[24:25]
	ds_read2_b64 v[100:103], v90 offset0:35 offset1:36
	v_fma_f64 v[20:21], -v[42:43], v[104:105], v[20:21]
	v_fma_f64 v[18:19], -v[42:43], v[106:107], v[18:19]
	s_waitcnt lgkmcnt(0)
	v_fma_f64 v[16:17], -v[42:43], v[96:97], v[16:17]
	ds_read2_b64 v[104:107], v90 offset0:37 offset1:38
	v_fma_f64 v[14:15], -v[42:43], v[98:99], v[14:15]
	ds_read2_b64 v[96:99], v90 offset0:39 offset1:40
	v_fma_f64 v[12:13], -v[42:43], v[100:101], v[12:13]
	v_fma_f64 v[10:11], -v[42:43], v[102:103], v[10:11]
	s_waitcnt lgkmcnt(0)
	v_fma_f64 v[8:9], -v[42:43], v[104:105], v[8:9]
	v_fma_f64 v[6:7], -v[42:43], v[106:107], v[6:7]
	;; [unrolled: 1-line block ×4, first 2 shown]
.LBB80_352:
	s_or_b64 exec, exec, s[0:1]
	v_lshl_add_u32 v86, v91, 3, v90
	s_barrier
	ds_write_b64 v86, v[40:41]
	s_waitcnt lgkmcnt(0)
	s_barrier
	ds_read_b64 v[86:87], v90 offset:168
	s_cmp_lt_i32 s18, 23
	v_mov_b32_e32 v88, 21
	s_cbranch_scc1 .LBB80_355
; %bb.353:
	v_add_u32_e32 v95, 0xb0, v90
	s_mov_b32 s0, 22
	v_mov_b32_e32 v88, 21
.LBB80_354:                             ; =>This Inner Loop Header: Depth=1
	ds_read_b64 v[96:97], v95
	v_mov_b32_e32 v98, s0
	s_add_i32 s0, s0, 1
	v_add_u32_e32 v95, 8, v95
	s_cmp_lg_u32 s18, s0
	s_waitcnt lgkmcnt(0)
	v_cmp_lt_f64_e64 vcc, |v[86:87]|, |v[96:97]|
	v_cndmask_b32_e32 v87, v87, v97, vcc
	v_cndmask_b32_e32 v86, v86, v96, vcc
	;; [unrolled: 1-line block ×3, first 2 shown]
	s_cbranch_scc1 .LBB80_354
.LBB80_355:
	s_waitcnt lgkmcnt(0)
	v_cmp_eq_f64_e32 vcc, 0, v[86:87]
	s_and_saveexec_b64 s[0:1], vcc
	s_xor_b64 s[0:1], exec, s[0:1]
; %bb.356:
	v_cmp_ne_u32_e32 vcc, 0, v94
	v_cndmask_b32_e32 v94, 22, v94, vcc
; %bb.357:
	s_andn2_saveexec_b64 s[0:1], s[0:1]
; %bb.358:
	v_div_scale_f64 v[96:97], s[2:3], v[86:87], v[86:87], 1.0
	v_rcp_f64_e32 v[98:99], v[96:97]
	v_div_scale_f64 v[100:101], vcc, 1.0, v[86:87], 1.0
	v_fma_f64 v[102:103], -v[96:97], v[98:99], 1.0
	v_fmac_f64_e32 v[98:99], v[98:99], v[102:103]
	v_fma_f64 v[102:103], -v[96:97], v[98:99], 1.0
	v_fmac_f64_e32 v[98:99], v[98:99], v[102:103]
	v_mul_f64 v[102:103], v[100:101], v[98:99]
	v_fma_f64 v[96:97], -v[96:97], v[102:103], v[100:101]
	v_div_fmas_f64 v[96:97], v[96:97], v[98:99], v[102:103]
	v_div_fixup_f64 v[86:87], v[96:97], v[86:87], 1.0
; %bb.359:
	s_or_b64 exec, exec, s[0:1]
	v_cmp_ne_u32_e32 vcc, v91, v88
	s_and_saveexec_b64 s[0:1], vcc
	s_xor_b64 s[0:1], exec, s[0:1]
	s_cbranch_execz .LBB80_365
; %bb.360:
	v_cmp_eq_u32_e32 vcc, 21, v91
	s_and_saveexec_b64 s[2:3], vcc
	s_cbranch_execz .LBB80_364
; %bb.361:
	v_cmp_ne_u32_e32 vcc, 21, v88
	s_xor_b64 s[14:15], s[6:7], -1
	s_and_b64 s[16:17], s[14:15], vcc
	s_and_saveexec_b64 s[14:15], s[16:17]
	s_cbranch_execz .LBB80_363
; %bb.362:
	v_ashrrev_i32_e32 v89, 31, v88
	v_lshlrev_b64 v[96:97], 2, v[88:89]
	v_add_co_u32_e32 v96, vcc, v4, v96
	v_addc_co_u32_e32 v97, vcc, v5, v97, vcc
	flat_load_dword v89, v[96:97]
	flat_load_dword v91, v[4:5] offset:84
	s_waitcnt vmcnt(0) lgkmcnt(0)
	flat_store_dword v[4:5], v89 offset:84
	flat_store_dword v[96:97], v91
.LBB80_363:
	s_or_b64 exec, exec, s[14:15]
	v_mov_b32_e32 v89, v88
	v_mov_b32_e32 v91, v88
.LBB80_364:
	s_or_b64 exec, exec, s[2:3]
.LBB80_365:
	s_andn2_saveexec_b64 s[0:1], s[0:1]
	s_cbranch_execz .LBB80_367
; %bb.366:
	v_mov_b32_e32 v96, v38
	v_mov_b32_e32 v97, v39
	v_mov_b32_e32 v98, v36
	v_mov_b32_e32 v99, v37
	ds_write2_b64 v90, v[96:97], v[98:99] offset0:22 offset1:23
	v_mov_b32_e32 v96, v34
	v_mov_b32_e32 v97, v35
	v_mov_b32_e32 v98, v32
	v_mov_b32_e32 v99, v33
	ds_write2_b64 v90, v[96:97], v[98:99] offset0:24 offset1:25
	;; [unrolled: 5-line block ×8, first 2 shown]
	v_mov_b32_e32 v96, v6
	v_mov_b32_e32 v97, v7
	;; [unrolled: 1-line block ×5, first 2 shown]
	ds_write2_b64 v90, v[96:97], v[98:99] offset0:38 offset1:39
	ds_write_b64 v90, v[84:85] offset:320
.LBB80_367:
	s_or_b64 exec, exec, s[0:1]
	v_cmp_lt_i32_e32 vcc, 21, v91
	s_waitcnt lgkmcnt(0)
	s_barrier
	s_and_saveexec_b64 s[0:1], vcc
	s_cbranch_execz .LBB80_369
; %bb.368:
	ds_read2_b64 v[96:99], v90 offset0:22 offset1:23
	ds_read2_b64 v[100:103], v90 offset0:24 offset1:25
	ds_read2_b64 v[104:107], v90 offset0:26 offset1:27
	v_mul_f64 v[40:41], v[86:87], v[40:41]
	ds_read_b64 v[86:87], v90 offset:320
	s_waitcnt lgkmcnt(0)
	v_fma_f64 v[38:39], -v[40:41], v[96:97], v[38:39]
	v_fma_f64 v[36:37], -v[40:41], v[98:99], v[36:37]
	ds_read2_b64 v[96:99], v90 offset0:28 offset1:29
	v_fma_f64 v[34:35], -v[40:41], v[100:101], v[34:35]
	v_fma_f64 v[32:33], -v[40:41], v[102:103], v[32:33]
	;; [unrolled: 1-line block ×3, first 2 shown]
	ds_read2_b64 v[100:103], v90 offset0:30 offset1:31
	v_fma_f64 v[28:29], -v[40:41], v[106:107], v[28:29]
	ds_read2_b64 v[104:107], v90 offset0:32 offset1:33
	s_waitcnt lgkmcnt(0)
	v_fma_f64 v[26:27], -v[40:41], v[96:97], v[26:27]
	v_fma_f64 v[22:23], -v[40:41], v[98:99], v[22:23]
	;; [unrolled: 1-line block ×3, first 2 shown]
	ds_read2_b64 v[96:99], v90 offset0:34 offset1:35
	v_fma_f64 v[20:21], -v[40:41], v[102:103], v[20:21]
	ds_read2_b64 v[100:103], v90 offset0:36 offset1:37
	v_fma_f64 v[18:19], -v[40:41], v[104:105], v[18:19]
	v_fma_f64 v[16:17], -v[40:41], v[106:107], v[16:17]
	ds_read2_b64 v[104:107], v90 offset0:38 offset1:39
	s_waitcnt lgkmcnt(0)
	v_fma_f64 v[14:15], -v[40:41], v[96:97], v[14:15]
	v_fma_f64 v[12:13], -v[40:41], v[98:99], v[12:13]
	;; [unrolled: 1-line block ×7, first 2 shown]
.LBB80_369:
	s_or_b64 exec, exec, s[0:1]
	v_lshl_add_u32 v86, v91, 3, v90
	s_barrier
	ds_write_b64 v86, v[38:39]
	s_waitcnt lgkmcnt(0)
	s_barrier
	ds_read_b64 v[86:87], v90 offset:176
	s_cmp_lt_i32 s18, 24
	v_mov_b32_e32 v88, 22
	s_cbranch_scc1 .LBB80_372
; %bb.370:
	v_add_u32_e32 v95, 0xb8, v90
	s_mov_b32 s0, 23
	v_mov_b32_e32 v88, 22
.LBB80_371:                             ; =>This Inner Loop Header: Depth=1
	ds_read_b64 v[96:97], v95
	v_mov_b32_e32 v98, s0
	s_add_i32 s0, s0, 1
	v_add_u32_e32 v95, 8, v95
	s_cmp_lg_u32 s18, s0
	s_waitcnt lgkmcnt(0)
	v_cmp_lt_f64_e64 vcc, |v[86:87]|, |v[96:97]|
	v_cndmask_b32_e32 v87, v87, v97, vcc
	v_cndmask_b32_e32 v86, v86, v96, vcc
	;; [unrolled: 1-line block ×3, first 2 shown]
	s_cbranch_scc1 .LBB80_371
.LBB80_372:
	s_waitcnt lgkmcnt(0)
	v_cmp_eq_f64_e32 vcc, 0, v[86:87]
	s_and_saveexec_b64 s[0:1], vcc
	s_xor_b64 s[0:1], exec, s[0:1]
; %bb.373:
	v_cmp_ne_u32_e32 vcc, 0, v94
	v_cndmask_b32_e32 v94, 23, v94, vcc
; %bb.374:
	s_andn2_saveexec_b64 s[0:1], s[0:1]
; %bb.375:
	v_div_scale_f64 v[96:97], s[2:3], v[86:87], v[86:87], 1.0
	v_rcp_f64_e32 v[98:99], v[96:97]
	v_div_scale_f64 v[100:101], vcc, 1.0, v[86:87], 1.0
	v_fma_f64 v[102:103], -v[96:97], v[98:99], 1.0
	v_fmac_f64_e32 v[98:99], v[98:99], v[102:103]
	v_fma_f64 v[102:103], -v[96:97], v[98:99], 1.0
	v_fmac_f64_e32 v[98:99], v[98:99], v[102:103]
	v_mul_f64 v[102:103], v[100:101], v[98:99]
	v_fma_f64 v[96:97], -v[96:97], v[102:103], v[100:101]
	v_div_fmas_f64 v[96:97], v[96:97], v[98:99], v[102:103]
	v_div_fixup_f64 v[86:87], v[96:97], v[86:87], 1.0
; %bb.376:
	s_or_b64 exec, exec, s[0:1]
	v_cmp_ne_u32_e32 vcc, v91, v88
	s_and_saveexec_b64 s[0:1], vcc
	s_xor_b64 s[0:1], exec, s[0:1]
	s_cbranch_execz .LBB80_382
; %bb.377:
	v_cmp_eq_u32_e32 vcc, 22, v91
	s_and_saveexec_b64 s[2:3], vcc
	s_cbranch_execz .LBB80_381
; %bb.378:
	v_cmp_ne_u32_e32 vcc, 22, v88
	s_xor_b64 s[14:15], s[6:7], -1
	s_and_b64 s[16:17], s[14:15], vcc
	s_and_saveexec_b64 s[14:15], s[16:17]
	s_cbranch_execz .LBB80_380
; %bb.379:
	v_ashrrev_i32_e32 v89, 31, v88
	v_lshlrev_b64 v[96:97], 2, v[88:89]
	v_add_co_u32_e32 v96, vcc, v4, v96
	v_addc_co_u32_e32 v97, vcc, v5, v97, vcc
	flat_load_dword v89, v[96:97]
	flat_load_dword v91, v[4:5] offset:88
	s_waitcnt vmcnt(0) lgkmcnt(0)
	flat_store_dword v[4:5], v89 offset:88
	flat_store_dword v[96:97], v91
.LBB80_380:
	s_or_b64 exec, exec, s[14:15]
	v_mov_b32_e32 v89, v88
	v_mov_b32_e32 v91, v88
.LBB80_381:
	s_or_b64 exec, exec, s[2:3]
.LBB80_382:
	s_andn2_saveexec_b64 s[0:1], s[0:1]
	s_cbranch_execz .LBB80_384
; %bb.383:
	v_mov_b32_e32 v91, 22
	ds_write2_b64 v90, v[36:37], v[34:35] offset0:23 offset1:24
	ds_write2_b64 v90, v[32:33], v[30:31] offset0:25 offset1:26
	;; [unrolled: 1-line block ×9, first 2 shown]
.LBB80_384:
	s_or_b64 exec, exec, s[0:1]
	v_cmp_lt_i32_e32 vcc, 22, v91
	s_waitcnt lgkmcnt(0)
	s_barrier
	s_and_saveexec_b64 s[0:1], vcc
	s_cbranch_execz .LBB80_386
; %bb.385:
	ds_read2_b64 v[96:99], v90 offset0:23 offset1:24
	ds_read2_b64 v[100:103], v90 offset0:25 offset1:26
	;; [unrolled: 1-line block ×3, first 2 shown]
	v_mul_f64 v[38:39], v[86:87], v[38:39]
	s_waitcnt lgkmcnt(0)
	v_fma_f64 v[36:37], -v[38:39], v[96:97], v[36:37]
	v_fma_f64 v[34:35], -v[38:39], v[98:99], v[34:35]
	ds_read2_b64 v[96:99], v90 offset0:29 offset1:30
	v_fma_f64 v[32:33], -v[38:39], v[100:101], v[32:33]
	v_fma_f64 v[30:31], -v[38:39], v[102:103], v[30:31]
	;; [unrolled: 1-line block ×3, first 2 shown]
	ds_read2_b64 v[100:103], v90 offset0:31 offset1:32
	v_fma_f64 v[26:27], -v[38:39], v[106:107], v[26:27]
	ds_read2_b64 v[104:107], v90 offset0:33 offset1:34
	s_waitcnt lgkmcnt(0)
	v_fma_f64 v[22:23], -v[38:39], v[96:97], v[22:23]
	v_fma_f64 v[24:25], -v[38:39], v[98:99], v[24:25]
	;; [unrolled: 1-line block ×4, first 2 shown]
	ds_read2_b64 v[96:99], v90 offset0:35 offset1:36
	ds_read2_b64 v[100:103], v90 offset0:37 offset1:38
	v_fma_f64 v[16:17], -v[38:39], v[104:105], v[16:17]
	v_fma_f64 v[14:15], -v[38:39], v[106:107], v[14:15]
	ds_read2_b64 v[104:107], v90 offset0:39 offset1:40
	s_waitcnt lgkmcnt(0)
	v_fma_f64 v[12:13], -v[38:39], v[96:97], v[12:13]
	v_fma_f64 v[10:11], -v[38:39], v[98:99], v[10:11]
	;; [unrolled: 1-line block ×6, first 2 shown]
.LBB80_386:
	s_or_b64 exec, exec, s[0:1]
	v_lshl_add_u32 v86, v91, 3, v90
	s_barrier
	ds_write_b64 v86, v[36:37]
	s_waitcnt lgkmcnt(0)
	s_barrier
	ds_read_b64 v[86:87], v90 offset:184
	s_cmp_lt_i32 s18, 25
	v_mov_b32_e32 v88, 23
	s_cbranch_scc1 .LBB80_389
; %bb.387:
	v_add_u32_e32 v95, 0xc0, v90
	s_mov_b32 s0, 24
	v_mov_b32_e32 v88, 23
.LBB80_388:                             ; =>This Inner Loop Header: Depth=1
	ds_read_b64 v[96:97], v95
	v_mov_b32_e32 v98, s0
	s_add_i32 s0, s0, 1
	v_add_u32_e32 v95, 8, v95
	s_cmp_lg_u32 s18, s0
	s_waitcnt lgkmcnt(0)
	v_cmp_lt_f64_e64 vcc, |v[86:87]|, |v[96:97]|
	v_cndmask_b32_e32 v87, v87, v97, vcc
	v_cndmask_b32_e32 v86, v86, v96, vcc
	v_cndmask_b32_e32 v88, v88, v98, vcc
	s_cbranch_scc1 .LBB80_388
.LBB80_389:
	s_waitcnt lgkmcnt(0)
	v_cmp_eq_f64_e32 vcc, 0, v[86:87]
	s_and_saveexec_b64 s[0:1], vcc
	s_xor_b64 s[0:1], exec, s[0:1]
; %bb.390:
	v_cmp_ne_u32_e32 vcc, 0, v94
	v_cndmask_b32_e32 v94, 24, v94, vcc
; %bb.391:
	s_andn2_saveexec_b64 s[0:1], s[0:1]
; %bb.392:
	v_div_scale_f64 v[96:97], s[2:3], v[86:87], v[86:87], 1.0
	v_rcp_f64_e32 v[98:99], v[96:97]
	v_div_scale_f64 v[100:101], vcc, 1.0, v[86:87], 1.0
	v_fma_f64 v[102:103], -v[96:97], v[98:99], 1.0
	v_fmac_f64_e32 v[98:99], v[98:99], v[102:103]
	v_fma_f64 v[102:103], -v[96:97], v[98:99], 1.0
	v_fmac_f64_e32 v[98:99], v[98:99], v[102:103]
	v_mul_f64 v[102:103], v[100:101], v[98:99]
	v_fma_f64 v[96:97], -v[96:97], v[102:103], v[100:101]
	v_div_fmas_f64 v[96:97], v[96:97], v[98:99], v[102:103]
	v_div_fixup_f64 v[86:87], v[96:97], v[86:87], 1.0
; %bb.393:
	s_or_b64 exec, exec, s[0:1]
	v_cmp_ne_u32_e32 vcc, v91, v88
	s_and_saveexec_b64 s[0:1], vcc
	s_xor_b64 s[0:1], exec, s[0:1]
	s_cbranch_execz .LBB80_399
; %bb.394:
	v_cmp_eq_u32_e32 vcc, 23, v91
	s_and_saveexec_b64 s[2:3], vcc
	s_cbranch_execz .LBB80_398
; %bb.395:
	v_cmp_ne_u32_e32 vcc, 23, v88
	s_xor_b64 s[14:15], s[6:7], -1
	s_and_b64 s[16:17], s[14:15], vcc
	s_and_saveexec_b64 s[14:15], s[16:17]
	s_cbranch_execz .LBB80_397
; %bb.396:
	v_ashrrev_i32_e32 v89, 31, v88
	v_lshlrev_b64 v[96:97], 2, v[88:89]
	v_add_co_u32_e32 v96, vcc, v4, v96
	v_addc_co_u32_e32 v97, vcc, v5, v97, vcc
	flat_load_dword v89, v[96:97]
	flat_load_dword v91, v[4:5] offset:92
	s_waitcnt vmcnt(0) lgkmcnt(0)
	flat_store_dword v[4:5], v89 offset:92
	flat_store_dword v[96:97], v91
.LBB80_397:
	s_or_b64 exec, exec, s[14:15]
	v_mov_b32_e32 v89, v88
	v_mov_b32_e32 v91, v88
.LBB80_398:
	s_or_b64 exec, exec, s[2:3]
.LBB80_399:
	s_andn2_saveexec_b64 s[0:1], s[0:1]
	s_cbranch_execz .LBB80_401
; %bb.400:
	v_mov_b32_e32 v96, v34
	v_mov_b32_e32 v97, v35
	v_mov_b32_e32 v98, v32
	v_mov_b32_e32 v99, v33
	ds_write2_b64 v90, v[96:97], v[98:99] offset0:24 offset1:25
	v_mov_b32_e32 v96, v30
	v_mov_b32_e32 v97, v31
	v_mov_b32_e32 v98, v28
	v_mov_b32_e32 v99, v29
	ds_write2_b64 v90, v[96:97], v[98:99] offset0:26 offset1:27
	;; [unrolled: 5-line block ×7, first 2 shown]
	v_mov_b32_e32 v96, v6
	v_mov_b32_e32 v97, v7
	;; [unrolled: 1-line block ×5, first 2 shown]
	ds_write2_b64 v90, v[96:97], v[98:99] offset0:38 offset1:39
	ds_write_b64 v90, v[84:85] offset:320
.LBB80_401:
	s_or_b64 exec, exec, s[0:1]
	v_cmp_lt_i32_e32 vcc, 23, v91
	s_waitcnt lgkmcnt(0)
	s_barrier
	s_and_saveexec_b64 s[0:1], vcc
	s_cbranch_execz .LBB80_403
; %bb.402:
	ds_read2_b64 v[96:99], v90 offset0:24 offset1:25
	ds_read2_b64 v[100:103], v90 offset0:26 offset1:27
	v_mul_f64 v[36:37], v[86:87], v[36:37]
	ds_read2_b64 v[104:107], v90 offset0:28 offset1:29
	ds_read_b64 v[86:87], v90 offset:320
	s_waitcnt lgkmcnt(0)
	v_fma_f64 v[34:35], -v[36:37], v[96:97], v[34:35]
	v_fma_f64 v[32:33], -v[36:37], v[98:99], v[32:33]
	ds_read2_b64 v[96:99], v90 offset0:30 offset1:31
	v_fma_f64 v[30:31], -v[36:37], v[100:101], v[30:31]
	v_fma_f64 v[28:29], -v[36:37], v[102:103], v[28:29]
	ds_read2_b64 v[100:103], v90 offset0:32 offset1:33
	v_fma_f64 v[26:27], -v[36:37], v[104:105], v[26:27]
	v_fma_f64 v[22:23], -v[36:37], v[106:107], v[22:23]
	ds_read2_b64 v[104:107], v90 offset0:34 offset1:35
	s_waitcnt lgkmcnt(0)
	v_fma_f64 v[24:25], -v[36:37], v[96:97], v[24:25]
	v_fma_f64 v[20:21], -v[36:37], v[98:99], v[20:21]
	;; [unrolled: 1-line block ×4, first 2 shown]
	ds_read2_b64 v[96:99], v90 offset0:36 offset1:37
	ds_read2_b64 v[100:103], v90 offset0:38 offset1:39
	v_fma_f64 v[14:15], -v[36:37], v[104:105], v[14:15]
	v_fma_f64 v[12:13], -v[36:37], v[106:107], v[12:13]
	;; [unrolled: 1-line block ×3, first 2 shown]
	s_waitcnt lgkmcnt(0)
	v_fma_f64 v[10:11], -v[36:37], v[96:97], v[10:11]
	v_fma_f64 v[8:9], -v[36:37], v[98:99], v[8:9]
	;; [unrolled: 1-line block ×4, first 2 shown]
.LBB80_403:
	s_or_b64 exec, exec, s[0:1]
	v_lshl_add_u32 v86, v91, 3, v90
	s_barrier
	ds_write_b64 v86, v[34:35]
	s_waitcnt lgkmcnt(0)
	s_barrier
	ds_read_b64 v[86:87], v90 offset:192
	s_cmp_lt_i32 s18, 26
	v_mov_b32_e32 v88, 24
	s_cbranch_scc1 .LBB80_406
; %bb.404:
	v_add_u32_e32 v95, 0xc8, v90
	s_mov_b32 s0, 25
	v_mov_b32_e32 v88, 24
.LBB80_405:                             ; =>This Inner Loop Header: Depth=1
	ds_read_b64 v[96:97], v95
	v_mov_b32_e32 v98, s0
	s_add_i32 s0, s0, 1
	v_add_u32_e32 v95, 8, v95
	s_cmp_lg_u32 s18, s0
	s_waitcnt lgkmcnt(0)
	v_cmp_lt_f64_e64 vcc, |v[86:87]|, |v[96:97]|
	v_cndmask_b32_e32 v87, v87, v97, vcc
	v_cndmask_b32_e32 v86, v86, v96, vcc
	;; [unrolled: 1-line block ×3, first 2 shown]
	s_cbranch_scc1 .LBB80_405
.LBB80_406:
	s_waitcnt lgkmcnt(0)
	v_cmp_eq_f64_e32 vcc, 0, v[86:87]
	s_and_saveexec_b64 s[0:1], vcc
	s_xor_b64 s[0:1], exec, s[0:1]
; %bb.407:
	v_cmp_ne_u32_e32 vcc, 0, v94
	v_cndmask_b32_e32 v94, 25, v94, vcc
; %bb.408:
	s_andn2_saveexec_b64 s[0:1], s[0:1]
; %bb.409:
	v_div_scale_f64 v[96:97], s[2:3], v[86:87], v[86:87], 1.0
	v_rcp_f64_e32 v[98:99], v[96:97]
	v_div_scale_f64 v[100:101], vcc, 1.0, v[86:87], 1.0
	v_fma_f64 v[102:103], -v[96:97], v[98:99], 1.0
	v_fmac_f64_e32 v[98:99], v[98:99], v[102:103]
	v_fma_f64 v[102:103], -v[96:97], v[98:99], 1.0
	v_fmac_f64_e32 v[98:99], v[98:99], v[102:103]
	v_mul_f64 v[102:103], v[100:101], v[98:99]
	v_fma_f64 v[96:97], -v[96:97], v[102:103], v[100:101]
	v_div_fmas_f64 v[96:97], v[96:97], v[98:99], v[102:103]
	v_div_fixup_f64 v[86:87], v[96:97], v[86:87], 1.0
; %bb.410:
	s_or_b64 exec, exec, s[0:1]
	v_cmp_ne_u32_e32 vcc, v91, v88
	s_and_saveexec_b64 s[0:1], vcc
	s_xor_b64 s[0:1], exec, s[0:1]
	s_cbranch_execz .LBB80_416
; %bb.411:
	v_cmp_eq_u32_e32 vcc, 24, v91
	s_and_saveexec_b64 s[2:3], vcc
	s_cbranch_execz .LBB80_415
; %bb.412:
	v_cmp_ne_u32_e32 vcc, 24, v88
	s_xor_b64 s[14:15], s[6:7], -1
	s_and_b64 s[16:17], s[14:15], vcc
	s_and_saveexec_b64 s[14:15], s[16:17]
	s_cbranch_execz .LBB80_414
; %bb.413:
	v_ashrrev_i32_e32 v89, 31, v88
	v_lshlrev_b64 v[96:97], 2, v[88:89]
	v_add_co_u32_e32 v96, vcc, v4, v96
	v_addc_co_u32_e32 v97, vcc, v5, v97, vcc
	flat_load_dword v89, v[96:97]
	flat_load_dword v91, v[4:5] offset:96
	s_waitcnt vmcnt(0) lgkmcnt(0)
	flat_store_dword v[4:5], v89 offset:96
	flat_store_dword v[96:97], v91
.LBB80_414:
	s_or_b64 exec, exec, s[14:15]
	v_mov_b32_e32 v89, v88
	v_mov_b32_e32 v91, v88
.LBB80_415:
	s_or_b64 exec, exec, s[2:3]
.LBB80_416:
	s_andn2_saveexec_b64 s[0:1], s[0:1]
	s_cbranch_execz .LBB80_418
; %bb.417:
	v_mov_b32_e32 v91, 24
	ds_write2_b64 v90, v[32:33], v[30:31] offset0:25 offset1:26
	ds_write2_b64 v90, v[28:29], v[26:27] offset0:27 offset1:28
	;; [unrolled: 1-line block ×8, first 2 shown]
.LBB80_418:
	s_or_b64 exec, exec, s[0:1]
	v_cmp_lt_i32_e32 vcc, 24, v91
	s_waitcnt lgkmcnt(0)
	s_barrier
	s_and_saveexec_b64 s[0:1], vcc
	s_cbranch_execz .LBB80_420
; %bb.419:
	ds_read2_b64 v[96:99], v90 offset0:25 offset1:26
	ds_read2_b64 v[100:103], v90 offset0:27 offset1:28
	v_mul_f64 v[34:35], v[86:87], v[34:35]
	ds_read2_b64 v[104:107], v90 offset0:29 offset1:30
	s_waitcnt lgkmcnt(0)
	v_fma_f64 v[32:33], -v[34:35], v[96:97], v[32:33]
	v_fma_f64 v[30:31], -v[34:35], v[98:99], v[30:31]
	ds_read2_b64 v[96:99], v90 offset0:31 offset1:32
	v_fma_f64 v[28:29], -v[34:35], v[100:101], v[28:29]
	v_fma_f64 v[26:27], -v[34:35], v[102:103], v[26:27]
	ds_read2_b64 v[100:103], v90 offset0:33 offset1:34
	v_fma_f64 v[22:23], -v[34:35], v[104:105], v[22:23]
	v_fma_f64 v[24:25], -v[34:35], v[106:107], v[24:25]
	s_waitcnt lgkmcnt(0)
	v_fma_f64 v[20:21], -v[34:35], v[96:97], v[20:21]
	v_fma_f64 v[18:19], -v[34:35], v[98:99], v[18:19]
	ds_read2_b64 v[96:99], v90 offset0:35 offset1:36
	v_fma_f64 v[16:17], -v[34:35], v[100:101], v[16:17]
	ds_read2_b64 v[104:107], v90 offset0:37 offset1:38
	;; [unrolled: 2-line block ×3, first 2 shown]
	s_waitcnt lgkmcnt(0)
	v_fma_f64 v[12:13], -v[34:35], v[96:97], v[12:13]
	v_fma_f64 v[10:11], -v[34:35], v[98:99], v[10:11]
	;; [unrolled: 1-line block ×6, first 2 shown]
.LBB80_420:
	s_or_b64 exec, exec, s[0:1]
	v_lshl_add_u32 v86, v91, 3, v90
	s_barrier
	ds_write_b64 v86, v[32:33]
	s_waitcnt lgkmcnt(0)
	s_barrier
	ds_read_b64 v[86:87], v90 offset:200
	s_cmp_lt_i32 s18, 27
	v_mov_b32_e32 v88, 25
	s_cbranch_scc1 .LBB80_423
; %bb.421:
	v_add_u32_e32 v95, 0xd0, v90
	s_mov_b32 s0, 26
	v_mov_b32_e32 v88, 25
.LBB80_422:                             ; =>This Inner Loop Header: Depth=1
	ds_read_b64 v[96:97], v95
	v_mov_b32_e32 v98, s0
	s_add_i32 s0, s0, 1
	v_add_u32_e32 v95, 8, v95
	s_cmp_lg_u32 s18, s0
	s_waitcnt lgkmcnt(0)
	v_cmp_lt_f64_e64 vcc, |v[86:87]|, |v[96:97]|
	v_cndmask_b32_e32 v87, v87, v97, vcc
	v_cndmask_b32_e32 v86, v86, v96, vcc
	;; [unrolled: 1-line block ×3, first 2 shown]
	s_cbranch_scc1 .LBB80_422
.LBB80_423:
	s_waitcnt lgkmcnt(0)
	v_cmp_eq_f64_e32 vcc, 0, v[86:87]
	s_and_saveexec_b64 s[0:1], vcc
	s_xor_b64 s[0:1], exec, s[0:1]
; %bb.424:
	v_cmp_ne_u32_e32 vcc, 0, v94
	v_cndmask_b32_e32 v94, 26, v94, vcc
; %bb.425:
	s_andn2_saveexec_b64 s[0:1], s[0:1]
; %bb.426:
	v_div_scale_f64 v[96:97], s[2:3], v[86:87], v[86:87], 1.0
	v_rcp_f64_e32 v[98:99], v[96:97]
	v_div_scale_f64 v[100:101], vcc, 1.0, v[86:87], 1.0
	v_fma_f64 v[102:103], -v[96:97], v[98:99], 1.0
	v_fmac_f64_e32 v[98:99], v[98:99], v[102:103]
	v_fma_f64 v[102:103], -v[96:97], v[98:99], 1.0
	v_fmac_f64_e32 v[98:99], v[98:99], v[102:103]
	v_mul_f64 v[102:103], v[100:101], v[98:99]
	v_fma_f64 v[96:97], -v[96:97], v[102:103], v[100:101]
	v_div_fmas_f64 v[96:97], v[96:97], v[98:99], v[102:103]
	v_div_fixup_f64 v[86:87], v[96:97], v[86:87], 1.0
; %bb.427:
	s_or_b64 exec, exec, s[0:1]
	v_cmp_ne_u32_e32 vcc, v91, v88
	s_and_saveexec_b64 s[0:1], vcc
	s_xor_b64 s[0:1], exec, s[0:1]
	s_cbranch_execz .LBB80_433
; %bb.428:
	v_cmp_eq_u32_e32 vcc, 25, v91
	s_and_saveexec_b64 s[2:3], vcc
	s_cbranch_execz .LBB80_432
; %bb.429:
	v_cmp_ne_u32_e32 vcc, 25, v88
	s_xor_b64 s[14:15], s[6:7], -1
	s_and_b64 s[16:17], s[14:15], vcc
	s_and_saveexec_b64 s[14:15], s[16:17]
	s_cbranch_execz .LBB80_431
; %bb.430:
	v_ashrrev_i32_e32 v89, 31, v88
	v_lshlrev_b64 v[96:97], 2, v[88:89]
	v_add_co_u32_e32 v96, vcc, v4, v96
	v_addc_co_u32_e32 v97, vcc, v5, v97, vcc
	flat_load_dword v89, v[96:97]
	flat_load_dword v91, v[4:5] offset:100
	s_waitcnt vmcnt(0) lgkmcnt(0)
	flat_store_dword v[4:5], v89 offset:100
	flat_store_dword v[96:97], v91
.LBB80_431:
	s_or_b64 exec, exec, s[14:15]
	v_mov_b32_e32 v89, v88
	v_mov_b32_e32 v91, v88
.LBB80_432:
	s_or_b64 exec, exec, s[2:3]
.LBB80_433:
	s_andn2_saveexec_b64 s[0:1], s[0:1]
	s_cbranch_execz .LBB80_435
; %bb.434:
	v_mov_b32_e32 v96, v30
	v_mov_b32_e32 v97, v31
	v_mov_b32_e32 v98, v28
	v_mov_b32_e32 v99, v29
	ds_write2_b64 v90, v[96:97], v[98:99] offset0:26 offset1:27
	v_mov_b32_e32 v96, v26
	v_mov_b32_e32 v97, v27
	v_mov_b32_e32 v98, v22
	v_mov_b32_e32 v99, v23
	ds_write2_b64 v90, v[96:97], v[98:99] offset0:28 offset1:29
	;; [unrolled: 5-line block ×6, first 2 shown]
	v_mov_b32_e32 v96, v6
	v_mov_b32_e32 v97, v7
	;; [unrolled: 1-line block ×5, first 2 shown]
	ds_write2_b64 v90, v[96:97], v[98:99] offset0:38 offset1:39
	ds_write_b64 v90, v[84:85] offset:320
.LBB80_435:
	s_or_b64 exec, exec, s[0:1]
	v_cmp_lt_i32_e32 vcc, 25, v91
	s_waitcnt lgkmcnt(0)
	s_barrier
	s_and_saveexec_b64 s[0:1], vcc
	s_cbranch_execz .LBB80_437
; %bb.436:
	ds_read2_b64 v[96:99], v90 offset0:26 offset1:27
	ds_read2_b64 v[100:103], v90 offset0:28 offset1:29
	v_mul_f64 v[32:33], v[86:87], v[32:33]
	ds_read2_b64 v[104:107], v90 offset0:30 offset1:31
	ds_read_b64 v[86:87], v90 offset:320
	s_waitcnt lgkmcnt(0)
	v_fma_f64 v[30:31], -v[32:33], v[96:97], v[30:31]
	v_fma_f64 v[28:29], -v[32:33], v[98:99], v[28:29]
	ds_read2_b64 v[96:99], v90 offset0:32 offset1:33
	v_fma_f64 v[26:27], -v[32:33], v[100:101], v[26:27]
	v_fma_f64 v[22:23], -v[32:33], v[102:103], v[22:23]
	;; [unrolled: 1-line block ×3, first 2 shown]
	ds_read2_b64 v[100:103], v90 offset0:34 offset1:35
	v_fma_f64 v[20:21], -v[32:33], v[106:107], v[20:21]
	s_waitcnt lgkmcnt(0)
	v_fma_f64 v[18:19], -v[32:33], v[96:97], v[18:19]
	v_fma_f64 v[16:17], -v[32:33], v[98:99], v[16:17]
	ds_read2_b64 v[96:99], v90 offset0:36 offset1:37
	ds_read2_b64 v[104:107], v90 offset0:38 offset1:39
	v_fma_f64 v[14:15], -v[32:33], v[100:101], v[14:15]
	v_fma_f64 v[12:13], -v[32:33], v[102:103], v[12:13]
	;; [unrolled: 1-line block ×3, first 2 shown]
	s_waitcnt lgkmcnt(0)
	v_fma_f64 v[10:11], -v[32:33], v[96:97], v[10:11]
	v_fma_f64 v[8:9], -v[32:33], v[98:99], v[8:9]
	;; [unrolled: 1-line block ×4, first 2 shown]
.LBB80_437:
	s_or_b64 exec, exec, s[0:1]
	v_lshl_add_u32 v86, v91, 3, v90
	s_barrier
	ds_write_b64 v86, v[30:31]
	s_waitcnt lgkmcnt(0)
	s_barrier
	ds_read_b64 v[86:87], v90 offset:208
	s_cmp_lt_i32 s18, 28
	v_mov_b32_e32 v88, 26
	s_cbranch_scc1 .LBB80_440
; %bb.438:
	v_add_u32_e32 v95, 0xd8, v90
	s_mov_b32 s0, 27
	v_mov_b32_e32 v88, 26
.LBB80_439:                             ; =>This Inner Loop Header: Depth=1
	ds_read_b64 v[96:97], v95
	v_mov_b32_e32 v98, s0
	s_add_i32 s0, s0, 1
	v_add_u32_e32 v95, 8, v95
	s_cmp_lg_u32 s18, s0
	s_waitcnt lgkmcnt(0)
	v_cmp_lt_f64_e64 vcc, |v[86:87]|, |v[96:97]|
	v_cndmask_b32_e32 v87, v87, v97, vcc
	v_cndmask_b32_e32 v86, v86, v96, vcc
	v_cndmask_b32_e32 v88, v88, v98, vcc
	s_cbranch_scc1 .LBB80_439
.LBB80_440:
	s_waitcnt lgkmcnt(0)
	v_cmp_eq_f64_e32 vcc, 0, v[86:87]
	s_and_saveexec_b64 s[0:1], vcc
	s_xor_b64 s[0:1], exec, s[0:1]
; %bb.441:
	v_cmp_ne_u32_e32 vcc, 0, v94
	v_cndmask_b32_e32 v94, 27, v94, vcc
; %bb.442:
	s_andn2_saveexec_b64 s[0:1], s[0:1]
; %bb.443:
	v_div_scale_f64 v[96:97], s[2:3], v[86:87], v[86:87], 1.0
	v_rcp_f64_e32 v[98:99], v[96:97]
	v_div_scale_f64 v[100:101], vcc, 1.0, v[86:87], 1.0
	v_fma_f64 v[102:103], -v[96:97], v[98:99], 1.0
	v_fmac_f64_e32 v[98:99], v[98:99], v[102:103]
	v_fma_f64 v[102:103], -v[96:97], v[98:99], 1.0
	v_fmac_f64_e32 v[98:99], v[98:99], v[102:103]
	v_mul_f64 v[102:103], v[100:101], v[98:99]
	v_fma_f64 v[96:97], -v[96:97], v[102:103], v[100:101]
	v_div_fmas_f64 v[96:97], v[96:97], v[98:99], v[102:103]
	v_div_fixup_f64 v[86:87], v[96:97], v[86:87], 1.0
; %bb.444:
	s_or_b64 exec, exec, s[0:1]
	v_cmp_ne_u32_e32 vcc, v91, v88
	s_and_saveexec_b64 s[0:1], vcc
	s_xor_b64 s[0:1], exec, s[0:1]
	s_cbranch_execz .LBB80_450
; %bb.445:
	v_cmp_eq_u32_e32 vcc, 26, v91
	s_and_saveexec_b64 s[2:3], vcc
	s_cbranch_execz .LBB80_449
; %bb.446:
	v_cmp_ne_u32_e32 vcc, 26, v88
	s_xor_b64 s[14:15], s[6:7], -1
	s_and_b64 s[16:17], s[14:15], vcc
	s_and_saveexec_b64 s[14:15], s[16:17]
	s_cbranch_execz .LBB80_448
; %bb.447:
	v_ashrrev_i32_e32 v89, 31, v88
	v_lshlrev_b64 v[96:97], 2, v[88:89]
	v_add_co_u32_e32 v96, vcc, v4, v96
	v_addc_co_u32_e32 v97, vcc, v5, v97, vcc
	flat_load_dword v89, v[96:97]
	flat_load_dword v91, v[4:5] offset:104
	s_waitcnt vmcnt(0) lgkmcnt(0)
	flat_store_dword v[4:5], v89 offset:104
	flat_store_dword v[96:97], v91
.LBB80_448:
	s_or_b64 exec, exec, s[14:15]
	v_mov_b32_e32 v89, v88
	v_mov_b32_e32 v91, v88
.LBB80_449:
	s_or_b64 exec, exec, s[2:3]
.LBB80_450:
	s_andn2_saveexec_b64 s[0:1], s[0:1]
	s_cbranch_execz .LBB80_452
; %bb.451:
	v_mov_b32_e32 v91, 26
	ds_write2_b64 v90, v[28:29], v[26:27] offset0:27 offset1:28
	ds_write2_b64 v90, v[22:23], v[24:25] offset0:29 offset1:30
	;; [unrolled: 1-line block ×7, first 2 shown]
.LBB80_452:
	s_or_b64 exec, exec, s[0:1]
	v_cmp_lt_i32_e32 vcc, 26, v91
	s_waitcnt lgkmcnt(0)
	s_barrier
	s_and_saveexec_b64 s[0:1], vcc
	s_cbranch_execz .LBB80_454
; %bb.453:
	ds_read2_b64 v[96:99], v90 offset0:27 offset1:28
	ds_read2_b64 v[100:103], v90 offset0:29 offset1:30
	v_mul_f64 v[30:31], v[86:87], v[30:31]
	ds_read2_b64 v[104:107], v90 offset0:31 offset1:32
	s_waitcnt lgkmcnt(0)
	v_fma_f64 v[28:29], -v[30:31], v[96:97], v[28:29]
	v_fma_f64 v[26:27], -v[30:31], v[98:99], v[26:27]
	ds_read2_b64 v[96:99], v90 offset0:33 offset1:34
	v_fma_f64 v[22:23], -v[30:31], v[100:101], v[22:23]
	v_fma_f64 v[24:25], -v[30:31], v[102:103], v[24:25]
	;; [unrolled: 1-line block ×4, first 2 shown]
	ds_read2_b64 v[100:103], v90 offset0:35 offset1:36
	ds_read2_b64 v[104:107], v90 offset0:37 offset1:38
	s_waitcnt lgkmcnt(0)
	v_fma_f64 v[16:17], -v[30:31], v[96:97], v[16:17]
	v_fma_f64 v[14:15], -v[30:31], v[98:99], v[14:15]
	ds_read2_b64 v[96:99], v90 offset0:39 offset1:40
	v_fma_f64 v[12:13], -v[30:31], v[100:101], v[12:13]
	v_fma_f64 v[10:11], -v[30:31], v[102:103], v[10:11]
	;; [unrolled: 1-line block ×4, first 2 shown]
	s_waitcnt lgkmcnt(0)
	v_fma_f64 v[0:1], -v[30:31], v[96:97], v[0:1]
	v_fma_f64 v[84:85], -v[30:31], v[98:99], v[84:85]
.LBB80_454:
	s_or_b64 exec, exec, s[0:1]
	v_lshl_add_u32 v86, v91, 3, v90
	s_barrier
	ds_write_b64 v86, v[28:29]
	s_waitcnt lgkmcnt(0)
	s_barrier
	ds_read_b64 v[86:87], v90 offset:216
	s_cmp_lt_i32 s18, 29
	v_mov_b32_e32 v88, 27
	s_cbranch_scc1 .LBB80_457
; %bb.455:
	v_add_u32_e32 v95, 0xe0, v90
	s_mov_b32 s0, 28
	v_mov_b32_e32 v88, 27
.LBB80_456:                             ; =>This Inner Loop Header: Depth=1
	ds_read_b64 v[96:97], v95
	v_mov_b32_e32 v98, s0
	s_add_i32 s0, s0, 1
	v_add_u32_e32 v95, 8, v95
	s_cmp_lg_u32 s18, s0
	s_waitcnt lgkmcnt(0)
	v_cmp_lt_f64_e64 vcc, |v[86:87]|, |v[96:97]|
	v_cndmask_b32_e32 v87, v87, v97, vcc
	v_cndmask_b32_e32 v86, v86, v96, vcc
	;; [unrolled: 1-line block ×3, first 2 shown]
	s_cbranch_scc1 .LBB80_456
.LBB80_457:
	s_waitcnt lgkmcnt(0)
	v_cmp_eq_f64_e32 vcc, 0, v[86:87]
	s_and_saveexec_b64 s[0:1], vcc
	s_xor_b64 s[0:1], exec, s[0:1]
; %bb.458:
	v_cmp_ne_u32_e32 vcc, 0, v94
	v_cndmask_b32_e32 v94, 28, v94, vcc
; %bb.459:
	s_andn2_saveexec_b64 s[0:1], s[0:1]
; %bb.460:
	v_div_scale_f64 v[96:97], s[2:3], v[86:87], v[86:87], 1.0
	v_rcp_f64_e32 v[98:99], v[96:97]
	v_div_scale_f64 v[100:101], vcc, 1.0, v[86:87], 1.0
	v_fma_f64 v[102:103], -v[96:97], v[98:99], 1.0
	v_fmac_f64_e32 v[98:99], v[98:99], v[102:103]
	v_fma_f64 v[102:103], -v[96:97], v[98:99], 1.0
	v_fmac_f64_e32 v[98:99], v[98:99], v[102:103]
	v_mul_f64 v[102:103], v[100:101], v[98:99]
	v_fma_f64 v[96:97], -v[96:97], v[102:103], v[100:101]
	v_div_fmas_f64 v[96:97], v[96:97], v[98:99], v[102:103]
	v_div_fixup_f64 v[86:87], v[96:97], v[86:87], 1.0
; %bb.461:
	s_or_b64 exec, exec, s[0:1]
	v_cmp_ne_u32_e32 vcc, v91, v88
	s_and_saveexec_b64 s[0:1], vcc
	s_xor_b64 s[0:1], exec, s[0:1]
	s_cbranch_execz .LBB80_467
; %bb.462:
	v_cmp_eq_u32_e32 vcc, 27, v91
	s_and_saveexec_b64 s[2:3], vcc
	s_cbranch_execz .LBB80_466
; %bb.463:
	v_cmp_ne_u32_e32 vcc, 27, v88
	s_xor_b64 s[14:15], s[6:7], -1
	s_and_b64 s[16:17], s[14:15], vcc
	s_and_saveexec_b64 s[14:15], s[16:17]
	s_cbranch_execz .LBB80_465
; %bb.464:
	v_ashrrev_i32_e32 v89, 31, v88
	v_lshlrev_b64 v[96:97], 2, v[88:89]
	v_add_co_u32_e32 v96, vcc, v4, v96
	v_addc_co_u32_e32 v97, vcc, v5, v97, vcc
	flat_load_dword v89, v[96:97]
	flat_load_dword v91, v[4:5] offset:108
	s_waitcnt vmcnt(0) lgkmcnt(0)
	flat_store_dword v[4:5], v89 offset:108
	flat_store_dword v[96:97], v91
.LBB80_465:
	s_or_b64 exec, exec, s[14:15]
	v_mov_b32_e32 v89, v88
	v_mov_b32_e32 v91, v88
.LBB80_466:
	s_or_b64 exec, exec, s[2:3]
.LBB80_467:
	s_andn2_saveexec_b64 s[0:1], s[0:1]
	s_cbranch_execz .LBB80_469
; %bb.468:
	v_mov_b32_e32 v96, v26
	v_mov_b32_e32 v97, v27
	v_mov_b32_e32 v98, v22
	v_mov_b32_e32 v99, v23
	ds_write2_b64 v90, v[96:97], v[98:99] offset0:28 offset1:29
	v_mov_b32_e32 v96, v24
	v_mov_b32_e32 v97, v25
	v_mov_b32_e32 v98, v20
	v_mov_b32_e32 v99, v21
	ds_write2_b64 v90, v[96:97], v[98:99] offset0:30 offset1:31
	;; [unrolled: 5-line block ×5, first 2 shown]
	v_mov_b32_e32 v96, v6
	v_mov_b32_e32 v97, v7
	;; [unrolled: 1-line block ×5, first 2 shown]
	ds_write2_b64 v90, v[96:97], v[98:99] offset0:38 offset1:39
	ds_write_b64 v90, v[84:85] offset:320
.LBB80_469:
	s_or_b64 exec, exec, s[0:1]
	v_cmp_lt_i32_e32 vcc, 27, v91
	s_waitcnt lgkmcnt(0)
	s_barrier
	s_and_saveexec_b64 s[0:1], vcc
	s_cbranch_execz .LBB80_471
; %bb.470:
	ds_read2_b64 v[96:99], v90 offset0:28 offset1:29
	ds_read2_b64 v[100:103], v90 offset0:30 offset1:31
	ds_read2_b64 v[104:107], v90 offset0:32 offset1:33
	v_mul_f64 v[28:29], v[86:87], v[28:29]
	ds_read_b64 v[86:87], v90 offset:320
	s_waitcnt lgkmcnt(0)
	v_fma_f64 v[26:27], -v[28:29], v[96:97], v[26:27]
	v_fma_f64 v[22:23], -v[28:29], v[98:99], v[22:23]
	ds_read2_b64 v[96:99], v90 offset0:34 offset1:35
	v_fma_f64 v[24:25], -v[28:29], v[100:101], v[24:25]
	v_fma_f64 v[20:21], -v[28:29], v[102:103], v[20:21]
	;; [unrolled: 1-line block ×4, first 2 shown]
	ds_read2_b64 v[100:103], v90 offset0:36 offset1:37
	ds_read2_b64 v[104:107], v90 offset0:38 offset1:39
	s_waitcnt lgkmcnt(0)
	v_fma_f64 v[14:15], -v[28:29], v[96:97], v[14:15]
	v_fma_f64 v[12:13], -v[28:29], v[98:99], v[12:13]
	;; [unrolled: 1-line block ×7, first 2 shown]
.LBB80_471:
	s_or_b64 exec, exec, s[0:1]
	v_lshl_add_u32 v86, v91, 3, v90
	s_barrier
	ds_write_b64 v86, v[26:27]
	s_waitcnt lgkmcnt(0)
	s_barrier
	ds_read_b64 v[86:87], v90 offset:224
	s_cmp_lt_i32 s18, 30
	v_mov_b32_e32 v88, 28
	s_cbranch_scc1 .LBB80_474
; %bb.472:
	v_add_u32_e32 v95, 0xe8, v90
	s_mov_b32 s0, 29
	v_mov_b32_e32 v88, 28
.LBB80_473:                             ; =>This Inner Loop Header: Depth=1
	ds_read_b64 v[96:97], v95
	v_mov_b32_e32 v98, s0
	s_add_i32 s0, s0, 1
	v_add_u32_e32 v95, 8, v95
	s_cmp_lg_u32 s18, s0
	s_waitcnt lgkmcnt(0)
	v_cmp_lt_f64_e64 vcc, |v[86:87]|, |v[96:97]|
	v_cndmask_b32_e32 v87, v87, v97, vcc
	v_cndmask_b32_e32 v86, v86, v96, vcc
	;; [unrolled: 1-line block ×3, first 2 shown]
	s_cbranch_scc1 .LBB80_473
.LBB80_474:
	s_waitcnt lgkmcnt(0)
	v_cmp_eq_f64_e32 vcc, 0, v[86:87]
	s_and_saveexec_b64 s[0:1], vcc
	s_xor_b64 s[0:1], exec, s[0:1]
; %bb.475:
	v_cmp_ne_u32_e32 vcc, 0, v94
	v_cndmask_b32_e32 v94, 29, v94, vcc
; %bb.476:
	s_andn2_saveexec_b64 s[0:1], s[0:1]
; %bb.477:
	v_div_scale_f64 v[96:97], s[2:3], v[86:87], v[86:87], 1.0
	v_rcp_f64_e32 v[98:99], v[96:97]
	v_div_scale_f64 v[100:101], vcc, 1.0, v[86:87], 1.0
	v_fma_f64 v[102:103], -v[96:97], v[98:99], 1.0
	v_fmac_f64_e32 v[98:99], v[98:99], v[102:103]
	v_fma_f64 v[102:103], -v[96:97], v[98:99], 1.0
	v_fmac_f64_e32 v[98:99], v[98:99], v[102:103]
	v_mul_f64 v[102:103], v[100:101], v[98:99]
	v_fma_f64 v[96:97], -v[96:97], v[102:103], v[100:101]
	v_div_fmas_f64 v[96:97], v[96:97], v[98:99], v[102:103]
	v_div_fixup_f64 v[86:87], v[96:97], v[86:87], 1.0
; %bb.478:
	s_or_b64 exec, exec, s[0:1]
	v_cmp_ne_u32_e32 vcc, v91, v88
	s_and_saveexec_b64 s[0:1], vcc
	s_xor_b64 s[0:1], exec, s[0:1]
	s_cbranch_execz .LBB80_484
; %bb.479:
	v_cmp_eq_u32_e32 vcc, 28, v91
	s_and_saveexec_b64 s[2:3], vcc
	s_cbranch_execz .LBB80_483
; %bb.480:
	v_cmp_ne_u32_e32 vcc, 28, v88
	s_xor_b64 s[14:15], s[6:7], -1
	s_and_b64 s[16:17], s[14:15], vcc
	s_and_saveexec_b64 s[14:15], s[16:17]
	s_cbranch_execz .LBB80_482
; %bb.481:
	v_ashrrev_i32_e32 v89, 31, v88
	v_lshlrev_b64 v[96:97], 2, v[88:89]
	v_add_co_u32_e32 v96, vcc, v4, v96
	v_addc_co_u32_e32 v97, vcc, v5, v97, vcc
	flat_load_dword v89, v[96:97]
	flat_load_dword v91, v[4:5] offset:112
	s_waitcnt vmcnt(0) lgkmcnt(0)
	flat_store_dword v[4:5], v89 offset:112
	flat_store_dword v[96:97], v91
.LBB80_482:
	s_or_b64 exec, exec, s[14:15]
	v_mov_b32_e32 v89, v88
	v_mov_b32_e32 v91, v88
.LBB80_483:
	s_or_b64 exec, exec, s[2:3]
.LBB80_484:
	s_andn2_saveexec_b64 s[0:1], s[0:1]
	s_cbranch_execz .LBB80_486
; %bb.485:
	v_mov_b32_e32 v91, 28
	ds_write2_b64 v90, v[22:23], v[24:25] offset0:29 offset1:30
	ds_write2_b64 v90, v[20:21], v[18:19] offset0:31 offset1:32
	;; [unrolled: 1-line block ×6, first 2 shown]
.LBB80_486:
	s_or_b64 exec, exec, s[0:1]
	v_cmp_lt_i32_e32 vcc, 28, v91
	s_waitcnt lgkmcnt(0)
	s_barrier
	s_and_saveexec_b64 s[0:1], vcc
	s_cbranch_execz .LBB80_488
; %bb.487:
	ds_read2_b64 v[96:99], v90 offset0:29 offset1:30
	ds_read2_b64 v[100:103], v90 offset0:31 offset1:32
	;; [unrolled: 1-line block ×3, first 2 shown]
	v_mul_f64 v[26:27], v[86:87], v[26:27]
	s_waitcnt lgkmcnt(0)
	v_fma_f64 v[22:23], -v[26:27], v[96:97], v[22:23]
	v_fma_f64 v[24:25], -v[26:27], v[98:99], v[24:25]
	ds_read2_b64 v[96:99], v90 offset0:35 offset1:36
	v_fma_f64 v[20:21], -v[26:27], v[100:101], v[20:21]
	v_fma_f64 v[18:19], -v[26:27], v[102:103], v[18:19]
	;; [unrolled: 1-line block ×3, first 2 shown]
	ds_read2_b64 v[100:103], v90 offset0:37 offset1:38
	v_fma_f64 v[14:15], -v[26:27], v[106:107], v[14:15]
	ds_read2_b64 v[104:107], v90 offset0:39 offset1:40
	s_waitcnt lgkmcnt(0)
	v_fma_f64 v[12:13], -v[26:27], v[96:97], v[12:13]
	v_fma_f64 v[10:11], -v[26:27], v[98:99], v[10:11]
	;; [unrolled: 1-line block ×6, first 2 shown]
.LBB80_488:
	s_or_b64 exec, exec, s[0:1]
	v_lshl_add_u32 v86, v91, 3, v90
	s_barrier
	ds_write_b64 v86, v[22:23]
	s_waitcnt lgkmcnt(0)
	s_barrier
	ds_read_b64 v[86:87], v90 offset:232
	s_cmp_lt_i32 s18, 31
	v_mov_b32_e32 v88, 29
	s_cbranch_scc1 .LBB80_491
; %bb.489:
	v_add_u32_e32 v95, 0xf0, v90
	s_mov_b32 s0, 30
	v_mov_b32_e32 v88, 29
.LBB80_490:                             ; =>This Inner Loop Header: Depth=1
	ds_read_b64 v[96:97], v95
	v_mov_b32_e32 v98, s0
	s_add_i32 s0, s0, 1
	v_add_u32_e32 v95, 8, v95
	s_cmp_lg_u32 s18, s0
	s_waitcnt lgkmcnt(0)
	v_cmp_lt_f64_e64 vcc, |v[86:87]|, |v[96:97]|
	v_cndmask_b32_e32 v87, v87, v97, vcc
	v_cndmask_b32_e32 v86, v86, v96, vcc
	;; [unrolled: 1-line block ×3, first 2 shown]
	s_cbranch_scc1 .LBB80_490
.LBB80_491:
	s_waitcnt lgkmcnt(0)
	v_cmp_eq_f64_e32 vcc, 0, v[86:87]
	s_and_saveexec_b64 s[0:1], vcc
	s_xor_b64 s[0:1], exec, s[0:1]
; %bb.492:
	v_cmp_ne_u32_e32 vcc, 0, v94
	v_cndmask_b32_e32 v94, 30, v94, vcc
; %bb.493:
	s_andn2_saveexec_b64 s[0:1], s[0:1]
; %bb.494:
	v_div_scale_f64 v[96:97], s[2:3], v[86:87], v[86:87], 1.0
	v_rcp_f64_e32 v[98:99], v[96:97]
	v_div_scale_f64 v[100:101], vcc, 1.0, v[86:87], 1.0
	v_fma_f64 v[102:103], -v[96:97], v[98:99], 1.0
	v_fmac_f64_e32 v[98:99], v[98:99], v[102:103]
	v_fma_f64 v[102:103], -v[96:97], v[98:99], 1.0
	v_fmac_f64_e32 v[98:99], v[98:99], v[102:103]
	v_mul_f64 v[102:103], v[100:101], v[98:99]
	v_fma_f64 v[96:97], -v[96:97], v[102:103], v[100:101]
	v_div_fmas_f64 v[96:97], v[96:97], v[98:99], v[102:103]
	v_div_fixup_f64 v[86:87], v[96:97], v[86:87], 1.0
; %bb.495:
	s_or_b64 exec, exec, s[0:1]
	v_cmp_ne_u32_e32 vcc, v91, v88
	s_and_saveexec_b64 s[0:1], vcc
	s_xor_b64 s[0:1], exec, s[0:1]
	s_cbranch_execz .LBB80_501
; %bb.496:
	v_cmp_eq_u32_e32 vcc, 29, v91
	s_and_saveexec_b64 s[2:3], vcc
	s_cbranch_execz .LBB80_500
; %bb.497:
	v_cmp_ne_u32_e32 vcc, 29, v88
	s_xor_b64 s[14:15], s[6:7], -1
	s_and_b64 s[16:17], s[14:15], vcc
	s_and_saveexec_b64 s[14:15], s[16:17]
	s_cbranch_execz .LBB80_499
; %bb.498:
	v_ashrrev_i32_e32 v89, 31, v88
	v_lshlrev_b64 v[96:97], 2, v[88:89]
	v_add_co_u32_e32 v96, vcc, v4, v96
	v_addc_co_u32_e32 v97, vcc, v5, v97, vcc
	flat_load_dword v89, v[96:97]
	flat_load_dword v91, v[4:5] offset:116
	s_waitcnt vmcnt(0) lgkmcnt(0)
	flat_store_dword v[4:5], v89 offset:116
	flat_store_dword v[96:97], v91
.LBB80_499:
	s_or_b64 exec, exec, s[14:15]
	v_mov_b32_e32 v89, v88
	v_mov_b32_e32 v91, v88
.LBB80_500:
	s_or_b64 exec, exec, s[2:3]
.LBB80_501:
	s_andn2_saveexec_b64 s[0:1], s[0:1]
	s_cbranch_execz .LBB80_503
; %bb.502:
	v_mov_b32_e32 v96, v24
	v_mov_b32_e32 v97, v25
	v_mov_b32_e32 v98, v20
	v_mov_b32_e32 v99, v21
	ds_write2_b64 v90, v[96:97], v[98:99] offset0:30 offset1:31
	v_mov_b32_e32 v96, v18
	v_mov_b32_e32 v97, v19
	v_mov_b32_e32 v98, v16
	v_mov_b32_e32 v99, v17
	ds_write2_b64 v90, v[96:97], v[98:99] offset0:32 offset1:33
	v_mov_b32_e32 v96, v14
	v_mov_b32_e32 v97, v15
	v_mov_b32_e32 v98, v12
	v_mov_b32_e32 v99, v13
	ds_write2_b64 v90, v[96:97], v[98:99] offset0:34 offset1:35
	v_mov_b32_e32 v96, v10
	v_mov_b32_e32 v97, v11
	v_mov_b32_e32 v98, v8
	v_mov_b32_e32 v99, v9
	ds_write2_b64 v90, v[96:97], v[98:99] offset0:36 offset1:37
	v_mov_b32_e32 v96, v6
	v_mov_b32_e32 v97, v7
	;; [unrolled: 1-line block ×5, first 2 shown]
	ds_write2_b64 v90, v[96:97], v[98:99] offset0:38 offset1:39
	ds_write_b64 v90, v[84:85] offset:320
.LBB80_503:
	s_or_b64 exec, exec, s[0:1]
	v_cmp_lt_i32_e32 vcc, 29, v91
	s_waitcnt lgkmcnt(0)
	s_barrier
	s_and_saveexec_b64 s[0:1], vcc
	s_cbranch_execz .LBB80_505
; %bb.504:
	ds_read2_b64 v[96:99], v90 offset0:30 offset1:31
	ds_read2_b64 v[100:103], v90 offset0:32 offset1:33
	v_mul_f64 v[22:23], v[86:87], v[22:23]
	ds_read2_b64 v[104:107], v90 offset0:34 offset1:35
	ds_read_b64 v[86:87], v90 offset:320
	s_waitcnt lgkmcnt(0)
	v_fma_f64 v[24:25], -v[22:23], v[96:97], v[24:25]
	v_fma_f64 v[20:21], -v[22:23], v[98:99], v[20:21]
	ds_read2_b64 v[96:99], v90 offset0:36 offset1:37
	v_fma_f64 v[18:19], -v[22:23], v[100:101], v[18:19]
	v_fma_f64 v[16:17], -v[22:23], v[102:103], v[16:17]
	ds_read2_b64 v[100:103], v90 offset0:38 offset1:39
	v_fma_f64 v[14:15], -v[22:23], v[104:105], v[14:15]
	v_fma_f64 v[12:13], -v[22:23], v[106:107], v[12:13]
	s_waitcnt lgkmcnt(0)
	v_fma_f64 v[10:11], -v[22:23], v[96:97], v[10:11]
	v_fma_f64 v[8:9], -v[22:23], v[98:99], v[8:9]
	;; [unrolled: 1-line block ×5, first 2 shown]
.LBB80_505:
	s_or_b64 exec, exec, s[0:1]
	v_lshl_add_u32 v86, v91, 3, v90
	s_barrier
	ds_write_b64 v86, v[24:25]
	s_waitcnt lgkmcnt(0)
	s_barrier
	ds_read_b64 v[86:87], v90 offset:240
	s_cmp_lt_i32 s18, 32
	v_mov_b32_e32 v88, 30
	s_cbranch_scc1 .LBB80_508
; %bb.506:
	v_add_u32_e32 v95, 0xf8, v90
	s_mov_b32 s0, 31
	v_mov_b32_e32 v88, 30
.LBB80_507:                             ; =>This Inner Loop Header: Depth=1
	ds_read_b64 v[96:97], v95
	v_mov_b32_e32 v98, s0
	s_add_i32 s0, s0, 1
	v_add_u32_e32 v95, 8, v95
	s_cmp_lg_u32 s18, s0
	s_waitcnt lgkmcnt(0)
	v_cmp_lt_f64_e64 vcc, |v[86:87]|, |v[96:97]|
	v_cndmask_b32_e32 v87, v87, v97, vcc
	v_cndmask_b32_e32 v86, v86, v96, vcc
	v_cndmask_b32_e32 v88, v88, v98, vcc
	s_cbranch_scc1 .LBB80_507
.LBB80_508:
	s_waitcnt lgkmcnt(0)
	v_cmp_eq_f64_e32 vcc, 0, v[86:87]
	s_and_saveexec_b64 s[0:1], vcc
	s_xor_b64 s[0:1], exec, s[0:1]
; %bb.509:
	v_cmp_ne_u32_e32 vcc, 0, v94
	v_cndmask_b32_e32 v94, 31, v94, vcc
; %bb.510:
	s_andn2_saveexec_b64 s[0:1], s[0:1]
; %bb.511:
	v_div_scale_f64 v[96:97], s[2:3], v[86:87], v[86:87], 1.0
	v_rcp_f64_e32 v[98:99], v[96:97]
	v_div_scale_f64 v[100:101], vcc, 1.0, v[86:87], 1.0
	v_fma_f64 v[102:103], -v[96:97], v[98:99], 1.0
	v_fmac_f64_e32 v[98:99], v[98:99], v[102:103]
	v_fma_f64 v[102:103], -v[96:97], v[98:99], 1.0
	v_fmac_f64_e32 v[98:99], v[98:99], v[102:103]
	v_mul_f64 v[102:103], v[100:101], v[98:99]
	v_fma_f64 v[96:97], -v[96:97], v[102:103], v[100:101]
	v_div_fmas_f64 v[96:97], v[96:97], v[98:99], v[102:103]
	v_div_fixup_f64 v[86:87], v[96:97], v[86:87], 1.0
; %bb.512:
	s_or_b64 exec, exec, s[0:1]
	v_cmp_ne_u32_e32 vcc, v91, v88
	s_and_saveexec_b64 s[0:1], vcc
	s_xor_b64 s[0:1], exec, s[0:1]
	s_cbranch_execz .LBB80_518
; %bb.513:
	v_cmp_eq_u32_e32 vcc, 30, v91
	s_and_saveexec_b64 s[2:3], vcc
	s_cbranch_execz .LBB80_517
; %bb.514:
	v_cmp_ne_u32_e32 vcc, 30, v88
	s_xor_b64 s[14:15], s[6:7], -1
	s_and_b64 s[16:17], s[14:15], vcc
	s_and_saveexec_b64 s[14:15], s[16:17]
	s_cbranch_execz .LBB80_516
; %bb.515:
	v_ashrrev_i32_e32 v89, 31, v88
	v_lshlrev_b64 v[96:97], 2, v[88:89]
	v_add_co_u32_e32 v96, vcc, v4, v96
	v_addc_co_u32_e32 v97, vcc, v5, v97, vcc
	flat_load_dword v89, v[96:97]
	flat_load_dword v91, v[4:5] offset:120
	s_waitcnt vmcnt(0) lgkmcnt(0)
	flat_store_dword v[4:5], v89 offset:120
	flat_store_dword v[96:97], v91
.LBB80_516:
	s_or_b64 exec, exec, s[14:15]
	v_mov_b32_e32 v89, v88
	v_mov_b32_e32 v91, v88
.LBB80_517:
	s_or_b64 exec, exec, s[2:3]
.LBB80_518:
	s_andn2_saveexec_b64 s[0:1], s[0:1]
	s_cbranch_execz .LBB80_520
; %bb.519:
	v_mov_b32_e32 v91, 30
	ds_write2_b64 v90, v[20:21], v[18:19] offset0:31 offset1:32
	ds_write2_b64 v90, v[16:17], v[14:15] offset0:33 offset1:34
	ds_write2_b64 v90, v[12:13], v[10:11] offset0:35 offset1:36
	ds_write2_b64 v90, v[8:9], v[6:7] offset0:37 offset1:38
	ds_write2_b64 v90, v[0:1], v[84:85] offset0:39 offset1:40
.LBB80_520:
	s_or_b64 exec, exec, s[0:1]
	v_cmp_lt_i32_e32 vcc, 30, v91
	s_waitcnt lgkmcnt(0)
	s_barrier
	s_and_saveexec_b64 s[0:1], vcc
	s_cbranch_execz .LBB80_522
; %bb.521:
	ds_read2_b64 v[96:99], v90 offset0:31 offset1:32
	ds_read2_b64 v[100:103], v90 offset0:33 offset1:34
	v_mul_f64 v[24:25], v[86:87], v[24:25]
	ds_read2_b64 v[104:107], v90 offset0:37 offset1:38
	s_waitcnt lgkmcnt(0)
	v_fma_f64 v[20:21], -v[24:25], v[96:97], v[20:21]
	v_fma_f64 v[18:19], -v[24:25], v[98:99], v[18:19]
	ds_read2_b64 v[96:99], v90 offset0:35 offset1:36
	v_fma_f64 v[16:17], -v[24:25], v[100:101], v[16:17]
	v_fma_f64 v[14:15], -v[24:25], v[102:103], v[14:15]
	ds_read2_b64 v[100:103], v90 offset0:39 offset1:40
	v_fma_f64 v[8:9], -v[24:25], v[104:105], v[8:9]
	s_waitcnt lgkmcnt(0)
	v_fma_f64 v[12:13], -v[24:25], v[96:97], v[12:13]
	v_fma_f64 v[10:11], -v[24:25], v[98:99], v[10:11]
	;; [unrolled: 1-line block ×5, first 2 shown]
.LBB80_522:
	s_or_b64 exec, exec, s[0:1]
	v_lshl_add_u32 v86, v91, 3, v90
	s_barrier
	ds_write_b64 v86, v[20:21]
	s_waitcnt lgkmcnt(0)
	s_barrier
	ds_read_b64 v[86:87], v90 offset:248
	s_cmp_lt_i32 s18, 33
	v_mov_b32_e32 v88, 31
	s_cbranch_scc1 .LBB80_525
; %bb.523:
	v_add_u32_e32 v95, 0x100, v90
	s_mov_b32 s0, 32
	v_mov_b32_e32 v88, 31
.LBB80_524:                             ; =>This Inner Loop Header: Depth=1
	ds_read_b64 v[96:97], v95
	v_mov_b32_e32 v98, s0
	s_add_i32 s0, s0, 1
	v_add_u32_e32 v95, 8, v95
	s_cmp_lg_u32 s18, s0
	s_waitcnt lgkmcnt(0)
	v_cmp_lt_f64_e64 vcc, |v[86:87]|, |v[96:97]|
	v_cndmask_b32_e32 v87, v87, v97, vcc
	v_cndmask_b32_e32 v86, v86, v96, vcc
	;; [unrolled: 1-line block ×3, first 2 shown]
	s_cbranch_scc1 .LBB80_524
.LBB80_525:
	s_waitcnt lgkmcnt(0)
	v_cmp_eq_f64_e32 vcc, 0, v[86:87]
	s_and_saveexec_b64 s[0:1], vcc
	s_xor_b64 s[0:1], exec, s[0:1]
; %bb.526:
	v_cmp_ne_u32_e32 vcc, 0, v94
	v_cndmask_b32_e32 v94, 32, v94, vcc
; %bb.527:
	s_andn2_saveexec_b64 s[0:1], s[0:1]
; %bb.528:
	v_div_scale_f64 v[96:97], s[2:3], v[86:87], v[86:87], 1.0
	v_rcp_f64_e32 v[98:99], v[96:97]
	v_div_scale_f64 v[100:101], vcc, 1.0, v[86:87], 1.0
	v_fma_f64 v[102:103], -v[96:97], v[98:99], 1.0
	v_fmac_f64_e32 v[98:99], v[98:99], v[102:103]
	v_fma_f64 v[102:103], -v[96:97], v[98:99], 1.0
	v_fmac_f64_e32 v[98:99], v[98:99], v[102:103]
	v_mul_f64 v[102:103], v[100:101], v[98:99]
	v_fma_f64 v[96:97], -v[96:97], v[102:103], v[100:101]
	v_div_fmas_f64 v[96:97], v[96:97], v[98:99], v[102:103]
	v_div_fixup_f64 v[86:87], v[96:97], v[86:87], 1.0
; %bb.529:
	s_or_b64 exec, exec, s[0:1]
	v_cmp_ne_u32_e32 vcc, v91, v88
	s_and_saveexec_b64 s[0:1], vcc
	s_xor_b64 s[0:1], exec, s[0:1]
	s_cbranch_execz .LBB80_535
; %bb.530:
	v_cmp_eq_u32_e32 vcc, 31, v91
	s_and_saveexec_b64 s[2:3], vcc
	s_cbranch_execz .LBB80_534
; %bb.531:
	v_cmp_ne_u32_e32 vcc, 31, v88
	s_xor_b64 s[14:15], s[6:7], -1
	s_and_b64 s[16:17], s[14:15], vcc
	s_and_saveexec_b64 s[14:15], s[16:17]
	s_cbranch_execz .LBB80_533
; %bb.532:
	v_ashrrev_i32_e32 v89, 31, v88
	v_lshlrev_b64 v[96:97], 2, v[88:89]
	v_add_co_u32_e32 v96, vcc, v4, v96
	v_addc_co_u32_e32 v97, vcc, v5, v97, vcc
	flat_load_dword v89, v[96:97]
	flat_load_dword v91, v[4:5] offset:124
	s_waitcnt vmcnt(0) lgkmcnt(0)
	flat_store_dword v[4:5], v89 offset:124
	flat_store_dword v[96:97], v91
.LBB80_533:
	s_or_b64 exec, exec, s[14:15]
	v_mov_b32_e32 v89, v88
	v_mov_b32_e32 v91, v88
.LBB80_534:
	s_or_b64 exec, exec, s[2:3]
.LBB80_535:
	s_andn2_saveexec_b64 s[0:1], s[0:1]
	s_cbranch_execz .LBB80_537
; %bb.536:
	v_mov_b32_e32 v96, v18
	v_mov_b32_e32 v97, v19
	v_mov_b32_e32 v98, v16
	v_mov_b32_e32 v99, v17
	ds_write2_b64 v90, v[96:97], v[98:99] offset0:32 offset1:33
	v_mov_b32_e32 v96, v14
	v_mov_b32_e32 v97, v15
	v_mov_b32_e32 v98, v12
	v_mov_b32_e32 v99, v13
	ds_write2_b64 v90, v[96:97], v[98:99] offset0:34 offset1:35
	;; [unrolled: 5-line block ×3, first 2 shown]
	v_mov_b32_e32 v96, v6
	v_mov_b32_e32 v97, v7
	;; [unrolled: 1-line block ×5, first 2 shown]
	ds_write2_b64 v90, v[96:97], v[98:99] offset0:38 offset1:39
	ds_write_b64 v90, v[84:85] offset:320
.LBB80_537:
	s_or_b64 exec, exec, s[0:1]
	v_cmp_lt_i32_e32 vcc, 31, v91
	s_waitcnt lgkmcnt(0)
	s_barrier
	s_and_saveexec_b64 s[0:1], vcc
	s_cbranch_execz .LBB80_539
; %bb.538:
	ds_read2_b64 v[96:99], v90 offset0:32 offset1:33
	ds_read2_b64 v[100:103], v90 offset0:34 offset1:35
	v_mul_f64 v[20:21], v[86:87], v[20:21]
	ds_read_b64 v[86:87], v90 offset:320
	ds_read2_b64 v[104:107], v90 offset0:38 offset1:39
	s_waitcnt lgkmcnt(0)
	v_fma_f64 v[18:19], -v[20:21], v[96:97], v[18:19]
	v_fma_f64 v[16:17], -v[20:21], v[98:99], v[16:17]
	ds_read2_b64 v[96:99], v90 offset0:36 offset1:37
	v_fma_f64 v[14:15], -v[20:21], v[100:101], v[14:15]
	v_fma_f64 v[12:13], -v[20:21], v[102:103], v[12:13]
	;; [unrolled: 1-line block ×4, first 2 shown]
	s_waitcnt lgkmcnt(0)
	v_fma_f64 v[10:11], -v[20:21], v[96:97], v[10:11]
	v_fma_f64 v[8:9], -v[20:21], v[98:99], v[8:9]
	;; [unrolled: 1-line block ×3, first 2 shown]
.LBB80_539:
	s_or_b64 exec, exec, s[0:1]
	v_lshl_add_u32 v86, v91, 3, v90
	s_barrier
	ds_write_b64 v86, v[18:19]
	s_waitcnt lgkmcnt(0)
	s_barrier
	ds_read_b64 v[86:87], v90 offset:256
	s_cmp_lt_i32 s18, 34
	v_mov_b32_e32 v88, 32
	s_cbranch_scc1 .LBB80_542
; %bb.540:
	v_add_u32_e32 v95, 0x108, v90
	s_mov_b32 s0, 33
	v_mov_b32_e32 v88, 32
.LBB80_541:                             ; =>This Inner Loop Header: Depth=1
	ds_read_b64 v[96:97], v95
	v_mov_b32_e32 v98, s0
	s_add_i32 s0, s0, 1
	v_add_u32_e32 v95, 8, v95
	s_cmp_lg_u32 s18, s0
	s_waitcnt lgkmcnt(0)
	v_cmp_lt_f64_e64 vcc, |v[86:87]|, |v[96:97]|
	v_cndmask_b32_e32 v87, v87, v97, vcc
	v_cndmask_b32_e32 v86, v86, v96, vcc
	;; [unrolled: 1-line block ×3, first 2 shown]
	s_cbranch_scc1 .LBB80_541
.LBB80_542:
	s_waitcnt lgkmcnt(0)
	v_cmp_eq_f64_e32 vcc, 0, v[86:87]
	s_and_saveexec_b64 s[0:1], vcc
	s_xor_b64 s[0:1], exec, s[0:1]
; %bb.543:
	v_cmp_ne_u32_e32 vcc, 0, v94
	v_cndmask_b32_e32 v94, 33, v94, vcc
; %bb.544:
	s_andn2_saveexec_b64 s[0:1], s[0:1]
; %bb.545:
	v_div_scale_f64 v[96:97], s[2:3], v[86:87], v[86:87], 1.0
	v_rcp_f64_e32 v[98:99], v[96:97]
	v_div_scale_f64 v[100:101], vcc, 1.0, v[86:87], 1.0
	v_fma_f64 v[102:103], -v[96:97], v[98:99], 1.0
	v_fmac_f64_e32 v[98:99], v[98:99], v[102:103]
	v_fma_f64 v[102:103], -v[96:97], v[98:99], 1.0
	v_fmac_f64_e32 v[98:99], v[98:99], v[102:103]
	v_mul_f64 v[102:103], v[100:101], v[98:99]
	v_fma_f64 v[96:97], -v[96:97], v[102:103], v[100:101]
	v_div_fmas_f64 v[96:97], v[96:97], v[98:99], v[102:103]
	v_div_fixup_f64 v[86:87], v[96:97], v[86:87], 1.0
; %bb.546:
	s_or_b64 exec, exec, s[0:1]
	v_cmp_ne_u32_e32 vcc, v91, v88
	s_and_saveexec_b64 s[0:1], vcc
	s_xor_b64 s[0:1], exec, s[0:1]
	s_cbranch_execz .LBB80_552
; %bb.547:
	v_cmp_eq_u32_e32 vcc, 32, v91
	s_and_saveexec_b64 s[2:3], vcc
	s_cbranch_execz .LBB80_551
; %bb.548:
	v_cmp_ne_u32_e32 vcc, 32, v88
	s_xor_b64 s[14:15], s[6:7], -1
	s_and_b64 s[16:17], s[14:15], vcc
	s_and_saveexec_b64 s[14:15], s[16:17]
	s_cbranch_execz .LBB80_550
; %bb.549:
	v_ashrrev_i32_e32 v89, 31, v88
	v_lshlrev_b64 v[96:97], 2, v[88:89]
	v_add_co_u32_e32 v96, vcc, v4, v96
	v_addc_co_u32_e32 v97, vcc, v5, v97, vcc
	flat_load_dword v89, v[96:97]
	flat_load_dword v91, v[4:5] offset:128
	s_waitcnt vmcnt(0) lgkmcnt(0)
	flat_store_dword v[4:5], v89 offset:128
	flat_store_dword v[96:97], v91
.LBB80_550:
	s_or_b64 exec, exec, s[14:15]
	v_mov_b32_e32 v89, v88
	v_mov_b32_e32 v91, v88
.LBB80_551:
	s_or_b64 exec, exec, s[2:3]
.LBB80_552:
	s_andn2_saveexec_b64 s[0:1], s[0:1]
	s_cbranch_execz .LBB80_554
; %bb.553:
	v_mov_b32_e32 v91, 32
	ds_write2_b64 v90, v[16:17], v[14:15] offset0:33 offset1:34
	ds_write2_b64 v90, v[12:13], v[10:11] offset0:35 offset1:36
	;; [unrolled: 1-line block ×4, first 2 shown]
.LBB80_554:
	s_or_b64 exec, exec, s[0:1]
	v_cmp_lt_i32_e32 vcc, 32, v91
	s_waitcnt lgkmcnt(0)
	s_barrier
	s_and_saveexec_b64 s[0:1], vcc
	s_cbranch_execz .LBB80_556
; %bb.555:
	ds_read2_b64 v[96:99], v90 offset0:33 offset1:34
	ds_read2_b64 v[100:103], v90 offset0:35 offset1:36
	v_mul_f64 v[18:19], v[86:87], v[18:19]
	ds_read2_b64 v[104:107], v90 offset0:37 offset1:38
	s_waitcnt lgkmcnt(0)
	v_fma_f64 v[16:17], -v[18:19], v[96:97], v[16:17]
	v_fma_f64 v[14:15], -v[18:19], v[98:99], v[14:15]
	ds_read2_b64 v[96:99], v90 offset0:39 offset1:40
	v_fma_f64 v[12:13], -v[18:19], v[100:101], v[12:13]
	v_fma_f64 v[10:11], -v[18:19], v[102:103], v[10:11]
	;; [unrolled: 1-line block ×4, first 2 shown]
	s_waitcnt lgkmcnt(0)
	v_fma_f64 v[0:1], -v[18:19], v[96:97], v[0:1]
	v_fma_f64 v[84:85], -v[18:19], v[98:99], v[84:85]
.LBB80_556:
	s_or_b64 exec, exec, s[0:1]
	v_lshl_add_u32 v86, v91, 3, v90
	s_barrier
	ds_write_b64 v86, v[16:17]
	s_waitcnt lgkmcnt(0)
	s_barrier
	ds_read_b64 v[86:87], v90 offset:264
	s_cmp_lt_i32 s18, 35
	v_mov_b32_e32 v88, 33
	s_cbranch_scc1 .LBB80_559
; %bb.557:
	v_add_u32_e32 v95, 0x110, v90
	s_mov_b32 s0, 34
	v_mov_b32_e32 v88, 33
.LBB80_558:                             ; =>This Inner Loop Header: Depth=1
	ds_read_b64 v[96:97], v95
	v_mov_b32_e32 v98, s0
	s_add_i32 s0, s0, 1
	v_add_u32_e32 v95, 8, v95
	s_cmp_lg_u32 s18, s0
	s_waitcnt lgkmcnt(0)
	v_cmp_lt_f64_e64 vcc, |v[86:87]|, |v[96:97]|
	v_cndmask_b32_e32 v87, v87, v97, vcc
	v_cndmask_b32_e32 v86, v86, v96, vcc
	;; [unrolled: 1-line block ×3, first 2 shown]
	s_cbranch_scc1 .LBB80_558
.LBB80_559:
	s_waitcnt lgkmcnt(0)
	v_cmp_eq_f64_e32 vcc, 0, v[86:87]
	s_and_saveexec_b64 s[0:1], vcc
	s_xor_b64 s[0:1], exec, s[0:1]
; %bb.560:
	v_cmp_ne_u32_e32 vcc, 0, v94
	v_cndmask_b32_e32 v94, 34, v94, vcc
; %bb.561:
	s_andn2_saveexec_b64 s[0:1], s[0:1]
; %bb.562:
	v_div_scale_f64 v[96:97], s[2:3], v[86:87], v[86:87], 1.0
	v_rcp_f64_e32 v[98:99], v[96:97]
	v_div_scale_f64 v[100:101], vcc, 1.0, v[86:87], 1.0
	v_fma_f64 v[102:103], -v[96:97], v[98:99], 1.0
	v_fmac_f64_e32 v[98:99], v[98:99], v[102:103]
	v_fma_f64 v[102:103], -v[96:97], v[98:99], 1.0
	v_fmac_f64_e32 v[98:99], v[98:99], v[102:103]
	v_mul_f64 v[102:103], v[100:101], v[98:99]
	v_fma_f64 v[96:97], -v[96:97], v[102:103], v[100:101]
	v_div_fmas_f64 v[96:97], v[96:97], v[98:99], v[102:103]
	v_div_fixup_f64 v[86:87], v[96:97], v[86:87], 1.0
; %bb.563:
	s_or_b64 exec, exec, s[0:1]
	v_cmp_ne_u32_e32 vcc, v91, v88
	s_and_saveexec_b64 s[0:1], vcc
	s_xor_b64 s[0:1], exec, s[0:1]
	s_cbranch_execz .LBB80_569
; %bb.564:
	v_cmp_eq_u32_e32 vcc, 33, v91
	s_and_saveexec_b64 s[2:3], vcc
	s_cbranch_execz .LBB80_568
; %bb.565:
	v_cmp_ne_u32_e32 vcc, 33, v88
	s_xor_b64 s[14:15], s[6:7], -1
	s_and_b64 s[16:17], s[14:15], vcc
	s_and_saveexec_b64 s[14:15], s[16:17]
	s_cbranch_execz .LBB80_567
; %bb.566:
	v_ashrrev_i32_e32 v89, 31, v88
	v_lshlrev_b64 v[96:97], 2, v[88:89]
	v_add_co_u32_e32 v96, vcc, v4, v96
	v_addc_co_u32_e32 v97, vcc, v5, v97, vcc
	flat_load_dword v89, v[96:97]
	flat_load_dword v91, v[4:5] offset:132
	s_waitcnt vmcnt(0) lgkmcnt(0)
	flat_store_dword v[4:5], v89 offset:132
	flat_store_dword v[96:97], v91
.LBB80_567:
	s_or_b64 exec, exec, s[14:15]
	v_mov_b32_e32 v89, v88
	v_mov_b32_e32 v91, v88
.LBB80_568:
	s_or_b64 exec, exec, s[2:3]
.LBB80_569:
	s_andn2_saveexec_b64 s[0:1], s[0:1]
	s_cbranch_execz .LBB80_571
; %bb.570:
	v_mov_b32_e32 v96, v14
	v_mov_b32_e32 v97, v15
	;; [unrolled: 1-line block ×4, first 2 shown]
	ds_write2_b64 v90, v[96:97], v[98:99] offset0:34 offset1:35
	v_mov_b32_e32 v96, v10
	v_mov_b32_e32 v97, v11
	;; [unrolled: 1-line block ×4, first 2 shown]
	ds_write2_b64 v90, v[96:97], v[98:99] offset0:36 offset1:37
	v_mov_b32_e32 v96, v6
	v_mov_b32_e32 v97, v7
	;; [unrolled: 1-line block ×5, first 2 shown]
	ds_write2_b64 v90, v[96:97], v[98:99] offset0:38 offset1:39
	ds_write_b64 v90, v[84:85] offset:320
.LBB80_571:
	s_or_b64 exec, exec, s[0:1]
	v_cmp_lt_i32_e32 vcc, 33, v91
	s_waitcnt lgkmcnt(0)
	s_barrier
	s_and_saveexec_b64 s[0:1], vcc
	s_cbranch_execz .LBB80_573
; %bb.572:
	ds_read2_b64 v[96:99], v90 offset0:34 offset1:35
	ds_read2_b64 v[100:103], v90 offset0:36 offset1:37
	v_mul_f64 v[16:17], v[86:87], v[16:17]
	ds_read2_b64 v[104:107], v90 offset0:38 offset1:39
	ds_read_b64 v[86:87], v90 offset:320
	s_waitcnt lgkmcnt(0)
	v_fma_f64 v[14:15], -v[16:17], v[96:97], v[14:15]
	v_fma_f64 v[12:13], -v[16:17], v[98:99], v[12:13]
	;; [unrolled: 1-line block ×7, first 2 shown]
.LBB80_573:
	s_or_b64 exec, exec, s[0:1]
	v_lshl_add_u32 v86, v91, 3, v90
	s_barrier
	ds_write_b64 v86, v[14:15]
	s_waitcnt lgkmcnt(0)
	s_barrier
	ds_read_b64 v[86:87], v90 offset:272
	s_cmp_lt_i32 s18, 36
	v_mov_b32_e32 v88, 34
	s_cbranch_scc1 .LBB80_576
; %bb.574:
	v_add_u32_e32 v95, 0x118, v90
	s_mov_b32 s0, 35
	v_mov_b32_e32 v88, 34
.LBB80_575:                             ; =>This Inner Loop Header: Depth=1
	ds_read_b64 v[96:97], v95
	v_mov_b32_e32 v98, s0
	s_add_i32 s0, s0, 1
	v_add_u32_e32 v95, 8, v95
	s_cmp_lg_u32 s18, s0
	s_waitcnt lgkmcnt(0)
	v_cmp_lt_f64_e64 vcc, |v[86:87]|, |v[96:97]|
	v_cndmask_b32_e32 v87, v87, v97, vcc
	v_cndmask_b32_e32 v86, v86, v96, vcc
	;; [unrolled: 1-line block ×3, first 2 shown]
	s_cbranch_scc1 .LBB80_575
.LBB80_576:
	s_waitcnt lgkmcnt(0)
	v_cmp_eq_f64_e32 vcc, 0, v[86:87]
	s_and_saveexec_b64 s[0:1], vcc
	s_xor_b64 s[0:1], exec, s[0:1]
; %bb.577:
	v_cmp_ne_u32_e32 vcc, 0, v94
	v_cndmask_b32_e32 v94, 35, v94, vcc
; %bb.578:
	s_andn2_saveexec_b64 s[0:1], s[0:1]
; %bb.579:
	v_div_scale_f64 v[96:97], s[2:3], v[86:87], v[86:87], 1.0
	v_rcp_f64_e32 v[98:99], v[96:97]
	v_div_scale_f64 v[100:101], vcc, 1.0, v[86:87], 1.0
	v_fma_f64 v[102:103], -v[96:97], v[98:99], 1.0
	v_fmac_f64_e32 v[98:99], v[98:99], v[102:103]
	v_fma_f64 v[102:103], -v[96:97], v[98:99], 1.0
	v_fmac_f64_e32 v[98:99], v[98:99], v[102:103]
	v_mul_f64 v[102:103], v[100:101], v[98:99]
	v_fma_f64 v[96:97], -v[96:97], v[102:103], v[100:101]
	v_div_fmas_f64 v[96:97], v[96:97], v[98:99], v[102:103]
	v_div_fixup_f64 v[86:87], v[96:97], v[86:87], 1.0
; %bb.580:
	s_or_b64 exec, exec, s[0:1]
	v_cmp_ne_u32_e32 vcc, v91, v88
	s_and_saveexec_b64 s[0:1], vcc
	s_xor_b64 s[0:1], exec, s[0:1]
	s_cbranch_execz .LBB80_586
; %bb.581:
	v_cmp_eq_u32_e32 vcc, 34, v91
	s_and_saveexec_b64 s[2:3], vcc
	s_cbranch_execz .LBB80_585
; %bb.582:
	v_cmp_ne_u32_e32 vcc, 34, v88
	s_xor_b64 s[14:15], s[6:7], -1
	s_and_b64 s[16:17], s[14:15], vcc
	s_and_saveexec_b64 s[14:15], s[16:17]
	s_cbranch_execz .LBB80_584
; %bb.583:
	v_ashrrev_i32_e32 v89, 31, v88
	v_lshlrev_b64 v[96:97], 2, v[88:89]
	v_add_co_u32_e32 v96, vcc, v4, v96
	v_addc_co_u32_e32 v97, vcc, v5, v97, vcc
	flat_load_dword v89, v[96:97]
	flat_load_dword v91, v[4:5] offset:136
	s_waitcnt vmcnt(0) lgkmcnt(0)
	flat_store_dword v[4:5], v89 offset:136
	flat_store_dword v[96:97], v91
.LBB80_584:
	s_or_b64 exec, exec, s[14:15]
	v_mov_b32_e32 v89, v88
	v_mov_b32_e32 v91, v88
.LBB80_585:
	s_or_b64 exec, exec, s[2:3]
.LBB80_586:
	s_andn2_saveexec_b64 s[0:1], s[0:1]
	s_cbranch_execz .LBB80_588
; %bb.587:
	v_mov_b32_e32 v91, 34
	ds_write2_b64 v90, v[12:13], v[10:11] offset0:35 offset1:36
	ds_write2_b64 v90, v[8:9], v[6:7] offset0:37 offset1:38
	;; [unrolled: 1-line block ×3, first 2 shown]
.LBB80_588:
	s_or_b64 exec, exec, s[0:1]
	v_cmp_lt_i32_e32 vcc, 34, v91
	s_waitcnt lgkmcnt(0)
	s_barrier
	s_and_saveexec_b64 s[0:1], vcc
	s_cbranch_execz .LBB80_590
; %bb.589:
	ds_read2_b64 v[96:99], v90 offset0:35 offset1:36
	ds_read2_b64 v[100:103], v90 offset0:37 offset1:38
	;; [unrolled: 1-line block ×3, first 2 shown]
	v_mul_f64 v[14:15], v[86:87], v[14:15]
	s_waitcnt lgkmcnt(0)
	v_fma_f64 v[12:13], -v[14:15], v[96:97], v[12:13]
	v_fma_f64 v[10:11], -v[14:15], v[98:99], v[10:11]
	;; [unrolled: 1-line block ×6, first 2 shown]
.LBB80_590:
	s_or_b64 exec, exec, s[0:1]
	v_lshl_add_u32 v86, v91, 3, v90
	s_barrier
	ds_write_b64 v86, v[12:13]
	s_waitcnt lgkmcnt(0)
	s_barrier
	ds_read_b64 v[86:87], v90 offset:280
	s_cmp_lt_i32 s18, 37
	v_mov_b32_e32 v88, 35
	s_cbranch_scc1 .LBB80_593
; %bb.591:
	v_add_u32_e32 v95, 0x120, v90
	s_mov_b32 s0, 36
	v_mov_b32_e32 v88, 35
.LBB80_592:                             ; =>This Inner Loop Header: Depth=1
	ds_read_b64 v[96:97], v95
	v_mov_b32_e32 v98, s0
	s_add_i32 s0, s0, 1
	v_add_u32_e32 v95, 8, v95
	s_cmp_lg_u32 s18, s0
	s_waitcnt lgkmcnt(0)
	v_cmp_lt_f64_e64 vcc, |v[86:87]|, |v[96:97]|
	v_cndmask_b32_e32 v87, v87, v97, vcc
	v_cndmask_b32_e32 v86, v86, v96, vcc
	;; [unrolled: 1-line block ×3, first 2 shown]
	s_cbranch_scc1 .LBB80_592
.LBB80_593:
	s_waitcnt lgkmcnt(0)
	v_cmp_eq_f64_e32 vcc, 0, v[86:87]
	s_and_saveexec_b64 s[0:1], vcc
	s_xor_b64 s[0:1], exec, s[0:1]
; %bb.594:
	v_cmp_ne_u32_e32 vcc, 0, v94
	v_cndmask_b32_e32 v94, 36, v94, vcc
; %bb.595:
	s_andn2_saveexec_b64 s[0:1], s[0:1]
; %bb.596:
	v_div_scale_f64 v[96:97], s[2:3], v[86:87], v[86:87], 1.0
	v_rcp_f64_e32 v[98:99], v[96:97]
	v_div_scale_f64 v[100:101], vcc, 1.0, v[86:87], 1.0
	v_fma_f64 v[102:103], -v[96:97], v[98:99], 1.0
	v_fmac_f64_e32 v[98:99], v[98:99], v[102:103]
	v_fma_f64 v[102:103], -v[96:97], v[98:99], 1.0
	v_fmac_f64_e32 v[98:99], v[98:99], v[102:103]
	v_mul_f64 v[102:103], v[100:101], v[98:99]
	v_fma_f64 v[96:97], -v[96:97], v[102:103], v[100:101]
	v_div_fmas_f64 v[96:97], v[96:97], v[98:99], v[102:103]
	v_div_fixup_f64 v[86:87], v[96:97], v[86:87], 1.0
; %bb.597:
	s_or_b64 exec, exec, s[0:1]
	v_cmp_ne_u32_e32 vcc, v91, v88
	s_and_saveexec_b64 s[0:1], vcc
	s_xor_b64 s[0:1], exec, s[0:1]
	s_cbranch_execz .LBB80_603
; %bb.598:
	v_cmp_eq_u32_e32 vcc, 35, v91
	s_and_saveexec_b64 s[2:3], vcc
	s_cbranch_execz .LBB80_602
; %bb.599:
	v_cmp_ne_u32_e32 vcc, 35, v88
	s_xor_b64 s[14:15], s[6:7], -1
	s_and_b64 s[16:17], s[14:15], vcc
	s_and_saveexec_b64 s[14:15], s[16:17]
	s_cbranch_execz .LBB80_601
; %bb.600:
	v_ashrrev_i32_e32 v89, 31, v88
	v_lshlrev_b64 v[96:97], 2, v[88:89]
	v_add_co_u32_e32 v96, vcc, v4, v96
	v_addc_co_u32_e32 v97, vcc, v5, v97, vcc
	flat_load_dword v89, v[96:97]
	flat_load_dword v91, v[4:5] offset:140
	s_waitcnt vmcnt(0) lgkmcnt(0)
	flat_store_dword v[4:5], v89 offset:140
	flat_store_dword v[96:97], v91
.LBB80_601:
	s_or_b64 exec, exec, s[14:15]
	v_mov_b32_e32 v89, v88
	v_mov_b32_e32 v91, v88
.LBB80_602:
	s_or_b64 exec, exec, s[2:3]
.LBB80_603:
	s_andn2_saveexec_b64 s[0:1], s[0:1]
	s_cbranch_execz .LBB80_605
; %bb.604:
	v_mov_b32_e32 v96, v10
	v_mov_b32_e32 v97, v11
	;; [unrolled: 1-line block ×4, first 2 shown]
	ds_write2_b64 v90, v[96:97], v[98:99] offset0:36 offset1:37
	v_mov_b32_e32 v96, v6
	v_mov_b32_e32 v97, v7
	;; [unrolled: 1-line block ×5, first 2 shown]
	ds_write2_b64 v90, v[96:97], v[98:99] offset0:38 offset1:39
	ds_write_b64 v90, v[84:85] offset:320
.LBB80_605:
	s_or_b64 exec, exec, s[0:1]
	v_cmp_lt_i32_e32 vcc, 35, v91
	s_waitcnt lgkmcnt(0)
	s_barrier
	s_and_saveexec_b64 s[0:1], vcc
	s_cbranch_execz .LBB80_607
; %bb.606:
	ds_read2_b64 v[96:99], v90 offset0:36 offset1:37
	ds_read2_b64 v[100:103], v90 offset0:38 offset1:39
	v_mul_f64 v[12:13], v[86:87], v[12:13]
	ds_read_b64 v[86:87], v90 offset:320
	s_waitcnt lgkmcnt(0)
	v_fma_f64 v[10:11], -v[12:13], v[96:97], v[10:11]
	v_fma_f64 v[8:9], -v[12:13], v[98:99], v[8:9]
	v_fma_f64 v[6:7], -v[12:13], v[100:101], v[6:7]
	v_fma_f64 v[0:1], -v[12:13], v[102:103], v[0:1]
	v_fma_f64 v[84:85], -v[12:13], v[86:87], v[84:85]
.LBB80_607:
	s_or_b64 exec, exec, s[0:1]
	v_lshl_add_u32 v86, v91, 3, v90
	s_barrier
	ds_write_b64 v86, v[10:11]
	s_waitcnt lgkmcnt(0)
	s_barrier
	ds_read_b64 v[86:87], v90 offset:288
	s_cmp_lt_i32 s18, 38
	v_mov_b32_e32 v88, 36
	s_cbranch_scc1 .LBB80_610
; %bb.608:
	v_add_u32_e32 v95, 0x128, v90
	s_mov_b32 s0, 37
	v_mov_b32_e32 v88, 36
.LBB80_609:                             ; =>This Inner Loop Header: Depth=1
	ds_read_b64 v[96:97], v95
	v_mov_b32_e32 v98, s0
	s_add_i32 s0, s0, 1
	v_add_u32_e32 v95, 8, v95
	s_cmp_lg_u32 s18, s0
	s_waitcnt lgkmcnt(0)
	v_cmp_lt_f64_e64 vcc, |v[86:87]|, |v[96:97]|
	v_cndmask_b32_e32 v87, v87, v97, vcc
	v_cndmask_b32_e32 v86, v86, v96, vcc
	v_cndmask_b32_e32 v88, v88, v98, vcc
	s_cbranch_scc1 .LBB80_609
.LBB80_610:
	s_waitcnt lgkmcnt(0)
	v_cmp_eq_f64_e32 vcc, 0, v[86:87]
	s_and_saveexec_b64 s[0:1], vcc
	s_xor_b64 s[0:1], exec, s[0:1]
; %bb.611:
	v_cmp_ne_u32_e32 vcc, 0, v94
	v_cndmask_b32_e32 v94, 37, v94, vcc
; %bb.612:
	s_andn2_saveexec_b64 s[0:1], s[0:1]
; %bb.613:
	v_div_scale_f64 v[96:97], s[2:3], v[86:87], v[86:87], 1.0
	v_rcp_f64_e32 v[98:99], v[96:97]
	v_div_scale_f64 v[100:101], vcc, 1.0, v[86:87], 1.0
	v_fma_f64 v[102:103], -v[96:97], v[98:99], 1.0
	v_fmac_f64_e32 v[98:99], v[98:99], v[102:103]
	v_fma_f64 v[102:103], -v[96:97], v[98:99], 1.0
	v_fmac_f64_e32 v[98:99], v[98:99], v[102:103]
	v_mul_f64 v[102:103], v[100:101], v[98:99]
	v_fma_f64 v[96:97], -v[96:97], v[102:103], v[100:101]
	v_div_fmas_f64 v[96:97], v[96:97], v[98:99], v[102:103]
	v_div_fixup_f64 v[86:87], v[96:97], v[86:87], 1.0
; %bb.614:
	s_or_b64 exec, exec, s[0:1]
	v_cmp_ne_u32_e32 vcc, v91, v88
	s_and_saveexec_b64 s[0:1], vcc
	s_xor_b64 s[0:1], exec, s[0:1]
	s_cbranch_execz .LBB80_620
; %bb.615:
	v_cmp_eq_u32_e32 vcc, 36, v91
	s_and_saveexec_b64 s[2:3], vcc
	s_cbranch_execz .LBB80_619
; %bb.616:
	v_cmp_ne_u32_e32 vcc, 36, v88
	s_xor_b64 s[14:15], s[6:7], -1
	s_and_b64 s[16:17], s[14:15], vcc
	s_and_saveexec_b64 s[14:15], s[16:17]
	s_cbranch_execz .LBB80_618
; %bb.617:
	v_ashrrev_i32_e32 v89, 31, v88
	v_lshlrev_b64 v[96:97], 2, v[88:89]
	v_add_co_u32_e32 v96, vcc, v4, v96
	v_addc_co_u32_e32 v97, vcc, v5, v97, vcc
	flat_load_dword v89, v[96:97]
	flat_load_dword v91, v[4:5] offset:144
	s_waitcnt vmcnt(0) lgkmcnt(0)
	flat_store_dword v[4:5], v89 offset:144
	flat_store_dword v[96:97], v91
.LBB80_618:
	s_or_b64 exec, exec, s[14:15]
	v_mov_b32_e32 v89, v88
	v_mov_b32_e32 v91, v88
.LBB80_619:
	s_or_b64 exec, exec, s[2:3]
.LBB80_620:
	s_andn2_saveexec_b64 s[0:1], s[0:1]
	s_cbranch_execz .LBB80_622
; %bb.621:
	v_mov_b32_e32 v91, 36
	ds_write2_b64 v90, v[8:9], v[6:7] offset0:37 offset1:38
	ds_write2_b64 v90, v[0:1], v[84:85] offset0:39 offset1:40
.LBB80_622:
	s_or_b64 exec, exec, s[0:1]
	v_cmp_lt_i32_e32 vcc, 36, v91
	s_waitcnt lgkmcnt(0)
	s_barrier
	s_and_saveexec_b64 s[0:1], vcc
	s_cbranch_execz .LBB80_624
; %bb.623:
	ds_read2_b64 v[96:99], v90 offset0:37 offset1:38
	ds_read2_b64 v[100:103], v90 offset0:39 offset1:40
	v_mul_f64 v[10:11], v[86:87], v[10:11]
	s_waitcnt lgkmcnt(0)
	v_fma_f64 v[8:9], -v[10:11], v[96:97], v[8:9]
	v_fma_f64 v[6:7], -v[10:11], v[98:99], v[6:7]
	;; [unrolled: 1-line block ×4, first 2 shown]
.LBB80_624:
	s_or_b64 exec, exec, s[0:1]
	v_lshl_add_u32 v86, v91, 3, v90
	s_barrier
	ds_write_b64 v86, v[8:9]
	s_waitcnt lgkmcnt(0)
	s_barrier
	ds_read_b64 v[86:87], v90 offset:296
	s_cmp_lt_i32 s18, 39
	v_mov_b32_e32 v88, 37
	s_cbranch_scc1 .LBB80_627
; %bb.625:
	v_add_u32_e32 v95, 0x130, v90
	s_mov_b32 s0, 38
	v_mov_b32_e32 v88, 37
.LBB80_626:                             ; =>This Inner Loop Header: Depth=1
	ds_read_b64 v[96:97], v95
	v_mov_b32_e32 v98, s0
	s_add_i32 s0, s0, 1
	v_add_u32_e32 v95, 8, v95
	s_cmp_lg_u32 s18, s0
	s_waitcnt lgkmcnt(0)
	v_cmp_lt_f64_e64 vcc, |v[86:87]|, |v[96:97]|
	v_cndmask_b32_e32 v87, v87, v97, vcc
	v_cndmask_b32_e32 v86, v86, v96, vcc
	;; [unrolled: 1-line block ×3, first 2 shown]
	s_cbranch_scc1 .LBB80_626
.LBB80_627:
	s_waitcnt lgkmcnt(0)
	v_cmp_eq_f64_e32 vcc, 0, v[86:87]
	s_and_saveexec_b64 s[0:1], vcc
	s_xor_b64 s[0:1], exec, s[0:1]
; %bb.628:
	v_cmp_ne_u32_e32 vcc, 0, v94
	v_cndmask_b32_e32 v94, 38, v94, vcc
; %bb.629:
	s_andn2_saveexec_b64 s[0:1], s[0:1]
; %bb.630:
	v_div_scale_f64 v[96:97], s[2:3], v[86:87], v[86:87], 1.0
	v_rcp_f64_e32 v[98:99], v[96:97]
	v_div_scale_f64 v[100:101], vcc, 1.0, v[86:87], 1.0
	v_fma_f64 v[102:103], -v[96:97], v[98:99], 1.0
	v_fmac_f64_e32 v[98:99], v[98:99], v[102:103]
	v_fma_f64 v[102:103], -v[96:97], v[98:99], 1.0
	v_fmac_f64_e32 v[98:99], v[98:99], v[102:103]
	v_mul_f64 v[102:103], v[100:101], v[98:99]
	v_fma_f64 v[96:97], -v[96:97], v[102:103], v[100:101]
	v_div_fmas_f64 v[96:97], v[96:97], v[98:99], v[102:103]
	v_div_fixup_f64 v[86:87], v[96:97], v[86:87], 1.0
; %bb.631:
	s_or_b64 exec, exec, s[0:1]
	v_cmp_ne_u32_e32 vcc, v91, v88
	s_and_saveexec_b64 s[0:1], vcc
	s_xor_b64 s[0:1], exec, s[0:1]
	s_cbranch_execz .LBB80_637
; %bb.632:
	v_cmp_eq_u32_e32 vcc, 37, v91
	s_and_saveexec_b64 s[2:3], vcc
	s_cbranch_execz .LBB80_636
; %bb.633:
	v_cmp_ne_u32_e32 vcc, 37, v88
	s_xor_b64 s[14:15], s[6:7], -1
	s_and_b64 s[16:17], s[14:15], vcc
	s_and_saveexec_b64 s[14:15], s[16:17]
	s_cbranch_execz .LBB80_635
; %bb.634:
	v_ashrrev_i32_e32 v89, 31, v88
	v_lshlrev_b64 v[96:97], 2, v[88:89]
	v_add_co_u32_e32 v96, vcc, v4, v96
	v_addc_co_u32_e32 v97, vcc, v5, v97, vcc
	flat_load_dword v89, v[96:97]
	flat_load_dword v91, v[4:5] offset:148
	s_waitcnt vmcnt(0) lgkmcnt(0)
	flat_store_dword v[4:5], v89 offset:148
	flat_store_dword v[96:97], v91
.LBB80_635:
	s_or_b64 exec, exec, s[14:15]
	v_mov_b32_e32 v89, v88
	v_mov_b32_e32 v91, v88
.LBB80_636:
	s_or_b64 exec, exec, s[2:3]
.LBB80_637:
	s_andn2_saveexec_b64 s[0:1], s[0:1]
	s_cbranch_execz .LBB80_639
; %bb.638:
	v_mov_b32_e32 v96, v6
	v_mov_b32_e32 v97, v7
	;; [unrolled: 1-line block ×5, first 2 shown]
	ds_write2_b64 v90, v[96:97], v[98:99] offset0:38 offset1:39
	ds_write_b64 v90, v[84:85] offset:320
.LBB80_639:
	s_or_b64 exec, exec, s[0:1]
	v_cmp_lt_i32_e32 vcc, 37, v91
	s_waitcnt lgkmcnt(0)
	s_barrier
	s_and_saveexec_b64 s[0:1], vcc
	s_cbranch_execz .LBB80_641
; %bb.640:
	ds_read2_b64 v[96:99], v90 offset0:38 offset1:39
	ds_read_b64 v[100:101], v90 offset:320
	v_mul_f64 v[8:9], v[86:87], v[8:9]
	s_waitcnt lgkmcnt(0)
	v_fma_f64 v[6:7], -v[8:9], v[96:97], v[6:7]
	v_fma_f64 v[0:1], -v[8:9], v[98:99], v[0:1]
	;; [unrolled: 1-line block ×3, first 2 shown]
.LBB80_641:
	s_or_b64 exec, exec, s[0:1]
	v_lshl_add_u32 v86, v91, 3, v90
	s_barrier
	ds_write_b64 v86, v[6:7]
	s_waitcnt lgkmcnt(0)
	s_barrier
	ds_read_b64 v[86:87], v90 offset:304
	s_cmp_lt_i32 s18, 40
	v_mov_b32_e32 v88, 38
	s_cbranch_scc1 .LBB80_644
; %bb.642:
	v_add_u32_e32 v95, 0x138, v90
	s_mov_b32 s0, 39
	v_mov_b32_e32 v88, 38
.LBB80_643:                             ; =>This Inner Loop Header: Depth=1
	ds_read_b64 v[96:97], v95
	v_mov_b32_e32 v98, s0
	s_add_i32 s0, s0, 1
	v_add_u32_e32 v95, 8, v95
	s_cmp_lg_u32 s18, s0
	s_waitcnt lgkmcnt(0)
	v_cmp_lt_f64_e64 vcc, |v[86:87]|, |v[96:97]|
	v_cndmask_b32_e32 v87, v87, v97, vcc
	v_cndmask_b32_e32 v86, v86, v96, vcc
	v_cndmask_b32_e32 v88, v88, v98, vcc
	s_cbranch_scc1 .LBB80_643
.LBB80_644:
	s_waitcnt lgkmcnt(0)
	v_cmp_eq_f64_e32 vcc, 0, v[86:87]
	s_and_saveexec_b64 s[0:1], vcc
	s_xor_b64 s[0:1], exec, s[0:1]
; %bb.645:
	v_cmp_ne_u32_e32 vcc, 0, v94
	v_cndmask_b32_e32 v94, 39, v94, vcc
; %bb.646:
	s_andn2_saveexec_b64 s[0:1], s[0:1]
; %bb.647:
	v_div_scale_f64 v[96:97], s[2:3], v[86:87], v[86:87], 1.0
	v_rcp_f64_e32 v[98:99], v[96:97]
	v_div_scale_f64 v[100:101], vcc, 1.0, v[86:87], 1.0
	v_fma_f64 v[102:103], -v[96:97], v[98:99], 1.0
	v_fmac_f64_e32 v[98:99], v[98:99], v[102:103]
	v_fma_f64 v[102:103], -v[96:97], v[98:99], 1.0
	v_fmac_f64_e32 v[98:99], v[98:99], v[102:103]
	v_mul_f64 v[102:103], v[100:101], v[98:99]
	v_fma_f64 v[96:97], -v[96:97], v[102:103], v[100:101]
	v_div_fmas_f64 v[96:97], v[96:97], v[98:99], v[102:103]
	v_div_fixup_f64 v[86:87], v[96:97], v[86:87], 1.0
; %bb.648:
	s_or_b64 exec, exec, s[0:1]
	v_cmp_ne_u32_e32 vcc, v91, v88
	s_and_saveexec_b64 s[0:1], vcc
	s_xor_b64 s[0:1], exec, s[0:1]
	s_cbranch_execz .LBB80_654
; %bb.649:
	v_cmp_eq_u32_e32 vcc, 38, v91
	s_and_saveexec_b64 s[2:3], vcc
	s_cbranch_execz .LBB80_653
; %bb.650:
	v_cmp_ne_u32_e32 vcc, 38, v88
	s_xor_b64 s[14:15], s[6:7], -1
	s_and_b64 s[16:17], s[14:15], vcc
	s_and_saveexec_b64 s[14:15], s[16:17]
	s_cbranch_execz .LBB80_652
; %bb.651:
	v_ashrrev_i32_e32 v89, 31, v88
	v_lshlrev_b64 v[96:97], 2, v[88:89]
	v_add_co_u32_e32 v96, vcc, v4, v96
	v_addc_co_u32_e32 v97, vcc, v5, v97, vcc
	flat_load_dword v89, v[96:97]
	flat_load_dword v91, v[4:5] offset:152
	s_waitcnt vmcnt(0) lgkmcnt(0)
	flat_store_dword v[4:5], v89 offset:152
	flat_store_dword v[96:97], v91
.LBB80_652:
	s_or_b64 exec, exec, s[14:15]
	v_mov_b32_e32 v89, v88
	v_mov_b32_e32 v91, v88
.LBB80_653:
	s_or_b64 exec, exec, s[2:3]
.LBB80_654:
	s_andn2_saveexec_b64 s[0:1], s[0:1]
	s_cbranch_execz .LBB80_656
; %bb.655:
	v_mov_b32_e32 v91, 38
	ds_write2_b64 v90, v[0:1], v[84:85] offset0:39 offset1:40
.LBB80_656:
	s_or_b64 exec, exec, s[0:1]
	v_cmp_lt_i32_e32 vcc, 38, v91
	s_waitcnt lgkmcnt(0)
	s_barrier
	s_and_saveexec_b64 s[0:1], vcc
	s_cbranch_execz .LBB80_658
; %bb.657:
	ds_read2_b64 v[96:99], v90 offset0:39 offset1:40
	v_mul_f64 v[6:7], v[86:87], v[6:7]
	s_waitcnt lgkmcnt(0)
	v_fma_f64 v[0:1], -v[6:7], v[96:97], v[0:1]
	v_fma_f64 v[84:85], -v[6:7], v[98:99], v[84:85]
.LBB80_658:
	s_or_b64 exec, exec, s[0:1]
	v_lshl_add_u32 v86, v91, 3, v90
	s_barrier
	ds_write_b64 v86, v[0:1]
	s_waitcnt lgkmcnt(0)
	s_barrier
	ds_read_b64 v[86:87], v90 offset:312
	s_cmp_lt_i32 s18, 41
	v_mov_b32_e32 v88, 39
	s_cbranch_scc1 .LBB80_661
; %bb.659:
	v_add_u32_e32 v95, 0x140, v90
	s_mov_b32 s0, 40
	v_mov_b32_e32 v88, 39
.LBB80_660:                             ; =>This Inner Loop Header: Depth=1
	ds_read_b64 v[96:97], v95
	v_mov_b32_e32 v98, s0
	s_add_i32 s0, s0, 1
	v_add_u32_e32 v95, 8, v95
	s_cmp_lg_u32 s18, s0
	s_waitcnt lgkmcnt(0)
	v_cmp_lt_f64_e64 vcc, |v[86:87]|, |v[96:97]|
	v_cndmask_b32_e32 v87, v87, v97, vcc
	v_cndmask_b32_e32 v86, v86, v96, vcc
	;; [unrolled: 1-line block ×3, first 2 shown]
	s_cbranch_scc1 .LBB80_660
.LBB80_661:
	s_waitcnt lgkmcnt(0)
	v_cmp_eq_f64_e32 vcc, 0, v[86:87]
	s_and_saveexec_b64 s[0:1], vcc
	s_xor_b64 s[0:1], exec, s[0:1]
; %bb.662:
	v_cmp_ne_u32_e32 vcc, 0, v94
	v_cndmask_b32_e32 v94, 40, v94, vcc
; %bb.663:
	s_andn2_saveexec_b64 s[0:1], s[0:1]
; %bb.664:
	v_div_scale_f64 v[96:97], s[2:3], v[86:87], v[86:87], 1.0
	v_rcp_f64_e32 v[98:99], v[96:97]
	v_div_scale_f64 v[100:101], vcc, 1.0, v[86:87], 1.0
	v_fma_f64 v[102:103], -v[96:97], v[98:99], 1.0
	v_fmac_f64_e32 v[98:99], v[98:99], v[102:103]
	v_fma_f64 v[102:103], -v[96:97], v[98:99], 1.0
	v_fmac_f64_e32 v[98:99], v[98:99], v[102:103]
	v_mul_f64 v[102:103], v[100:101], v[98:99]
	v_fma_f64 v[96:97], -v[96:97], v[102:103], v[100:101]
	v_div_fmas_f64 v[96:97], v[96:97], v[98:99], v[102:103]
	v_div_fixup_f64 v[86:87], v[96:97], v[86:87], 1.0
; %bb.665:
	s_or_b64 exec, exec, s[0:1]
	v_cmp_ne_u32_e32 vcc, v91, v88
	s_and_saveexec_b64 s[0:1], vcc
	s_xor_b64 s[0:1], exec, s[0:1]
	s_cbranch_execz .LBB80_671
; %bb.666:
	v_cmp_eq_u32_e32 vcc, 39, v91
	s_and_saveexec_b64 s[2:3], vcc
	s_cbranch_execz .LBB80_670
; %bb.667:
	v_cmp_ne_u32_e32 vcc, 39, v88
	s_xor_b64 s[14:15], s[6:7], -1
	s_and_b64 s[16:17], s[14:15], vcc
	s_and_saveexec_b64 s[14:15], s[16:17]
	s_cbranch_execz .LBB80_669
; %bb.668:
	v_ashrrev_i32_e32 v89, 31, v88
	v_lshlrev_b64 v[96:97], 2, v[88:89]
	v_add_co_u32_e32 v96, vcc, v4, v96
	v_addc_co_u32_e32 v97, vcc, v5, v97, vcc
	flat_load_dword v89, v[96:97]
	flat_load_dword v91, v[4:5] offset:156
	s_waitcnt vmcnt(0) lgkmcnt(0)
	flat_store_dword v[4:5], v89 offset:156
	flat_store_dword v[96:97], v91
.LBB80_669:
	s_or_b64 exec, exec, s[14:15]
	v_mov_b32_e32 v89, v88
	v_mov_b32_e32 v91, v88
.LBB80_670:
	s_or_b64 exec, exec, s[2:3]
.LBB80_671:
	s_andn2_saveexec_b64 s[0:1], s[0:1]
	s_cbranch_execz .LBB80_673
; %bb.672:
	v_mov_b32_e32 v91, 39
	ds_write_b64 v90, v[84:85] offset:320
.LBB80_673:
	s_or_b64 exec, exec, s[0:1]
	v_cmp_lt_i32_e32 vcc, 39, v91
	s_waitcnt lgkmcnt(0)
	s_barrier
	s_and_saveexec_b64 s[0:1], vcc
	s_cbranch_execz .LBB80_675
; %bb.674:
	ds_read_b64 v[96:97], v90 offset:320
	v_mul_f64 v[0:1], v[86:87], v[0:1]
	s_waitcnt lgkmcnt(0)
	v_fma_f64 v[84:85], -v[0:1], v[96:97], v[84:85]
.LBB80_675:
	s_or_b64 exec, exec, s[0:1]
	v_lshl_add_u32 v86, v91, 3, v90
	s_barrier
	ds_write_b64 v86, v[84:85]
	s_waitcnt lgkmcnt(0)
	s_barrier
	ds_read_b64 v[86:87], v90 offset:320
	s_cmp_lt_i32 s18, 42
	v_mov_b32_e32 v88, 40
	s_cbranch_scc1 .LBB80_678
; %bb.676:
	v_add_u32_e32 v90, 0x148, v90
	s_mov_b32 s0, 41
	v_mov_b32_e32 v88, 40
.LBB80_677:                             ; =>This Inner Loop Header: Depth=1
	ds_read_b64 v[96:97], v90
	v_mov_b32_e32 v95, s0
	s_add_i32 s0, s0, 1
	v_add_u32_e32 v90, 8, v90
	s_cmp_lg_u32 s18, s0
	s_waitcnt lgkmcnt(0)
	v_cmp_lt_f64_e64 vcc, |v[86:87]|, |v[96:97]|
	v_cndmask_b32_e32 v87, v87, v97, vcc
	v_cndmask_b32_e32 v86, v86, v96, vcc
	;; [unrolled: 1-line block ×3, first 2 shown]
	s_cbranch_scc1 .LBB80_677
.LBB80_678:
	s_waitcnt lgkmcnt(0)
	v_cmp_eq_f64_e32 vcc, 0, v[86:87]
	s_and_saveexec_b64 s[0:1], vcc
	s_xor_b64 s[0:1], exec, s[0:1]
; %bb.679:
	v_cmp_ne_u32_e32 vcc, 0, v94
	v_cndmask_b32_e32 v94, 41, v94, vcc
; %bb.680:
	s_andn2_saveexec_b64 s[0:1], s[0:1]
; %bb.681:
	v_div_scale_f64 v[96:97], s[2:3], v[86:87], v[86:87], 1.0
	v_rcp_f64_e32 v[98:99], v[96:97]
	v_div_scale_f64 v[100:101], vcc, 1.0, v[86:87], 1.0
	v_fma_f64 v[102:103], -v[96:97], v[98:99], 1.0
	v_fmac_f64_e32 v[98:99], v[98:99], v[102:103]
	v_fma_f64 v[102:103], -v[96:97], v[98:99], 1.0
	v_fmac_f64_e32 v[98:99], v[98:99], v[102:103]
	v_mul_f64 v[102:103], v[100:101], v[98:99]
	v_fma_f64 v[96:97], -v[96:97], v[102:103], v[100:101]
	v_div_fmas_f64 v[96:97], v[96:97], v[98:99], v[102:103]
	v_div_fixup_f64 v[86:87], v[96:97], v[86:87], 1.0
; %bb.682:
	s_or_b64 exec, exec, s[0:1]
	v_cmp_ne_u32_e32 vcc, v91, v88
	v_mov_b32_e32 v90, 40
	s_and_saveexec_b64 s[0:1], vcc
	s_cbranch_execz .LBB80_688
; %bb.683:
	v_cmp_eq_u32_e32 vcc, 40, v91
	s_and_saveexec_b64 s[2:3], vcc
	s_cbranch_execz .LBB80_687
; %bb.684:
	v_cmp_ne_u32_e32 vcc, 40, v88
	s_xor_b64 s[6:7], s[6:7], -1
	s_and_b64 s[14:15], s[6:7], vcc
	s_and_saveexec_b64 s[6:7], s[14:15]
	s_cbranch_execz .LBB80_686
; %bb.685:
	v_ashrrev_i32_e32 v89, 31, v88
	v_lshlrev_b64 v[90:91], 2, v[88:89]
	v_add_co_u32_e32 v90, vcc, v4, v90
	v_addc_co_u32_e32 v91, vcc, v5, v91, vcc
	flat_load_dword v89, v[90:91]
	flat_load_dword v95, v[4:5] offset:160
	s_waitcnt vmcnt(0) lgkmcnt(0)
	flat_store_dword v[4:5], v89 offset:160
	flat_store_dword v[90:91], v95
.LBB80_686:
	s_or_b64 exec, exec, s[6:7]
	v_mov_b32_e32 v89, v88
	v_mov_b32_e32 v91, v88
.LBB80_687:
	s_or_b64 exec, exec, s[2:3]
	v_mov_b32_e32 v90, v91
.LBB80_688:
	s_or_b64 exec, exec, s[0:1]
	s_load_dwordx8 s[0:7], s[4:5], 0x28
	v_cmp_gt_i32_e32 vcc, 41, v90
	v_ashrrev_i32_e32 v91, 31, v90
	s_waitcnt lgkmcnt(0)
	s_barrier
	s_barrier
	s_and_saveexec_b64 s[14:15], vcc
	s_cbranch_execz .LBB80_690
; %bb.689:
	v_mul_lo_u32 v88, v3, s4
	v_mul_lo_u32 v95, v2, s5
	v_mad_u64_u32 v[4:5], s[4:5], v2, s4, 0
	s_lshl_b64 s[2:3], s[2:3], 2
	v_add3_u32 v5, v5, v95, v88
	s_add_u32 s0, s2, s0
	v_lshlrev_b64 v[4:5], 2, v[4:5]
	s_addc_u32 s1, s3, s1
	v_mov_b32_e32 v88, s1
	v_add_co_u32_e32 v95, vcc, s0, v4
	v_addc_co_u32_e32 v88, vcc, v88, v5, vcc
	v_lshlrev_b64 v[4:5], 2, v[90:91]
	v_add_co_u32_e32 v4, vcc, v95, v4
	v_addc_co_u32_e32 v5, vcc, v88, v5, vcc
	v_add3_u32 v88, v89, s13, 1
	global_store_dword v[4:5], v88, off
.LBB80_690:
	s_or_b64 exec, exec, s[14:15]
	v_cmp_eq_u32_e32 vcc, 0, v90
	s_and_saveexec_b64 s[2:3], vcc
	s_cbranch_execz .LBB80_693
; %bb.691:
	v_lshlrev_b64 v[2:3], 2, v[2:3]
	v_mov_b32_e32 v4, s7
	v_add_co_u32_e32 v2, vcc, s6, v2
	v_addc_co_u32_e32 v3, vcc, v4, v3, vcc
	global_load_dword v4, v[2:3], off
	v_cmp_lt_i32_e64 s[0:1], 0, v94
	s_waitcnt vmcnt(0)
	v_cmp_eq_u32_e32 vcc, 0, v4
	s_and_b64 s[0:1], vcc, s[0:1]
	s_and_b64 exec, exec, s[0:1]
	s_cbranch_execz .LBB80_693
; %bb.692:
	v_add_u32_e32 v4, s13, v94
	global_store_dword v[2:3], v4, off
.LBB80_693:
	s_or_b64 exec, exec, s[2:3]
	v_mul_f64 v[2:3], v[86:87], v[84:85]
	v_cmp_lt_i32_e32 vcc, 40, v90
	v_lshlrev_b64 v[4:5], 3, v[90:91]
	v_cndmask_b32_e32 v3, v85, v3, vcc
	v_cndmask_b32_e32 v2, v84, v2, vcc
	v_add_co_u32_e32 v4, vcc, v92, v4
	v_addc_co_u32_e32 v5, vcc, v93, v5, vcc
	global_store_dwordx2 v[4:5], v[82:83], off
	v_mov_b32_e32 v82, s11
	v_add_co_u32_e32 v4, vcc, s10, v4
	v_addc_co_u32_e32 v5, vcc, v5, v82, vcc
	global_store_dwordx2 v[4:5], v[80:81], off
	v_add_u32_e32 v4, s12, v90
	v_ashrrev_i32_e32 v5, 31, v4
	v_lshlrev_b64 v[80:81], 3, v[4:5]
	v_add_co_u32_e32 v80, vcc, v92, v80
	v_add_u32_e32 v4, s8, v4
	v_addc_co_u32_e32 v81, vcc, v93, v81, vcc
	v_ashrrev_i32_e32 v5, 31, v4
	global_store_dwordx2 v[80:81], v[78:79], off
	v_lshlrev_b64 v[78:79], 3, v[4:5]
	v_add_co_u32_e32 v78, vcc, v92, v78
	v_add_u32_e32 v4, s8, v4
	v_addc_co_u32_e32 v79, vcc, v93, v79, vcc
	v_ashrrev_i32_e32 v5, 31, v4
	global_store_dwordx2 v[78:79], v[76:77], off
	;; [unrolled: 6-line block ×37, first 2 shown]
	v_lshlrev_b64 v[6:7], 3, v[4:5]
	v_add_co_u32_e32 v6, vcc, v92, v6
	v_addc_co_u32_e32 v7, vcc, v93, v7, vcc
	global_store_dwordx2 v[6:7], v[0:1], off
	v_add_u32_e32 v0, s8, v4
	v_ashrrev_i32_e32 v1, 31, v0
	v_lshlrev_b64 v[0:1], 3, v[0:1]
	v_add_co_u32_e32 v0, vcc, v92, v0
	v_addc_co_u32_e32 v1, vcc, v93, v1, vcc
	global_store_dwordx2 v[0:1], v[2:3], off
.LBB80_694:
	s_endpgm
	.section	.rodata,"a",@progbits
	.p2align	6, 0x0
	.amdhsa_kernel _ZN9rocsolver6v33100L18getf2_small_kernelILi41EdiiPKPdEEvT1_T3_lS5_lPS5_llPT2_S5_S5_S7_l
		.amdhsa_group_segment_fixed_size 0
		.amdhsa_private_segment_fixed_size 0
		.amdhsa_kernarg_size 352
		.amdhsa_user_sgpr_count 6
		.amdhsa_user_sgpr_private_segment_buffer 1
		.amdhsa_user_sgpr_dispatch_ptr 0
		.amdhsa_user_sgpr_queue_ptr 0
		.amdhsa_user_sgpr_kernarg_segment_ptr 1
		.amdhsa_user_sgpr_dispatch_id 0
		.amdhsa_user_sgpr_flat_scratch_init 0
		.amdhsa_user_sgpr_kernarg_preload_length 0
		.amdhsa_user_sgpr_kernarg_preload_offset 0
		.amdhsa_user_sgpr_private_segment_size 0
		.amdhsa_uses_dynamic_stack 0
		.amdhsa_system_sgpr_private_segment_wavefront_offset 0
		.amdhsa_system_sgpr_workgroup_id_x 1
		.amdhsa_system_sgpr_workgroup_id_y 1
		.amdhsa_system_sgpr_workgroup_id_z 0
		.amdhsa_system_sgpr_workgroup_info 0
		.amdhsa_system_vgpr_workitem_id 1
		.amdhsa_next_free_vgpr 142
		.amdhsa_next_free_sgpr 22
		.amdhsa_accum_offset 144
		.amdhsa_reserve_vcc 1
		.amdhsa_reserve_flat_scratch 0
		.amdhsa_float_round_mode_32 0
		.amdhsa_float_round_mode_16_64 0
		.amdhsa_float_denorm_mode_32 3
		.amdhsa_float_denorm_mode_16_64 3
		.amdhsa_dx10_clamp 1
		.amdhsa_ieee_mode 1
		.amdhsa_fp16_overflow 0
		.amdhsa_tg_split 0
		.amdhsa_exception_fp_ieee_invalid_op 0
		.amdhsa_exception_fp_denorm_src 0
		.amdhsa_exception_fp_ieee_div_zero 0
		.amdhsa_exception_fp_ieee_overflow 0
		.amdhsa_exception_fp_ieee_underflow 0
		.amdhsa_exception_fp_ieee_inexact 0
		.amdhsa_exception_int_div_zero 0
	.end_amdhsa_kernel
	.section	.text._ZN9rocsolver6v33100L18getf2_small_kernelILi41EdiiPKPdEEvT1_T3_lS5_lPS5_llPT2_S5_S5_S7_l,"axG",@progbits,_ZN9rocsolver6v33100L18getf2_small_kernelILi41EdiiPKPdEEvT1_T3_lS5_lPS5_llPT2_S5_S5_S7_l,comdat
.Lfunc_end80:
	.size	_ZN9rocsolver6v33100L18getf2_small_kernelILi41EdiiPKPdEEvT1_T3_lS5_lPS5_llPT2_S5_S5_S7_l, .Lfunc_end80-_ZN9rocsolver6v33100L18getf2_small_kernelILi41EdiiPKPdEEvT1_T3_lS5_lPS5_llPT2_S5_S5_S7_l
                                        ; -- End function
	.section	.AMDGPU.csdata,"",@progbits
; Kernel info:
; codeLenInByte = 36100
; NumSgprs: 26
; NumVgprs: 142
; NumAgprs: 0
; TotalNumVgprs: 142
; ScratchSize: 0
; MemoryBound: 0
; FloatMode: 240
; IeeeMode: 1
; LDSByteSize: 0 bytes/workgroup (compile time only)
; SGPRBlocks: 3
; VGPRBlocks: 17
; NumSGPRsForWavesPerEU: 26
; NumVGPRsForWavesPerEU: 142
; AccumOffset: 144
; Occupancy: 3
; WaveLimiterHint : 1
; COMPUTE_PGM_RSRC2:SCRATCH_EN: 0
; COMPUTE_PGM_RSRC2:USER_SGPR: 6
; COMPUTE_PGM_RSRC2:TRAP_HANDLER: 0
; COMPUTE_PGM_RSRC2:TGID_X_EN: 1
; COMPUTE_PGM_RSRC2:TGID_Y_EN: 1
; COMPUTE_PGM_RSRC2:TGID_Z_EN: 0
; COMPUTE_PGM_RSRC2:TIDIG_COMP_CNT: 1
; COMPUTE_PGM_RSRC3_GFX90A:ACCUM_OFFSET: 35
; COMPUTE_PGM_RSRC3_GFX90A:TG_SPLIT: 0
	.section	.text._ZN9rocsolver6v33100L23getf2_npvt_small_kernelILi41EdiiPKPdEEvT1_T3_lS5_lPT2_S5_S5_,"axG",@progbits,_ZN9rocsolver6v33100L23getf2_npvt_small_kernelILi41EdiiPKPdEEvT1_T3_lS5_lPT2_S5_S5_,comdat
	.globl	_ZN9rocsolver6v33100L23getf2_npvt_small_kernelILi41EdiiPKPdEEvT1_T3_lS5_lPT2_S5_S5_ ; -- Begin function _ZN9rocsolver6v33100L23getf2_npvt_small_kernelILi41EdiiPKPdEEvT1_T3_lS5_lPT2_S5_S5_
	.p2align	8
	.type	_ZN9rocsolver6v33100L23getf2_npvt_small_kernelILi41EdiiPKPdEEvT1_T3_lS5_lPT2_S5_S5_,@function
_ZN9rocsolver6v33100L23getf2_npvt_small_kernelILi41EdiiPKPdEEvT1_T3_lS5_lPT2_S5_S5_: ; @_ZN9rocsolver6v33100L23getf2_npvt_small_kernelILi41EdiiPKPdEEvT1_T3_lS5_lPT2_S5_S5_
; %bb.0:
	s_mov_b64 s[18:19], s[2:3]
	s_mov_b64 s[16:17], s[0:1]
	s_add_u32 s16, s16, s8
	s_load_dword s0, s[4:5], 0x44
	s_load_dwordx2 s[8:9], s[4:5], 0x30
	s_addc_u32 s17, s17, 0
	v_bfe_u32 v166, v0, 10, 10
	s_waitcnt lgkmcnt(0)
	s_lshr_b32 s6, s0, 16
	s_mul_i32 s7, s7, s6
	v_add_u32_e32 v2, s7, v166
	v_cmp_gt_i32_e32 vcc, s8, v2
	s_and_saveexec_b64 s[0:1], vcc
	s_cbranch_execz .LBB81_208
; %bb.1:
	s_load_dwordx4 s[12:15], s[4:5], 0x8
	s_load_dword s0, s[4:5], 0x18
	v_ashrrev_i32_e32 v3, 31, v2
	v_lshlrev_b64 v[4:5], 3, v[2:3]
	v_and_b32_e32 v248, 0x3ff, v0
	s_waitcnt lgkmcnt(0)
	v_mov_b32_e32 v1, s13
	v_add_co_u32_e32 v4, vcc, s12, v4
	v_addc_co_u32_e32 v5, vcc, v1, v5, vcc
	global_load_dwordx2 v[4:5], v[4:5], off
	s_add_i32 s1, s0, s0
	s_lshl_b64 s[2:3], s[14:15], 3
	v_add_u32_e32 v0, s1, v248
	v_mov_b32_e32 v25, s3
	v_ashrrev_i32_e32 v1, 31, v0
	v_add_u32_e32 v6, s0, v0
	v_lshlrev_b64 v[0:1], 3, v[0:1]
	v_ashrrev_i32_e32 v7, 31, v6
	v_add_u32_e32 v8, s0, v6
	v_lshlrev_b64 v[6:7], 3, v[6:7]
	;; [unrolled: 3-line block ×10, first 2 shown]
	v_add_u32_e32 v26, s0, v24
	v_ashrrev_i32_e32 v27, 31, v26
	v_add_u32_e32 v28, s0, v26
	v_ashrrev_i32_e32 v29, 31, v28
	;; [unrolled: 2-line block ×22, first 2 shown]
	v_add_u32_e32 v70, s0, v68
	s_waitcnt vmcnt(0)
	v_add_co_u32_e32 v80, vcc, s2, v4
	v_addc_co_u32_e32 v81, vcc, v5, v25, vcc
	v_add_co_u32_e32 v0, vcc, v80, v0
	v_addc_co_u32_e32 v1, vcc, v81, v1, vcc
	;; [unrolled: 2-line block ×10, first 2 shown]
	v_add_co_u32_e32 v20, vcc, v80, v22
	v_ashrrev_i32_e32 v25, 31, v24
	v_addc_co_u32_e32 v21, vcc, v81, v23, vcc
	v_lshlrev_b64 v[22:23], 3, v[24:25]
	v_add_co_u32_e32 v22, vcc, v80, v22
	v_addc_co_u32_e32 v23, vcc, v81, v23, vcc
	v_lshlrev_b64 v[24:25], 3, v[26:27]
	v_add_co_u32_e32 v24, vcc, v80, v24
	v_addc_co_u32_e32 v25, vcc, v81, v25, vcc
	v_lshlrev_b64 v[26:27], 3, v[28:29]
	v_add_co_u32_e32 v26, vcc, v80, v26
	v_addc_co_u32_e32 v27, vcc, v81, v27, vcc
	v_lshlrev_b64 v[28:29], 3, v[30:31]
	v_add_co_u32_e32 v28, vcc, v80, v28
	v_addc_co_u32_e32 v29, vcc, v81, v29, vcc
	v_lshlrev_b64 v[30:31], 3, v[32:33]
	v_add_co_u32_e32 v30, vcc, v80, v30
	v_addc_co_u32_e32 v31, vcc, v81, v31, vcc
	v_lshlrev_b64 v[32:33], 3, v[34:35]
	v_add_co_u32_e32 v32, vcc, v80, v32
	v_addc_co_u32_e32 v33, vcc, v81, v33, vcc
	v_lshlrev_b64 v[34:35], 3, v[36:37]
	v_add_co_u32_e32 v34, vcc, v80, v34
	v_addc_co_u32_e32 v35, vcc, v81, v35, vcc
	v_lshlrev_b64 v[36:37], 3, v[38:39]
	v_add_co_u32_e32 v36, vcc, v80, v36
	v_addc_co_u32_e32 v37, vcc, v81, v37, vcc
	v_lshlrev_b64 v[38:39], 3, v[40:41]
	v_add_co_u32_e32 v38, vcc, v80, v38
	v_addc_co_u32_e32 v39, vcc, v81, v39, vcc
	v_lshlrev_b64 v[40:41], 3, v[42:43]
	v_add_co_u32_e32 v40, vcc, v80, v40
	v_addc_co_u32_e32 v41, vcc, v81, v41, vcc
	v_lshlrev_b64 v[42:43], 3, v[44:45]
	v_add_co_u32_e32 v42, vcc, v80, v42
	v_addc_co_u32_e32 v43, vcc, v81, v43, vcc
	v_lshlrev_b64 v[44:45], 3, v[46:47]
	v_add_co_u32_e32 v44, vcc, v80, v44
	v_addc_co_u32_e32 v45, vcc, v81, v45, vcc
	v_lshlrev_b64 v[46:47], 3, v[48:49]
	v_add_co_u32_e32 v46, vcc, v80, v46
	v_addc_co_u32_e32 v47, vcc, v81, v47, vcc
	v_lshlrev_b64 v[48:49], 3, v[50:51]
	v_add_co_u32_e32 v48, vcc, v80, v48
	v_addc_co_u32_e32 v49, vcc, v81, v49, vcc
	v_lshlrev_b64 v[50:51], 3, v[52:53]
	v_add_co_u32_e32 v50, vcc, v80, v50
	v_addc_co_u32_e32 v51, vcc, v81, v51, vcc
	v_lshlrev_b64 v[52:53], 3, v[54:55]
	v_add_co_u32_e32 v52, vcc, v80, v52
	v_addc_co_u32_e32 v53, vcc, v81, v53, vcc
	v_lshlrev_b64 v[54:55], 3, v[56:57]
	v_add_co_u32_e32 v54, vcc, v80, v54
	v_addc_co_u32_e32 v55, vcc, v81, v55, vcc
	v_lshlrev_b64 v[56:57], 3, v[58:59]
	v_add_co_u32_e32 v56, vcc, v80, v56
	v_addc_co_u32_e32 v57, vcc, v81, v57, vcc
	v_lshlrev_b64 v[58:59], 3, v[60:61]
	v_add_co_u32_e32 v58, vcc, v80, v58
	v_addc_co_u32_e32 v59, vcc, v81, v59, vcc
	v_lshlrev_b64 v[60:61], 3, v[62:63]
	v_add_co_u32_e32 v60, vcc, v80, v60
	v_addc_co_u32_e32 v61, vcc, v81, v61, vcc
	v_lshlrev_b64 v[62:63], 3, v[64:65]
	v_add_co_u32_e32 v62, vcc, v80, v62
	v_addc_co_u32_e32 v63, vcc, v81, v63, vcc
	v_lshlrev_b64 v[64:65], 3, v[66:67]
	v_add_co_u32_e32 v64, vcc, v80, v64
	v_addc_co_u32_e32 v65, vcc, v81, v65, vcc
	v_lshlrev_b64 v[66:67], 3, v[68:69]
	v_add_co_u32_e32 v66, vcc, v80, v66
	v_ashrrev_i32_e32 v71, 31, v70
	v_addc_co_u32_e32 v67, vcc, v81, v67, vcc
	v_lshlrev_b64 v[68:69], 3, v[70:71]
	v_add_u32_e32 v72, s0, v70
	v_add_co_u32_e32 v68, vcc, v80, v68
	v_ashrrev_i32_e32 v73, 31, v72
	v_addc_co_u32_e32 v69, vcc, v81, v69, vcc
	v_lshlrev_b64 v[70:71], 3, v[72:73]
	v_add_u32_e32 v74, s0, v72
	v_add_co_u32_e32 v70, vcc, v80, v70
	;; [unrolled: 5-line block ×5, first 2 shown]
	v_ashrrev_i32_e32 v79, 31, v78
	v_addc_co_u32_e32 v77, vcc, v81, v77, vcc
	v_lshlrev_b64 v[78:79], 3, v[78:79]
	v_add_co_u32_e32 v78, vcc, v80, v78
	v_addc_co_u32_e32 v79, vcc, v81, v79, vcc
	v_lshlrev_b32_e32 v82, 3, v248
	v_add_co_u32_e32 v80, vcc, v80, v82
	s_ashr_i32 s1, s0, 31
	v_addc_co_u32_e32 v81, vcc, 0, v81, vcc
	s_lshl_b64 s[0:1], s[0:1], 3
	v_mov_b32_e32 v83, s1
	v_add_co_u32_e32 v82, vcc, s0, v80
	v_addc_co_u32_e32 v83, vcc, v81, v83, vcc
	global_load_dwordx2 v[84:85], v[80:81], off
	global_load_dwordx2 v[124:125], v[82:83], off
	s_nop 0
	buffer_store_dword v0, off, s[16:19], 0 ; 4-byte Folded Spill
	s_nop 0
	buffer_store_dword v1, off, s[16:19], 0 offset:4 ; 4-byte Folded Spill
	global_load_dwordx2 v[162:163], v[0:1], off
	global_load_dwordx2 v[122:123], v[4:5], off
	;; [unrolled: 1-line block ×39, first 2 shown]
	s_mulk_i32 s6, 0x148
	s_movk_i32 s0, 0x148
	s_add_i32 s1, s6, 0
	v_mad_u32_u24 v247, v166, s0, 0
	v_lshl_add_u32 v246, v166, 3, s1
	v_cmp_ne_u32_e64 s[2:3], 0, v248
	v_cmp_eq_u32_e64 s[0:1], 0, v248
	s_and_saveexec_b64 s[6:7], s[0:1]
	s_cbranch_execz .LBB81_4
; %bb.2:
	s_waitcnt vmcnt(42)
	ds_write_b64 v246, v[84:85]
	s_waitcnt vmcnt(38)
	ds_write2_b64 v247, v[124:125], v[162:163] offset0:1 offset1:2
	s_waitcnt vmcnt(36)
	ds_write2_b64 v247, v[122:123], v[160:161] offset0:3 offset1:4
	;; [unrolled: 2-line block ×20, first 2 shown]
	ds_read_b64 v[166:167], v246
	s_waitcnt lgkmcnt(0)
	v_cmp_neq_f64_e32 vcc, 0, v[166:167]
	s_and_b64 exec, exec, vcc
	s_cbranch_execz .LBB81_4
; %bb.3:
	v_div_scale_f64 v[168:169], s[10:11], v[166:167], v[166:167], 1.0
	v_rcp_f64_e32 v[170:171], v[168:169]
	v_div_scale_f64 v[172:173], vcc, 1.0, v[166:167], 1.0
	v_fma_f64 v[174:175], -v[168:169], v[170:171], 1.0
	v_fmac_f64_e32 v[170:171], v[170:171], v[174:175]
	v_fma_f64 v[174:175], -v[168:169], v[170:171], 1.0
	v_fmac_f64_e32 v[170:171], v[170:171], v[174:175]
	v_mul_f64 v[174:175], v[172:173], v[170:171]
	v_fma_f64 v[168:169], -v[168:169], v[174:175], v[172:173]
	v_div_fmas_f64 v[168:169], v[168:169], v[170:171], v[174:175]
	v_div_fixup_f64 v[166:167], v[168:169], v[166:167], 1.0
	ds_write_b64 v246, v[166:167]
.LBB81_4:
	s_or_b64 exec, exec, s[6:7]
	s_waitcnt lgkmcnt(0)
	s_barrier
	ds_read_b64 v[254:255], v246
	s_and_saveexec_b64 s[6:7], s[2:3]
	s_cbranch_execz .LBB81_6
; %bb.5:
	ds_read2_b64 v[168:171], v247 offset0:1 offset1:2
	ds_read2_b64 v[172:175], v247 offset0:3 offset1:4
	s_waitcnt vmcnt(42) lgkmcnt(2)
	v_mul_f64 v[84:85], v[254:255], v[84:85]
	ds_read2_b64 v[176:179], v247 offset0:5 offset1:6
	s_waitcnt vmcnt(41) lgkmcnt(2)
	v_fma_f64 v[124:125], -v[84:85], v[168:169], v[124:125]
	s_waitcnt vmcnt(38)
	v_fma_f64 v[162:163], -v[84:85], v[170:171], v[162:163]
	ds_read2_b64 v[168:171], v247 offset0:7 offset1:8
	s_waitcnt vmcnt(37) lgkmcnt(2)
	v_fma_f64 v[122:123], -v[84:85], v[172:173], v[122:123]
	s_waitcnt vmcnt(36)
	v_fma_f64 v[160:161], -v[84:85], v[174:175], v[160:161]
	;; [unrolled: 5-line block ×4, first 2 shown]
	s_waitcnt vmcnt(31) lgkmcnt(1)
	v_fma_f64 v[116:117], -v[84:85], v[172:173], v[116:117]
	ds_read2_b64 v[168:171], v247 offset0:13 offset1:14
	s_waitcnt vmcnt(30)
	v_fma_f64 v[154:155], -v[84:85], v[174:175], v[154:155]
	ds_read2_b64 v[172:175], v247 offset0:15 offset1:16
	s_waitcnt vmcnt(29) lgkmcnt(2)
	v_fma_f64 v[114:115], -v[84:85], v[176:177], v[114:115]
	s_waitcnt vmcnt(28)
	v_fma_f64 v[152:153], -v[84:85], v[178:179], v[152:153]
	s_waitcnt vmcnt(27) lgkmcnt(1)
	v_fma_f64 v[112:113], -v[84:85], v[168:169], v[112:113]
	ds_read2_b64 v[176:179], v247 offset0:17 offset1:18
	s_waitcnt vmcnt(26)
	v_fma_f64 v[150:151], -v[84:85], v[170:171], v[150:151]
	ds_read2_b64 v[168:171], v247 offset0:19 offset1:20
	s_waitcnt vmcnt(25) lgkmcnt(2)
	v_fma_f64 v[110:111], -v[84:85], v[172:173], v[110:111]
	s_waitcnt vmcnt(24)
	v_fma_f64 v[148:149], -v[84:85], v[174:175], v[148:149]
	ds_read2_b64 v[172:175], v247 offset0:21 offset1:22
	s_waitcnt vmcnt(23) lgkmcnt(2)
	v_fma_f64 v[108:109], -v[84:85], v[176:177], v[108:109]
	;; [unrolled: 5-line block ×3, first 2 shown]
	s_waitcnt vmcnt(20)
	v_fma_f64 v[144:145], -v[84:85], v[170:171], v[144:145]
	s_waitcnt vmcnt(19) lgkmcnt(1)
	v_fma_f64 v[104:105], -v[84:85], v[172:173], v[104:105]
	ds_read2_b64 v[168:171], v247 offset0:25 offset1:26
	s_waitcnt vmcnt(18)
	v_fma_f64 v[142:143], -v[84:85], v[174:175], v[142:143]
	ds_read2_b64 v[172:175], v247 offset0:27 offset1:28
	s_waitcnt vmcnt(17) lgkmcnt(2)
	v_fma_f64 v[102:103], -v[84:85], v[176:177], v[102:103]
	s_waitcnt vmcnt(16)
	v_fma_f64 v[140:141], -v[84:85], v[178:179], v[140:141]
	s_waitcnt vmcnt(15) lgkmcnt(1)
	v_fma_f64 v[100:101], -v[84:85], v[168:169], v[100:101]
	ds_read2_b64 v[176:179], v247 offset0:29 offset1:30
	s_waitcnt vmcnt(14)
	v_fma_f64 v[138:139], -v[84:85], v[170:171], v[138:139]
	ds_read2_b64 v[168:171], v247 offset0:31 offset1:32
	s_waitcnt vmcnt(13) lgkmcnt(2)
	v_fma_f64 v[98:99], -v[84:85], v[172:173], v[98:99]
	s_waitcnt vmcnt(12)
	v_fma_f64 v[136:137], -v[84:85], v[174:175], v[136:137]
	ds_read2_b64 v[172:175], v247 offset0:33 offset1:34
	s_waitcnt vmcnt(11) lgkmcnt(2)
	v_fma_f64 v[96:97], -v[84:85], v[176:177], v[96:97]
	s_waitcnt vmcnt(10)
	v_fma_f64 v[134:135], -v[84:85], v[178:179], v[134:135]
	s_waitcnt vmcnt(9) lgkmcnt(1)
	v_fma_f64 v[94:95], -v[84:85], v[168:169], v[94:95]
	s_waitcnt vmcnt(8)
	v_fma_f64 v[132:133], -v[84:85], v[170:171], v[132:133]
	ds_read2_b64 v[168:171], v247 offset0:35 offset1:36
	s_waitcnt vmcnt(7) lgkmcnt(1)
	v_fma_f64 v[92:93], -v[84:85], v[172:173], v[92:93]
	ds_read2_b64 v[176:179], v247 offset0:37 offset1:38
	s_waitcnt vmcnt(6)
	v_fma_f64 v[130:131], -v[84:85], v[174:175], v[130:131]
	ds_read2_b64 v[172:175], v247 offset0:39 offset1:40
	s_waitcnt vmcnt(5) lgkmcnt(2)
	v_fma_f64 v[90:91], -v[84:85], v[168:169], v[90:91]
	s_waitcnt vmcnt(4)
	v_fma_f64 v[128:129], -v[84:85], v[170:171], v[128:129]
	s_waitcnt vmcnt(3) lgkmcnt(1)
	v_fma_f64 v[88:89], -v[84:85], v[176:177], v[88:89]
	s_waitcnt vmcnt(2)
	v_fma_f64 v[126:127], -v[84:85], v[178:179], v[126:127]
	;; [unrolled: 4-line block ×3, first 2 shown]
.LBB81_6:
	s_or_b64 exec, exec, s[6:7]
	v_cmp_eq_u32_e32 vcc, 1, v248
	s_waitcnt lgkmcnt(0)
	s_barrier
	s_and_saveexec_b64 s[2:3], vcc
	s_cbranch_execz .LBB81_9
; %bb.7:
	s_waitcnt vmcnt(38)
	v_mov_b32_e32 v168, v162
	v_mov_b32_e32 v169, v163
	s_waitcnt vmcnt(37)
	v_mov_b32_e32 v170, v122
	v_mov_b32_e32 v171, v123
	ds_write_b64 v246, v[124:125]
	ds_write2_b64 v247, v[168:169], v[170:171] offset0:2 offset1:3
	s_waitcnt vmcnt(36)
	v_mov_b32_e32 v168, v160
	v_mov_b32_e32 v169, v161
	s_waitcnt vmcnt(35)
	v_mov_b32_e32 v170, v120
	v_mov_b32_e32 v171, v121
	ds_write2_b64 v247, v[168:169], v[170:171] offset0:4 offset1:5
	s_waitcnt vmcnt(34)
	v_mov_b32_e32 v168, v158
	v_mov_b32_e32 v169, v159
	s_waitcnt vmcnt(33)
	v_mov_b32_e32 v170, v118
	v_mov_b32_e32 v171, v119
	;; [unrolled: 7-line block ×18, first 2 shown]
	ds_write2_b64 v247, v[168:169], v[170:171] offset0:38 offset1:39
	s_waitcnt vmcnt(0)
	ds_write_b64 v247, v[164:165] offset:320
	ds_read_b64 v[168:169], v246
	s_waitcnt lgkmcnt(0)
	v_cmp_neq_f64_e32 vcc, 0, v[168:169]
	s_and_b64 exec, exec, vcc
	s_cbranch_execz .LBB81_9
; %bb.8:
	v_div_scale_f64 v[170:171], s[6:7], v[168:169], v[168:169], 1.0
	v_rcp_f64_e32 v[172:173], v[170:171]
	v_div_scale_f64 v[174:175], vcc, 1.0, v[168:169], 1.0
	v_fma_f64 v[176:177], -v[170:171], v[172:173], 1.0
	v_fmac_f64_e32 v[172:173], v[172:173], v[176:177]
	v_fma_f64 v[176:177], -v[170:171], v[172:173], 1.0
	v_fmac_f64_e32 v[172:173], v[172:173], v[176:177]
	v_mul_f64 v[176:177], v[174:175], v[172:173]
	v_fma_f64 v[170:171], -v[170:171], v[176:177], v[174:175]
	v_div_fmas_f64 v[170:171], v[170:171], v[172:173], v[176:177]
	v_div_fixup_f64 v[168:169], v[170:171], v[168:169], 1.0
	ds_write_b64 v246, v[168:169]
.LBB81_9:
	s_or_b64 exec, exec, s[2:3]
	s_waitcnt lgkmcnt(0)
	s_barrier
	ds_read_b64 v[168:169], v246
	v_cmp_lt_u32_e32 vcc, 1, v248
	s_and_saveexec_b64 s[2:3], vcc
	s_cbranch_execz .LBB81_11
; %bb.10:
	ds_read2_b64 v[170:173], v247 offset0:2 offset1:3
	ds_read2_b64 v[174:177], v247 offset0:4 offset1:5
	s_waitcnt vmcnt(41) lgkmcnt(2)
	v_mul_f64 v[124:125], v[168:169], v[124:125]
	ds_read2_b64 v[178:181], v247 offset0:6 offset1:7
	s_waitcnt vmcnt(38) lgkmcnt(2)
	v_fma_f64 v[162:163], -v[124:125], v[170:171], v[162:163]
	s_waitcnt vmcnt(37)
	v_fma_f64 v[122:123], -v[124:125], v[172:173], v[122:123]
	ds_read2_b64 v[170:173], v247 offset0:8 offset1:9
	s_waitcnt vmcnt(36) lgkmcnt(2)
	v_fma_f64 v[160:161], -v[124:125], v[174:175], v[160:161]
	s_waitcnt vmcnt(35)
	v_fma_f64 v[120:121], -v[124:125], v[176:177], v[120:121]
	;; [unrolled: 5-line block ×4, first 2 shown]
	s_waitcnt vmcnt(30) lgkmcnt(1)
	v_fma_f64 v[154:155], -v[124:125], v[174:175], v[154:155]
	ds_read2_b64 v[170:173], v247 offset0:14 offset1:15
	s_waitcnt vmcnt(29)
	v_fma_f64 v[114:115], -v[124:125], v[176:177], v[114:115]
	ds_read2_b64 v[174:177], v247 offset0:16 offset1:17
	s_waitcnt vmcnt(28) lgkmcnt(2)
	v_fma_f64 v[152:153], -v[124:125], v[178:179], v[152:153]
	s_waitcnt vmcnt(27)
	v_fma_f64 v[112:113], -v[124:125], v[180:181], v[112:113]
	s_waitcnt vmcnt(26) lgkmcnt(1)
	v_fma_f64 v[150:151], -v[124:125], v[170:171], v[150:151]
	ds_read2_b64 v[178:181], v247 offset0:18 offset1:19
	s_waitcnt vmcnt(25)
	v_fma_f64 v[110:111], -v[124:125], v[172:173], v[110:111]
	ds_read2_b64 v[170:173], v247 offset0:20 offset1:21
	s_waitcnt vmcnt(24) lgkmcnt(2)
	v_fma_f64 v[148:149], -v[124:125], v[174:175], v[148:149]
	s_waitcnt vmcnt(23)
	v_fma_f64 v[108:109], -v[124:125], v[176:177], v[108:109]
	ds_read2_b64 v[174:177], v247 offset0:22 offset1:23
	s_waitcnt vmcnt(22) lgkmcnt(2)
	v_fma_f64 v[146:147], -v[124:125], v[178:179], v[146:147]
	s_waitcnt vmcnt(21)
	v_fma_f64 v[106:107], -v[124:125], v[180:181], v[106:107]
	ds_read2_b64 v[178:181], v247 offset0:24 offset1:25
	s_waitcnt vmcnt(20) lgkmcnt(2)
	v_fma_f64 v[144:145], -v[124:125], v[170:171], v[144:145]
	s_waitcnt vmcnt(19)
	v_fma_f64 v[104:105], -v[124:125], v[172:173], v[104:105]
	s_waitcnt vmcnt(18) lgkmcnt(1)
	v_fma_f64 v[142:143], -v[124:125], v[174:175], v[142:143]
	ds_read2_b64 v[170:173], v247 offset0:26 offset1:27
	s_waitcnt vmcnt(17)
	v_fma_f64 v[102:103], -v[124:125], v[176:177], v[102:103]
	ds_read2_b64 v[174:177], v247 offset0:28 offset1:29
	s_waitcnt vmcnt(16) lgkmcnt(2)
	v_fma_f64 v[140:141], -v[124:125], v[178:179], v[140:141]
	s_waitcnt vmcnt(15)
	v_fma_f64 v[100:101], -v[124:125], v[180:181], v[100:101]
	s_waitcnt vmcnt(14) lgkmcnt(1)
	v_fma_f64 v[138:139], -v[124:125], v[170:171], v[138:139]
	ds_read2_b64 v[178:181], v247 offset0:30 offset1:31
	s_waitcnt vmcnt(13)
	v_fma_f64 v[98:99], -v[124:125], v[172:173], v[98:99]
	ds_read2_b64 v[170:173], v247 offset0:32 offset1:33
	s_waitcnt vmcnt(12) lgkmcnt(2)
	v_fma_f64 v[136:137], -v[124:125], v[174:175], v[136:137]
	s_waitcnt vmcnt(11)
	v_fma_f64 v[96:97], -v[124:125], v[176:177], v[96:97]
	ds_read2_b64 v[174:177], v247 offset0:34 offset1:35
	s_waitcnt vmcnt(10) lgkmcnt(2)
	v_fma_f64 v[134:135], -v[124:125], v[178:179], v[134:135]
	s_waitcnt vmcnt(9)
	v_fma_f64 v[94:95], -v[124:125], v[180:181], v[94:95]
	s_waitcnt vmcnt(8) lgkmcnt(1)
	v_fma_f64 v[132:133], -v[124:125], v[170:171], v[132:133]
	s_waitcnt vmcnt(7)
	v_fma_f64 v[92:93], -v[124:125], v[172:173], v[92:93]
	ds_read2_b64 v[170:173], v247 offset0:36 offset1:37
	s_waitcnt vmcnt(6) lgkmcnt(1)
	v_fma_f64 v[130:131], -v[124:125], v[174:175], v[130:131]
	ds_read2_b64 v[178:181], v247 offset0:38 offset1:39
	ds_read_b64 v[174:175], v247 offset:320
	s_waitcnt vmcnt(5)
	v_fma_f64 v[90:91], -v[124:125], v[176:177], v[90:91]
	s_waitcnt vmcnt(4) lgkmcnt(2)
	v_fma_f64 v[128:129], -v[124:125], v[170:171], v[128:129]
	s_waitcnt vmcnt(3)
	v_fma_f64 v[88:89], -v[124:125], v[172:173], v[88:89]
	s_waitcnt vmcnt(2) lgkmcnt(1)
	v_fma_f64 v[126:127], -v[124:125], v[178:179], v[126:127]
	;; [unrolled: 4-line block ×3, first 2 shown]
.LBB81_11:
	s_or_b64 exec, exec, s[2:3]
	v_cmp_eq_u32_e32 vcc, 2, v248
	s_waitcnt lgkmcnt(0)
	s_barrier
	s_and_saveexec_b64 s[2:3], vcc
	s_cbranch_execz .LBB81_14
; %bb.12:
	s_waitcnt vmcnt(38)
	ds_write_b64 v246, v[162:163]
	s_waitcnt vmcnt(36)
	ds_write2_b64 v247, v[122:123], v[160:161] offset0:3 offset1:4
	s_waitcnt vmcnt(34)
	ds_write2_b64 v247, v[120:121], v[158:159] offset0:5 offset1:6
	s_waitcnt vmcnt(32)
	ds_write2_b64 v247, v[118:119], v[156:157] offset0:7 offset1:8
	s_waitcnt vmcnt(30)
	ds_write2_b64 v247, v[116:117], v[154:155] offset0:9 offset1:10
	s_waitcnt vmcnt(28)
	ds_write2_b64 v247, v[114:115], v[152:153] offset0:11 offset1:12
	s_waitcnt vmcnt(26)
	ds_write2_b64 v247, v[112:113], v[150:151] offset0:13 offset1:14
	s_waitcnt vmcnt(24)
	ds_write2_b64 v247, v[110:111], v[148:149] offset0:15 offset1:16
	s_waitcnt vmcnt(22)
	ds_write2_b64 v247, v[108:109], v[146:147] offset0:17 offset1:18
	s_waitcnt vmcnt(20)
	ds_write2_b64 v247, v[106:107], v[144:145] offset0:19 offset1:20
	s_waitcnt vmcnt(18)
	ds_write2_b64 v247, v[104:105], v[142:143] offset0:21 offset1:22
	s_waitcnt vmcnt(16)
	ds_write2_b64 v247, v[102:103], v[140:141] offset0:23 offset1:24
	s_waitcnt vmcnt(14)
	ds_write2_b64 v247, v[100:101], v[138:139] offset0:25 offset1:26
	s_waitcnt vmcnt(12)
	ds_write2_b64 v247, v[98:99], v[136:137] offset0:27 offset1:28
	s_waitcnt vmcnt(10)
	ds_write2_b64 v247, v[96:97], v[134:135] offset0:29 offset1:30
	s_waitcnt vmcnt(8)
	ds_write2_b64 v247, v[94:95], v[132:133] offset0:31 offset1:32
	s_waitcnt vmcnt(6)
	ds_write2_b64 v247, v[92:93], v[130:131] offset0:33 offset1:34
	s_waitcnt vmcnt(4)
	ds_write2_b64 v247, v[90:91], v[128:129] offset0:35 offset1:36
	s_waitcnt vmcnt(2)
	ds_write2_b64 v247, v[88:89], v[126:127] offset0:37 offset1:38
	s_waitcnt vmcnt(0)
	ds_write2_b64 v247, v[86:87], v[164:165] offset0:39 offset1:40
	ds_read_b64 v[170:171], v246
	s_waitcnt lgkmcnt(0)
	v_cmp_neq_f64_e32 vcc, 0, v[170:171]
	s_and_b64 exec, exec, vcc
	s_cbranch_execz .LBB81_14
; %bb.13:
	v_div_scale_f64 v[172:173], s[6:7], v[170:171], v[170:171], 1.0
	v_rcp_f64_e32 v[174:175], v[172:173]
	v_div_scale_f64 v[176:177], vcc, 1.0, v[170:171], 1.0
	v_fma_f64 v[178:179], -v[172:173], v[174:175], 1.0
	v_fmac_f64_e32 v[174:175], v[174:175], v[178:179]
	v_fma_f64 v[178:179], -v[172:173], v[174:175], 1.0
	v_fmac_f64_e32 v[174:175], v[174:175], v[178:179]
	v_mul_f64 v[178:179], v[176:177], v[174:175]
	v_fma_f64 v[172:173], -v[172:173], v[178:179], v[176:177]
	v_div_fmas_f64 v[172:173], v[172:173], v[174:175], v[178:179]
	v_div_fixup_f64 v[170:171], v[172:173], v[170:171], 1.0
	ds_write_b64 v246, v[170:171]
.LBB81_14:
	s_or_b64 exec, exec, s[2:3]
	s_waitcnt lgkmcnt(0)
	s_barrier
	ds_read_b64 v[170:171], v246
	v_cmp_lt_u32_e32 vcc, 2, v248
	s_and_saveexec_b64 s[2:3], vcc
	s_cbranch_execz .LBB81_16
; %bb.15:
	ds_read2_b64 v[172:175], v247 offset0:3 offset1:4
	ds_read2_b64 v[176:179], v247 offset0:5 offset1:6
	s_waitcnt vmcnt(38) lgkmcnt(2)
	v_mul_f64 v[162:163], v[170:171], v[162:163]
	ds_read2_b64 v[180:183], v247 offset0:7 offset1:8
	s_waitcnt vmcnt(37) lgkmcnt(2)
	v_fma_f64 v[122:123], -v[162:163], v[172:173], v[122:123]
	s_waitcnt vmcnt(36)
	v_fma_f64 v[160:161], -v[162:163], v[174:175], v[160:161]
	ds_read2_b64 v[172:175], v247 offset0:9 offset1:10
	s_waitcnt vmcnt(35) lgkmcnt(2)
	v_fma_f64 v[120:121], -v[162:163], v[176:177], v[120:121]
	s_waitcnt vmcnt(34)
	v_fma_f64 v[158:159], -v[162:163], v[178:179], v[158:159]
	s_waitcnt vmcnt(33) lgkmcnt(1)
	v_fma_f64 v[118:119], -v[162:163], v[180:181], v[118:119]
	ds_read2_b64 v[176:179], v247 offset0:11 offset1:12
	s_waitcnt vmcnt(32)
	v_fma_f64 v[156:157], -v[162:163], v[182:183], v[156:157]
	ds_read2_b64 v[180:183], v247 offset0:13 offset1:14
	s_waitcnt vmcnt(31) lgkmcnt(2)
	v_fma_f64 v[116:117], -v[162:163], v[172:173], v[116:117]
	s_waitcnt vmcnt(30)
	v_fma_f64 v[154:155], -v[162:163], v[174:175], v[154:155]
	ds_read2_b64 v[172:175], v247 offset0:15 offset1:16
	s_waitcnt vmcnt(29) lgkmcnt(2)
	v_fma_f64 v[114:115], -v[162:163], v[176:177], v[114:115]
	;; [unrolled: 5-line block ×3, first 2 shown]
	s_waitcnt vmcnt(26)
	v_fma_f64 v[150:151], -v[162:163], v[182:183], v[150:151]
	s_waitcnt vmcnt(25) lgkmcnt(1)
	v_fma_f64 v[110:111], -v[162:163], v[172:173], v[110:111]
	ds_read2_b64 v[180:183], v247 offset0:19 offset1:20
	s_waitcnt vmcnt(24)
	v_fma_f64 v[148:149], -v[162:163], v[174:175], v[148:149]
	ds_read2_b64 v[172:175], v247 offset0:21 offset1:22
	s_waitcnt vmcnt(23) lgkmcnt(2)
	v_fma_f64 v[108:109], -v[162:163], v[176:177], v[108:109]
	s_waitcnt vmcnt(22)
	v_fma_f64 v[146:147], -v[162:163], v[178:179], v[146:147]
	s_waitcnt vmcnt(21) lgkmcnt(1)
	v_fma_f64 v[106:107], -v[162:163], v[180:181], v[106:107]
	ds_read2_b64 v[176:179], v247 offset0:23 offset1:24
	s_waitcnt vmcnt(20)
	v_fma_f64 v[144:145], -v[162:163], v[182:183], v[144:145]
	ds_read2_b64 v[180:183], v247 offset0:25 offset1:26
	s_waitcnt vmcnt(19) lgkmcnt(2)
	v_fma_f64 v[104:105], -v[162:163], v[172:173], v[104:105]
	s_waitcnt vmcnt(18)
	v_fma_f64 v[142:143], -v[162:163], v[174:175], v[142:143]
	ds_read2_b64 v[172:175], v247 offset0:27 offset1:28
	s_waitcnt vmcnt(17) lgkmcnt(2)
	v_fma_f64 v[102:103], -v[162:163], v[176:177], v[102:103]
	;; [unrolled: 5-line block ×3, first 2 shown]
	s_waitcnt vmcnt(14)
	v_fma_f64 v[138:139], -v[162:163], v[182:183], v[138:139]
	s_waitcnt vmcnt(13) lgkmcnt(1)
	v_fma_f64 v[98:99], -v[162:163], v[172:173], v[98:99]
	ds_read2_b64 v[180:183], v247 offset0:31 offset1:32
	s_waitcnt vmcnt(12)
	v_fma_f64 v[136:137], -v[162:163], v[174:175], v[136:137]
	ds_read2_b64 v[172:175], v247 offset0:33 offset1:34
	s_waitcnt vmcnt(11) lgkmcnt(2)
	v_fma_f64 v[96:97], -v[162:163], v[176:177], v[96:97]
	s_waitcnt vmcnt(10)
	v_fma_f64 v[134:135], -v[162:163], v[178:179], v[134:135]
	s_waitcnt vmcnt(9) lgkmcnt(1)
	v_fma_f64 v[94:95], -v[162:163], v[180:181], v[94:95]
	s_waitcnt vmcnt(8)
	v_fma_f64 v[132:133], -v[162:163], v[182:183], v[132:133]
	ds_read2_b64 v[176:179], v247 offset0:35 offset1:36
	ds_read2_b64 v[180:183], v247 offset0:37 offset1:38
	s_waitcnt vmcnt(7) lgkmcnt(2)
	v_fma_f64 v[92:93], -v[162:163], v[172:173], v[92:93]
	s_waitcnt vmcnt(6)
	v_fma_f64 v[130:131], -v[162:163], v[174:175], v[130:131]
	ds_read2_b64 v[172:175], v247 offset0:39 offset1:40
	s_waitcnt vmcnt(5) lgkmcnt(2)
	v_fma_f64 v[90:91], -v[162:163], v[176:177], v[90:91]
	s_waitcnt vmcnt(4)
	v_fma_f64 v[128:129], -v[162:163], v[178:179], v[128:129]
	s_waitcnt vmcnt(3) lgkmcnt(1)
	v_fma_f64 v[88:89], -v[162:163], v[180:181], v[88:89]
	s_waitcnt vmcnt(2)
	v_fma_f64 v[126:127], -v[162:163], v[182:183], v[126:127]
	;; [unrolled: 4-line block ×3, first 2 shown]
.LBB81_16:
	s_or_b64 exec, exec, s[2:3]
	v_cmp_eq_u32_e32 vcc, 3, v248
	s_waitcnt lgkmcnt(0)
	s_barrier
	s_and_saveexec_b64 s[2:3], vcc
	s_cbranch_execz .LBB81_19
; %bb.17:
	s_waitcnt vmcnt(36)
	v_mov_b32_e32 v172, v160
	v_mov_b32_e32 v173, v161
	s_waitcnt vmcnt(35)
	v_mov_b32_e32 v174, v120
	v_mov_b32_e32 v175, v121
	ds_write_b64 v246, v[122:123]
	ds_write2_b64 v247, v[172:173], v[174:175] offset0:4 offset1:5
	s_waitcnt vmcnt(34)
	v_mov_b32_e32 v172, v158
	v_mov_b32_e32 v173, v159
	s_waitcnt vmcnt(33)
	v_mov_b32_e32 v174, v118
	v_mov_b32_e32 v175, v119
	ds_write2_b64 v247, v[172:173], v[174:175] offset0:6 offset1:7
	s_waitcnt vmcnt(32)
	v_mov_b32_e32 v172, v156
	v_mov_b32_e32 v173, v157
	s_waitcnt vmcnt(31)
	v_mov_b32_e32 v174, v116
	v_mov_b32_e32 v175, v117
	;; [unrolled: 7-line block ×17, first 2 shown]
	ds_write2_b64 v247, v[172:173], v[174:175] offset0:38 offset1:39
	s_waitcnt vmcnt(0)
	ds_write_b64 v247, v[164:165] offset:320
	ds_read_b64 v[172:173], v246
	s_waitcnt lgkmcnt(0)
	v_cmp_neq_f64_e32 vcc, 0, v[172:173]
	s_and_b64 exec, exec, vcc
	s_cbranch_execz .LBB81_19
; %bb.18:
	v_div_scale_f64 v[174:175], s[6:7], v[172:173], v[172:173], 1.0
	v_rcp_f64_e32 v[176:177], v[174:175]
	v_div_scale_f64 v[178:179], vcc, 1.0, v[172:173], 1.0
	v_fma_f64 v[180:181], -v[174:175], v[176:177], 1.0
	v_fmac_f64_e32 v[176:177], v[176:177], v[180:181]
	v_fma_f64 v[180:181], -v[174:175], v[176:177], 1.0
	v_fmac_f64_e32 v[176:177], v[176:177], v[180:181]
	v_mul_f64 v[180:181], v[178:179], v[176:177]
	v_fma_f64 v[174:175], -v[174:175], v[180:181], v[178:179]
	v_div_fmas_f64 v[174:175], v[174:175], v[176:177], v[180:181]
	v_div_fixup_f64 v[172:173], v[174:175], v[172:173], 1.0
	ds_write_b64 v246, v[172:173]
.LBB81_19:
	s_or_b64 exec, exec, s[2:3]
	s_waitcnt lgkmcnt(0)
	s_barrier
	ds_read_b64 v[172:173], v246
	v_cmp_lt_u32_e32 vcc, 3, v248
	s_and_saveexec_b64 s[2:3], vcc
	s_cbranch_execz .LBB81_21
; %bb.20:
	ds_read2_b64 v[174:177], v247 offset0:4 offset1:5
	ds_read2_b64 v[178:181], v247 offset0:6 offset1:7
	s_waitcnt vmcnt(37) lgkmcnt(2)
	v_mul_f64 v[122:123], v[172:173], v[122:123]
	ds_read2_b64 v[182:185], v247 offset0:8 offset1:9
	s_waitcnt vmcnt(36) lgkmcnt(2)
	v_fma_f64 v[160:161], -v[122:123], v[174:175], v[160:161]
	s_waitcnt vmcnt(35)
	v_fma_f64 v[120:121], -v[122:123], v[176:177], v[120:121]
	ds_read2_b64 v[174:177], v247 offset0:10 offset1:11
	s_waitcnt vmcnt(34) lgkmcnt(2)
	v_fma_f64 v[158:159], -v[122:123], v[178:179], v[158:159]
	s_waitcnt vmcnt(33)
	v_fma_f64 v[118:119], -v[122:123], v[180:181], v[118:119]
	s_waitcnt vmcnt(32) lgkmcnt(1)
	v_fma_f64 v[156:157], -v[122:123], v[182:183], v[156:157]
	ds_read2_b64 v[178:181], v247 offset0:12 offset1:13
	s_waitcnt vmcnt(31)
	v_fma_f64 v[116:117], -v[122:123], v[184:185], v[116:117]
	ds_read2_b64 v[182:185], v247 offset0:14 offset1:15
	s_waitcnt vmcnt(30) lgkmcnt(2)
	v_fma_f64 v[154:155], -v[122:123], v[174:175], v[154:155]
	s_waitcnt vmcnt(29)
	v_fma_f64 v[114:115], -v[122:123], v[176:177], v[114:115]
	ds_read2_b64 v[174:177], v247 offset0:16 offset1:17
	s_waitcnt vmcnt(28) lgkmcnt(2)
	v_fma_f64 v[152:153], -v[122:123], v[178:179], v[152:153]
	;; [unrolled: 5-line block ×3, first 2 shown]
	s_waitcnt vmcnt(25)
	v_fma_f64 v[110:111], -v[122:123], v[184:185], v[110:111]
	s_waitcnt vmcnt(24) lgkmcnt(1)
	v_fma_f64 v[148:149], -v[122:123], v[174:175], v[148:149]
	ds_read2_b64 v[182:185], v247 offset0:20 offset1:21
	s_waitcnt vmcnt(23)
	v_fma_f64 v[108:109], -v[122:123], v[176:177], v[108:109]
	ds_read2_b64 v[174:177], v247 offset0:22 offset1:23
	s_waitcnt vmcnt(22) lgkmcnt(2)
	v_fma_f64 v[146:147], -v[122:123], v[178:179], v[146:147]
	s_waitcnt vmcnt(21)
	v_fma_f64 v[106:107], -v[122:123], v[180:181], v[106:107]
	s_waitcnt vmcnt(20) lgkmcnt(1)
	v_fma_f64 v[144:145], -v[122:123], v[182:183], v[144:145]
	ds_read2_b64 v[178:181], v247 offset0:24 offset1:25
	s_waitcnt vmcnt(19)
	v_fma_f64 v[104:105], -v[122:123], v[184:185], v[104:105]
	ds_read2_b64 v[182:185], v247 offset0:26 offset1:27
	s_waitcnt vmcnt(18) lgkmcnt(2)
	v_fma_f64 v[142:143], -v[122:123], v[174:175], v[142:143]
	s_waitcnt vmcnt(17)
	v_fma_f64 v[102:103], -v[122:123], v[176:177], v[102:103]
	ds_read2_b64 v[174:177], v247 offset0:28 offset1:29
	s_waitcnt vmcnt(16) lgkmcnt(2)
	v_fma_f64 v[140:141], -v[122:123], v[178:179], v[140:141]
	;; [unrolled: 5-line block ×3, first 2 shown]
	s_waitcnt vmcnt(13)
	v_fma_f64 v[98:99], -v[122:123], v[184:185], v[98:99]
	s_waitcnt vmcnt(12) lgkmcnt(1)
	v_fma_f64 v[136:137], -v[122:123], v[174:175], v[136:137]
	ds_read2_b64 v[182:185], v247 offset0:32 offset1:33
	s_waitcnt vmcnt(11)
	v_fma_f64 v[96:97], -v[122:123], v[176:177], v[96:97]
	ds_read2_b64 v[174:177], v247 offset0:34 offset1:35
	s_waitcnt vmcnt(10) lgkmcnt(2)
	v_fma_f64 v[134:135], -v[122:123], v[178:179], v[134:135]
	s_waitcnt vmcnt(9)
	v_fma_f64 v[94:95], -v[122:123], v[180:181], v[94:95]
	s_waitcnt vmcnt(8) lgkmcnt(1)
	v_fma_f64 v[132:133], -v[122:123], v[182:183], v[132:133]
	s_waitcnt vmcnt(7)
	v_fma_f64 v[92:93], -v[122:123], v[184:185], v[92:93]
	ds_read2_b64 v[178:181], v247 offset0:36 offset1:37
	ds_read2_b64 v[182:185], v247 offset0:38 offset1:39
	s_waitcnt vmcnt(6) lgkmcnt(2)
	v_fma_f64 v[130:131], -v[122:123], v[174:175], v[130:131]
	ds_read_b64 v[174:175], v247 offset:320
	s_waitcnt vmcnt(5)
	v_fma_f64 v[90:91], -v[122:123], v[176:177], v[90:91]
	s_waitcnt vmcnt(4) lgkmcnt(2)
	v_fma_f64 v[128:129], -v[122:123], v[178:179], v[128:129]
	s_waitcnt vmcnt(3)
	v_fma_f64 v[88:89], -v[122:123], v[180:181], v[88:89]
	s_waitcnt vmcnt(2) lgkmcnt(1)
	v_fma_f64 v[126:127], -v[122:123], v[182:183], v[126:127]
	;; [unrolled: 4-line block ×3, first 2 shown]
.LBB81_21:
	s_or_b64 exec, exec, s[2:3]
	v_cmp_eq_u32_e32 vcc, 4, v248
	s_waitcnt lgkmcnt(0)
	s_barrier
	s_and_saveexec_b64 s[2:3], vcc
	s_cbranch_execz .LBB81_24
; %bb.22:
	s_waitcnt vmcnt(36)
	ds_write_b64 v246, v[160:161]
	s_waitcnt vmcnt(34)
	ds_write2_b64 v247, v[120:121], v[158:159] offset0:5 offset1:6
	s_waitcnt vmcnt(32)
	ds_write2_b64 v247, v[118:119], v[156:157] offset0:7 offset1:8
	;; [unrolled: 2-line block ×18, first 2 shown]
	ds_read_b64 v[174:175], v246
	s_waitcnt lgkmcnt(0)
	v_cmp_neq_f64_e32 vcc, 0, v[174:175]
	s_and_b64 exec, exec, vcc
	s_cbranch_execz .LBB81_24
; %bb.23:
	v_div_scale_f64 v[176:177], s[6:7], v[174:175], v[174:175], 1.0
	v_rcp_f64_e32 v[178:179], v[176:177]
	v_div_scale_f64 v[180:181], vcc, 1.0, v[174:175], 1.0
	v_fma_f64 v[182:183], -v[176:177], v[178:179], 1.0
	v_fmac_f64_e32 v[178:179], v[178:179], v[182:183]
	v_fma_f64 v[182:183], -v[176:177], v[178:179], 1.0
	v_fmac_f64_e32 v[178:179], v[178:179], v[182:183]
	v_mul_f64 v[182:183], v[180:181], v[178:179]
	v_fma_f64 v[176:177], -v[176:177], v[182:183], v[180:181]
	v_div_fmas_f64 v[176:177], v[176:177], v[178:179], v[182:183]
	v_div_fixup_f64 v[174:175], v[176:177], v[174:175], 1.0
	ds_write_b64 v246, v[174:175]
.LBB81_24:
	s_or_b64 exec, exec, s[2:3]
	s_waitcnt lgkmcnt(0)
	s_barrier
	ds_read_b64 v[174:175], v246
	v_cmp_lt_u32_e32 vcc, 4, v248
	s_and_saveexec_b64 s[2:3], vcc
	s_cbranch_execz .LBB81_26
; %bb.25:
	ds_read2_b64 v[176:179], v247 offset0:5 offset1:6
	ds_read2_b64 v[180:183], v247 offset0:7 offset1:8
	;; [unrolled: 1-line block ×3, first 2 shown]
	s_waitcnt vmcnt(36) lgkmcnt(3)
	v_mul_f64 v[160:161], v[174:175], v[160:161]
	s_waitcnt vmcnt(35) lgkmcnt(2)
	v_fma_f64 v[120:121], -v[160:161], v[176:177], v[120:121]
	s_waitcnt vmcnt(34)
	v_fma_f64 v[158:159], -v[160:161], v[178:179], v[158:159]
	ds_read2_b64 v[176:179], v247 offset0:11 offset1:12
	s_waitcnt vmcnt(33) lgkmcnt(2)
	v_fma_f64 v[118:119], -v[160:161], v[180:181], v[118:119]
	s_waitcnt vmcnt(32)
	v_fma_f64 v[156:157], -v[160:161], v[182:183], v[156:157]
	s_waitcnt vmcnt(31) lgkmcnt(1)
	v_fma_f64 v[116:117], -v[160:161], v[184:185], v[116:117]
	ds_read2_b64 v[180:183], v247 offset0:13 offset1:14
	s_waitcnt vmcnt(30)
	v_fma_f64 v[154:155], -v[160:161], v[186:187], v[154:155]
	ds_read2_b64 v[184:187], v247 offset0:15 offset1:16
	s_waitcnt vmcnt(29) lgkmcnt(2)
	v_fma_f64 v[114:115], -v[160:161], v[176:177], v[114:115]
	s_waitcnt vmcnt(28)
	v_fma_f64 v[152:153], -v[160:161], v[178:179], v[152:153]
	s_waitcnt vmcnt(27) lgkmcnt(1)
	v_fma_f64 v[112:113], -v[160:161], v[180:181], v[112:113]
	ds_read2_b64 v[176:179], v247 offset0:17 offset1:18
	s_waitcnt vmcnt(26)
	v_fma_f64 v[150:151], -v[160:161], v[182:183], v[150:151]
	ds_read2_b64 v[180:183], v247 offset0:19 offset1:20
	s_waitcnt vmcnt(25) lgkmcnt(2)
	v_fma_f64 v[110:111], -v[160:161], v[184:185], v[110:111]
	s_waitcnt vmcnt(24)
	v_fma_f64 v[148:149], -v[160:161], v[186:187], v[148:149]
	ds_read2_b64 v[184:187], v247 offset0:21 offset1:22
	s_waitcnt vmcnt(23) lgkmcnt(2)
	v_fma_f64 v[108:109], -v[160:161], v[176:177], v[108:109]
	;; [unrolled: 5-line block ×3, first 2 shown]
	s_waitcnt vmcnt(20)
	v_fma_f64 v[144:145], -v[160:161], v[182:183], v[144:145]
	s_waitcnt vmcnt(19) lgkmcnt(1)
	v_fma_f64 v[104:105], -v[160:161], v[184:185], v[104:105]
	ds_read2_b64 v[180:183], v247 offset0:25 offset1:26
	s_waitcnt vmcnt(18)
	v_fma_f64 v[142:143], -v[160:161], v[186:187], v[142:143]
	ds_read2_b64 v[184:187], v247 offset0:27 offset1:28
	s_waitcnt vmcnt(17) lgkmcnt(2)
	v_fma_f64 v[102:103], -v[160:161], v[176:177], v[102:103]
	s_waitcnt vmcnt(16)
	v_fma_f64 v[140:141], -v[160:161], v[178:179], v[140:141]
	s_waitcnt vmcnt(15) lgkmcnt(1)
	v_fma_f64 v[100:101], -v[160:161], v[180:181], v[100:101]
	ds_read2_b64 v[176:179], v247 offset0:29 offset1:30
	s_waitcnt vmcnt(14)
	v_fma_f64 v[138:139], -v[160:161], v[182:183], v[138:139]
	ds_read2_b64 v[180:183], v247 offset0:31 offset1:32
	s_waitcnt vmcnt(13) lgkmcnt(2)
	v_fma_f64 v[98:99], -v[160:161], v[184:185], v[98:99]
	s_waitcnt vmcnt(12)
	v_fma_f64 v[136:137], -v[160:161], v[186:187], v[136:137]
	ds_read2_b64 v[184:187], v247 offset0:33 offset1:34
	s_waitcnt vmcnt(11) lgkmcnt(2)
	v_fma_f64 v[96:97], -v[160:161], v[176:177], v[96:97]
	;; [unrolled: 5-line block ×3, first 2 shown]
	s_waitcnt vmcnt(8)
	v_fma_f64 v[132:133], -v[160:161], v[182:183], v[132:133]
	s_waitcnt vmcnt(7) lgkmcnt(1)
	v_fma_f64 v[92:93], -v[160:161], v[184:185], v[92:93]
	ds_read2_b64 v[180:183], v247 offset0:37 offset1:38
	s_waitcnt vmcnt(6)
	v_fma_f64 v[130:131], -v[160:161], v[186:187], v[130:131]
	ds_read2_b64 v[184:187], v247 offset0:39 offset1:40
	s_waitcnt vmcnt(5) lgkmcnt(2)
	v_fma_f64 v[90:91], -v[160:161], v[176:177], v[90:91]
	s_waitcnt vmcnt(4)
	v_fma_f64 v[128:129], -v[160:161], v[178:179], v[128:129]
	s_waitcnt vmcnt(3) lgkmcnt(1)
	v_fma_f64 v[88:89], -v[160:161], v[180:181], v[88:89]
	s_waitcnt vmcnt(2)
	v_fma_f64 v[126:127], -v[160:161], v[182:183], v[126:127]
	s_waitcnt vmcnt(1) lgkmcnt(0)
	v_fma_f64 v[86:87], -v[160:161], v[184:185], v[86:87]
	s_waitcnt vmcnt(0)
	v_fma_f64 v[164:165], -v[160:161], v[186:187], v[164:165]
.LBB81_26:
	s_or_b64 exec, exec, s[2:3]
	v_cmp_eq_u32_e32 vcc, 5, v248
	s_waitcnt lgkmcnt(0)
	s_barrier
	s_and_saveexec_b64 s[2:3], vcc
	s_cbranch_execz .LBB81_29
; %bb.27:
	s_waitcnt vmcnt(34)
	v_mov_b32_e32 v176, v158
	v_mov_b32_e32 v177, v159
	s_waitcnt vmcnt(33)
	v_mov_b32_e32 v178, v118
	v_mov_b32_e32 v179, v119
	ds_write_b64 v246, v[120:121]
	ds_write2_b64 v247, v[176:177], v[178:179] offset0:6 offset1:7
	s_waitcnt vmcnt(32)
	v_mov_b32_e32 v176, v156
	v_mov_b32_e32 v177, v157
	s_waitcnt vmcnt(31)
	v_mov_b32_e32 v178, v116
	v_mov_b32_e32 v179, v117
	ds_write2_b64 v247, v[176:177], v[178:179] offset0:8 offset1:9
	s_waitcnt vmcnt(30)
	v_mov_b32_e32 v176, v154
	v_mov_b32_e32 v177, v155
	s_waitcnt vmcnt(29)
	v_mov_b32_e32 v178, v114
	v_mov_b32_e32 v179, v115
	;; [unrolled: 7-line block ×16, first 2 shown]
	ds_write2_b64 v247, v[176:177], v[178:179] offset0:38 offset1:39
	s_waitcnt vmcnt(0)
	ds_write_b64 v247, v[164:165] offset:320
	ds_read_b64 v[176:177], v246
	s_waitcnt lgkmcnt(0)
	v_cmp_neq_f64_e32 vcc, 0, v[176:177]
	s_and_b64 exec, exec, vcc
	s_cbranch_execz .LBB81_29
; %bb.28:
	v_div_scale_f64 v[178:179], s[6:7], v[176:177], v[176:177], 1.0
	v_rcp_f64_e32 v[180:181], v[178:179]
	v_div_scale_f64 v[182:183], vcc, 1.0, v[176:177], 1.0
	v_fma_f64 v[184:185], -v[178:179], v[180:181], 1.0
	v_fmac_f64_e32 v[180:181], v[180:181], v[184:185]
	v_fma_f64 v[184:185], -v[178:179], v[180:181], 1.0
	v_fmac_f64_e32 v[180:181], v[180:181], v[184:185]
	v_mul_f64 v[184:185], v[182:183], v[180:181]
	v_fma_f64 v[178:179], -v[178:179], v[184:185], v[182:183]
	v_div_fmas_f64 v[178:179], v[178:179], v[180:181], v[184:185]
	v_div_fixup_f64 v[176:177], v[178:179], v[176:177], 1.0
	ds_write_b64 v246, v[176:177]
.LBB81_29:
	s_or_b64 exec, exec, s[2:3]
	s_waitcnt lgkmcnt(0)
	s_barrier
	ds_read_b64 v[176:177], v246
	v_cmp_lt_u32_e32 vcc, 5, v248
	s_and_saveexec_b64 s[2:3], vcc
	s_cbranch_execz .LBB81_31
; %bb.30:
	ds_read2_b64 v[178:181], v247 offset0:6 offset1:7
	ds_read2_b64 v[182:185], v247 offset0:8 offset1:9
	;; [unrolled: 1-line block ×3, first 2 shown]
	s_waitcnt vmcnt(35) lgkmcnt(3)
	v_mul_f64 v[120:121], v[176:177], v[120:121]
	s_waitcnt vmcnt(34) lgkmcnt(2)
	v_fma_f64 v[158:159], -v[120:121], v[178:179], v[158:159]
	s_waitcnt vmcnt(33)
	v_fma_f64 v[118:119], -v[120:121], v[180:181], v[118:119]
	ds_read2_b64 v[178:181], v247 offset0:12 offset1:13
	s_waitcnt vmcnt(32) lgkmcnt(2)
	v_fma_f64 v[156:157], -v[120:121], v[182:183], v[156:157]
	s_waitcnt vmcnt(31)
	v_fma_f64 v[116:117], -v[120:121], v[184:185], v[116:117]
	s_waitcnt vmcnt(30) lgkmcnt(1)
	v_fma_f64 v[154:155], -v[120:121], v[186:187], v[154:155]
	ds_read2_b64 v[182:185], v247 offset0:14 offset1:15
	s_waitcnt vmcnt(29)
	v_fma_f64 v[114:115], -v[120:121], v[188:189], v[114:115]
	ds_read2_b64 v[186:189], v247 offset0:16 offset1:17
	s_waitcnt vmcnt(28) lgkmcnt(2)
	v_fma_f64 v[152:153], -v[120:121], v[178:179], v[152:153]
	s_waitcnt vmcnt(27)
	v_fma_f64 v[112:113], -v[120:121], v[180:181], v[112:113]
	s_waitcnt vmcnt(26) lgkmcnt(1)
	v_fma_f64 v[150:151], -v[120:121], v[182:183], v[150:151]
	ds_read2_b64 v[178:181], v247 offset0:18 offset1:19
	s_waitcnt vmcnt(25)
	v_fma_f64 v[110:111], -v[120:121], v[184:185], v[110:111]
	ds_read2_b64 v[182:185], v247 offset0:20 offset1:21
	s_waitcnt vmcnt(24) lgkmcnt(2)
	v_fma_f64 v[148:149], -v[120:121], v[186:187], v[148:149]
	s_waitcnt vmcnt(23)
	v_fma_f64 v[108:109], -v[120:121], v[188:189], v[108:109]
	ds_read2_b64 v[186:189], v247 offset0:22 offset1:23
	s_waitcnt vmcnt(22) lgkmcnt(2)
	v_fma_f64 v[146:147], -v[120:121], v[178:179], v[146:147]
	;; [unrolled: 5-line block ×3, first 2 shown]
	s_waitcnt vmcnt(19)
	v_fma_f64 v[104:105], -v[120:121], v[184:185], v[104:105]
	s_waitcnt vmcnt(18) lgkmcnt(1)
	v_fma_f64 v[142:143], -v[120:121], v[186:187], v[142:143]
	ds_read2_b64 v[182:185], v247 offset0:26 offset1:27
	s_waitcnt vmcnt(17)
	v_fma_f64 v[102:103], -v[120:121], v[188:189], v[102:103]
	ds_read2_b64 v[186:189], v247 offset0:28 offset1:29
	s_waitcnt vmcnt(16) lgkmcnt(2)
	v_fma_f64 v[140:141], -v[120:121], v[178:179], v[140:141]
	s_waitcnt vmcnt(15)
	v_fma_f64 v[100:101], -v[120:121], v[180:181], v[100:101]
	s_waitcnt vmcnt(14) lgkmcnt(1)
	v_fma_f64 v[138:139], -v[120:121], v[182:183], v[138:139]
	ds_read2_b64 v[178:181], v247 offset0:30 offset1:31
	s_waitcnt vmcnt(13)
	v_fma_f64 v[98:99], -v[120:121], v[184:185], v[98:99]
	ds_read2_b64 v[182:185], v247 offset0:32 offset1:33
	s_waitcnt vmcnt(12) lgkmcnt(2)
	v_fma_f64 v[136:137], -v[120:121], v[186:187], v[136:137]
	s_waitcnt vmcnt(11)
	v_fma_f64 v[96:97], -v[120:121], v[188:189], v[96:97]
	ds_read2_b64 v[186:189], v247 offset0:34 offset1:35
	s_waitcnt vmcnt(10) lgkmcnt(2)
	v_fma_f64 v[134:135], -v[120:121], v[178:179], v[134:135]
	;; [unrolled: 5-line block ×3, first 2 shown]
	s_waitcnt vmcnt(7)
	v_fma_f64 v[92:93], -v[120:121], v[184:185], v[92:93]
	s_waitcnt vmcnt(6) lgkmcnt(1)
	v_fma_f64 v[130:131], -v[120:121], v[186:187], v[130:131]
	ds_read2_b64 v[182:185], v247 offset0:38 offset1:39
	ds_read_b64 v[186:187], v247 offset:320
	s_waitcnt vmcnt(5)
	v_fma_f64 v[90:91], -v[120:121], v[188:189], v[90:91]
	s_waitcnt vmcnt(4) lgkmcnt(2)
	v_fma_f64 v[128:129], -v[120:121], v[178:179], v[128:129]
	s_waitcnt vmcnt(3)
	v_fma_f64 v[88:89], -v[120:121], v[180:181], v[88:89]
	s_waitcnt vmcnt(2) lgkmcnt(1)
	v_fma_f64 v[126:127], -v[120:121], v[182:183], v[126:127]
	;; [unrolled: 4-line block ×3, first 2 shown]
.LBB81_31:
	s_or_b64 exec, exec, s[2:3]
	v_cmp_eq_u32_e32 vcc, 6, v248
	s_waitcnt lgkmcnt(0)
	s_barrier
	s_and_saveexec_b64 s[2:3], vcc
	s_cbranch_execz .LBB81_34
; %bb.32:
	s_waitcnt vmcnt(34)
	ds_write_b64 v246, v[158:159]
	s_waitcnt vmcnt(32)
	ds_write2_b64 v247, v[118:119], v[156:157] offset0:7 offset1:8
	s_waitcnt vmcnt(30)
	ds_write2_b64 v247, v[116:117], v[154:155] offset0:9 offset1:10
	;; [unrolled: 2-line block ×17, first 2 shown]
	ds_read_b64 v[178:179], v246
	s_waitcnt lgkmcnt(0)
	v_cmp_neq_f64_e32 vcc, 0, v[178:179]
	s_and_b64 exec, exec, vcc
	s_cbranch_execz .LBB81_34
; %bb.33:
	v_div_scale_f64 v[180:181], s[6:7], v[178:179], v[178:179], 1.0
	v_rcp_f64_e32 v[182:183], v[180:181]
	v_div_scale_f64 v[184:185], vcc, 1.0, v[178:179], 1.0
	v_fma_f64 v[186:187], -v[180:181], v[182:183], 1.0
	v_fmac_f64_e32 v[182:183], v[182:183], v[186:187]
	v_fma_f64 v[186:187], -v[180:181], v[182:183], 1.0
	v_fmac_f64_e32 v[182:183], v[182:183], v[186:187]
	v_mul_f64 v[186:187], v[184:185], v[182:183]
	v_fma_f64 v[180:181], -v[180:181], v[186:187], v[184:185]
	v_div_fmas_f64 v[180:181], v[180:181], v[182:183], v[186:187]
	v_div_fixup_f64 v[178:179], v[180:181], v[178:179], 1.0
	ds_write_b64 v246, v[178:179]
.LBB81_34:
	s_or_b64 exec, exec, s[2:3]
	s_waitcnt lgkmcnt(0)
	s_barrier
	ds_read_b64 v[178:179], v246
	v_cmp_lt_u32_e32 vcc, 6, v248
	s_and_saveexec_b64 s[2:3], vcc
	s_cbranch_execz .LBB81_36
; %bb.35:
	ds_read2_b64 v[180:183], v247 offset0:7 offset1:8
	ds_read2_b64 v[184:187], v247 offset0:9 offset1:10
	s_waitcnt vmcnt(34) lgkmcnt(2)
	v_mul_f64 v[158:159], v[178:179], v[158:159]
	ds_read2_b64 v[188:191], v247 offset0:11 offset1:12
	s_waitcnt vmcnt(33) lgkmcnt(2)
	v_fma_f64 v[118:119], -v[158:159], v[180:181], v[118:119]
	s_waitcnt vmcnt(32)
	v_fma_f64 v[156:157], -v[158:159], v[182:183], v[156:157]
	ds_read2_b64 v[180:183], v247 offset0:13 offset1:14
	s_waitcnt vmcnt(31) lgkmcnt(2)
	v_fma_f64 v[116:117], -v[158:159], v[184:185], v[116:117]
	s_waitcnt vmcnt(30)
	v_fma_f64 v[154:155], -v[158:159], v[186:187], v[154:155]
	;; [unrolled: 5-line block ×4, first 2 shown]
	s_waitcnt vmcnt(25) lgkmcnt(1)
	v_fma_f64 v[110:111], -v[158:159], v[184:185], v[110:111]
	ds_read2_b64 v[180:183], v247 offset0:19 offset1:20
	s_waitcnt vmcnt(24)
	v_fma_f64 v[148:149], -v[158:159], v[186:187], v[148:149]
	ds_read2_b64 v[184:187], v247 offset0:21 offset1:22
	s_waitcnt vmcnt(23) lgkmcnt(2)
	v_fma_f64 v[108:109], -v[158:159], v[188:189], v[108:109]
	s_waitcnt vmcnt(22)
	v_fma_f64 v[146:147], -v[158:159], v[190:191], v[146:147]
	s_waitcnt vmcnt(21) lgkmcnt(1)
	v_fma_f64 v[106:107], -v[158:159], v[180:181], v[106:107]
	ds_read2_b64 v[188:191], v247 offset0:23 offset1:24
	s_waitcnt vmcnt(20)
	v_fma_f64 v[144:145], -v[158:159], v[182:183], v[144:145]
	ds_read2_b64 v[180:183], v247 offset0:25 offset1:26
	s_waitcnt vmcnt(19) lgkmcnt(2)
	v_fma_f64 v[104:105], -v[158:159], v[184:185], v[104:105]
	s_waitcnt vmcnt(18)
	v_fma_f64 v[142:143], -v[158:159], v[186:187], v[142:143]
	ds_read2_b64 v[184:187], v247 offset0:27 offset1:28
	s_waitcnt vmcnt(17) lgkmcnt(2)
	v_fma_f64 v[102:103], -v[158:159], v[188:189], v[102:103]
	s_waitcnt vmcnt(16)
	v_fma_f64 v[140:141], -v[158:159], v[190:191], v[140:141]
	ds_read2_b64 v[188:191], v247 offset0:29 offset1:30
	s_waitcnt vmcnt(15) lgkmcnt(2)
	v_fma_f64 v[100:101], -v[158:159], v[180:181], v[100:101]
	s_waitcnt vmcnt(14)
	v_fma_f64 v[138:139], -v[158:159], v[182:183], v[138:139]
	s_waitcnt vmcnt(13) lgkmcnt(1)
	v_fma_f64 v[98:99], -v[158:159], v[184:185], v[98:99]
	ds_read2_b64 v[180:183], v247 offset0:31 offset1:32
	s_waitcnt vmcnt(12)
	v_fma_f64 v[136:137], -v[158:159], v[186:187], v[136:137]
	ds_read2_b64 v[184:187], v247 offset0:33 offset1:34
	s_waitcnt vmcnt(11) lgkmcnt(2)
	v_fma_f64 v[96:97], -v[158:159], v[188:189], v[96:97]
	s_waitcnt vmcnt(10)
	v_fma_f64 v[134:135], -v[158:159], v[190:191], v[134:135]
	s_waitcnt vmcnt(9) lgkmcnt(1)
	v_fma_f64 v[94:95], -v[158:159], v[180:181], v[94:95]
	s_waitcnt vmcnt(8)
	v_fma_f64 v[132:133], -v[158:159], v[182:183], v[132:133]
	ds_read2_b64 v[180:183], v247 offset0:35 offset1:36
	ds_read2_b64 v[188:191], v247 offset0:37 offset1:38
	s_waitcnt vmcnt(7) lgkmcnt(2)
	v_fma_f64 v[92:93], -v[158:159], v[184:185], v[92:93]
	s_waitcnt vmcnt(6)
	v_fma_f64 v[130:131], -v[158:159], v[186:187], v[130:131]
	ds_read2_b64 v[184:187], v247 offset0:39 offset1:40
	s_waitcnt vmcnt(5) lgkmcnt(2)
	v_fma_f64 v[90:91], -v[158:159], v[180:181], v[90:91]
	s_waitcnt vmcnt(4)
	v_fma_f64 v[128:129], -v[158:159], v[182:183], v[128:129]
	s_waitcnt vmcnt(3) lgkmcnt(1)
	v_fma_f64 v[88:89], -v[158:159], v[188:189], v[88:89]
	s_waitcnt vmcnt(2)
	v_fma_f64 v[126:127], -v[158:159], v[190:191], v[126:127]
	s_waitcnt vmcnt(1) lgkmcnt(0)
	v_fma_f64 v[86:87], -v[158:159], v[184:185], v[86:87]
	s_waitcnt vmcnt(0)
	v_fma_f64 v[164:165], -v[158:159], v[186:187], v[164:165]
.LBB81_36:
	s_or_b64 exec, exec, s[2:3]
	v_cmp_eq_u32_e32 vcc, 7, v248
	s_waitcnt lgkmcnt(0)
	s_barrier
	s_and_saveexec_b64 s[2:3], vcc
	s_cbranch_execz .LBB81_39
; %bb.37:
	s_waitcnt vmcnt(32)
	v_mov_b32_e32 v180, v156
	v_mov_b32_e32 v181, v157
	s_waitcnt vmcnt(31)
	v_mov_b32_e32 v182, v116
	v_mov_b32_e32 v183, v117
	ds_write_b64 v246, v[118:119]
	ds_write2_b64 v247, v[180:181], v[182:183] offset0:8 offset1:9
	s_waitcnt vmcnt(30)
	v_mov_b32_e32 v180, v154
	v_mov_b32_e32 v181, v155
	s_waitcnt vmcnt(29)
	v_mov_b32_e32 v182, v114
	v_mov_b32_e32 v183, v115
	ds_write2_b64 v247, v[180:181], v[182:183] offset0:10 offset1:11
	s_waitcnt vmcnt(28)
	v_mov_b32_e32 v180, v152
	v_mov_b32_e32 v181, v153
	s_waitcnt vmcnt(27)
	v_mov_b32_e32 v182, v112
	v_mov_b32_e32 v183, v113
	;; [unrolled: 7-line block ×15, first 2 shown]
	ds_write2_b64 v247, v[180:181], v[182:183] offset0:38 offset1:39
	s_waitcnt vmcnt(0)
	ds_write_b64 v247, v[164:165] offset:320
	ds_read_b64 v[180:181], v246
	s_waitcnt lgkmcnt(0)
	v_cmp_neq_f64_e32 vcc, 0, v[180:181]
	s_and_b64 exec, exec, vcc
	s_cbranch_execz .LBB81_39
; %bb.38:
	v_div_scale_f64 v[182:183], s[6:7], v[180:181], v[180:181], 1.0
	v_rcp_f64_e32 v[184:185], v[182:183]
	v_div_scale_f64 v[186:187], vcc, 1.0, v[180:181], 1.0
	v_fma_f64 v[188:189], -v[182:183], v[184:185], 1.0
	v_fmac_f64_e32 v[184:185], v[184:185], v[188:189]
	v_fma_f64 v[188:189], -v[182:183], v[184:185], 1.0
	v_fmac_f64_e32 v[184:185], v[184:185], v[188:189]
	v_mul_f64 v[188:189], v[186:187], v[184:185]
	v_fma_f64 v[182:183], -v[182:183], v[188:189], v[186:187]
	v_div_fmas_f64 v[182:183], v[182:183], v[184:185], v[188:189]
	v_div_fixup_f64 v[180:181], v[182:183], v[180:181], 1.0
	ds_write_b64 v246, v[180:181]
.LBB81_39:
	s_or_b64 exec, exec, s[2:3]
	s_waitcnt lgkmcnt(0)
	s_barrier
	ds_read_b64 v[180:181], v246
	v_cmp_lt_u32_e32 vcc, 7, v248
	s_and_saveexec_b64 s[2:3], vcc
	s_cbranch_execz .LBB81_41
; %bb.40:
	ds_read2_b64 v[182:185], v247 offset0:8 offset1:9
	ds_read2_b64 v[186:189], v247 offset0:10 offset1:11
	s_waitcnt vmcnt(33) lgkmcnt(2)
	v_mul_f64 v[118:119], v[180:181], v[118:119]
	ds_read2_b64 v[190:193], v247 offset0:12 offset1:13
	s_waitcnt vmcnt(32) lgkmcnt(2)
	v_fma_f64 v[156:157], -v[118:119], v[182:183], v[156:157]
	s_waitcnt vmcnt(31)
	v_fma_f64 v[116:117], -v[118:119], v[184:185], v[116:117]
	ds_read2_b64 v[182:185], v247 offset0:14 offset1:15
	s_waitcnt vmcnt(30) lgkmcnt(2)
	v_fma_f64 v[154:155], -v[118:119], v[186:187], v[154:155]
	s_waitcnt vmcnt(29)
	v_fma_f64 v[114:115], -v[118:119], v[188:189], v[114:115]
	;; [unrolled: 5-line block ×4, first 2 shown]
	s_waitcnt vmcnt(24) lgkmcnt(1)
	v_fma_f64 v[148:149], -v[118:119], v[186:187], v[148:149]
	ds_read2_b64 v[182:185], v247 offset0:20 offset1:21
	s_waitcnt vmcnt(23)
	v_fma_f64 v[108:109], -v[118:119], v[188:189], v[108:109]
	ds_read2_b64 v[186:189], v247 offset0:22 offset1:23
	s_waitcnt vmcnt(22) lgkmcnt(2)
	v_fma_f64 v[146:147], -v[118:119], v[190:191], v[146:147]
	s_waitcnt vmcnt(21)
	v_fma_f64 v[106:107], -v[118:119], v[192:193], v[106:107]
	s_waitcnt vmcnt(20) lgkmcnt(1)
	v_fma_f64 v[144:145], -v[118:119], v[182:183], v[144:145]
	ds_read2_b64 v[190:193], v247 offset0:24 offset1:25
	s_waitcnt vmcnt(19)
	v_fma_f64 v[104:105], -v[118:119], v[184:185], v[104:105]
	ds_read2_b64 v[182:185], v247 offset0:26 offset1:27
	s_waitcnt vmcnt(18) lgkmcnt(2)
	v_fma_f64 v[142:143], -v[118:119], v[186:187], v[142:143]
	s_waitcnt vmcnt(17)
	v_fma_f64 v[102:103], -v[118:119], v[188:189], v[102:103]
	ds_read2_b64 v[186:189], v247 offset0:28 offset1:29
	s_waitcnt vmcnt(16) lgkmcnt(2)
	v_fma_f64 v[140:141], -v[118:119], v[190:191], v[140:141]
	;; [unrolled: 5-line block ×3, first 2 shown]
	s_waitcnt vmcnt(13)
	v_fma_f64 v[98:99], -v[118:119], v[184:185], v[98:99]
	s_waitcnt vmcnt(12) lgkmcnt(1)
	v_fma_f64 v[136:137], -v[118:119], v[186:187], v[136:137]
	ds_read2_b64 v[182:185], v247 offset0:32 offset1:33
	s_waitcnt vmcnt(11)
	v_fma_f64 v[96:97], -v[118:119], v[188:189], v[96:97]
	ds_read2_b64 v[186:189], v247 offset0:34 offset1:35
	s_waitcnt vmcnt(10) lgkmcnt(2)
	v_fma_f64 v[134:135], -v[118:119], v[190:191], v[134:135]
	s_waitcnt vmcnt(9)
	v_fma_f64 v[94:95], -v[118:119], v[192:193], v[94:95]
	s_waitcnt vmcnt(8) lgkmcnt(1)
	v_fma_f64 v[132:133], -v[118:119], v[182:183], v[132:133]
	s_waitcnt vmcnt(7)
	v_fma_f64 v[92:93], -v[118:119], v[184:185], v[92:93]
	ds_read2_b64 v[182:185], v247 offset0:36 offset1:37
	ds_read2_b64 v[190:193], v247 offset0:38 offset1:39
	s_waitcnt vmcnt(6) lgkmcnt(2)
	v_fma_f64 v[130:131], -v[118:119], v[186:187], v[130:131]
	ds_read_b64 v[186:187], v247 offset:320
	s_waitcnt vmcnt(5)
	v_fma_f64 v[90:91], -v[118:119], v[188:189], v[90:91]
	s_waitcnt vmcnt(4) lgkmcnt(2)
	v_fma_f64 v[128:129], -v[118:119], v[182:183], v[128:129]
	s_waitcnt vmcnt(3)
	v_fma_f64 v[88:89], -v[118:119], v[184:185], v[88:89]
	s_waitcnt vmcnt(2) lgkmcnt(1)
	v_fma_f64 v[126:127], -v[118:119], v[190:191], v[126:127]
	;; [unrolled: 4-line block ×3, first 2 shown]
.LBB81_41:
	s_or_b64 exec, exec, s[2:3]
	v_cmp_eq_u32_e32 vcc, 8, v248
	s_waitcnt lgkmcnt(0)
	s_barrier
	s_and_saveexec_b64 s[2:3], vcc
	s_cbranch_execz .LBB81_44
; %bb.42:
	s_waitcnt vmcnt(32)
	ds_write_b64 v246, v[156:157]
	s_waitcnt vmcnt(30)
	ds_write2_b64 v247, v[116:117], v[154:155] offset0:9 offset1:10
	s_waitcnt vmcnt(28)
	ds_write2_b64 v247, v[114:115], v[152:153] offset0:11 offset1:12
	;; [unrolled: 2-line block ×16, first 2 shown]
	ds_read_b64 v[182:183], v246
	s_waitcnt lgkmcnt(0)
	v_cmp_neq_f64_e32 vcc, 0, v[182:183]
	s_and_b64 exec, exec, vcc
	s_cbranch_execz .LBB81_44
; %bb.43:
	v_div_scale_f64 v[184:185], s[6:7], v[182:183], v[182:183], 1.0
	v_rcp_f64_e32 v[186:187], v[184:185]
	v_div_scale_f64 v[188:189], vcc, 1.0, v[182:183], 1.0
	v_fma_f64 v[190:191], -v[184:185], v[186:187], 1.0
	v_fmac_f64_e32 v[186:187], v[186:187], v[190:191]
	v_fma_f64 v[190:191], -v[184:185], v[186:187], 1.0
	v_fmac_f64_e32 v[186:187], v[186:187], v[190:191]
	v_mul_f64 v[190:191], v[188:189], v[186:187]
	v_fma_f64 v[184:185], -v[184:185], v[190:191], v[188:189]
	v_div_fmas_f64 v[184:185], v[184:185], v[186:187], v[190:191]
	v_div_fixup_f64 v[182:183], v[184:185], v[182:183], 1.0
	ds_write_b64 v246, v[182:183]
.LBB81_44:
	s_or_b64 exec, exec, s[2:3]
	s_waitcnt lgkmcnt(0)
	s_barrier
	ds_read_b64 v[182:183], v246
	v_cmp_lt_u32_e32 vcc, 8, v248
	s_and_saveexec_b64 s[2:3], vcc
	s_cbranch_execz .LBB81_46
; %bb.45:
	ds_read2_b64 v[184:187], v247 offset0:9 offset1:10
	ds_read2_b64 v[188:191], v247 offset0:11 offset1:12
	s_waitcnt vmcnt(32) lgkmcnt(2)
	v_mul_f64 v[156:157], v[182:183], v[156:157]
	ds_read2_b64 v[192:195], v247 offset0:13 offset1:14
	s_waitcnt vmcnt(31) lgkmcnt(2)
	v_fma_f64 v[116:117], -v[156:157], v[184:185], v[116:117]
	s_waitcnt vmcnt(30)
	v_fma_f64 v[154:155], -v[156:157], v[186:187], v[154:155]
	ds_read2_b64 v[184:187], v247 offset0:15 offset1:16
	s_waitcnt vmcnt(29) lgkmcnt(2)
	v_fma_f64 v[114:115], -v[156:157], v[188:189], v[114:115]
	s_waitcnt vmcnt(28)
	v_fma_f64 v[152:153], -v[156:157], v[190:191], v[152:153]
	s_waitcnt vmcnt(27) lgkmcnt(1)
	v_fma_f64 v[112:113], -v[156:157], v[192:193], v[112:113]
	ds_read2_b64 v[188:191], v247 offset0:17 offset1:18
	s_waitcnt vmcnt(26)
	v_fma_f64 v[150:151], -v[156:157], v[194:195], v[150:151]
	ds_read2_b64 v[192:195], v247 offset0:19 offset1:20
	s_waitcnt vmcnt(25) lgkmcnt(2)
	v_fma_f64 v[110:111], -v[156:157], v[184:185], v[110:111]
	s_waitcnt vmcnt(24)
	v_fma_f64 v[148:149], -v[156:157], v[186:187], v[148:149]
	ds_read2_b64 v[184:187], v247 offset0:21 offset1:22
	s_waitcnt vmcnt(23) lgkmcnt(2)
	v_fma_f64 v[108:109], -v[156:157], v[188:189], v[108:109]
	;; [unrolled: 5-line block ×3, first 2 shown]
	s_waitcnt vmcnt(20)
	v_fma_f64 v[144:145], -v[156:157], v[194:195], v[144:145]
	s_waitcnt vmcnt(19) lgkmcnt(1)
	v_fma_f64 v[104:105], -v[156:157], v[184:185], v[104:105]
	ds_read2_b64 v[192:195], v247 offset0:25 offset1:26
	s_waitcnt vmcnt(18)
	v_fma_f64 v[142:143], -v[156:157], v[186:187], v[142:143]
	ds_read2_b64 v[184:187], v247 offset0:27 offset1:28
	s_waitcnt vmcnt(17) lgkmcnt(2)
	v_fma_f64 v[102:103], -v[156:157], v[188:189], v[102:103]
	s_waitcnt vmcnt(16)
	v_fma_f64 v[140:141], -v[156:157], v[190:191], v[140:141]
	s_waitcnt vmcnt(15) lgkmcnt(1)
	v_fma_f64 v[100:101], -v[156:157], v[192:193], v[100:101]
	ds_read2_b64 v[188:191], v247 offset0:29 offset1:30
	s_waitcnt vmcnt(14)
	v_fma_f64 v[138:139], -v[156:157], v[194:195], v[138:139]
	ds_read2_b64 v[192:195], v247 offset0:31 offset1:32
	s_waitcnt vmcnt(13) lgkmcnt(2)
	v_fma_f64 v[98:99], -v[156:157], v[184:185], v[98:99]
	s_waitcnt vmcnt(12)
	v_fma_f64 v[136:137], -v[156:157], v[186:187], v[136:137]
	ds_read2_b64 v[184:187], v247 offset0:33 offset1:34
	s_waitcnt vmcnt(11) lgkmcnt(2)
	v_fma_f64 v[96:97], -v[156:157], v[188:189], v[96:97]
	;; [unrolled: 5-line block ×3, first 2 shown]
	s_waitcnt vmcnt(8)
	v_fma_f64 v[132:133], -v[156:157], v[194:195], v[132:133]
	s_waitcnt vmcnt(7) lgkmcnt(1)
	v_fma_f64 v[92:93], -v[156:157], v[184:185], v[92:93]
	ds_read2_b64 v[192:195], v247 offset0:37 offset1:38
	s_waitcnt vmcnt(6)
	v_fma_f64 v[130:131], -v[156:157], v[186:187], v[130:131]
	ds_read2_b64 v[184:187], v247 offset0:39 offset1:40
	s_waitcnt vmcnt(5) lgkmcnt(2)
	v_fma_f64 v[90:91], -v[156:157], v[188:189], v[90:91]
	s_waitcnt vmcnt(4)
	v_fma_f64 v[128:129], -v[156:157], v[190:191], v[128:129]
	s_waitcnt vmcnt(3) lgkmcnt(1)
	v_fma_f64 v[88:89], -v[156:157], v[192:193], v[88:89]
	s_waitcnt vmcnt(2)
	v_fma_f64 v[126:127], -v[156:157], v[194:195], v[126:127]
	;; [unrolled: 4-line block ×3, first 2 shown]
.LBB81_46:
	s_or_b64 exec, exec, s[2:3]
	v_cmp_eq_u32_e32 vcc, 9, v248
	s_waitcnt lgkmcnt(0)
	s_barrier
	s_and_saveexec_b64 s[2:3], vcc
	s_cbranch_execz .LBB81_49
; %bb.47:
	s_waitcnt vmcnt(30)
	v_mov_b32_e32 v184, v154
	v_mov_b32_e32 v185, v155
	s_waitcnt vmcnt(29)
	v_mov_b32_e32 v186, v114
	v_mov_b32_e32 v187, v115
	ds_write_b64 v246, v[116:117]
	ds_write2_b64 v247, v[184:185], v[186:187] offset0:10 offset1:11
	s_waitcnt vmcnt(28)
	v_mov_b32_e32 v184, v152
	v_mov_b32_e32 v185, v153
	s_waitcnt vmcnt(27)
	v_mov_b32_e32 v186, v112
	v_mov_b32_e32 v187, v113
	ds_write2_b64 v247, v[184:185], v[186:187] offset0:12 offset1:13
	s_waitcnt vmcnt(26)
	v_mov_b32_e32 v184, v150
	v_mov_b32_e32 v185, v151
	s_waitcnt vmcnt(25)
	v_mov_b32_e32 v186, v110
	v_mov_b32_e32 v187, v111
	;; [unrolled: 7-line block ×14, first 2 shown]
	ds_write2_b64 v247, v[184:185], v[186:187] offset0:38 offset1:39
	s_waitcnt vmcnt(0)
	ds_write_b64 v247, v[164:165] offset:320
	ds_read_b64 v[184:185], v246
	s_waitcnt lgkmcnt(0)
	v_cmp_neq_f64_e32 vcc, 0, v[184:185]
	s_and_b64 exec, exec, vcc
	s_cbranch_execz .LBB81_49
; %bb.48:
	v_div_scale_f64 v[186:187], s[6:7], v[184:185], v[184:185], 1.0
	v_rcp_f64_e32 v[188:189], v[186:187]
	v_div_scale_f64 v[190:191], vcc, 1.0, v[184:185], 1.0
	v_fma_f64 v[192:193], -v[186:187], v[188:189], 1.0
	v_fmac_f64_e32 v[188:189], v[188:189], v[192:193]
	v_fma_f64 v[192:193], -v[186:187], v[188:189], 1.0
	v_fmac_f64_e32 v[188:189], v[188:189], v[192:193]
	v_mul_f64 v[192:193], v[190:191], v[188:189]
	v_fma_f64 v[186:187], -v[186:187], v[192:193], v[190:191]
	v_div_fmas_f64 v[186:187], v[186:187], v[188:189], v[192:193]
	v_div_fixup_f64 v[184:185], v[186:187], v[184:185], 1.0
	ds_write_b64 v246, v[184:185]
.LBB81_49:
	s_or_b64 exec, exec, s[2:3]
	s_waitcnt lgkmcnt(0)
	s_barrier
	ds_read_b64 v[184:185], v246
	v_cmp_lt_u32_e32 vcc, 9, v248
	s_and_saveexec_b64 s[2:3], vcc
	s_cbranch_execz .LBB81_51
; %bb.50:
	ds_read2_b64 v[186:189], v247 offset0:10 offset1:11
	ds_read2_b64 v[190:193], v247 offset0:12 offset1:13
	s_waitcnt vmcnt(31) lgkmcnt(2)
	v_mul_f64 v[116:117], v[184:185], v[116:117]
	ds_read2_b64 v[194:197], v247 offset0:14 offset1:15
	s_waitcnt vmcnt(30) lgkmcnt(2)
	v_fma_f64 v[154:155], -v[116:117], v[186:187], v[154:155]
	s_waitcnt vmcnt(29)
	v_fma_f64 v[114:115], -v[116:117], v[188:189], v[114:115]
	ds_read2_b64 v[186:189], v247 offset0:16 offset1:17
	s_waitcnt vmcnt(28) lgkmcnt(2)
	v_fma_f64 v[152:153], -v[116:117], v[190:191], v[152:153]
	s_waitcnt vmcnt(27)
	v_fma_f64 v[112:113], -v[116:117], v[192:193], v[112:113]
	s_waitcnt vmcnt(26) lgkmcnt(1)
	v_fma_f64 v[150:151], -v[116:117], v[194:195], v[150:151]
	ds_read2_b64 v[190:193], v247 offset0:18 offset1:19
	s_waitcnt vmcnt(25)
	v_fma_f64 v[110:111], -v[116:117], v[196:197], v[110:111]
	ds_read2_b64 v[194:197], v247 offset0:20 offset1:21
	s_waitcnt vmcnt(24) lgkmcnt(2)
	v_fma_f64 v[148:149], -v[116:117], v[186:187], v[148:149]
	s_waitcnt vmcnt(23)
	v_fma_f64 v[108:109], -v[116:117], v[188:189], v[108:109]
	ds_read2_b64 v[186:189], v247 offset0:22 offset1:23
	s_waitcnt vmcnt(22) lgkmcnt(2)
	v_fma_f64 v[146:147], -v[116:117], v[190:191], v[146:147]
	;; [unrolled: 5-line block ×3, first 2 shown]
	s_waitcnt vmcnt(19)
	v_fma_f64 v[104:105], -v[116:117], v[196:197], v[104:105]
	s_waitcnt vmcnt(18) lgkmcnt(1)
	v_fma_f64 v[142:143], -v[116:117], v[186:187], v[142:143]
	ds_read2_b64 v[194:197], v247 offset0:26 offset1:27
	s_waitcnt vmcnt(17)
	v_fma_f64 v[102:103], -v[116:117], v[188:189], v[102:103]
	ds_read2_b64 v[186:189], v247 offset0:28 offset1:29
	s_waitcnt vmcnt(16) lgkmcnt(2)
	v_fma_f64 v[140:141], -v[116:117], v[190:191], v[140:141]
	s_waitcnt vmcnt(15)
	v_fma_f64 v[100:101], -v[116:117], v[192:193], v[100:101]
	s_waitcnt vmcnt(14) lgkmcnt(1)
	v_fma_f64 v[138:139], -v[116:117], v[194:195], v[138:139]
	ds_read2_b64 v[190:193], v247 offset0:30 offset1:31
	s_waitcnt vmcnt(13)
	v_fma_f64 v[98:99], -v[116:117], v[196:197], v[98:99]
	ds_read2_b64 v[194:197], v247 offset0:32 offset1:33
	s_waitcnt vmcnt(12) lgkmcnt(2)
	v_fma_f64 v[136:137], -v[116:117], v[186:187], v[136:137]
	s_waitcnt vmcnt(11)
	v_fma_f64 v[96:97], -v[116:117], v[188:189], v[96:97]
	ds_read2_b64 v[186:189], v247 offset0:34 offset1:35
	s_waitcnt vmcnt(10) lgkmcnt(2)
	v_fma_f64 v[134:135], -v[116:117], v[190:191], v[134:135]
	;; [unrolled: 5-line block ×3, first 2 shown]
	s_waitcnt vmcnt(7)
	v_fma_f64 v[92:93], -v[116:117], v[196:197], v[92:93]
	s_waitcnt vmcnt(6) lgkmcnt(1)
	v_fma_f64 v[130:131], -v[116:117], v[186:187], v[130:131]
	ds_read2_b64 v[194:197], v247 offset0:38 offset1:39
	ds_read_b64 v[186:187], v247 offset:320
	s_waitcnt vmcnt(5)
	v_fma_f64 v[90:91], -v[116:117], v[188:189], v[90:91]
	s_waitcnt vmcnt(4) lgkmcnt(2)
	v_fma_f64 v[128:129], -v[116:117], v[190:191], v[128:129]
	s_waitcnt vmcnt(3)
	v_fma_f64 v[88:89], -v[116:117], v[192:193], v[88:89]
	s_waitcnt vmcnt(2) lgkmcnt(1)
	v_fma_f64 v[126:127], -v[116:117], v[194:195], v[126:127]
	s_waitcnt vmcnt(1)
	v_fma_f64 v[86:87], -v[116:117], v[196:197], v[86:87]
	s_waitcnt vmcnt(0) lgkmcnt(0)
	v_fma_f64 v[164:165], -v[116:117], v[186:187], v[164:165]
.LBB81_51:
	s_or_b64 exec, exec, s[2:3]
	v_cmp_eq_u32_e32 vcc, 10, v248
	s_waitcnt lgkmcnt(0)
	s_barrier
	s_and_saveexec_b64 s[2:3], vcc
	s_cbranch_execz .LBB81_54
; %bb.52:
	s_waitcnt vmcnt(30)
	ds_write_b64 v246, v[154:155]
	s_waitcnt vmcnt(28)
	ds_write2_b64 v247, v[114:115], v[152:153] offset0:11 offset1:12
	s_waitcnt vmcnt(26)
	ds_write2_b64 v247, v[112:113], v[150:151] offset0:13 offset1:14
	;; [unrolled: 2-line block ×15, first 2 shown]
	ds_read_b64 v[186:187], v246
	s_waitcnt lgkmcnt(0)
	v_cmp_neq_f64_e32 vcc, 0, v[186:187]
	s_and_b64 exec, exec, vcc
	s_cbranch_execz .LBB81_54
; %bb.53:
	v_div_scale_f64 v[188:189], s[6:7], v[186:187], v[186:187], 1.0
	v_rcp_f64_e32 v[190:191], v[188:189]
	v_div_scale_f64 v[192:193], vcc, 1.0, v[186:187], 1.0
	v_fma_f64 v[194:195], -v[188:189], v[190:191], 1.0
	v_fmac_f64_e32 v[190:191], v[190:191], v[194:195]
	v_fma_f64 v[194:195], -v[188:189], v[190:191], 1.0
	v_fmac_f64_e32 v[190:191], v[190:191], v[194:195]
	v_mul_f64 v[194:195], v[192:193], v[190:191]
	v_fma_f64 v[188:189], -v[188:189], v[194:195], v[192:193]
	v_div_fmas_f64 v[188:189], v[188:189], v[190:191], v[194:195]
	v_div_fixup_f64 v[186:187], v[188:189], v[186:187], 1.0
	ds_write_b64 v246, v[186:187]
.LBB81_54:
	s_or_b64 exec, exec, s[2:3]
	s_waitcnt lgkmcnt(0)
	s_barrier
	ds_read_b64 v[186:187], v246
	v_cmp_lt_u32_e32 vcc, 10, v248
	s_and_saveexec_b64 s[2:3], vcc
	s_cbranch_execz .LBB81_56
; %bb.55:
	ds_read2_b64 v[188:191], v247 offset0:11 offset1:12
	ds_read2_b64 v[192:195], v247 offset0:13 offset1:14
	;; [unrolled: 1-line block ×3, first 2 shown]
	s_waitcnt vmcnt(30) lgkmcnt(3)
	v_mul_f64 v[154:155], v[186:187], v[154:155]
	s_waitcnt vmcnt(29) lgkmcnt(2)
	v_fma_f64 v[114:115], -v[154:155], v[188:189], v[114:115]
	s_waitcnt vmcnt(28)
	v_fma_f64 v[152:153], -v[154:155], v[190:191], v[152:153]
	ds_read2_b64 v[188:191], v247 offset0:17 offset1:18
	s_waitcnt vmcnt(27) lgkmcnt(2)
	v_fma_f64 v[112:113], -v[154:155], v[192:193], v[112:113]
	s_waitcnt vmcnt(26)
	v_fma_f64 v[150:151], -v[154:155], v[194:195], v[150:151]
	s_waitcnt vmcnt(25) lgkmcnt(1)
	v_fma_f64 v[110:111], -v[154:155], v[196:197], v[110:111]
	ds_read2_b64 v[192:195], v247 offset0:19 offset1:20
	s_waitcnt vmcnt(24)
	v_fma_f64 v[148:149], -v[154:155], v[198:199], v[148:149]
	ds_read2_b64 v[196:199], v247 offset0:21 offset1:22
	s_waitcnt vmcnt(23) lgkmcnt(2)
	v_fma_f64 v[108:109], -v[154:155], v[188:189], v[108:109]
	s_waitcnt vmcnt(22)
	v_fma_f64 v[146:147], -v[154:155], v[190:191], v[146:147]
	s_waitcnt vmcnt(21) lgkmcnt(1)
	v_fma_f64 v[106:107], -v[154:155], v[192:193], v[106:107]
	ds_read2_b64 v[188:191], v247 offset0:23 offset1:24
	s_waitcnt vmcnt(20)
	v_fma_f64 v[144:145], -v[154:155], v[194:195], v[144:145]
	ds_read2_b64 v[192:195], v247 offset0:25 offset1:26
	s_waitcnt vmcnt(19) lgkmcnt(2)
	v_fma_f64 v[104:105], -v[154:155], v[196:197], v[104:105]
	s_waitcnt vmcnt(18)
	v_fma_f64 v[142:143], -v[154:155], v[198:199], v[142:143]
	ds_read2_b64 v[196:199], v247 offset0:27 offset1:28
	s_waitcnt vmcnt(17) lgkmcnt(2)
	v_fma_f64 v[102:103], -v[154:155], v[188:189], v[102:103]
	;; [unrolled: 5-line block ×3, first 2 shown]
	s_waitcnt vmcnt(14)
	v_fma_f64 v[138:139], -v[154:155], v[194:195], v[138:139]
	s_waitcnt vmcnt(13) lgkmcnt(1)
	v_fma_f64 v[98:99], -v[154:155], v[196:197], v[98:99]
	ds_read2_b64 v[192:195], v247 offset0:31 offset1:32
	s_waitcnt vmcnt(12)
	v_fma_f64 v[136:137], -v[154:155], v[198:199], v[136:137]
	ds_read2_b64 v[196:199], v247 offset0:33 offset1:34
	s_waitcnt vmcnt(11) lgkmcnt(2)
	v_fma_f64 v[96:97], -v[154:155], v[188:189], v[96:97]
	s_waitcnt vmcnt(10)
	v_fma_f64 v[134:135], -v[154:155], v[190:191], v[134:135]
	s_waitcnt vmcnt(9) lgkmcnt(1)
	v_fma_f64 v[94:95], -v[154:155], v[192:193], v[94:95]
	s_waitcnt vmcnt(8)
	v_fma_f64 v[132:133], -v[154:155], v[194:195], v[132:133]
	ds_read2_b64 v[188:191], v247 offset0:35 offset1:36
	ds_read2_b64 v[192:195], v247 offset0:37 offset1:38
	s_waitcnt vmcnt(7) lgkmcnt(2)
	v_fma_f64 v[92:93], -v[154:155], v[196:197], v[92:93]
	s_waitcnt vmcnt(6)
	v_fma_f64 v[130:131], -v[154:155], v[198:199], v[130:131]
	ds_read2_b64 v[196:199], v247 offset0:39 offset1:40
	s_waitcnt vmcnt(5) lgkmcnt(2)
	v_fma_f64 v[90:91], -v[154:155], v[188:189], v[90:91]
	s_waitcnt vmcnt(4)
	v_fma_f64 v[128:129], -v[154:155], v[190:191], v[128:129]
	s_waitcnt vmcnt(3) lgkmcnt(1)
	v_fma_f64 v[88:89], -v[154:155], v[192:193], v[88:89]
	s_waitcnt vmcnt(2)
	v_fma_f64 v[126:127], -v[154:155], v[194:195], v[126:127]
	;; [unrolled: 4-line block ×3, first 2 shown]
.LBB81_56:
	s_or_b64 exec, exec, s[2:3]
	v_cmp_eq_u32_e32 vcc, 11, v248
	s_waitcnt lgkmcnt(0)
	s_barrier
	s_and_saveexec_b64 s[2:3], vcc
	s_cbranch_execz .LBB81_59
; %bb.57:
	s_waitcnt vmcnt(28)
	v_mov_b32_e32 v188, v152
	v_mov_b32_e32 v189, v153
	s_waitcnt vmcnt(27)
	v_mov_b32_e32 v190, v112
	v_mov_b32_e32 v191, v113
	ds_write_b64 v246, v[114:115]
	ds_write2_b64 v247, v[188:189], v[190:191] offset0:12 offset1:13
	s_waitcnt vmcnt(26)
	v_mov_b32_e32 v188, v150
	v_mov_b32_e32 v189, v151
	s_waitcnt vmcnt(25)
	v_mov_b32_e32 v190, v110
	v_mov_b32_e32 v191, v111
	ds_write2_b64 v247, v[188:189], v[190:191] offset0:14 offset1:15
	s_waitcnt vmcnt(24)
	v_mov_b32_e32 v188, v148
	v_mov_b32_e32 v189, v149
	s_waitcnt vmcnt(23)
	v_mov_b32_e32 v190, v108
	v_mov_b32_e32 v191, v109
	;; [unrolled: 7-line block ×13, first 2 shown]
	ds_write2_b64 v247, v[188:189], v[190:191] offset0:38 offset1:39
	s_waitcnt vmcnt(0)
	ds_write_b64 v247, v[164:165] offset:320
	ds_read_b64 v[188:189], v246
	s_waitcnt lgkmcnt(0)
	v_cmp_neq_f64_e32 vcc, 0, v[188:189]
	s_and_b64 exec, exec, vcc
	s_cbranch_execz .LBB81_59
; %bb.58:
	v_div_scale_f64 v[190:191], s[6:7], v[188:189], v[188:189], 1.0
	v_rcp_f64_e32 v[192:193], v[190:191]
	v_div_scale_f64 v[194:195], vcc, 1.0, v[188:189], 1.0
	v_fma_f64 v[196:197], -v[190:191], v[192:193], 1.0
	v_fmac_f64_e32 v[192:193], v[192:193], v[196:197]
	v_fma_f64 v[196:197], -v[190:191], v[192:193], 1.0
	v_fmac_f64_e32 v[192:193], v[192:193], v[196:197]
	v_mul_f64 v[196:197], v[194:195], v[192:193]
	v_fma_f64 v[190:191], -v[190:191], v[196:197], v[194:195]
	v_div_fmas_f64 v[190:191], v[190:191], v[192:193], v[196:197]
	v_div_fixup_f64 v[188:189], v[190:191], v[188:189], 1.0
	ds_write_b64 v246, v[188:189]
.LBB81_59:
	s_or_b64 exec, exec, s[2:3]
	s_waitcnt lgkmcnt(0)
	s_barrier
	ds_read_b64 v[188:189], v246
	v_cmp_lt_u32_e32 vcc, 11, v248
	s_and_saveexec_b64 s[2:3], vcc
	s_cbranch_execz .LBB81_61
; %bb.60:
	ds_read2_b64 v[190:193], v247 offset0:12 offset1:13
	ds_read2_b64 v[194:197], v247 offset0:14 offset1:15
	;; [unrolled: 1-line block ×3, first 2 shown]
	s_waitcnt vmcnt(29) lgkmcnt(3)
	v_mul_f64 v[114:115], v[188:189], v[114:115]
	s_waitcnt vmcnt(28) lgkmcnt(2)
	v_fma_f64 v[152:153], -v[114:115], v[190:191], v[152:153]
	s_waitcnt vmcnt(27)
	v_fma_f64 v[112:113], -v[114:115], v[192:193], v[112:113]
	ds_read2_b64 v[190:193], v247 offset0:18 offset1:19
	s_waitcnt vmcnt(26) lgkmcnt(2)
	v_fma_f64 v[150:151], -v[114:115], v[194:195], v[150:151]
	s_waitcnt vmcnt(25)
	v_fma_f64 v[110:111], -v[114:115], v[196:197], v[110:111]
	s_waitcnt vmcnt(24) lgkmcnt(1)
	v_fma_f64 v[148:149], -v[114:115], v[198:199], v[148:149]
	ds_read2_b64 v[194:197], v247 offset0:20 offset1:21
	s_waitcnt vmcnt(23)
	v_fma_f64 v[108:109], -v[114:115], v[200:201], v[108:109]
	ds_read2_b64 v[198:201], v247 offset0:22 offset1:23
	s_waitcnt vmcnt(22) lgkmcnt(2)
	v_fma_f64 v[146:147], -v[114:115], v[190:191], v[146:147]
	s_waitcnt vmcnt(21)
	v_fma_f64 v[106:107], -v[114:115], v[192:193], v[106:107]
	s_waitcnt vmcnt(20) lgkmcnt(1)
	v_fma_f64 v[144:145], -v[114:115], v[194:195], v[144:145]
	ds_read2_b64 v[190:193], v247 offset0:24 offset1:25
	s_waitcnt vmcnt(19)
	v_fma_f64 v[104:105], -v[114:115], v[196:197], v[104:105]
	ds_read2_b64 v[194:197], v247 offset0:26 offset1:27
	s_waitcnt vmcnt(18) lgkmcnt(2)
	v_fma_f64 v[142:143], -v[114:115], v[198:199], v[142:143]
	s_waitcnt vmcnt(17)
	v_fma_f64 v[102:103], -v[114:115], v[200:201], v[102:103]
	ds_read2_b64 v[198:201], v247 offset0:28 offset1:29
	s_waitcnt vmcnt(16) lgkmcnt(2)
	v_fma_f64 v[140:141], -v[114:115], v[190:191], v[140:141]
	;; [unrolled: 5-line block ×3, first 2 shown]
	s_waitcnt vmcnt(13)
	v_fma_f64 v[98:99], -v[114:115], v[196:197], v[98:99]
	s_waitcnt vmcnt(12) lgkmcnt(1)
	v_fma_f64 v[136:137], -v[114:115], v[198:199], v[136:137]
	ds_read2_b64 v[194:197], v247 offset0:32 offset1:33
	s_waitcnt vmcnt(11)
	v_fma_f64 v[96:97], -v[114:115], v[200:201], v[96:97]
	ds_read2_b64 v[198:201], v247 offset0:34 offset1:35
	s_waitcnt vmcnt(10) lgkmcnt(2)
	v_fma_f64 v[134:135], -v[114:115], v[190:191], v[134:135]
	s_waitcnt vmcnt(9)
	v_fma_f64 v[94:95], -v[114:115], v[192:193], v[94:95]
	s_waitcnt vmcnt(8) lgkmcnt(1)
	v_fma_f64 v[132:133], -v[114:115], v[194:195], v[132:133]
	s_waitcnt vmcnt(7)
	v_fma_f64 v[92:93], -v[114:115], v[196:197], v[92:93]
	ds_read2_b64 v[190:193], v247 offset0:36 offset1:37
	ds_read2_b64 v[194:197], v247 offset0:38 offset1:39
	s_waitcnt vmcnt(6) lgkmcnt(2)
	v_fma_f64 v[130:131], -v[114:115], v[198:199], v[130:131]
	ds_read_b64 v[198:199], v247 offset:320
	s_waitcnt vmcnt(5)
	v_fma_f64 v[90:91], -v[114:115], v[200:201], v[90:91]
	s_waitcnt vmcnt(4) lgkmcnt(2)
	v_fma_f64 v[128:129], -v[114:115], v[190:191], v[128:129]
	s_waitcnt vmcnt(3)
	v_fma_f64 v[88:89], -v[114:115], v[192:193], v[88:89]
	s_waitcnt vmcnt(2) lgkmcnt(1)
	v_fma_f64 v[126:127], -v[114:115], v[194:195], v[126:127]
	;; [unrolled: 4-line block ×3, first 2 shown]
.LBB81_61:
	s_or_b64 exec, exec, s[2:3]
	v_cmp_eq_u32_e32 vcc, 12, v248
	s_waitcnt lgkmcnt(0)
	s_barrier
	s_and_saveexec_b64 s[2:3], vcc
	s_cbranch_execz .LBB81_64
; %bb.62:
	s_waitcnt vmcnt(28)
	ds_write_b64 v246, v[152:153]
	s_waitcnt vmcnt(26)
	ds_write2_b64 v247, v[112:113], v[150:151] offset0:13 offset1:14
	s_waitcnt vmcnt(24)
	ds_write2_b64 v247, v[110:111], v[148:149] offset0:15 offset1:16
	;; [unrolled: 2-line block ×14, first 2 shown]
	ds_read_b64 v[190:191], v246
	s_waitcnt lgkmcnt(0)
	v_cmp_neq_f64_e32 vcc, 0, v[190:191]
	s_and_b64 exec, exec, vcc
	s_cbranch_execz .LBB81_64
; %bb.63:
	v_div_scale_f64 v[192:193], s[6:7], v[190:191], v[190:191], 1.0
	v_rcp_f64_e32 v[194:195], v[192:193]
	v_div_scale_f64 v[196:197], vcc, 1.0, v[190:191], 1.0
	v_fma_f64 v[198:199], -v[192:193], v[194:195], 1.0
	v_fmac_f64_e32 v[194:195], v[194:195], v[198:199]
	v_fma_f64 v[198:199], -v[192:193], v[194:195], 1.0
	v_fmac_f64_e32 v[194:195], v[194:195], v[198:199]
	v_mul_f64 v[198:199], v[196:197], v[194:195]
	v_fma_f64 v[192:193], -v[192:193], v[198:199], v[196:197]
	v_div_fmas_f64 v[192:193], v[192:193], v[194:195], v[198:199]
	v_div_fixup_f64 v[190:191], v[192:193], v[190:191], 1.0
	ds_write_b64 v246, v[190:191]
.LBB81_64:
	s_or_b64 exec, exec, s[2:3]
	s_waitcnt lgkmcnt(0)
	s_barrier
	ds_read_b64 v[190:191], v246
	v_cmp_lt_u32_e32 vcc, 12, v248
	s_and_saveexec_b64 s[2:3], vcc
	s_cbranch_execz .LBB81_66
; %bb.65:
	ds_read2_b64 v[192:195], v247 offset0:13 offset1:14
	ds_read2_b64 v[196:199], v247 offset0:15 offset1:16
	s_waitcnt vmcnt(28) lgkmcnt(2)
	v_mul_f64 v[152:153], v[190:191], v[152:153]
	ds_read2_b64 v[200:203], v247 offset0:17 offset1:18
	s_waitcnt vmcnt(27) lgkmcnt(2)
	v_fma_f64 v[112:113], -v[152:153], v[192:193], v[112:113]
	s_waitcnt vmcnt(26)
	v_fma_f64 v[150:151], -v[152:153], v[194:195], v[150:151]
	ds_read2_b64 v[192:195], v247 offset0:19 offset1:20
	s_waitcnt vmcnt(25) lgkmcnt(2)
	v_fma_f64 v[110:111], -v[152:153], v[196:197], v[110:111]
	s_waitcnt vmcnt(24)
	v_fma_f64 v[148:149], -v[152:153], v[198:199], v[148:149]
	ds_read2_b64 v[196:199], v247 offset0:21 offset1:22
	s_waitcnt vmcnt(23) lgkmcnt(2)
	v_fma_f64 v[108:109], -v[152:153], v[200:201], v[108:109]
	s_waitcnt vmcnt(22)
	v_fma_f64 v[146:147], -v[152:153], v[202:203], v[146:147]
	ds_read2_b64 v[200:203], v247 offset0:23 offset1:24
	s_waitcnt vmcnt(21) lgkmcnt(2)
	v_fma_f64 v[106:107], -v[152:153], v[192:193], v[106:107]
	s_waitcnt vmcnt(20)
	v_fma_f64 v[144:145], -v[152:153], v[194:195], v[144:145]
	s_waitcnt vmcnt(19) lgkmcnt(1)
	v_fma_f64 v[104:105], -v[152:153], v[196:197], v[104:105]
	ds_read2_b64 v[192:195], v247 offset0:25 offset1:26
	s_waitcnt vmcnt(18)
	v_fma_f64 v[142:143], -v[152:153], v[198:199], v[142:143]
	ds_read2_b64 v[196:199], v247 offset0:27 offset1:28
	s_waitcnt vmcnt(17) lgkmcnt(2)
	v_fma_f64 v[102:103], -v[152:153], v[200:201], v[102:103]
	s_waitcnt vmcnt(16)
	v_fma_f64 v[140:141], -v[152:153], v[202:203], v[140:141]
	s_waitcnt vmcnt(15) lgkmcnt(1)
	v_fma_f64 v[100:101], -v[152:153], v[192:193], v[100:101]
	ds_read2_b64 v[200:203], v247 offset0:29 offset1:30
	s_waitcnt vmcnt(14)
	v_fma_f64 v[138:139], -v[152:153], v[194:195], v[138:139]
	ds_read2_b64 v[192:195], v247 offset0:31 offset1:32
	s_waitcnt vmcnt(13) lgkmcnt(2)
	v_fma_f64 v[98:99], -v[152:153], v[196:197], v[98:99]
	s_waitcnt vmcnt(12)
	v_fma_f64 v[136:137], -v[152:153], v[198:199], v[136:137]
	ds_read2_b64 v[196:199], v247 offset0:33 offset1:34
	s_waitcnt vmcnt(11) lgkmcnt(2)
	v_fma_f64 v[96:97], -v[152:153], v[200:201], v[96:97]
	s_waitcnt vmcnt(10)
	v_fma_f64 v[134:135], -v[152:153], v[202:203], v[134:135]
	s_waitcnt vmcnt(9) lgkmcnt(1)
	v_fma_f64 v[94:95], -v[152:153], v[192:193], v[94:95]
	s_waitcnt vmcnt(8)
	v_fma_f64 v[132:133], -v[152:153], v[194:195], v[132:133]
	ds_read2_b64 v[192:195], v247 offset0:35 offset1:36
	s_waitcnt vmcnt(7) lgkmcnt(1)
	v_fma_f64 v[92:93], -v[152:153], v[196:197], v[92:93]
	ds_read2_b64 v[200:203], v247 offset0:37 offset1:38
	s_waitcnt vmcnt(6)
	v_fma_f64 v[130:131], -v[152:153], v[198:199], v[130:131]
	ds_read2_b64 v[196:199], v247 offset0:39 offset1:40
	s_waitcnt vmcnt(5) lgkmcnt(2)
	v_fma_f64 v[90:91], -v[152:153], v[192:193], v[90:91]
	s_waitcnt vmcnt(4)
	v_fma_f64 v[128:129], -v[152:153], v[194:195], v[128:129]
	s_waitcnt vmcnt(3) lgkmcnt(1)
	v_fma_f64 v[88:89], -v[152:153], v[200:201], v[88:89]
	s_waitcnt vmcnt(2)
	v_fma_f64 v[126:127], -v[152:153], v[202:203], v[126:127]
	;; [unrolled: 4-line block ×3, first 2 shown]
.LBB81_66:
	s_or_b64 exec, exec, s[2:3]
	v_cmp_eq_u32_e32 vcc, 13, v248
	s_waitcnt lgkmcnt(0)
	s_barrier
	s_and_saveexec_b64 s[2:3], vcc
	s_cbranch_execz .LBB81_69
; %bb.67:
	s_waitcnt vmcnt(26)
	v_mov_b32_e32 v192, v150
	v_mov_b32_e32 v193, v151
	s_waitcnt vmcnt(25)
	v_mov_b32_e32 v194, v110
	v_mov_b32_e32 v195, v111
	ds_write_b64 v246, v[112:113]
	ds_write2_b64 v247, v[192:193], v[194:195] offset0:14 offset1:15
	s_waitcnt vmcnt(24)
	v_mov_b32_e32 v192, v148
	v_mov_b32_e32 v193, v149
	s_waitcnt vmcnt(23)
	v_mov_b32_e32 v194, v108
	v_mov_b32_e32 v195, v109
	ds_write2_b64 v247, v[192:193], v[194:195] offset0:16 offset1:17
	s_waitcnt vmcnt(22)
	v_mov_b32_e32 v192, v146
	v_mov_b32_e32 v193, v147
	s_waitcnt vmcnt(21)
	v_mov_b32_e32 v194, v106
	v_mov_b32_e32 v195, v107
	;; [unrolled: 7-line block ×12, first 2 shown]
	ds_write2_b64 v247, v[192:193], v[194:195] offset0:38 offset1:39
	s_waitcnt vmcnt(0)
	ds_write_b64 v247, v[164:165] offset:320
	ds_read_b64 v[192:193], v246
	s_waitcnt lgkmcnt(0)
	v_cmp_neq_f64_e32 vcc, 0, v[192:193]
	s_and_b64 exec, exec, vcc
	s_cbranch_execz .LBB81_69
; %bb.68:
	v_div_scale_f64 v[194:195], s[6:7], v[192:193], v[192:193], 1.0
	v_rcp_f64_e32 v[196:197], v[194:195]
	v_div_scale_f64 v[198:199], vcc, 1.0, v[192:193], 1.0
	v_fma_f64 v[200:201], -v[194:195], v[196:197], 1.0
	v_fmac_f64_e32 v[196:197], v[196:197], v[200:201]
	v_fma_f64 v[200:201], -v[194:195], v[196:197], 1.0
	v_fmac_f64_e32 v[196:197], v[196:197], v[200:201]
	v_mul_f64 v[200:201], v[198:199], v[196:197]
	v_fma_f64 v[194:195], -v[194:195], v[200:201], v[198:199]
	v_div_fmas_f64 v[194:195], v[194:195], v[196:197], v[200:201]
	v_div_fixup_f64 v[192:193], v[194:195], v[192:193], 1.0
	ds_write_b64 v246, v[192:193]
.LBB81_69:
	s_or_b64 exec, exec, s[2:3]
	s_waitcnt lgkmcnt(0)
	s_barrier
	ds_read_b64 v[192:193], v246
	v_cmp_lt_u32_e32 vcc, 13, v248
	s_and_saveexec_b64 s[2:3], vcc
	s_cbranch_execz .LBB81_71
; %bb.70:
	ds_read2_b64 v[194:197], v247 offset0:14 offset1:15
	ds_read2_b64 v[198:201], v247 offset0:16 offset1:17
	s_waitcnt vmcnt(27) lgkmcnt(2)
	v_mul_f64 v[112:113], v[192:193], v[112:113]
	ds_read2_b64 v[202:205], v247 offset0:18 offset1:19
	s_waitcnt vmcnt(26) lgkmcnt(2)
	v_fma_f64 v[150:151], -v[112:113], v[194:195], v[150:151]
	s_waitcnt vmcnt(25)
	v_fma_f64 v[110:111], -v[112:113], v[196:197], v[110:111]
	ds_read2_b64 v[194:197], v247 offset0:20 offset1:21
	s_waitcnt vmcnt(24) lgkmcnt(2)
	v_fma_f64 v[148:149], -v[112:113], v[198:199], v[148:149]
	s_waitcnt vmcnt(23)
	v_fma_f64 v[108:109], -v[112:113], v[200:201], v[108:109]
	;; [unrolled: 5-line block ×4, first 2 shown]
	s_waitcnt vmcnt(18) lgkmcnt(1)
	v_fma_f64 v[142:143], -v[112:113], v[198:199], v[142:143]
	ds_read2_b64 v[194:197], v247 offset0:26 offset1:27
	s_waitcnt vmcnt(17)
	v_fma_f64 v[102:103], -v[112:113], v[200:201], v[102:103]
	ds_read2_b64 v[198:201], v247 offset0:28 offset1:29
	s_waitcnt vmcnt(16) lgkmcnt(2)
	v_fma_f64 v[140:141], -v[112:113], v[202:203], v[140:141]
	s_waitcnt vmcnt(15)
	v_fma_f64 v[100:101], -v[112:113], v[204:205], v[100:101]
	s_waitcnt vmcnt(14) lgkmcnt(1)
	v_fma_f64 v[138:139], -v[112:113], v[194:195], v[138:139]
	ds_read2_b64 v[202:205], v247 offset0:30 offset1:31
	s_waitcnt vmcnt(13)
	v_fma_f64 v[98:99], -v[112:113], v[196:197], v[98:99]
	ds_read2_b64 v[194:197], v247 offset0:32 offset1:33
	s_waitcnt vmcnt(12) lgkmcnt(2)
	v_fma_f64 v[136:137], -v[112:113], v[198:199], v[136:137]
	s_waitcnt vmcnt(11)
	v_fma_f64 v[96:97], -v[112:113], v[200:201], v[96:97]
	ds_read2_b64 v[198:201], v247 offset0:34 offset1:35
	s_waitcnt vmcnt(10) lgkmcnt(2)
	v_fma_f64 v[134:135], -v[112:113], v[202:203], v[134:135]
	s_waitcnt vmcnt(9)
	v_fma_f64 v[94:95], -v[112:113], v[204:205], v[94:95]
	s_waitcnt vmcnt(8) lgkmcnt(1)
	v_fma_f64 v[132:133], -v[112:113], v[194:195], v[132:133]
	s_waitcnt vmcnt(7)
	v_fma_f64 v[92:93], -v[112:113], v[196:197], v[92:93]
	ds_read2_b64 v[194:197], v247 offset0:36 offset1:37
	s_waitcnt vmcnt(6) lgkmcnt(1)
	v_fma_f64 v[130:131], -v[112:113], v[198:199], v[130:131]
	ds_read2_b64 v[202:205], v247 offset0:38 offset1:39
	ds_read_b64 v[198:199], v247 offset:320
	s_waitcnt vmcnt(5)
	v_fma_f64 v[90:91], -v[112:113], v[200:201], v[90:91]
	s_waitcnt vmcnt(4) lgkmcnt(2)
	v_fma_f64 v[128:129], -v[112:113], v[194:195], v[128:129]
	s_waitcnt vmcnt(3)
	v_fma_f64 v[88:89], -v[112:113], v[196:197], v[88:89]
	s_waitcnt vmcnt(2) lgkmcnt(1)
	v_fma_f64 v[126:127], -v[112:113], v[202:203], v[126:127]
	;; [unrolled: 4-line block ×3, first 2 shown]
.LBB81_71:
	s_or_b64 exec, exec, s[2:3]
	v_cmp_eq_u32_e32 vcc, 14, v248
	s_waitcnt lgkmcnt(0)
	s_barrier
	s_and_saveexec_b64 s[2:3], vcc
	s_cbranch_execz .LBB81_74
; %bb.72:
	s_waitcnt vmcnt(26)
	ds_write_b64 v246, v[150:151]
	s_waitcnt vmcnt(24)
	ds_write2_b64 v247, v[110:111], v[148:149] offset0:15 offset1:16
	s_waitcnt vmcnt(22)
	ds_write2_b64 v247, v[108:109], v[146:147] offset0:17 offset1:18
	;; [unrolled: 2-line block ×13, first 2 shown]
	ds_read_b64 v[194:195], v246
	s_waitcnt lgkmcnt(0)
	v_cmp_neq_f64_e32 vcc, 0, v[194:195]
	s_and_b64 exec, exec, vcc
	s_cbranch_execz .LBB81_74
; %bb.73:
	v_div_scale_f64 v[196:197], s[6:7], v[194:195], v[194:195], 1.0
	v_rcp_f64_e32 v[198:199], v[196:197]
	v_div_scale_f64 v[200:201], vcc, 1.0, v[194:195], 1.0
	v_fma_f64 v[202:203], -v[196:197], v[198:199], 1.0
	v_fmac_f64_e32 v[198:199], v[198:199], v[202:203]
	v_fma_f64 v[202:203], -v[196:197], v[198:199], 1.0
	v_fmac_f64_e32 v[198:199], v[198:199], v[202:203]
	v_mul_f64 v[202:203], v[200:201], v[198:199]
	v_fma_f64 v[196:197], -v[196:197], v[202:203], v[200:201]
	v_div_fmas_f64 v[196:197], v[196:197], v[198:199], v[202:203]
	v_div_fixup_f64 v[194:195], v[196:197], v[194:195], 1.0
	ds_write_b64 v246, v[194:195]
.LBB81_74:
	s_or_b64 exec, exec, s[2:3]
	s_waitcnt lgkmcnt(0)
	s_barrier
	ds_read_b64 v[194:195], v246
	v_cmp_lt_u32_e32 vcc, 14, v248
	s_and_saveexec_b64 s[2:3], vcc
	s_cbranch_execz .LBB81_76
; %bb.75:
	ds_read2_b64 v[196:199], v247 offset0:15 offset1:16
	ds_read2_b64 v[200:203], v247 offset0:17 offset1:18
	s_waitcnt vmcnt(26) lgkmcnt(2)
	v_mul_f64 v[150:151], v[194:195], v[150:151]
	ds_read2_b64 v[204:207], v247 offset0:19 offset1:20
	s_waitcnt vmcnt(25) lgkmcnt(2)
	v_fma_f64 v[110:111], -v[150:151], v[196:197], v[110:111]
	s_waitcnt vmcnt(24)
	v_fma_f64 v[148:149], -v[150:151], v[198:199], v[148:149]
	ds_read2_b64 v[196:199], v247 offset0:21 offset1:22
	s_waitcnt vmcnt(23) lgkmcnt(2)
	v_fma_f64 v[108:109], -v[150:151], v[200:201], v[108:109]
	s_waitcnt vmcnt(22)
	v_fma_f64 v[146:147], -v[150:151], v[202:203], v[146:147]
	s_waitcnt vmcnt(21) lgkmcnt(1)
	v_fma_f64 v[106:107], -v[150:151], v[204:205], v[106:107]
	ds_read2_b64 v[200:203], v247 offset0:23 offset1:24
	s_waitcnt vmcnt(20)
	v_fma_f64 v[144:145], -v[150:151], v[206:207], v[144:145]
	ds_read2_b64 v[204:207], v247 offset0:25 offset1:26
	s_waitcnt vmcnt(19) lgkmcnt(2)
	v_fma_f64 v[104:105], -v[150:151], v[196:197], v[104:105]
	s_waitcnt vmcnt(18)
	v_fma_f64 v[142:143], -v[150:151], v[198:199], v[142:143]
	ds_read2_b64 v[196:199], v247 offset0:27 offset1:28
	s_waitcnt vmcnt(17) lgkmcnt(2)
	v_fma_f64 v[102:103], -v[150:151], v[200:201], v[102:103]
	;; [unrolled: 5-line block ×3, first 2 shown]
	s_waitcnt vmcnt(14)
	v_fma_f64 v[138:139], -v[150:151], v[206:207], v[138:139]
	s_waitcnt vmcnt(13) lgkmcnt(1)
	v_fma_f64 v[98:99], -v[150:151], v[196:197], v[98:99]
	ds_read2_b64 v[204:207], v247 offset0:31 offset1:32
	s_waitcnt vmcnt(12)
	v_fma_f64 v[136:137], -v[150:151], v[198:199], v[136:137]
	ds_read2_b64 v[196:199], v247 offset0:33 offset1:34
	s_waitcnt vmcnt(11) lgkmcnt(2)
	v_fma_f64 v[96:97], -v[150:151], v[200:201], v[96:97]
	s_waitcnt vmcnt(10)
	v_fma_f64 v[134:135], -v[150:151], v[202:203], v[134:135]
	s_waitcnt vmcnt(9) lgkmcnt(1)
	v_fma_f64 v[94:95], -v[150:151], v[204:205], v[94:95]
	s_waitcnt vmcnt(8)
	v_fma_f64 v[132:133], -v[150:151], v[206:207], v[132:133]
	ds_read2_b64 v[200:203], v247 offset0:35 offset1:36
	ds_read2_b64 v[204:207], v247 offset0:37 offset1:38
	s_waitcnt vmcnt(7) lgkmcnt(2)
	v_fma_f64 v[92:93], -v[150:151], v[196:197], v[92:93]
	s_waitcnt vmcnt(6)
	v_fma_f64 v[130:131], -v[150:151], v[198:199], v[130:131]
	ds_read2_b64 v[196:199], v247 offset0:39 offset1:40
	s_waitcnt vmcnt(5) lgkmcnt(2)
	v_fma_f64 v[90:91], -v[150:151], v[200:201], v[90:91]
	s_waitcnt vmcnt(4)
	v_fma_f64 v[128:129], -v[150:151], v[202:203], v[128:129]
	s_waitcnt vmcnt(3) lgkmcnt(1)
	v_fma_f64 v[88:89], -v[150:151], v[204:205], v[88:89]
	s_waitcnt vmcnt(2)
	v_fma_f64 v[126:127], -v[150:151], v[206:207], v[126:127]
	;; [unrolled: 4-line block ×3, first 2 shown]
.LBB81_76:
	s_or_b64 exec, exec, s[2:3]
	v_cmp_eq_u32_e32 vcc, 15, v248
	s_waitcnt lgkmcnt(0)
	s_barrier
	s_and_saveexec_b64 s[2:3], vcc
	s_cbranch_execz .LBB81_79
; %bb.77:
	s_waitcnt vmcnt(24)
	v_mov_b32_e32 v196, v148
	v_mov_b32_e32 v197, v149
	s_waitcnt vmcnt(23)
	v_mov_b32_e32 v198, v108
	v_mov_b32_e32 v199, v109
	ds_write_b64 v246, v[110:111]
	ds_write2_b64 v247, v[196:197], v[198:199] offset0:16 offset1:17
	s_waitcnt vmcnt(22)
	v_mov_b32_e32 v196, v146
	v_mov_b32_e32 v197, v147
	s_waitcnt vmcnt(21)
	v_mov_b32_e32 v198, v106
	v_mov_b32_e32 v199, v107
	ds_write2_b64 v247, v[196:197], v[198:199] offset0:18 offset1:19
	s_waitcnt vmcnt(20)
	v_mov_b32_e32 v196, v144
	v_mov_b32_e32 v197, v145
	s_waitcnt vmcnt(19)
	v_mov_b32_e32 v198, v104
	v_mov_b32_e32 v199, v105
	ds_write2_b64 v247, v[196:197], v[198:199] offset0:20 offset1:21
	s_waitcnt vmcnt(18)
	v_mov_b32_e32 v196, v142
	v_mov_b32_e32 v197, v143
	s_waitcnt vmcnt(17)
	v_mov_b32_e32 v198, v102
	v_mov_b32_e32 v199, v103
	ds_write2_b64 v247, v[196:197], v[198:199] offset0:22 offset1:23
	s_waitcnt vmcnt(16)
	v_mov_b32_e32 v196, v140
	v_mov_b32_e32 v197, v141
	s_waitcnt vmcnt(15)
	v_mov_b32_e32 v198, v100
	v_mov_b32_e32 v199, v101
	ds_write2_b64 v247, v[196:197], v[198:199] offset0:24 offset1:25
	s_waitcnt vmcnt(14)
	v_mov_b32_e32 v196, v138
	v_mov_b32_e32 v197, v139
	s_waitcnt vmcnt(13)
	v_mov_b32_e32 v198, v98
	v_mov_b32_e32 v199, v99
	ds_write2_b64 v247, v[196:197], v[198:199] offset0:26 offset1:27
	s_waitcnt vmcnt(12)
	v_mov_b32_e32 v196, v136
	v_mov_b32_e32 v197, v137
	s_waitcnt vmcnt(11)
	v_mov_b32_e32 v198, v96
	v_mov_b32_e32 v199, v97
	ds_write2_b64 v247, v[196:197], v[198:199] offset0:28 offset1:29
	s_waitcnt vmcnt(10)
	v_mov_b32_e32 v196, v134
	v_mov_b32_e32 v197, v135
	s_waitcnt vmcnt(9)
	v_mov_b32_e32 v198, v94
	v_mov_b32_e32 v199, v95
	ds_write2_b64 v247, v[196:197], v[198:199] offset0:30 offset1:31
	s_waitcnt vmcnt(8)
	v_mov_b32_e32 v196, v132
	v_mov_b32_e32 v197, v133
	s_waitcnt vmcnt(7)
	v_mov_b32_e32 v198, v92
	v_mov_b32_e32 v199, v93
	ds_write2_b64 v247, v[196:197], v[198:199] offset0:32 offset1:33
	s_waitcnt vmcnt(6)
	v_mov_b32_e32 v196, v130
	v_mov_b32_e32 v197, v131
	s_waitcnt vmcnt(5)
	v_mov_b32_e32 v198, v90
	v_mov_b32_e32 v199, v91
	ds_write2_b64 v247, v[196:197], v[198:199] offset0:34 offset1:35
	s_waitcnt vmcnt(4)
	v_mov_b32_e32 v196, v128
	v_mov_b32_e32 v197, v129
	s_waitcnt vmcnt(3)
	v_mov_b32_e32 v198, v88
	v_mov_b32_e32 v199, v89
	ds_write2_b64 v247, v[196:197], v[198:199] offset0:36 offset1:37
	s_waitcnt vmcnt(2)
	v_mov_b32_e32 v196, v126
	v_mov_b32_e32 v197, v127
	s_waitcnt vmcnt(1)
	v_mov_b32_e32 v198, v86
	v_mov_b32_e32 v199, v87
	ds_write2_b64 v247, v[196:197], v[198:199] offset0:38 offset1:39
	s_waitcnt vmcnt(0)
	ds_write_b64 v247, v[164:165] offset:320
	ds_read_b64 v[196:197], v246
	s_waitcnt lgkmcnt(0)
	v_cmp_neq_f64_e32 vcc, 0, v[196:197]
	s_and_b64 exec, exec, vcc
	s_cbranch_execz .LBB81_79
; %bb.78:
	v_div_scale_f64 v[198:199], s[6:7], v[196:197], v[196:197], 1.0
	v_rcp_f64_e32 v[200:201], v[198:199]
	v_div_scale_f64 v[202:203], vcc, 1.0, v[196:197], 1.0
	v_fma_f64 v[204:205], -v[198:199], v[200:201], 1.0
	v_fmac_f64_e32 v[200:201], v[200:201], v[204:205]
	v_fma_f64 v[204:205], -v[198:199], v[200:201], 1.0
	v_fmac_f64_e32 v[200:201], v[200:201], v[204:205]
	v_mul_f64 v[204:205], v[202:203], v[200:201]
	v_fma_f64 v[198:199], -v[198:199], v[204:205], v[202:203]
	v_div_fmas_f64 v[198:199], v[198:199], v[200:201], v[204:205]
	v_div_fixup_f64 v[196:197], v[198:199], v[196:197], 1.0
	ds_write_b64 v246, v[196:197]
.LBB81_79:
	s_or_b64 exec, exec, s[2:3]
	s_waitcnt lgkmcnt(0)
	s_barrier
	ds_read_b64 v[0:1], v246
	v_cmp_lt_u32_e32 vcc, 15, v248
	s_and_saveexec_b64 s[2:3], vcc
	s_cbranch_execz .LBB81_81
; %bb.80:
	ds_read2_b64 v[198:201], v247 offset0:16 offset1:17
	ds_read2_b64 v[202:205], v247 offset0:18 offset1:19
	s_waitcnt vmcnt(25) lgkmcnt(2)
	v_mul_f64 v[110:111], v[0:1], v[110:111]
	ds_read2_b64 v[206:209], v247 offset0:20 offset1:21
	s_waitcnt vmcnt(24) lgkmcnt(2)
	v_fma_f64 v[148:149], -v[110:111], v[198:199], v[148:149]
	s_waitcnt vmcnt(23)
	v_fma_f64 v[108:109], -v[110:111], v[200:201], v[108:109]
	ds_read2_b64 v[198:201], v247 offset0:22 offset1:23
	s_waitcnt vmcnt(22) lgkmcnt(2)
	v_fma_f64 v[146:147], -v[110:111], v[202:203], v[146:147]
	s_waitcnt vmcnt(21)
	v_fma_f64 v[106:107], -v[110:111], v[204:205], v[106:107]
	s_waitcnt vmcnt(20) lgkmcnt(1)
	v_fma_f64 v[144:145], -v[110:111], v[206:207], v[144:145]
	ds_read2_b64 v[202:205], v247 offset0:24 offset1:25
	s_waitcnt vmcnt(19)
	v_fma_f64 v[104:105], -v[110:111], v[208:209], v[104:105]
	ds_read2_b64 v[206:209], v247 offset0:26 offset1:27
	s_waitcnt vmcnt(18) lgkmcnt(2)
	v_fma_f64 v[142:143], -v[110:111], v[198:199], v[142:143]
	s_waitcnt vmcnt(17)
	v_fma_f64 v[102:103], -v[110:111], v[200:201], v[102:103]
	ds_read2_b64 v[198:201], v247 offset0:28 offset1:29
	s_waitcnt vmcnt(16) lgkmcnt(2)
	v_fma_f64 v[140:141], -v[110:111], v[202:203], v[140:141]
	;; [unrolled: 5-line block ×3, first 2 shown]
	s_waitcnt vmcnt(13)
	v_fma_f64 v[98:99], -v[110:111], v[208:209], v[98:99]
	s_waitcnt vmcnt(12) lgkmcnt(1)
	v_fma_f64 v[136:137], -v[110:111], v[198:199], v[136:137]
	ds_read2_b64 v[206:209], v247 offset0:32 offset1:33
	s_waitcnt vmcnt(11)
	v_fma_f64 v[96:97], -v[110:111], v[200:201], v[96:97]
	ds_read2_b64 v[198:201], v247 offset0:34 offset1:35
	s_waitcnt vmcnt(10) lgkmcnt(2)
	v_fma_f64 v[134:135], -v[110:111], v[202:203], v[134:135]
	s_waitcnt vmcnt(9)
	v_fma_f64 v[94:95], -v[110:111], v[204:205], v[94:95]
	s_waitcnt vmcnt(8) lgkmcnt(1)
	v_fma_f64 v[132:133], -v[110:111], v[206:207], v[132:133]
	s_waitcnt vmcnt(7)
	v_fma_f64 v[92:93], -v[110:111], v[208:209], v[92:93]
	ds_read2_b64 v[202:205], v247 offset0:36 offset1:37
	ds_read2_b64 v[206:209], v247 offset0:38 offset1:39
	s_waitcnt vmcnt(6) lgkmcnt(2)
	v_fma_f64 v[130:131], -v[110:111], v[198:199], v[130:131]
	ds_read_b64 v[198:199], v247 offset:320
	s_waitcnt vmcnt(5)
	v_fma_f64 v[90:91], -v[110:111], v[200:201], v[90:91]
	s_waitcnt vmcnt(4) lgkmcnt(2)
	v_fma_f64 v[128:129], -v[110:111], v[202:203], v[128:129]
	s_waitcnt vmcnt(3)
	v_fma_f64 v[88:89], -v[110:111], v[204:205], v[88:89]
	s_waitcnt vmcnt(2) lgkmcnt(1)
	v_fma_f64 v[126:127], -v[110:111], v[206:207], v[126:127]
	;; [unrolled: 4-line block ×3, first 2 shown]
.LBB81_81:
	s_or_b64 exec, exec, s[2:3]
	v_cmp_eq_u32_e32 vcc, 16, v248
	s_waitcnt lgkmcnt(0)
	s_barrier
	s_and_saveexec_b64 s[2:3], vcc
	s_cbranch_execz .LBB81_84
; %bb.82:
	s_waitcnt vmcnt(24)
	ds_write_b64 v246, v[148:149]
	s_waitcnt vmcnt(22)
	ds_write2_b64 v247, v[108:109], v[146:147] offset0:17 offset1:18
	s_waitcnt vmcnt(20)
	ds_write2_b64 v247, v[106:107], v[144:145] offset0:19 offset1:20
	;; [unrolled: 2-line block ×12, first 2 shown]
	ds_read_b64 v[198:199], v246
	s_waitcnt lgkmcnt(0)
	v_cmp_neq_f64_e32 vcc, 0, v[198:199]
	s_and_b64 exec, exec, vcc
	s_cbranch_execz .LBB81_84
; %bb.83:
	v_div_scale_f64 v[200:201], s[6:7], v[198:199], v[198:199], 1.0
	v_rcp_f64_e32 v[202:203], v[200:201]
	v_div_scale_f64 v[204:205], vcc, 1.0, v[198:199], 1.0
	v_fma_f64 v[206:207], -v[200:201], v[202:203], 1.0
	v_fmac_f64_e32 v[202:203], v[202:203], v[206:207]
	v_fma_f64 v[206:207], -v[200:201], v[202:203], 1.0
	v_fmac_f64_e32 v[202:203], v[202:203], v[206:207]
	v_mul_f64 v[206:207], v[204:205], v[202:203]
	v_fma_f64 v[200:201], -v[200:201], v[206:207], v[204:205]
	v_div_fmas_f64 v[200:201], v[200:201], v[202:203], v[206:207]
	v_div_fixup_f64 v[198:199], v[200:201], v[198:199], 1.0
	ds_write_b64 v246, v[198:199]
.LBB81_84:
	s_or_b64 exec, exec, s[2:3]
	s_waitcnt lgkmcnt(0)
	s_barrier
	ds_read_b64 v[198:199], v246
	v_cmp_lt_u32_e32 vcc, 16, v248
	s_and_saveexec_b64 s[2:3], vcc
	s_cbranch_execz .LBB81_86
; %bb.85:
	ds_read2_b64 v[200:203], v247 offset0:17 offset1:18
	ds_read2_b64 v[204:207], v247 offset0:19 offset1:20
	;; [unrolled: 1-line block ×3, first 2 shown]
	s_waitcnt vmcnt(24) lgkmcnt(3)
	v_mul_f64 v[148:149], v[198:199], v[148:149]
	s_waitcnt vmcnt(23) lgkmcnt(2)
	v_fma_f64 v[108:109], -v[148:149], v[200:201], v[108:109]
	s_waitcnt vmcnt(22)
	v_fma_f64 v[146:147], -v[148:149], v[202:203], v[146:147]
	ds_read2_b64 v[200:203], v247 offset0:23 offset1:24
	s_waitcnt vmcnt(21) lgkmcnt(2)
	v_fma_f64 v[106:107], -v[148:149], v[204:205], v[106:107]
	s_waitcnt vmcnt(20)
	v_fma_f64 v[144:145], -v[148:149], v[206:207], v[144:145]
	s_waitcnt vmcnt(19) lgkmcnt(1)
	v_fma_f64 v[104:105], -v[148:149], v[208:209], v[104:105]
	ds_read2_b64 v[204:207], v247 offset0:25 offset1:26
	s_waitcnt vmcnt(18)
	v_fma_f64 v[142:143], -v[148:149], v[210:211], v[142:143]
	ds_read2_b64 v[208:211], v247 offset0:27 offset1:28
	s_waitcnt vmcnt(17) lgkmcnt(2)
	v_fma_f64 v[102:103], -v[148:149], v[200:201], v[102:103]
	s_waitcnt vmcnt(16)
	v_fma_f64 v[140:141], -v[148:149], v[202:203], v[140:141]
	s_waitcnt vmcnt(15) lgkmcnt(1)
	v_fma_f64 v[100:101], -v[148:149], v[204:205], v[100:101]
	ds_read2_b64 v[200:203], v247 offset0:29 offset1:30
	s_waitcnt vmcnt(14)
	v_fma_f64 v[138:139], -v[148:149], v[206:207], v[138:139]
	ds_read2_b64 v[204:207], v247 offset0:31 offset1:32
	s_waitcnt vmcnt(13) lgkmcnt(2)
	v_fma_f64 v[98:99], -v[148:149], v[208:209], v[98:99]
	s_waitcnt vmcnt(12)
	v_fma_f64 v[136:137], -v[148:149], v[210:211], v[136:137]
	ds_read2_b64 v[208:211], v247 offset0:33 offset1:34
	s_waitcnt vmcnt(11) lgkmcnt(2)
	v_fma_f64 v[96:97], -v[148:149], v[200:201], v[96:97]
	;; [unrolled: 5-line block ×3, first 2 shown]
	s_waitcnt vmcnt(8)
	v_fma_f64 v[132:133], -v[148:149], v[206:207], v[132:133]
	s_waitcnt vmcnt(7) lgkmcnt(1)
	v_fma_f64 v[92:93], -v[148:149], v[208:209], v[92:93]
	ds_read2_b64 v[204:207], v247 offset0:37 offset1:38
	s_waitcnt vmcnt(6)
	v_fma_f64 v[130:131], -v[148:149], v[210:211], v[130:131]
	ds_read2_b64 v[208:211], v247 offset0:39 offset1:40
	s_waitcnt vmcnt(5) lgkmcnt(2)
	v_fma_f64 v[90:91], -v[148:149], v[200:201], v[90:91]
	s_waitcnt vmcnt(4)
	v_fma_f64 v[128:129], -v[148:149], v[202:203], v[128:129]
	s_waitcnt vmcnt(3) lgkmcnt(1)
	v_fma_f64 v[88:89], -v[148:149], v[204:205], v[88:89]
	s_waitcnt vmcnt(2)
	v_fma_f64 v[126:127], -v[148:149], v[206:207], v[126:127]
	s_waitcnt vmcnt(1) lgkmcnt(0)
	v_fma_f64 v[86:87], -v[148:149], v[208:209], v[86:87]
	s_waitcnt vmcnt(0)
	v_fma_f64 v[164:165], -v[148:149], v[210:211], v[164:165]
.LBB81_86:
	s_or_b64 exec, exec, s[2:3]
	v_cmp_eq_u32_e32 vcc, 17, v248
	s_waitcnt lgkmcnt(0)
	s_barrier
	s_and_saveexec_b64 s[2:3], vcc
	s_cbranch_execz .LBB81_89
; %bb.87:
	s_waitcnt vmcnt(22)
	v_mov_b32_e32 v200, v146
	v_mov_b32_e32 v201, v147
	s_waitcnt vmcnt(21)
	v_mov_b32_e32 v202, v106
	v_mov_b32_e32 v203, v107
	ds_write_b64 v246, v[108:109]
	ds_write2_b64 v247, v[200:201], v[202:203] offset0:18 offset1:19
	s_waitcnt vmcnt(20)
	v_mov_b32_e32 v200, v144
	v_mov_b32_e32 v201, v145
	s_waitcnt vmcnt(19)
	v_mov_b32_e32 v202, v104
	v_mov_b32_e32 v203, v105
	ds_write2_b64 v247, v[200:201], v[202:203] offset0:20 offset1:21
	s_waitcnt vmcnt(18)
	v_mov_b32_e32 v200, v142
	v_mov_b32_e32 v201, v143
	s_waitcnt vmcnt(17)
	v_mov_b32_e32 v202, v102
	v_mov_b32_e32 v203, v103
	;; [unrolled: 7-line block ×10, first 2 shown]
	ds_write2_b64 v247, v[200:201], v[202:203] offset0:38 offset1:39
	s_waitcnt vmcnt(0)
	ds_write_b64 v247, v[164:165] offset:320
	ds_read_b64 v[200:201], v246
	s_waitcnt lgkmcnt(0)
	v_cmp_neq_f64_e32 vcc, 0, v[200:201]
	s_and_b64 exec, exec, vcc
	s_cbranch_execz .LBB81_89
; %bb.88:
	v_div_scale_f64 v[202:203], s[6:7], v[200:201], v[200:201], 1.0
	v_rcp_f64_e32 v[204:205], v[202:203]
	v_div_scale_f64 v[206:207], vcc, 1.0, v[200:201], 1.0
	v_fma_f64 v[208:209], -v[202:203], v[204:205], 1.0
	v_fmac_f64_e32 v[204:205], v[204:205], v[208:209]
	v_fma_f64 v[208:209], -v[202:203], v[204:205], 1.0
	v_fmac_f64_e32 v[204:205], v[204:205], v[208:209]
	v_mul_f64 v[208:209], v[206:207], v[204:205]
	v_fma_f64 v[202:203], -v[202:203], v[208:209], v[206:207]
	v_div_fmas_f64 v[202:203], v[202:203], v[204:205], v[208:209]
	v_div_fixup_f64 v[200:201], v[202:203], v[200:201], 1.0
	ds_write_b64 v246, v[200:201]
.LBB81_89:
	s_or_b64 exec, exec, s[2:3]
	s_waitcnt lgkmcnt(0)
	s_barrier
	ds_read_b64 v[200:201], v246
	v_cmp_lt_u32_e32 vcc, 17, v248
	s_and_saveexec_b64 s[2:3], vcc
	s_cbranch_execz .LBB81_91
; %bb.90:
	ds_read2_b64 v[202:205], v247 offset0:18 offset1:19
	ds_read2_b64 v[206:209], v247 offset0:20 offset1:21
	;; [unrolled: 1-line block ×3, first 2 shown]
	s_waitcnt vmcnt(23) lgkmcnt(3)
	v_mul_f64 v[108:109], v[200:201], v[108:109]
	s_waitcnt vmcnt(22) lgkmcnt(2)
	v_fma_f64 v[146:147], -v[108:109], v[202:203], v[146:147]
	s_waitcnt vmcnt(21)
	v_fma_f64 v[106:107], -v[108:109], v[204:205], v[106:107]
	ds_read2_b64 v[202:205], v247 offset0:24 offset1:25
	s_waitcnt vmcnt(20) lgkmcnt(2)
	v_fma_f64 v[144:145], -v[108:109], v[206:207], v[144:145]
	s_waitcnt vmcnt(19)
	v_fma_f64 v[104:105], -v[108:109], v[208:209], v[104:105]
	s_waitcnt vmcnt(18) lgkmcnt(1)
	v_fma_f64 v[142:143], -v[108:109], v[210:211], v[142:143]
	ds_read2_b64 v[206:209], v247 offset0:26 offset1:27
	s_waitcnt vmcnt(17)
	v_fma_f64 v[102:103], -v[108:109], v[212:213], v[102:103]
	ds_read2_b64 v[210:213], v247 offset0:28 offset1:29
	s_waitcnt vmcnt(16) lgkmcnt(2)
	v_fma_f64 v[140:141], -v[108:109], v[202:203], v[140:141]
	s_waitcnt vmcnt(15)
	v_fma_f64 v[100:101], -v[108:109], v[204:205], v[100:101]
	s_waitcnt vmcnt(14) lgkmcnt(1)
	v_fma_f64 v[138:139], -v[108:109], v[206:207], v[138:139]
	ds_read2_b64 v[202:205], v247 offset0:30 offset1:31
	s_waitcnt vmcnt(13)
	v_fma_f64 v[98:99], -v[108:109], v[208:209], v[98:99]
	ds_read2_b64 v[206:209], v247 offset0:32 offset1:33
	s_waitcnt vmcnt(12) lgkmcnt(2)
	v_fma_f64 v[136:137], -v[108:109], v[210:211], v[136:137]
	s_waitcnt vmcnt(11)
	v_fma_f64 v[96:97], -v[108:109], v[212:213], v[96:97]
	ds_read2_b64 v[210:213], v247 offset0:34 offset1:35
	s_waitcnt vmcnt(10) lgkmcnt(2)
	v_fma_f64 v[134:135], -v[108:109], v[202:203], v[134:135]
	;; [unrolled: 5-line block ×3, first 2 shown]
	s_waitcnt vmcnt(7)
	v_fma_f64 v[92:93], -v[108:109], v[208:209], v[92:93]
	s_waitcnt vmcnt(6) lgkmcnt(1)
	v_fma_f64 v[130:131], -v[108:109], v[210:211], v[130:131]
	ds_read2_b64 v[206:209], v247 offset0:38 offset1:39
	ds_read_b64 v[210:211], v247 offset:320
	s_waitcnt vmcnt(5)
	v_fma_f64 v[90:91], -v[108:109], v[212:213], v[90:91]
	s_waitcnt vmcnt(4) lgkmcnt(2)
	v_fma_f64 v[128:129], -v[108:109], v[202:203], v[128:129]
	s_waitcnt vmcnt(3)
	v_fma_f64 v[88:89], -v[108:109], v[204:205], v[88:89]
	s_waitcnt vmcnt(2) lgkmcnt(1)
	v_fma_f64 v[126:127], -v[108:109], v[206:207], v[126:127]
	;; [unrolled: 4-line block ×3, first 2 shown]
.LBB81_91:
	s_or_b64 exec, exec, s[2:3]
	v_cmp_eq_u32_e32 vcc, 18, v248
	s_waitcnt lgkmcnt(0)
	s_barrier
	s_and_saveexec_b64 s[2:3], vcc
	s_cbranch_execz .LBB81_94
; %bb.92:
	s_waitcnt vmcnt(22)
	ds_write_b64 v246, v[146:147]
	s_waitcnt vmcnt(20)
	ds_write2_b64 v247, v[106:107], v[144:145] offset0:19 offset1:20
	s_waitcnt vmcnt(18)
	ds_write2_b64 v247, v[104:105], v[142:143] offset0:21 offset1:22
	;; [unrolled: 2-line block ×11, first 2 shown]
	ds_read_b64 v[202:203], v246
	s_waitcnt lgkmcnt(0)
	v_cmp_neq_f64_e32 vcc, 0, v[202:203]
	s_and_b64 exec, exec, vcc
	s_cbranch_execz .LBB81_94
; %bb.93:
	v_div_scale_f64 v[204:205], s[6:7], v[202:203], v[202:203], 1.0
	v_rcp_f64_e32 v[206:207], v[204:205]
	v_div_scale_f64 v[208:209], vcc, 1.0, v[202:203], 1.0
	v_fma_f64 v[210:211], -v[204:205], v[206:207], 1.0
	v_fmac_f64_e32 v[206:207], v[206:207], v[210:211]
	v_fma_f64 v[210:211], -v[204:205], v[206:207], 1.0
	v_fmac_f64_e32 v[206:207], v[206:207], v[210:211]
	v_mul_f64 v[210:211], v[208:209], v[206:207]
	v_fma_f64 v[204:205], -v[204:205], v[210:211], v[208:209]
	v_div_fmas_f64 v[204:205], v[204:205], v[206:207], v[210:211]
	v_div_fixup_f64 v[202:203], v[204:205], v[202:203], 1.0
	ds_write_b64 v246, v[202:203]
.LBB81_94:
	s_or_b64 exec, exec, s[2:3]
	s_waitcnt lgkmcnt(0)
	s_barrier
	ds_read_b64 v[202:203], v246
	v_cmp_lt_u32_e32 vcc, 18, v248
	s_and_saveexec_b64 s[2:3], vcc
	s_cbranch_execz .LBB81_96
; %bb.95:
	ds_read2_b64 v[204:207], v247 offset0:19 offset1:20
	ds_read2_b64 v[208:211], v247 offset0:21 offset1:22
	s_waitcnt vmcnt(22) lgkmcnt(2)
	v_mul_f64 v[146:147], v[202:203], v[146:147]
	ds_read2_b64 v[212:215], v247 offset0:23 offset1:24
	s_waitcnt vmcnt(21) lgkmcnt(2)
	v_fma_f64 v[106:107], -v[146:147], v[204:205], v[106:107]
	s_waitcnt vmcnt(20)
	v_fma_f64 v[144:145], -v[146:147], v[206:207], v[144:145]
	ds_read2_b64 v[204:207], v247 offset0:25 offset1:26
	s_waitcnt vmcnt(19) lgkmcnt(2)
	v_fma_f64 v[104:105], -v[146:147], v[208:209], v[104:105]
	s_waitcnt vmcnt(18)
	v_fma_f64 v[142:143], -v[146:147], v[210:211], v[142:143]
	;; [unrolled: 5-line block ×4, first 2 shown]
	s_waitcnt vmcnt(13) lgkmcnt(1)
	v_fma_f64 v[98:99], -v[146:147], v[208:209], v[98:99]
	ds_read2_b64 v[204:207], v247 offset0:31 offset1:32
	s_waitcnt vmcnt(12)
	v_fma_f64 v[136:137], -v[146:147], v[210:211], v[136:137]
	ds_read2_b64 v[208:211], v247 offset0:33 offset1:34
	s_waitcnt vmcnt(11) lgkmcnt(2)
	v_fma_f64 v[96:97], -v[146:147], v[212:213], v[96:97]
	s_waitcnt vmcnt(10)
	v_fma_f64 v[134:135], -v[146:147], v[214:215], v[134:135]
	s_waitcnt vmcnt(9) lgkmcnt(1)
	v_fma_f64 v[94:95], -v[146:147], v[204:205], v[94:95]
	s_waitcnt vmcnt(8)
	v_fma_f64 v[132:133], -v[146:147], v[206:207], v[132:133]
	ds_read2_b64 v[204:207], v247 offset0:35 offset1:36
	ds_read2_b64 v[212:215], v247 offset0:37 offset1:38
	s_waitcnt vmcnt(7) lgkmcnt(2)
	v_fma_f64 v[92:93], -v[146:147], v[208:209], v[92:93]
	s_waitcnt vmcnt(6)
	v_fma_f64 v[130:131], -v[146:147], v[210:211], v[130:131]
	ds_read2_b64 v[208:211], v247 offset0:39 offset1:40
	s_waitcnt vmcnt(5) lgkmcnt(2)
	v_fma_f64 v[90:91], -v[146:147], v[204:205], v[90:91]
	s_waitcnt vmcnt(4)
	v_fma_f64 v[128:129], -v[146:147], v[206:207], v[128:129]
	s_waitcnt vmcnt(3) lgkmcnt(1)
	v_fma_f64 v[88:89], -v[146:147], v[212:213], v[88:89]
	s_waitcnt vmcnt(2)
	v_fma_f64 v[126:127], -v[146:147], v[214:215], v[126:127]
	s_waitcnt vmcnt(1) lgkmcnt(0)
	v_fma_f64 v[86:87], -v[146:147], v[208:209], v[86:87]
	s_waitcnt vmcnt(0)
	v_fma_f64 v[164:165], -v[146:147], v[210:211], v[164:165]
.LBB81_96:
	s_or_b64 exec, exec, s[2:3]
	v_cmp_eq_u32_e32 vcc, 19, v248
	s_waitcnt lgkmcnt(0)
	s_barrier
	s_and_saveexec_b64 s[2:3], vcc
	s_cbranch_execz .LBB81_99
; %bb.97:
	s_waitcnt vmcnt(20)
	v_mov_b32_e32 v204, v144
	v_mov_b32_e32 v205, v145
	s_waitcnt vmcnt(19)
	v_mov_b32_e32 v206, v104
	v_mov_b32_e32 v207, v105
	ds_write_b64 v246, v[106:107]
	ds_write2_b64 v247, v[204:205], v[206:207] offset0:20 offset1:21
	s_waitcnt vmcnt(18)
	v_mov_b32_e32 v204, v142
	v_mov_b32_e32 v205, v143
	s_waitcnt vmcnt(17)
	v_mov_b32_e32 v206, v102
	v_mov_b32_e32 v207, v103
	ds_write2_b64 v247, v[204:205], v[206:207] offset0:22 offset1:23
	s_waitcnt vmcnt(16)
	v_mov_b32_e32 v204, v140
	v_mov_b32_e32 v205, v141
	s_waitcnt vmcnt(15)
	v_mov_b32_e32 v206, v100
	v_mov_b32_e32 v207, v101
	;; [unrolled: 7-line block ×9, first 2 shown]
	ds_write2_b64 v247, v[204:205], v[206:207] offset0:38 offset1:39
	s_waitcnt vmcnt(0)
	ds_write_b64 v247, v[164:165] offset:320
	ds_read_b64 v[204:205], v246
	s_waitcnt lgkmcnt(0)
	v_cmp_neq_f64_e32 vcc, 0, v[204:205]
	s_and_b64 exec, exec, vcc
	s_cbranch_execz .LBB81_99
; %bb.98:
	v_div_scale_f64 v[206:207], s[6:7], v[204:205], v[204:205], 1.0
	v_rcp_f64_e32 v[208:209], v[206:207]
	v_div_scale_f64 v[210:211], vcc, 1.0, v[204:205], 1.0
	v_fma_f64 v[212:213], -v[206:207], v[208:209], 1.0
	v_fmac_f64_e32 v[208:209], v[208:209], v[212:213]
	v_fma_f64 v[212:213], -v[206:207], v[208:209], 1.0
	v_fmac_f64_e32 v[208:209], v[208:209], v[212:213]
	v_mul_f64 v[212:213], v[210:211], v[208:209]
	v_fma_f64 v[206:207], -v[206:207], v[212:213], v[210:211]
	v_div_fmas_f64 v[206:207], v[206:207], v[208:209], v[212:213]
	v_div_fixup_f64 v[204:205], v[206:207], v[204:205], 1.0
	ds_write_b64 v246, v[204:205]
.LBB81_99:
	s_or_b64 exec, exec, s[2:3]
	s_waitcnt lgkmcnt(0)
	s_barrier
	ds_read_b64 v[204:205], v246
	v_cmp_lt_u32_e32 vcc, 19, v248
	s_and_saveexec_b64 s[2:3], vcc
	s_cbranch_execz .LBB81_101
; %bb.100:
	ds_read2_b64 v[206:209], v247 offset0:20 offset1:21
	ds_read2_b64 v[210:213], v247 offset0:22 offset1:23
	s_waitcnt vmcnt(21) lgkmcnt(2)
	v_mul_f64 v[106:107], v[204:205], v[106:107]
	ds_read2_b64 v[214:217], v247 offset0:24 offset1:25
	s_waitcnt vmcnt(20) lgkmcnt(2)
	v_fma_f64 v[144:145], -v[106:107], v[206:207], v[144:145]
	s_waitcnt vmcnt(19)
	v_fma_f64 v[104:105], -v[106:107], v[208:209], v[104:105]
	ds_read2_b64 v[206:209], v247 offset0:26 offset1:27
	s_waitcnt vmcnt(18) lgkmcnt(2)
	v_fma_f64 v[142:143], -v[106:107], v[210:211], v[142:143]
	s_waitcnt vmcnt(17)
	v_fma_f64 v[102:103], -v[106:107], v[212:213], v[102:103]
	ds_read2_b64 v[210:213], v247 offset0:28 offset1:29
	s_waitcnt vmcnt(16) lgkmcnt(2)
	v_fma_f64 v[140:141], -v[106:107], v[214:215], v[140:141]
	s_waitcnt vmcnt(15)
	v_fma_f64 v[100:101], -v[106:107], v[216:217], v[100:101]
	ds_read2_b64 v[214:217], v247 offset0:30 offset1:31
	s_waitcnt vmcnt(14) lgkmcnt(2)
	v_fma_f64 v[138:139], -v[106:107], v[206:207], v[138:139]
	s_waitcnt vmcnt(13)
	v_fma_f64 v[98:99], -v[106:107], v[208:209], v[98:99]
	s_waitcnt vmcnt(12) lgkmcnt(1)
	v_fma_f64 v[136:137], -v[106:107], v[210:211], v[136:137]
	ds_read2_b64 v[206:209], v247 offset0:32 offset1:33
	s_waitcnt vmcnt(11)
	v_fma_f64 v[96:97], -v[106:107], v[212:213], v[96:97]
	ds_read2_b64 v[210:213], v247 offset0:34 offset1:35
	s_waitcnt vmcnt(10) lgkmcnt(2)
	v_fma_f64 v[134:135], -v[106:107], v[214:215], v[134:135]
	s_waitcnt vmcnt(9)
	v_fma_f64 v[94:95], -v[106:107], v[216:217], v[94:95]
	s_waitcnt vmcnt(8) lgkmcnt(1)
	v_fma_f64 v[132:133], -v[106:107], v[206:207], v[132:133]
	s_waitcnt vmcnt(7)
	v_fma_f64 v[92:93], -v[106:107], v[208:209], v[92:93]
	ds_read2_b64 v[206:209], v247 offset0:36 offset1:37
	ds_read2_b64 v[214:217], v247 offset0:38 offset1:39
	s_waitcnt vmcnt(6) lgkmcnt(2)
	v_fma_f64 v[130:131], -v[106:107], v[210:211], v[130:131]
	ds_read_b64 v[210:211], v247 offset:320
	s_waitcnt vmcnt(5)
	v_fma_f64 v[90:91], -v[106:107], v[212:213], v[90:91]
	s_waitcnt vmcnt(4) lgkmcnt(2)
	v_fma_f64 v[128:129], -v[106:107], v[206:207], v[128:129]
	s_waitcnt vmcnt(3)
	v_fma_f64 v[88:89], -v[106:107], v[208:209], v[88:89]
	s_waitcnt vmcnt(2) lgkmcnt(1)
	v_fma_f64 v[126:127], -v[106:107], v[214:215], v[126:127]
	;; [unrolled: 4-line block ×3, first 2 shown]
.LBB81_101:
	s_or_b64 exec, exec, s[2:3]
	v_cmp_eq_u32_e32 vcc, 20, v248
	s_waitcnt lgkmcnt(0)
	s_barrier
	s_and_saveexec_b64 s[2:3], vcc
	s_cbranch_execz .LBB81_104
; %bb.102:
	s_waitcnt vmcnt(20)
	ds_write_b64 v246, v[144:145]
	s_waitcnt vmcnt(18)
	ds_write2_b64 v247, v[104:105], v[142:143] offset0:21 offset1:22
	s_waitcnt vmcnt(16)
	ds_write2_b64 v247, v[102:103], v[140:141] offset0:23 offset1:24
	;; [unrolled: 2-line block ×10, first 2 shown]
	ds_read_b64 v[206:207], v246
	s_waitcnt lgkmcnt(0)
	v_cmp_neq_f64_e32 vcc, 0, v[206:207]
	s_and_b64 exec, exec, vcc
	s_cbranch_execz .LBB81_104
; %bb.103:
	v_div_scale_f64 v[208:209], s[6:7], v[206:207], v[206:207], 1.0
	v_rcp_f64_e32 v[210:211], v[208:209]
	v_div_scale_f64 v[212:213], vcc, 1.0, v[206:207], 1.0
	v_fma_f64 v[214:215], -v[208:209], v[210:211], 1.0
	v_fmac_f64_e32 v[210:211], v[210:211], v[214:215]
	v_fma_f64 v[214:215], -v[208:209], v[210:211], 1.0
	v_fmac_f64_e32 v[210:211], v[210:211], v[214:215]
	v_mul_f64 v[214:215], v[212:213], v[210:211]
	v_fma_f64 v[208:209], -v[208:209], v[214:215], v[212:213]
	v_div_fmas_f64 v[208:209], v[208:209], v[210:211], v[214:215]
	v_div_fixup_f64 v[206:207], v[208:209], v[206:207], 1.0
	ds_write_b64 v246, v[206:207]
.LBB81_104:
	s_or_b64 exec, exec, s[2:3]
	s_waitcnt lgkmcnt(0)
	s_barrier
	ds_read_b64 v[206:207], v246
	v_cmp_lt_u32_e32 vcc, 20, v248
	s_and_saveexec_b64 s[2:3], vcc
	s_cbranch_execz .LBB81_106
; %bb.105:
	ds_read2_b64 v[208:211], v247 offset0:21 offset1:22
	ds_read2_b64 v[212:215], v247 offset0:23 offset1:24
	s_waitcnt vmcnt(20) lgkmcnt(2)
	v_mul_f64 v[144:145], v[206:207], v[144:145]
	ds_read2_b64 v[216:219], v247 offset0:25 offset1:26
	s_waitcnt vmcnt(19) lgkmcnt(2)
	v_fma_f64 v[104:105], -v[144:145], v[208:209], v[104:105]
	s_waitcnt vmcnt(18)
	v_fma_f64 v[142:143], -v[144:145], v[210:211], v[142:143]
	ds_read2_b64 v[208:211], v247 offset0:27 offset1:28
	s_waitcnt vmcnt(17) lgkmcnt(2)
	v_fma_f64 v[102:103], -v[144:145], v[212:213], v[102:103]
	s_waitcnt vmcnt(16)
	v_fma_f64 v[140:141], -v[144:145], v[214:215], v[140:141]
	s_waitcnt vmcnt(15) lgkmcnt(1)
	v_fma_f64 v[100:101], -v[144:145], v[216:217], v[100:101]
	ds_read2_b64 v[212:215], v247 offset0:29 offset1:30
	s_waitcnt vmcnt(14)
	v_fma_f64 v[138:139], -v[144:145], v[218:219], v[138:139]
	ds_read2_b64 v[216:219], v247 offset0:31 offset1:32
	s_waitcnt vmcnt(13) lgkmcnt(2)
	v_fma_f64 v[98:99], -v[144:145], v[208:209], v[98:99]
	s_waitcnt vmcnt(12)
	v_fma_f64 v[136:137], -v[144:145], v[210:211], v[136:137]
	ds_read2_b64 v[208:211], v247 offset0:33 offset1:34
	s_waitcnt vmcnt(11) lgkmcnt(2)
	v_fma_f64 v[96:97], -v[144:145], v[212:213], v[96:97]
	;; [unrolled: 5-line block ×3, first 2 shown]
	s_waitcnt vmcnt(8)
	v_fma_f64 v[132:133], -v[144:145], v[218:219], v[132:133]
	s_waitcnt vmcnt(7) lgkmcnt(1)
	v_fma_f64 v[92:93], -v[144:145], v[208:209], v[92:93]
	ds_read2_b64 v[216:219], v247 offset0:37 offset1:38
	s_waitcnt vmcnt(6)
	v_fma_f64 v[130:131], -v[144:145], v[210:211], v[130:131]
	ds_read2_b64 v[208:211], v247 offset0:39 offset1:40
	s_waitcnt vmcnt(5) lgkmcnt(2)
	v_fma_f64 v[90:91], -v[144:145], v[212:213], v[90:91]
	s_waitcnt vmcnt(4)
	v_fma_f64 v[128:129], -v[144:145], v[214:215], v[128:129]
	s_waitcnt vmcnt(3) lgkmcnt(1)
	v_fma_f64 v[88:89], -v[144:145], v[216:217], v[88:89]
	s_waitcnt vmcnt(2)
	v_fma_f64 v[126:127], -v[144:145], v[218:219], v[126:127]
	s_waitcnt vmcnt(1) lgkmcnt(0)
	v_fma_f64 v[86:87], -v[144:145], v[208:209], v[86:87]
	s_waitcnt vmcnt(0)
	v_fma_f64 v[164:165], -v[144:145], v[210:211], v[164:165]
.LBB81_106:
	s_or_b64 exec, exec, s[2:3]
	v_cmp_eq_u32_e32 vcc, 21, v248
	s_waitcnt lgkmcnt(0)
	s_barrier
	s_and_saveexec_b64 s[2:3], vcc
	s_cbranch_execz .LBB81_109
; %bb.107:
	s_waitcnt vmcnt(18)
	v_mov_b32_e32 v208, v142
	v_mov_b32_e32 v209, v143
	s_waitcnt vmcnt(17)
	v_mov_b32_e32 v210, v102
	v_mov_b32_e32 v211, v103
	ds_write_b64 v246, v[104:105]
	ds_write2_b64 v247, v[208:209], v[210:211] offset0:22 offset1:23
	s_waitcnt vmcnt(16)
	v_mov_b32_e32 v208, v140
	v_mov_b32_e32 v209, v141
	s_waitcnt vmcnt(15)
	v_mov_b32_e32 v210, v100
	v_mov_b32_e32 v211, v101
	ds_write2_b64 v247, v[208:209], v[210:211] offset0:24 offset1:25
	s_waitcnt vmcnt(14)
	v_mov_b32_e32 v208, v138
	v_mov_b32_e32 v209, v139
	s_waitcnt vmcnt(13)
	v_mov_b32_e32 v210, v98
	v_mov_b32_e32 v211, v99
	;; [unrolled: 7-line block ×8, first 2 shown]
	ds_write2_b64 v247, v[208:209], v[210:211] offset0:38 offset1:39
	s_waitcnt vmcnt(0)
	ds_write_b64 v247, v[164:165] offset:320
	ds_read_b64 v[208:209], v246
	s_waitcnt lgkmcnt(0)
	v_cmp_neq_f64_e32 vcc, 0, v[208:209]
	s_and_b64 exec, exec, vcc
	s_cbranch_execz .LBB81_109
; %bb.108:
	v_div_scale_f64 v[210:211], s[6:7], v[208:209], v[208:209], 1.0
	v_rcp_f64_e32 v[212:213], v[210:211]
	v_div_scale_f64 v[214:215], vcc, 1.0, v[208:209], 1.0
	v_fma_f64 v[216:217], -v[210:211], v[212:213], 1.0
	v_fmac_f64_e32 v[212:213], v[212:213], v[216:217]
	v_fma_f64 v[216:217], -v[210:211], v[212:213], 1.0
	v_fmac_f64_e32 v[212:213], v[212:213], v[216:217]
	v_mul_f64 v[216:217], v[214:215], v[212:213]
	v_fma_f64 v[210:211], -v[210:211], v[216:217], v[214:215]
	v_div_fmas_f64 v[210:211], v[210:211], v[212:213], v[216:217]
	v_div_fixup_f64 v[208:209], v[210:211], v[208:209], 1.0
	ds_write_b64 v246, v[208:209]
.LBB81_109:
	s_or_b64 exec, exec, s[2:3]
	s_waitcnt lgkmcnt(0)
	s_barrier
	ds_read_b64 v[208:209], v246
	v_cmp_lt_u32_e32 vcc, 21, v248
	s_and_saveexec_b64 s[2:3], vcc
	s_cbranch_execz .LBB81_111
; %bb.110:
	ds_read2_b64 v[210:213], v247 offset0:22 offset1:23
	ds_read2_b64 v[214:217], v247 offset0:24 offset1:25
	s_waitcnt vmcnt(19) lgkmcnt(2)
	v_mul_f64 v[104:105], v[208:209], v[104:105]
	ds_read2_b64 v[218:221], v247 offset0:26 offset1:27
	s_waitcnt vmcnt(18) lgkmcnt(2)
	v_fma_f64 v[142:143], -v[104:105], v[210:211], v[142:143]
	s_waitcnt vmcnt(17)
	v_fma_f64 v[102:103], -v[104:105], v[212:213], v[102:103]
	ds_read2_b64 v[210:213], v247 offset0:28 offset1:29
	s_waitcnt vmcnt(16) lgkmcnt(2)
	v_fma_f64 v[140:141], -v[104:105], v[214:215], v[140:141]
	s_waitcnt vmcnt(15)
	v_fma_f64 v[100:101], -v[104:105], v[216:217], v[100:101]
	s_waitcnt vmcnt(14) lgkmcnt(1)
	v_fma_f64 v[138:139], -v[104:105], v[218:219], v[138:139]
	ds_read2_b64 v[214:217], v247 offset0:30 offset1:31
	s_waitcnt vmcnt(13)
	v_fma_f64 v[98:99], -v[104:105], v[220:221], v[98:99]
	ds_read2_b64 v[218:221], v247 offset0:32 offset1:33
	s_waitcnt vmcnt(12) lgkmcnt(2)
	v_fma_f64 v[136:137], -v[104:105], v[210:211], v[136:137]
	s_waitcnt vmcnt(11)
	v_fma_f64 v[96:97], -v[104:105], v[212:213], v[96:97]
	ds_read2_b64 v[210:213], v247 offset0:34 offset1:35
	s_waitcnt vmcnt(10) lgkmcnt(2)
	v_fma_f64 v[134:135], -v[104:105], v[214:215], v[134:135]
	;; [unrolled: 5-line block ×3, first 2 shown]
	s_waitcnt vmcnt(7)
	v_fma_f64 v[92:93], -v[104:105], v[220:221], v[92:93]
	s_waitcnt vmcnt(6) lgkmcnt(1)
	v_fma_f64 v[130:131], -v[104:105], v[210:211], v[130:131]
	ds_read2_b64 v[218:221], v247 offset0:38 offset1:39
	ds_read_b64 v[210:211], v247 offset:320
	s_waitcnt vmcnt(5)
	v_fma_f64 v[90:91], -v[104:105], v[212:213], v[90:91]
	s_waitcnt vmcnt(4) lgkmcnt(2)
	v_fma_f64 v[128:129], -v[104:105], v[214:215], v[128:129]
	s_waitcnt vmcnt(3)
	v_fma_f64 v[88:89], -v[104:105], v[216:217], v[88:89]
	s_waitcnt vmcnt(2) lgkmcnt(1)
	v_fma_f64 v[126:127], -v[104:105], v[218:219], v[126:127]
	;; [unrolled: 4-line block ×3, first 2 shown]
.LBB81_111:
	s_or_b64 exec, exec, s[2:3]
	v_cmp_eq_u32_e32 vcc, 22, v248
	s_waitcnt lgkmcnt(0)
	s_barrier
	s_and_saveexec_b64 s[2:3], vcc
	s_cbranch_execz .LBB81_114
; %bb.112:
	s_waitcnt vmcnt(18)
	ds_write_b64 v246, v[142:143]
	s_waitcnt vmcnt(16)
	ds_write2_b64 v247, v[102:103], v[140:141] offset0:23 offset1:24
	s_waitcnt vmcnt(14)
	ds_write2_b64 v247, v[100:101], v[138:139] offset0:25 offset1:26
	;; [unrolled: 2-line block ×9, first 2 shown]
	ds_read_b64 v[210:211], v246
	s_waitcnt lgkmcnt(0)
	v_cmp_neq_f64_e32 vcc, 0, v[210:211]
	s_and_b64 exec, exec, vcc
	s_cbranch_execz .LBB81_114
; %bb.113:
	v_div_scale_f64 v[212:213], s[6:7], v[210:211], v[210:211], 1.0
	v_rcp_f64_e32 v[214:215], v[212:213]
	v_div_scale_f64 v[216:217], vcc, 1.0, v[210:211], 1.0
	v_fma_f64 v[218:219], -v[212:213], v[214:215], 1.0
	v_fmac_f64_e32 v[214:215], v[214:215], v[218:219]
	v_fma_f64 v[218:219], -v[212:213], v[214:215], 1.0
	v_fmac_f64_e32 v[214:215], v[214:215], v[218:219]
	v_mul_f64 v[218:219], v[216:217], v[214:215]
	v_fma_f64 v[212:213], -v[212:213], v[218:219], v[216:217]
	v_div_fmas_f64 v[212:213], v[212:213], v[214:215], v[218:219]
	v_div_fixup_f64 v[210:211], v[212:213], v[210:211], 1.0
	ds_write_b64 v246, v[210:211]
.LBB81_114:
	s_or_b64 exec, exec, s[2:3]
	s_waitcnt lgkmcnt(0)
	s_barrier
	ds_read_b64 v[210:211], v246
	v_cmp_lt_u32_e32 vcc, 22, v248
	s_and_saveexec_b64 s[2:3], vcc
	s_cbranch_execz .LBB81_116
; %bb.115:
	ds_read2_b64 v[212:215], v247 offset0:23 offset1:24
	ds_read2_b64 v[216:219], v247 offset0:25 offset1:26
	;; [unrolled: 1-line block ×3, first 2 shown]
	s_waitcnt vmcnt(18) lgkmcnt(3)
	v_mul_f64 v[142:143], v[210:211], v[142:143]
	s_waitcnt vmcnt(17) lgkmcnt(2)
	v_fma_f64 v[102:103], -v[142:143], v[212:213], v[102:103]
	s_waitcnt vmcnt(16)
	v_fma_f64 v[140:141], -v[142:143], v[214:215], v[140:141]
	ds_read2_b64 v[212:215], v247 offset0:29 offset1:30
	s_waitcnt vmcnt(15) lgkmcnt(2)
	v_fma_f64 v[100:101], -v[142:143], v[216:217], v[100:101]
	s_waitcnt vmcnt(14)
	v_fma_f64 v[138:139], -v[142:143], v[218:219], v[138:139]
	s_waitcnt vmcnt(13) lgkmcnt(1)
	v_fma_f64 v[98:99], -v[142:143], v[220:221], v[98:99]
	ds_read2_b64 v[216:219], v247 offset0:31 offset1:32
	s_waitcnt vmcnt(12)
	v_fma_f64 v[136:137], -v[142:143], v[222:223], v[136:137]
	ds_read2_b64 v[220:223], v247 offset0:33 offset1:34
	s_waitcnt vmcnt(11) lgkmcnt(2)
	v_fma_f64 v[96:97], -v[142:143], v[212:213], v[96:97]
	s_waitcnt vmcnt(10)
	v_fma_f64 v[134:135], -v[142:143], v[214:215], v[134:135]
	s_waitcnt vmcnt(9) lgkmcnt(1)
	v_fma_f64 v[94:95], -v[142:143], v[216:217], v[94:95]
	s_waitcnt vmcnt(8)
	v_fma_f64 v[132:133], -v[142:143], v[218:219], v[132:133]
	ds_read2_b64 v[212:215], v247 offset0:35 offset1:36
	ds_read2_b64 v[216:219], v247 offset0:37 offset1:38
	s_waitcnt vmcnt(7) lgkmcnt(2)
	v_fma_f64 v[92:93], -v[142:143], v[220:221], v[92:93]
	s_waitcnt vmcnt(6)
	v_fma_f64 v[130:131], -v[142:143], v[222:223], v[130:131]
	ds_read2_b64 v[220:223], v247 offset0:39 offset1:40
	s_waitcnt vmcnt(5) lgkmcnt(2)
	v_fma_f64 v[90:91], -v[142:143], v[212:213], v[90:91]
	s_waitcnt vmcnt(4)
	v_fma_f64 v[128:129], -v[142:143], v[214:215], v[128:129]
	s_waitcnt vmcnt(3) lgkmcnt(1)
	v_fma_f64 v[88:89], -v[142:143], v[216:217], v[88:89]
	s_waitcnt vmcnt(2)
	v_fma_f64 v[126:127], -v[142:143], v[218:219], v[126:127]
	;; [unrolled: 4-line block ×3, first 2 shown]
.LBB81_116:
	s_or_b64 exec, exec, s[2:3]
	v_cmp_eq_u32_e32 vcc, 23, v248
	s_waitcnt lgkmcnt(0)
	s_barrier
	s_and_saveexec_b64 s[2:3], vcc
	s_cbranch_execz .LBB81_119
; %bb.117:
	s_waitcnt vmcnt(16)
	v_mov_b32_e32 v212, v140
	v_mov_b32_e32 v213, v141
	s_waitcnt vmcnt(15)
	v_mov_b32_e32 v214, v100
	v_mov_b32_e32 v215, v101
	ds_write_b64 v246, v[102:103]
	ds_write2_b64 v247, v[212:213], v[214:215] offset0:24 offset1:25
	s_waitcnt vmcnt(14)
	v_mov_b32_e32 v212, v138
	v_mov_b32_e32 v213, v139
	s_waitcnt vmcnt(13)
	v_mov_b32_e32 v214, v98
	v_mov_b32_e32 v215, v99
	ds_write2_b64 v247, v[212:213], v[214:215] offset0:26 offset1:27
	s_waitcnt vmcnt(12)
	v_mov_b32_e32 v212, v136
	v_mov_b32_e32 v213, v137
	s_waitcnt vmcnt(11)
	v_mov_b32_e32 v214, v96
	v_mov_b32_e32 v215, v97
	;; [unrolled: 7-line block ×7, first 2 shown]
	ds_write2_b64 v247, v[212:213], v[214:215] offset0:38 offset1:39
	s_waitcnt vmcnt(0)
	ds_write_b64 v247, v[164:165] offset:320
	ds_read_b64 v[212:213], v246
	s_waitcnt lgkmcnt(0)
	v_cmp_neq_f64_e32 vcc, 0, v[212:213]
	s_and_b64 exec, exec, vcc
	s_cbranch_execz .LBB81_119
; %bb.118:
	v_div_scale_f64 v[214:215], s[6:7], v[212:213], v[212:213], 1.0
	v_rcp_f64_e32 v[216:217], v[214:215]
	v_div_scale_f64 v[218:219], vcc, 1.0, v[212:213], 1.0
	v_fma_f64 v[220:221], -v[214:215], v[216:217], 1.0
	v_fmac_f64_e32 v[216:217], v[216:217], v[220:221]
	v_fma_f64 v[220:221], -v[214:215], v[216:217], 1.0
	v_fmac_f64_e32 v[216:217], v[216:217], v[220:221]
	v_mul_f64 v[220:221], v[218:219], v[216:217]
	v_fma_f64 v[214:215], -v[214:215], v[220:221], v[218:219]
	v_div_fmas_f64 v[214:215], v[214:215], v[216:217], v[220:221]
	v_div_fixup_f64 v[212:213], v[214:215], v[212:213], 1.0
	ds_write_b64 v246, v[212:213]
.LBB81_119:
	s_or_b64 exec, exec, s[2:3]
	s_waitcnt lgkmcnt(0)
	s_barrier
	ds_read_b64 v[212:213], v246
	v_cmp_lt_u32_e32 vcc, 23, v248
	s_and_saveexec_b64 s[2:3], vcc
	s_cbranch_execz .LBB81_121
; %bb.120:
	ds_read2_b64 v[214:217], v247 offset0:24 offset1:25
	ds_read2_b64 v[218:221], v247 offset0:26 offset1:27
	;; [unrolled: 1-line block ×3, first 2 shown]
	s_waitcnt vmcnt(17) lgkmcnt(3)
	v_mul_f64 v[102:103], v[212:213], v[102:103]
	s_waitcnt vmcnt(16) lgkmcnt(2)
	v_fma_f64 v[140:141], -v[102:103], v[214:215], v[140:141]
	s_waitcnt vmcnt(15)
	v_fma_f64 v[100:101], -v[102:103], v[216:217], v[100:101]
	ds_read2_b64 v[214:217], v247 offset0:30 offset1:31
	s_waitcnt vmcnt(14) lgkmcnt(2)
	v_fma_f64 v[138:139], -v[102:103], v[218:219], v[138:139]
	s_waitcnt vmcnt(13)
	v_fma_f64 v[98:99], -v[102:103], v[220:221], v[98:99]
	s_waitcnt vmcnt(12) lgkmcnt(1)
	v_fma_f64 v[136:137], -v[102:103], v[222:223], v[136:137]
	ds_read2_b64 v[218:221], v247 offset0:32 offset1:33
	s_waitcnt vmcnt(11)
	v_fma_f64 v[96:97], -v[102:103], v[224:225], v[96:97]
	ds_read2_b64 v[222:225], v247 offset0:34 offset1:35
	s_waitcnt vmcnt(10) lgkmcnt(2)
	v_fma_f64 v[134:135], -v[102:103], v[214:215], v[134:135]
	s_waitcnt vmcnt(9)
	v_fma_f64 v[94:95], -v[102:103], v[216:217], v[94:95]
	s_waitcnt vmcnt(8) lgkmcnt(1)
	v_fma_f64 v[132:133], -v[102:103], v[218:219], v[132:133]
	s_waitcnt vmcnt(7)
	v_fma_f64 v[92:93], -v[102:103], v[220:221], v[92:93]
	ds_read2_b64 v[214:217], v247 offset0:36 offset1:37
	ds_read2_b64 v[218:221], v247 offset0:38 offset1:39
	s_waitcnt vmcnt(6) lgkmcnt(2)
	v_fma_f64 v[130:131], -v[102:103], v[222:223], v[130:131]
	ds_read_b64 v[222:223], v247 offset:320
	s_waitcnt vmcnt(5)
	v_fma_f64 v[90:91], -v[102:103], v[224:225], v[90:91]
	s_waitcnt vmcnt(4) lgkmcnt(2)
	v_fma_f64 v[128:129], -v[102:103], v[214:215], v[128:129]
	s_waitcnt vmcnt(3)
	v_fma_f64 v[88:89], -v[102:103], v[216:217], v[88:89]
	s_waitcnt vmcnt(2) lgkmcnt(1)
	v_fma_f64 v[126:127], -v[102:103], v[218:219], v[126:127]
	;; [unrolled: 4-line block ×3, first 2 shown]
.LBB81_121:
	s_or_b64 exec, exec, s[2:3]
	v_cmp_eq_u32_e32 vcc, 24, v248
	s_waitcnt lgkmcnt(0)
	s_barrier
	s_and_saveexec_b64 s[2:3], vcc
	s_cbranch_execz .LBB81_124
; %bb.122:
	s_waitcnt vmcnt(16)
	ds_write_b64 v246, v[140:141]
	s_waitcnt vmcnt(14)
	ds_write2_b64 v247, v[100:101], v[138:139] offset0:25 offset1:26
	s_waitcnt vmcnt(12)
	ds_write2_b64 v247, v[98:99], v[136:137] offset0:27 offset1:28
	;; [unrolled: 2-line block ×8, first 2 shown]
	ds_read_b64 v[214:215], v246
	s_waitcnt lgkmcnt(0)
	v_cmp_neq_f64_e32 vcc, 0, v[214:215]
	s_and_b64 exec, exec, vcc
	s_cbranch_execz .LBB81_124
; %bb.123:
	v_div_scale_f64 v[216:217], s[6:7], v[214:215], v[214:215], 1.0
	v_rcp_f64_e32 v[218:219], v[216:217]
	v_div_scale_f64 v[220:221], vcc, 1.0, v[214:215], 1.0
	v_fma_f64 v[222:223], -v[216:217], v[218:219], 1.0
	v_fmac_f64_e32 v[218:219], v[218:219], v[222:223]
	v_fma_f64 v[222:223], -v[216:217], v[218:219], 1.0
	v_fmac_f64_e32 v[218:219], v[218:219], v[222:223]
	v_mul_f64 v[222:223], v[220:221], v[218:219]
	v_fma_f64 v[216:217], -v[216:217], v[222:223], v[220:221]
	v_div_fmas_f64 v[216:217], v[216:217], v[218:219], v[222:223]
	v_div_fixup_f64 v[214:215], v[216:217], v[214:215], 1.0
	ds_write_b64 v246, v[214:215]
.LBB81_124:
	s_or_b64 exec, exec, s[2:3]
	s_waitcnt lgkmcnt(0)
	s_barrier
	ds_read_b64 v[214:215], v246
	v_cmp_lt_u32_e32 vcc, 24, v248
	s_and_saveexec_b64 s[2:3], vcc
	s_cbranch_execz .LBB81_126
; %bb.125:
	ds_read2_b64 v[216:219], v247 offset0:25 offset1:26
	ds_read2_b64 v[220:223], v247 offset0:27 offset1:28
	s_waitcnt vmcnt(16) lgkmcnt(2)
	v_mul_f64 v[140:141], v[214:215], v[140:141]
	ds_read2_b64 v[224:227], v247 offset0:29 offset1:30
	s_waitcnt vmcnt(15) lgkmcnt(2)
	v_fma_f64 v[100:101], -v[140:141], v[216:217], v[100:101]
	s_waitcnt vmcnt(14)
	v_fma_f64 v[138:139], -v[140:141], v[218:219], v[138:139]
	ds_read2_b64 v[216:219], v247 offset0:31 offset1:32
	s_waitcnt vmcnt(13) lgkmcnt(2)
	v_fma_f64 v[98:99], -v[140:141], v[220:221], v[98:99]
	s_waitcnt vmcnt(12)
	v_fma_f64 v[136:137], -v[140:141], v[222:223], v[136:137]
	;; [unrolled: 5-line block ×3, first 2 shown]
	s_waitcnt vmcnt(9) lgkmcnt(1)
	v_fma_f64 v[94:95], -v[140:141], v[216:217], v[94:95]
	s_waitcnt vmcnt(8)
	v_fma_f64 v[132:133], -v[140:141], v[218:219], v[132:133]
	ds_read2_b64 v[216:219], v247 offset0:35 offset1:36
	s_waitcnt vmcnt(7) lgkmcnt(1)
	v_fma_f64 v[92:93], -v[140:141], v[220:221], v[92:93]
	ds_read2_b64 v[224:227], v247 offset0:37 offset1:38
	s_waitcnt vmcnt(6)
	v_fma_f64 v[130:131], -v[140:141], v[222:223], v[130:131]
	ds_read2_b64 v[220:223], v247 offset0:39 offset1:40
	s_waitcnt vmcnt(5) lgkmcnt(2)
	v_fma_f64 v[90:91], -v[140:141], v[216:217], v[90:91]
	s_waitcnt vmcnt(4)
	v_fma_f64 v[128:129], -v[140:141], v[218:219], v[128:129]
	s_waitcnt vmcnt(3) lgkmcnt(1)
	v_fma_f64 v[88:89], -v[140:141], v[224:225], v[88:89]
	s_waitcnt vmcnt(2)
	v_fma_f64 v[126:127], -v[140:141], v[226:227], v[126:127]
	;; [unrolled: 4-line block ×3, first 2 shown]
.LBB81_126:
	s_or_b64 exec, exec, s[2:3]
	v_cmp_eq_u32_e32 vcc, 25, v248
	s_waitcnt lgkmcnt(0)
	s_barrier
	s_and_saveexec_b64 s[2:3], vcc
	s_cbranch_execz .LBB81_129
; %bb.127:
	s_waitcnt vmcnt(14)
	v_mov_b32_e32 v216, v138
	v_mov_b32_e32 v217, v139
	s_waitcnt vmcnt(13)
	v_mov_b32_e32 v218, v98
	v_mov_b32_e32 v219, v99
	ds_write_b64 v246, v[100:101]
	ds_write2_b64 v247, v[216:217], v[218:219] offset0:26 offset1:27
	s_waitcnt vmcnt(12)
	v_mov_b32_e32 v216, v136
	v_mov_b32_e32 v217, v137
	s_waitcnt vmcnt(11)
	v_mov_b32_e32 v218, v96
	v_mov_b32_e32 v219, v97
	ds_write2_b64 v247, v[216:217], v[218:219] offset0:28 offset1:29
	s_waitcnt vmcnt(10)
	v_mov_b32_e32 v216, v134
	v_mov_b32_e32 v217, v135
	s_waitcnt vmcnt(9)
	v_mov_b32_e32 v218, v94
	v_mov_b32_e32 v219, v95
	;; [unrolled: 7-line block ×6, first 2 shown]
	ds_write2_b64 v247, v[216:217], v[218:219] offset0:38 offset1:39
	s_waitcnt vmcnt(0)
	ds_write_b64 v247, v[164:165] offset:320
	ds_read_b64 v[216:217], v246
	s_waitcnt lgkmcnt(0)
	v_cmp_neq_f64_e32 vcc, 0, v[216:217]
	s_and_b64 exec, exec, vcc
	s_cbranch_execz .LBB81_129
; %bb.128:
	v_div_scale_f64 v[218:219], s[6:7], v[216:217], v[216:217], 1.0
	v_rcp_f64_e32 v[220:221], v[218:219]
	v_div_scale_f64 v[222:223], vcc, 1.0, v[216:217], 1.0
	v_fma_f64 v[224:225], -v[218:219], v[220:221], 1.0
	v_fmac_f64_e32 v[220:221], v[220:221], v[224:225]
	v_fma_f64 v[224:225], -v[218:219], v[220:221], 1.0
	v_fmac_f64_e32 v[220:221], v[220:221], v[224:225]
	v_mul_f64 v[224:225], v[222:223], v[220:221]
	v_fma_f64 v[218:219], -v[218:219], v[224:225], v[222:223]
	v_div_fmas_f64 v[218:219], v[218:219], v[220:221], v[224:225]
	v_div_fixup_f64 v[216:217], v[218:219], v[216:217], 1.0
	ds_write_b64 v246, v[216:217]
.LBB81_129:
	s_or_b64 exec, exec, s[2:3]
	s_waitcnt lgkmcnt(0)
	s_barrier
	ds_read_b64 v[216:217], v246
	v_cmp_lt_u32_e32 vcc, 25, v248
	s_and_saveexec_b64 s[2:3], vcc
	s_cbranch_execz .LBB81_131
; %bb.130:
	ds_read2_b64 v[218:221], v247 offset0:26 offset1:27
	ds_read2_b64 v[222:225], v247 offset0:28 offset1:29
	s_waitcnt vmcnt(15) lgkmcnt(2)
	v_mul_f64 v[100:101], v[216:217], v[100:101]
	ds_read2_b64 v[226:229], v247 offset0:30 offset1:31
	s_waitcnt vmcnt(14) lgkmcnt(2)
	v_fma_f64 v[138:139], -v[100:101], v[218:219], v[138:139]
	s_waitcnt vmcnt(13)
	v_fma_f64 v[98:99], -v[100:101], v[220:221], v[98:99]
	ds_read2_b64 v[218:221], v247 offset0:32 offset1:33
	s_waitcnt vmcnt(12) lgkmcnt(2)
	v_fma_f64 v[136:137], -v[100:101], v[222:223], v[136:137]
	s_waitcnt vmcnt(11)
	v_fma_f64 v[96:97], -v[100:101], v[224:225], v[96:97]
	ds_read2_b64 v[222:225], v247 offset0:34 offset1:35
	s_waitcnt vmcnt(10) lgkmcnt(2)
	v_fma_f64 v[134:135], -v[100:101], v[226:227], v[134:135]
	s_waitcnt vmcnt(9)
	v_fma_f64 v[94:95], -v[100:101], v[228:229], v[94:95]
	s_waitcnt vmcnt(8) lgkmcnt(1)
	v_fma_f64 v[132:133], -v[100:101], v[218:219], v[132:133]
	s_waitcnt vmcnt(7)
	v_fma_f64 v[92:93], -v[100:101], v[220:221], v[92:93]
	ds_read2_b64 v[218:221], v247 offset0:36 offset1:37
	s_waitcnt vmcnt(6) lgkmcnt(1)
	v_fma_f64 v[130:131], -v[100:101], v[222:223], v[130:131]
	ds_read2_b64 v[226:229], v247 offset0:38 offset1:39
	ds_read_b64 v[222:223], v247 offset:320
	s_waitcnt vmcnt(5)
	v_fma_f64 v[90:91], -v[100:101], v[224:225], v[90:91]
	s_waitcnt vmcnt(4) lgkmcnt(2)
	v_fma_f64 v[128:129], -v[100:101], v[218:219], v[128:129]
	s_waitcnt vmcnt(3)
	v_fma_f64 v[88:89], -v[100:101], v[220:221], v[88:89]
	s_waitcnt vmcnt(2) lgkmcnt(1)
	v_fma_f64 v[126:127], -v[100:101], v[226:227], v[126:127]
	;; [unrolled: 4-line block ×3, first 2 shown]
.LBB81_131:
	s_or_b64 exec, exec, s[2:3]
	v_cmp_eq_u32_e32 vcc, 26, v248
	s_waitcnt lgkmcnt(0)
	s_barrier
	s_and_saveexec_b64 s[2:3], vcc
	s_cbranch_execz .LBB81_134
; %bb.132:
	s_waitcnt vmcnt(14)
	ds_write_b64 v246, v[138:139]
	s_waitcnt vmcnt(12)
	ds_write2_b64 v247, v[98:99], v[136:137] offset0:27 offset1:28
	s_waitcnt vmcnt(10)
	ds_write2_b64 v247, v[96:97], v[134:135] offset0:29 offset1:30
	;; [unrolled: 2-line block ×7, first 2 shown]
	ds_read_b64 v[218:219], v246
	s_waitcnt lgkmcnt(0)
	v_cmp_neq_f64_e32 vcc, 0, v[218:219]
	s_and_b64 exec, exec, vcc
	s_cbranch_execz .LBB81_134
; %bb.133:
	v_div_scale_f64 v[220:221], s[6:7], v[218:219], v[218:219], 1.0
	v_rcp_f64_e32 v[222:223], v[220:221]
	v_div_scale_f64 v[224:225], vcc, 1.0, v[218:219], 1.0
	v_fma_f64 v[226:227], -v[220:221], v[222:223], 1.0
	v_fmac_f64_e32 v[222:223], v[222:223], v[226:227]
	v_fma_f64 v[226:227], -v[220:221], v[222:223], 1.0
	v_fmac_f64_e32 v[222:223], v[222:223], v[226:227]
	v_mul_f64 v[226:227], v[224:225], v[222:223]
	v_fma_f64 v[220:221], -v[220:221], v[226:227], v[224:225]
	v_div_fmas_f64 v[220:221], v[220:221], v[222:223], v[226:227]
	v_div_fixup_f64 v[218:219], v[220:221], v[218:219], 1.0
	ds_write_b64 v246, v[218:219]
.LBB81_134:
	s_or_b64 exec, exec, s[2:3]
	s_waitcnt lgkmcnt(0)
	s_barrier
	ds_read_b64 v[218:219], v246
	v_cmp_lt_u32_e32 vcc, 26, v248
	s_and_saveexec_b64 s[2:3], vcc
	s_cbranch_execz .LBB81_136
; %bb.135:
	ds_read2_b64 v[220:223], v247 offset0:27 offset1:28
	ds_read2_b64 v[224:227], v247 offset0:29 offset1:30
	s_waitcnt vmcnt(14) lgkmcnt(2)
	v_mul_f64 v[138:139], v[218:219], v[138:139]
	ds_read2_b64 v[228:231], v247 offset0:31 offset1:32
	s_waitcnt vmcnt(13) lgkmcnt(2)
	v_fma_f64 v[98:99], -v[138:139], v[220:221], v[98:99]
	s_waitcnt vmcnt(12)
	v_fma_f64 v[136:137], -v[138:139], v[222:223], v[136:137]
	ds_read2_b64 v[220:223], v247 offset0:33 offset1:34
	s_waitcnt vmcnt(11) lgkmcnt(2)
	v_fma_f64 v[96:97], -v[138:139], v[224:225], v[96:97]
	s_waitcnt vmcnt(10)
	v_fma_f64 v[134:135], -v[138:139], v[226:227], v[134:135]
	s_waitcnt vmcnt(9) lgkmcnt(1)
	v_fma_f64 v[94:95], -v[138:139], v[228:229], v[94:95]
	s_waitcnt vmcnt(8)
	v_fma_f64 v[132:133], -v[138:139], v[230:231], v[132:133]
	ds_read2_b64 v[224:227], v247 offset0:35 offset1:36
	ds_read2_b64 v[228:231], v247 offset0:37 offset1:38
	s_waitcnt vmcnt(7) lgkmcnt(2)
	v_fma_f64 v[92:93], -v[138:139], v[220:221], v[92:93]
	s_waitcnt vmcnt(6)
	v_fma_f64 v[130:131], -v[138:139], v[222:223], v[130:131]
	ds_read2_b64 v[220:223], v247 offset0:39 offset1:40
	s_waitcnt vmcnt(5) lgkmcnt(2)
	v_fma_f64 v[90:91], -v[138:139], v[224:225], v[90:91]
	s_waitcnt vmcnt(4)
	v_fma_f64 v[128:129], -v[138:139], v[226:227], v[128:129]
	s_waitcnt vmcnt(3) lgkmcnt(1)
	v_fma_f64 v[88:89], -v[138:139], v[228:229], v[88:89]
	s_waitcnt vmcnt(2)
	v_fma_f64 v[126:127], -v[138:139], v[230:231], v[126:127]
	;; [unrolled: 4-line block ×3, first 2 shown]
.LBB81_136:
	s_or_b64 exec, exec, s[2:3]
	v_cmp_eq_u32_e32 vcc, 27, v248
	s_waitcnt lgkmcnt(0)
	s_barrier
	s_and_saveexec_b64 s[2:3], vcc
	s_cbranch_execz .LBB81_139
; %bb.137:
	s_waitcnt vmcnt(12)
	v_mov_b32_e32 v220, v136
	v_mov_b32_e32 v221, v137
	s_waitcnt vmcnt(11)
	v_mov_b32_e32 v222, v96
	v_mov_b32_e32 v223, v97
	ds_write_b64 v246, v[98:99]
	ds_write2_b64 v247, v[220:221], v[222:223] offset0:28 offset1:29
	s_waitcnt vmcnt(10)
	v_mov_b32_e32 v220, v134
	v_mov_b32_e32 v221, v135
	s_waitcnt vmcnt(9)
	v_mov_b32_e32 v222, v94
	v_mov_b32_e32 v223, v95
	ds_write2_b64 v247, v[220:221], v[222:223] offset0:30 offset1:31
	s_waitcnt vmcnt(8)
	v_mov_b32_e32 v220, v132
	v_mov_b32_e32 v221, v133
	s_waitcnt vmcnt(7)
	v_mov_b32_e32 v222, v92
	v_mov_b32_e32 v223, v93
	;; [unrolled: 7-line block ×5, first 2 shown]
	ds_write2_b64 v247, v[220:221], v[222:223] offset0:38 offset1:39
	s_waitcnt vmcnt(0)
	ds_write_b64 v247, v[164:165] offset:320
	ds_read_b64 v[220:221], v246
	s_waitcnt lgkmcnt(0)
	v_cmp_neq_f64_e32 vcc, 0, v[220:221]
	s_and_b64 exec, exec, vcc
	s_cbranch_execz .LBB81_139
; %bb.138:
	v_div_scale_f64 v[222:223], s[6:7], v[220:221], v[220:221], 1.0
	v_rcp_f64_e32 v[224:225], v[222:223]
	v_div_scale_f64 v[226:227], vcc, 1.0, v[220:221], 1.0
	v_fma_f64 v[228:229], -v[222:223], v[224:225], 1.0
	v_fmac_f64_e32 v[224:225], v[224:225], v[228:229]
	v_fma_f64 v[228:229], -v[222:223], v[224:225], 1.0
	v_fmac_f64_e32 v[224:225], v[224:225], v[228:229]
	v_mul_f64 v[228:229], v[226:227], v[224:225]
	v_fma_f64 v[222:223], -v[222:223], v[228:229], v[226:227]
	v_div_fmas_f64 v[222:223], v[222:223], v[224:225], v[228:229]
	v_div_fixup_f64 v[220:221], v[222:223], v[220:221], 1.0
	ds_write_b64 v246, v[220:221]
.LBB81_139:
	s_or_b64 exec, exec, s[2:3]
	s_waitcnt lgkmcnt(0)
	s_barrier
	ds_read_b64 v[220:221], v246
	v_cmp_lt_u32_e32 vcc, 27, v248
	s_and_saveexec_b64 s[2:3], vcc
	s_cbranch_execz .LBB81_141
; %bb.140:
	ds_read2_b64 v[222:225], v247 offset0:28 offset1:29
	ds_read2_b64 v[226:229], v247 offset0:30 offset1:31
	s_waitcnt vmcnt(13) lgkmcnt(2)
	v_mul_f64 v[98:99], v[220:221], v[98:99]
	ds_read2_b64 v[230:233], v247 offset0:32 offset1:33
	s_waitcnt vmcnt(12) lgkmcnt(2)
	v_fma_f64 v[136:137], -v[98:99], v[222:223], v[136:137]
	s_waitcnt vmcnt(11)
	v_fma_f64 v[96:97], -v[98:99], v[224:225], v[96:97]
	ds_read2_b64 v[222:225], v247 offset0:34 offset1:35
	s_waitcnt vmcnt(10) lgkmcnt(2)
	v_fma_f64 v[134:135], -v[98:99], v[226:227], v[134:135]
	s_waitcnt vmcnt(9)
	v_fma_f64 v[94:95], -v[98:99], v[228:229], v[94:95]
	s_waitcnt vmcnt(8) lgkmcnt(1)
	v_fma_f64 v[132:133], -v[98:99], v[230:231], v[132:133]
	s_waitcnt vmcnt(7)
	v_fma_f64 v[92:93], -v[98:99], v[232:233], v[92:93]
	ds_read2_b64 v[226:229], v247 offset0:36 offset1:37
	ds_read2_b64 v[230:233], v247 offset0:38 offset1:39
	s_waitcnt vmcnt(6) lgkmcnt(2)
	v_fma_f64 v[130:131], -v[98:99], v[222:223], v[130:131]
	ds_read_b64 v[222:223], v247 offset:320
	s_waitcnt vmcnt(5)
	v_fma_f64 v[90:91], -v[98:99], v[224:225], v[90:91]
	s_waitcnt vmcnt(4) lgkmcnt(2)
	v_fma_f64 v[128:129], -v[98:99], v[226:227], v[128:129]
	s_waitcnt vmcnt(3)
	v_fma_f64 v[88:89], -v[98:99], v[228:229], v[88:89]
	s_waitcnt vmcnt(2) lgkmcnt(1)
	v_fma_f64 v[126:127], -v[98:99], v[230:231], v[126:127]
	;; [unrolled: 4-line block ×3, first 2 shown]
.LBB81_141:
	s_or_b64 exec, exec, s[2:3]
	v_cmp_eq_u32_e32 vcc, 28, v248
	s_waitcnt lgkmcnt(0)
	s_barrier
	s_and_saveexec_b64 s[2:3], vcc
	s_cbranch_execz .LBB81_144
; %bb.142:
	s_waitcnt vmcnt(12)
	ds_write_b64 v246, v[136:137]
	s_waitcnt vmcnt(10)
	ds_write2_b64 v247, v[96:97], v[134:135] offset0:29 offset1:30
	s_waitcnt vmcnt(8)
	ds_write2_b64 v247, v[94:95], v[132:133] offset0:31 offset1:32
	;; [unrolled: 2-line block ×6, first 2 shown]
	ds_read_b64 v[222:223], v246
	s_waitcnt lgkmcnt(0)
	v_cmp_neq_f64_e32 vcc, 0, v[222:223]
	s_and_b64 exec, exec, vcc
	s_cbranch_execz .LBB81_144
; %bb.143:
	v_div_scale_f64 v[224:225], s[6:7], v[222:223], v[222:223], 1.0
	v_rcp_f64_e32 v[226:227], v[224:225]
	v_div_scale_f64 v[228:229], vcc, 1.0, v[222:223], 1.0
	v_fma_f64 v[230:231], -v[224:225], v[226:227], 1.0
	v_fmac_f64_e32 v[226:227], v[226:227], v[230:231]
	v_fma_f64 v[230:231], -v[224:225], v[226:227], 1.0
	v_fmac_f64_e32 v[226:227], v[226:227], v[230:231]
	v_mul_f64 v[230:231], v[228:229], v[226:227]
	v_fma_f64 v[224:225], -v[224:225], v[230:231], v[228:229]
	v_div_fmas_f64 v[224:225], v[224:225], v[226:227], v[230:231]
	v_div_fixup_f64 v[222:223], v[224:225], v[222:223], 1.0
	ds_write_b64 v246, v[222:223]
.LBB81_144:
	s_or_b64 exec, exec, s[2:3]
	s_waitcnt lgkmcnt(0)
	s_barrier
	ds_read_b64 v[222:223], v246
	v_cmp_lt_u32_e32 vcc, 28, v248
	s_and_saveexec_b64 s[2:3], vcc
	s_cbranch_execz .LBB81_146
; %bb.145:
	ds_read2_b64 v[224:227], v247 offset0:29 offset1:30
	ds_read2_b64 v[228:231], v247 offset0:31 offset1:32
	;; [unrolled: 1-line block ×3, first 2 shown]
	s_waitcnt vmcnt(12) lgkmcnt(3)
	v_mul_f64 v[136:137], v[222:223], v[136:137]
	s_waitcnt vmcnt(11) lgkmcnt(2)
	v_fma_f64 v[96:97], -v[136:137], v[224:225], v[96:97]
	s_waitcnt vmcnt(10)
	v_fma_f64 v[134:135], -v[136:137], v[226:227], v[134:135]
	ds_read2_b64 v[224:227], v247 offset0:35 offset1:36
	s_waitcnt vmcnt(9) lgkmcnt(2)
	v_fma_f64 v[94:95], -v[136:137], v[228:229], v[94:95]
	s_waitcnt vmcnt(8)
	v_fma_f64 v[132:133], -v[136:137], v[230:231], v[132:133]
	s_waitcnt vmcnt(7) lgkmcnt(1)
	v_fma_f64 v[92:93], -v[136:137], v[232:233], v[92:93]
	ds_read2_b64 v[228:231], v247 offset0:37 offset1:38
	s_waitcnt vmcnt(6)
	v_fma_f64 v[130:131], -v[136:137], v[234:235], v[130:131]
	ds_read2_b64 v[232:235], v247 offset0:39 offset1:40
	s_waitcnt vmcnt(5) lgkmcnt(2)
	v_fma_f64 v[90:91], -v[136:137], v[224:225], v[90:91]
	s_waitcnt vmcnt(4)
	v_fma_f64 v[128:129], -v[136:137], v[226:227], v[128:129]
	s_waitcnt vmcnt(3) lgkmcnt(1)
	v_fma_f64 v[88:89], -v[136:137], v[228:229], v[88:89]
	s_waitcnt vmcnt(2)
	v_fma_f64 v[126:127], -v[136:137], v[230:231], v[126:127]
	;; [unrolled: 4-line block ×3, first 2 shown]
.LBB81_146:
	s_or_b64 exec, exec, s[2:3]
	v_cmp_eq_u32_e32 vcc, 29, v248
	s_waitcnt lgkmcnt(0)
	s_barrier
	s_and_saveexec_b64 s[2:3], vcc
	s_cbranch_execz .LBB81_149
; %bb.147:
	s_waitcnt vmcnt(10)
	v_mov_b32_e32 v224, v134
	v_mov_b32_e32 v225, v135
	s_waitcnt vmcnt(9)
	v_mov_b32_e32 v226, v94
	v_mov_b32_e32 v227, v95
	ds_write_b64 v246, v[96:97]
	ds_write2_b64 v247, v[224:225], v[226:227] offset0:30 offset1:31
	s_waitcnt vmcnt(8)
	v_mov_b32_e32 v224, v132
	v_mov_b32_e32 v225, v133
	s_waitcnt vmcnt(7)
	v_mov_b32_e32 v226, v92
	v_mov_b32_e32 v227, v93
	ds_write2_b64 v247, v[224:225], v[226:227] offset0:32 offset1:33
	s_waitcnt vmcnt(6)
	v_mov_b32_e32 v224, v130
	v_mov_b32_e32 v225, v131
	s_waitcnt vmcnt(5)
	v_mov_b32_e32 v226, v90
	v_mov_b32_e32 v227, v91
	;; [unrolled: 7-line block ×4, first 2 shown]
	ds_write2_b64 v247, v[224:225], v[226:227] offset0:38 offset1:39
	s_waitcnt vmcnt(0)
	ds_write_b64 v247, v[164:165] offset:320
	ds_read_b64 v[224:225], v246
	s_waitcnt lgkmcnt(0)
	v_cmp_neq_f64_e32 vcc, 0, v[224:225]
	s_and_b64 exec, exec, vcc
	s_cbranch_execz .LBB81_149
; %bb.148:
	v_div_scale_f64 v[226:227], s[6:7], v[224:225], v[224:225], 1.0
	v_rcp_f64_e32 v[228:229], v[226:227]
	v_div_scale_f64 v[230:231], vcc, 1.0, v[224:225], 1.0
	v_fma_f64 v[232:233], -v[226:227], v[228:229], 1.0
	v_fmac_f64_e32 v[228:229], v[228:229], v[232:233]
	v_fma_f64 v[232:233], -v[226:227], v[228:229], 1.0
	v_fmac_f64_e32 v[228:229], v[228:229], v[232:233]
	v_mul_f64 v[232:233], v[230:231], v[228:229]
	v_fma_f64 v[226:227], -v[226:227], v[232:233], v[230:231]
	v_div_fmas_f64 v[226:227], v[226:227], v[228:229], v[232:233]
	v_div_fixup_f64 v[224:225], v[226:227], v[224:225], 1.0
	ds_write_b64 v246, v[224:225]
.LBB81_149:
	s_or_b64 exec, exec, s[2:3]
	s_waitcnt lgkmcnt(0)
	s_barrier
	ds_read_b64 v[224:225], v246
	v_cmp_lt_u32_e32 vcc, 29, v248
	s_and_saveexec_b64 s[2:3], vcc
	s_cbranch_execz .LBB81_151
; %bb.150:
	ds_read2_b64 v[226:229], v247 offset0:30 offset1:31
	ds_read2_b64 v[230:233], v247 offset0:32 offset1:33
	;; [unrolled: 1-line block ×3, first 2 shown]
	s_waitcnt vmcnt(11) lgkmcnt(3)
	v_mul_f64 v[96:97], v[224:225], v[96:97]
	s_waitcnt vmcnt(10) lgkmcnt(2)
	v_fma_f64 v[134:135], -v[96:97], v[226:227], v[134:135]
	s_waitcnt vmcnt(9)
	v_fma_f64 v[94:95], -v[96:97], v[228:229], v[94:95]
	ds_read2_b64 v[226:229], v247 offset0:36 offset1:37
	s_waitcnt vmcnt(8) lgkmcnt(2)
	v_fma_f64 v[132:133], -v[96:97], v[230:231], v[132:133]
	s_waitcnt vmcnt(7)
	v_fma_f64 v[92:93], -v[96:97], v[232:233], v[92:93]
	s_waitcnt vmcnt(6) lgkmcnt(1)
	v_fma_f64 v[130:131], -v[96:97], v[234:235], v[130:131]
	ds_read2_b64 v[230:233], v247 offset0:38 offset1:39
	ds_read_b64 v[234:235], v247 offset:320
	s_waitcnt vmcnt(5)
	v_fma_f64 v[90:91], -v[96:97], v[236:237], v[90:91]
	s_waitcnt vmcnt(4) lgkmcnt(2)
	v_fma_f64 v[128:129], -v[96:97], v[226:227], v[128:129]
	s_waitcnt vmcnt(3)
	v_fma_f64 v[88:89], -v[96:97], v[228:229], v[88:89]
	s_waitcnt vmcnt(2) lgkmcnt(1)
	v_fma_f64 v[126:127], -v[96:97], v[230:231], v[126:127]
	;; [unrolled: 4-line block ×3, first 2 shown]
.LBB81_151:
	s_or_b64 exec, exec, s[2:3]
	v_cmp_eq_u32_e32 vcc, 30, v248
	s_waitcnt lgkmcnt(0)
	s_barrier
	s_and_saveexec_b64 s[2:3], vcc
	s_cbranch_execz .LBB81_154
; %bb.152:
	s_waitcnt vmcnt(10)
	ds_write_b64 v246, v[134:135]
	s_waitcnt vmcnt(8)
	ds_write2_b64 v247, v[94:95], v[132:133] offset0:31 offset1:32
	s_waitcnt vmcnt(6)
	ds_write2_b64 v247, v[92:93], v[130:131] offset0:33 offset1:34
	;; [unrolled: 2-line block ×5, first 2 shown]
	ds_read_b64 v[226:227], v246
	s_waitcnt lgkmcnt(0)
	v_cmp_neq_f64_e32 vcc, 0, v[226:227]
	s_and_b64 exec, exec, vcc
	s_cbranch_execz .LBB81_154
; %bb.153:
	v_div_scale_f64 v[228:229], s[6:7], v[226:227], v[226:227], 1.0
	v_rcp_f64_e32 v[230:231], v[228:229]
	v_div_scale_f64 v[232:233], vcc, 1.0, v[226:227], 1.0
	v_fma_f64 v[234:235], -v[228:229], v[230:231], 1.0
	v_fmac_f64_e32 v[230:231], v[230:231], v[234:235]
	v_fma_f64 v[234:235], -v[228:229], v[230:231], 1.0
	v_fmac_f64_e32 v[230:231], v[230:231], v[234:235]
	v_mul_f64 v[234:235], v[232:233], v[230:231]
	v_fma_f64 v[228:229], -v[228:229], v[234:235], v[232:233]
	v_div_fmas_f64 v[228:229], v[228:229], v[230:231], v[234:235]
	v_div_fixup_f64 v[226:227], v[228:229], v[226:227], 1.0
	ds_write_b64 v246, v[226:227]
.LBB81_154:
	s_or_b64 exec, exec, s[2:3]
	s_waitcnt lgkmcnt(0)
	s_barrier
	ds_read_b64 v[226:227], v246
	v_cmp_lt_u32_e32 vcc, 30, v248
	s_and_saveexec_b64 s[2:3], vcc
	s_cbranch_execz .LBB81_156
; %bb.155:
	ds_read2_b64 v[228:231], v247 offset0:31 offset1:32
	ds_read2_b64 v[232:235], v247 offset0:33 offset1:34
	s_waitcnt vmcnt(10) lgkmcnt(2)
	v_mul_f64 v[134:135], v[226:227], v[134:135]
	ds_read2_b64 v[236:239], v247 offset0:37 offset1:38
	s_waitcnt vmcnt(9) lgkmcnt(2)
	v_fma_f64 v[94:95], -v[134:135], v[228:229], v[94:95]
	s_waitcnt vmcnt(8)
	v_fma_f64 v[132:133], -v[134:135], v[230:231], v[132:133]
	ds_read2_b64 v[228:231], v247 offset0:35 offset1:36
	s_waitcnt vmcnt(7) lgkmcnt(2)
	v_fma_f64 v[92:93], -v[134:135], v[232:233], v[92:93]
	s_waitcnt vmcnt(6)
	v_fma_f64 v[130:131], -v[134:135], v[234:235], v[130:131]
	ds_read2_b64 v[232:235], v247 offset0:39 offset1:40
	s_waitcnt vmcnt(3) lgkmcnt(2)
	v_fma_f64 v[88:89], -v[134:135], v[236:237], v[88:89]
	s_waitcnt lgkmcnt(1)
	v_fma_f64 v[90:91], -v[134:135], v[228:229], v[90:91]
	v_fma_f64 v[128:129], -v[134:135], v[230:231], v[128:129]
	s_waitcnt vmcnt(2)
	v_fma_f64 v[126:127], -v[134:135], v[238:239], v[126:127]
	s_waitcnt vmcnt(1) lgkmcnt(0)
	v_fma_f64 v[86:87], -v[134:135], v[232:233], v[86:87]
	s_waitcnt vmcnt(0)
	v_fma_f64 v[164:165], -v[134:135], v[234:235], v[164:165]
.LBB81_156:
	s_or_b64 exec, exec, s[2:3]
	v_cmp_eq_u32_e32 vcc, 31, v248
	s_waitcnt lgkmcnt(0)
	s_barrier
	s_and_saveexec_b64 s[2:3], vcc
	s_cbranch_execz .LBB81_159
; %bb.157:
	s_waitcnt vmcnt(8)
	v_mov_b32_e32 v228, v132
	v_mov_b32_e32 v229, v133
	s_waitcnt vmcnt(7)
	v_mov_b32_e32 v230, v92
	v_mov_b32_e32 v231, v93
	ds_write_b64 v246, v[94:95]
	ds_write2_b64 v247, v[228:229], v[230:231] offset0:32 offset1:33
	s_waitcnt vmcnt(6)
	v_mov_b32_e32 v228, v130
	v_mov_b32_e32 v229, v131
	s_waitcnt vmcnt(5)
	v_mov_b32_e32 v230, v90
	v_mov_b32_e32 v231, v91
	ds_write2_b64 v247, v[228:229], v[230:231] offset0:34 offset1:35
	s_waitcnt vmcnt(4)
	v_mov_b32_e32 v228, v128
	v_mov_b32_e32 v229, v129
	s_waitcnt vmcnt(3)
	v_mov_b32_e32 v230, v88
	v_mov_b32_e32 v231, v89
	;; [unrolled: 7-line block ×3, first 2 shown]
	ds_write2_b64 v247, v[228:229], v[230:231] offset0:38 offset1:39
	s_waitcnt vmcnt(0)
	ds_write_b64 v247, v[164:165] offset:320
	ds_read_b64 v[228:229], v246
	s_waitcnt lgkmcnt(0)
	v_cmp_neq_f64_e32 vcc, 0, v[228:229]
	s_and_b64 exec, exec, vcc
	s_cbranch_execz .LBB81_159
; %bb.158:
	v_div_scale_f64 v[230:231], s[6:7], v[228:229], v[228:229], 1.0
	v_rcp_f64_e32 v[232:233], v[230:231]
	v_div_scale_f64 v[234:235], vcc, 1.0, v[228:229], 1.0
	v_fma_f64 v[236:237], -v[230:231], v[232:233], 1.0
	v_fmac_f64_e32 v[232:233], v[232:233], v[236:237]
	v_fma_f64 v[236:237], -v[230:231], v[232:233], 1.0
	v_fmac_f64_e32 v[232:233], v[232:233], v[236:237]
	v_mul_f64 v[236:237], v[234:235], v[232:233]
	v_fma_f64 v[230:231], -v[230:231], v[236:237], v[234:235]
	v_div_fmas_f64 v[230:231], v[230:231], v[232:233], v[236:237]
	v_div_fixup_f64 v[228:229], v[230:231], v[228:229], 1.0
	ds_write_b64 v246, v[228:229]
.LBB81_159:
	s_or_b64 exec, exec, s[2:3]
	s_waitcnt lgkmcnt(0)
	s_barrier
	ds_read_b64 v[228:229], v246
	v_cmp_lt_u32_e32 vcc, 31, v248
	s_and_saveexec_b64 s[2:3], vcc
	s_cbranch_execz .LBB81_161
; %bb.160:
	ds_read2_b64 v[230:233], v247 offset0:32 offset1:33
	ds_read2_b64 v[234:237], v247 offset0:34 offset1:35
	s_waitcnt vmcnt(9) lgkmcnt(2)
	v_mul_f64 v[94:95], v[228:229], v[94:95]
	ds_read2_b64 v[238:241], v247 offset0:38 offset1:39
	s_waitcnt vmcnt(8) lgkmcnt(2)
	v_fma_f64 v[132:133], -v[94:95], v[230:231], v[132:133]
	s_waitcnt vmcnt(7)
	v_fma_f64 v[92:93], -v[94:95], v[232:233], v[92:93]
	ds_read2_b64 v[230:233], v247 offset0:36 offset1:37
	s_waitcnt vmcnt(6) lgkmcnt(2)
	v_fma_f64 v[130:131], -v[94:95], v[234:235], v[130:131]
	ds_read_b64 v[234:235], v247 offset:320
	s_waitcnt vmcnt(5)
	v_fma_f64 v[90:91], -v[94:95], v[236:237], v[90:91]
	s_waitcnt vmcnt(2) lgkmcnt(2)
	v_fma_f64 v[126:127], -v[94:95], v[238:239], v[126:127]
	s_waitcnt lgkmcnt(1)
	v_fma_f64 v[128:129], -v[94:95], v[230:231], v[128:129]
	v_fma_f64 v[88:89], -v[94:95], v[232:233], v[88:89]
	s_waitcnt vmcnt(1)
	v_fma_f64 v[86:87], -v[94:95], v[240:241], v[86:87]
	s_waitcnt vmcnt(0) lgkmcnt(0)
	v_fma_f64 v[164:165], -v[94:95], v[234:235], v[164:165]
.LBB81_161:
	s_or_b64 exec, exec, s[2:3]
	v_cmp_eq_u32_e32 vcc, 32, v248
	s_waitcnt lgkmcnt(0)
	s_barrier
	s_and_saveexec_b64 s[2:3], vcc
	s_cbranch_execz .LBB81_164
; %bb.162:
	s_waitcnt vmcnt(8)
	ds_write_b64 v246, v[132:133]
	s_waitcnt vmcnt(6)
	ds_write2_b64 v247, v[92:93], v[130:131] offset0:33 offset1:34
	s_waitcnt vmcnt(4)
	ds_write2_b64 v247, v[90:91], v[128:129] offset0:35 offset1:36
	;; [unrolled: 2-line block ×4, first 2 shown]
	ds_read_b64 v[230:231], v246
	s_waitcnt lgkmcnt(0)
	v_cmp_neq_f64_e32 vcc, 0, v[230:231]
	s_and_b64 exec, exec, vcc
	s_cbranch_execz .LBB81_164
; %bb.163:
	v_div_scale_f64 v[232:233], s[6:7], v[230:231], v[230:231], 1.0
	v_rcp_f64_e32 v[234:235], v[232:233]
	v_div_scale_f64 v[236:237], vcc, 1.0, v[230:231], 1.0
	v_fma_f64 v[238:239], -v[232:233], v[234:235], 1.0
	v_fmac_f64_e32 v[234:235], v[234:235], v[238:239]
	v_fma_f64 v[238:239], -v[232:233], v[234:235], 1.0
	v_fmac_f64_e32 v[234:235], v[234:235], v[238:239]
	v_mul_f64 v[238:239], v[236:237], v[234:235]
	v_fma_f64 v[232:233], -v[232:233], v[238:239], v[236:237]
	v_div_fmas_f64 v[232:233], v[232:233], v[234:235], v[238:239]
	v_div_fixup_f64 v[230:231], v[232:233], v[230:231], 1.0
	ds_write_b64 v246, v[230:231]
.LBB81_164:
	s_or_b64 exec, exec, s[2:3]
	s_waitcnt lgkmcnt(0)
	s_barrier
	ds_read_b64 v[230:231], v246
	v_cmp_lt_u32_e32 vcc, 32, v248
	s_and_saveexec_b64 s[2:3], vcc
	s_cbranch_execz .LBB81_166
; %bb.165:
	ds_read2_b64 v[232:235], v247 offset0:33 offset1:34
	ds_read2_b64 v[236:239], v247 offset0:35 offset1:36
	s_waitcnt vmcnt(8) lgkmcnt(2)
	v_mul_f64 v[132:133], v[230:231], v[132:133]
	ds_read2_b64 v[240:243], v247 offset0:37 offset1:38
	s_waitcnt vmcnt(7) lgkmcnt(2)
	v_fma_f64 v[92:93], -v[132:133], v[232:233], v[92:93]
	s_waitcnt vmcnt(6)
	v_fma_f64 v[130:131], -v[132:133], v[234:235], v[130:131]
	ds_read2_b64 v[232:235], v247 offset0:39 offset1:40
	s_waitcnt vmcnt(5) lgkmcnt(2)
	v_fma_f64 v[90:91], -v[132:133], v[236:237], v[90:91]
	s_waitcnt vmcnt(4)
	v_fma_f64 v[128:129], -v[132:133], v[238:239], v[128:129]
	s_waitcnt vmcnt(3) lgkmcnt(1)
	v_fma_f64 v[88:89], -v[132:133], v[240:241], v[88:89]
	s_waitcnt vmcnt(2)
	v_fma_f64 v[126:127], -v[132:133], v[242:243], v[126:127]
	;; [unrolled: 4-line block ×3, first 2 shown]
.LBB81_166:
	s_or_b64 exec, exec, s[2:3]
	v_cmp_eq_u32_e32 vcc, 33, v248
	s_waitcnt lgkmcnt(0)
	s_barrier
	s_and_saveexec_b64 s[2:3], vcc
	s_cbranch_execz .LBB81_169
; %bb.167:
	s_waitcnt vmcnt(6)
	v_mov_b32_e32 v232, v130
	v_mov_b32_e32 v233, v131
	s_waitcnt vmcnt(5)
	v_mov_b32_e32 v234, v90
	v_mov_b32_e32 v235, v91
	ds_write_b64 v246, v[92:93]
	ds_write2_b64 v247, v[232:233], v[234:235] offset0:34 offset1:35
	s_waitcnt vmcnt(4)
	v_mov_b32_e32 v232, v128
	v_mov_b32_e32 v233, v129
	s_waitcnt vmcnt(3)
	v_mov_b32_e32 v234, v88
	v_mov_b32_e32 v235, v89
	ds_write2_b64 v247, v[232:233], v[234:235] offset0:36 offset1:37
	s_waitcnt vmcnt(2)
	v_mov_b32_e32 v232, v126
	v_mov_b32_e32 v233, v127
	s_waitcnt vmcnt(1)
	v_mov_b32_e32 v234, v86
	v_mov_b32_e32 v235, v87
	ds_write2_b64 v247, v[232:233], v[234:235] offset0:38 offset1:39
	s_waitcnt vmcnt(0)
	ds_write_b64 v247, v[164:165] offset:320
	ds_read_b64 v[232:233], v246
	s_waitcnt lgkmcnt(0)
	v_cmp_neq_f64_e32 vcc, 0, v[232:233]
	s_and_b64 exec, exec, vcc
	s_cbranch_execz .LBB81_169
; %bb.168:
	v_div_scale_f64 v[234:235], s[6:7], v[232:233], v[232:233], 1.0
	v_rcp_f64_e32 v[236:237], v[234:235]
	v_div_scale_f64 v[238:239], vcc, 1.0, v[232:233], 1.0
	v_fma_f64 v[240:241], -v[234:235], v[236:237], 1.0
	v_fmac_f64_e32 v[236:237], v[236:237], v[240:241]
	v_fma_f64 v[240:241], -v[234:235], v[236:237], 1.0
	v_fmac_f64_e32 v[236:237], v[236:237], v[240:241]
	v_mul_f64 v[240:241], v[238:239], v[236:237]
	v_fma_f64 v[234:235], -v[234:235], v[240:241], v[238:239]
	v_div_fmas_f64 v[234:235], v[234:235], v[236:237], v[240:241]
	v_div_fixup_f64 v[232:233], v[234:235], v[232:233], 1.0
	ds_write_b64 v246, v[232:233]
.LBB81_169:
	s_or_b64 exec, exec, s[2:3]
	s_waitcnt lgkmcnt(0)
	s_barrier
	ds_read_b64 v[232:233], v246
	v_cmp_lt_u32_e32 vcc, 33, v248
	s_and_saveexec_b64 s[2:3], vcc
	s_cbranch_execz .LBB81_171
; %bb.170:
	ds_read2_b64 v[234:237], v247 offset0:34 offset1:35
	ds_read2_b64 v[238:241], v247 offset0:36 offset1:37
	s_waitcnt vmcnt(7) lgkmcnt(2)
	v_mul_f64 v[92:93], v[232:233], v[92:93]
	ds_read2_b64 v[242:245], v247 offset0:38 offset1:39
	s_waitcnt vmcnt(6) lgkmcnt(2)
	v_fma_f64 v[130:131], -v[92:93], v[234:235], v[130:131]
	ds_read_b64 v[234:235], v247 offset:320
	s_waitcnt vmcnt(5)
	v_fma_f64 v[90:91], -v[92:93], v[236:237], v[90:91]
	s_waitcnt vmcnt(4) lgkmcnt(2)
	v_fma_f64 v[128:129], -v[92:93], v[238:239], v[128:129]
	s_waitcnt vmcnt(3)
	v_fma_f64 v[88:89], -v[92:93], v[240:241], v[88:89]
	s_waitcnt vmcnt(2) lgkmcnt(1)
	v_fma_f64 v[126:127], -v[92:93], v[242:243], v[126:127]
	s_waitcnt vmcnt(1)
	v_fma_f64 v[86:87], -v[92:93], v[244:245], v[86:87]
	s_waitcnt vmcnt(0) lgkmcnt(0)
	v_fma_f64 v[164:165], -v[92:93], v[234:235], v[164:165]
.LBB81_171:
	s_or_b64 exec, exec, s[2:3]
	v_cmp_eq_u32_e32 vcc, 34, v248
	s_waitcnt lgkmcnt(0)
	s_barrier
	s_and_saveexec_b64 s[2:3], vcc
	s_cbranch_execz .LBB81_174
; %bb.172:
	s_waitcnt vmcnt(6)
	ds_write_b64 v246, v[130:131]
	s_waitcnt vmcnt(4)
	ds_write2_b64 v247, v[90:91], v[128:129] offset0:35 offset1:36
	s_waitcnt vmcnt(2)
	ds_write2_b64 v247, v[88:89], v[126:127] offset0:37 offset1:38
	;; [unrolled: 2-line block ×3, first 2 shown]
	ds_read_b64 v[234:235], v246
	s_waitcnt lgkmcnt(0)
	v_cmp_neq_f64_e32 vcc, 0, v[234:235]
	s_and_b64 exec, exec, vcc
	s_cbranch_execz .LBB81_174
; %bb.173:
	v_div_scale_f64 v[236:237], s[6:7], v[234:235], v[234:235], 1.0
	v_rcp_f64_e32 v[238:239], v[236:237]
	v_div_scale_f64 v[240:241], vcc, 1.0, v[234:235], 1.0
	v_fma_f64 v[242:243], -v[236:237], v[238:239], 1.0
	v_fmac_f64_e32 v[238:239], v[238:239], v[242:243]
	v_fma_f64 v[242:243], -v[236:237], v[238:239], 1.0
	v_fmac_f64_e32 v[238:239], v[238:239], v[242:243]
	v_mul_f64 v[242:243], v[240:241], v[238:239]
	v_fma_f64 v[236:237], -v[236:237], v[242:243], v[240:241]
	v_div_fmas_f64 v[236:237], v[236:237], v[238:239], v[242:243]
	v_div_fixup_f64 v[234:235], v[236:237], v[234:235], 1.0
	ds_write_b64 v246, v[234:235]
.LBB81_174:
	s_or_b64 exec, exec, s[2:3]
	s_waitcnt lgkmcnt(0)
	s_barrier
	ds_read_b64 v[234:235], v246
	v_cmp_lt_u32_e32 vcc, 34, v248
	s_and_saveexec_b64 s[2:3], vcc
	s_cbranch_execz .LBB81_176
; %bb.175:
	ds_read2_b64 v[236:239], v247 offset0:35 offset1:36
	ds_read2_b64 v[240:243], v247 offset0:37 offset1:38
	;; [unrolled: 1-line block ×3, first 2 shown]
	s_waitcnt vmcnt(6) lgkmcnt(3)
	v_mul_f64 v[130:131], v[234:235], v[130:131]
	s_waitcnt vmcnt(5) lgkmcnt(2)
	v_fma_f64 v[90:91], -v[130:131], v[236:237], v[90:91]
	s_waitcnt vmcnt(4)
	v_fma_f64 v[128:129], -v[130:131], v[238:239], v[128:129]
	s_waitcnt vmcnt(3) lgkmcnt(1)
	v_fma_f64 v[88:89], -v[130:131], v[240:241], v[88:89]
	s_waitcnt vmcnt(2)
	v_fma_f64 v[126:127], -v[130:131], v[242:243], v[126:127]
	;; [unrolled: 4-line block ×3, first 2 shown]
.LBB81_176:
	s_or_b64 exec, exec, s[2:3]
	v_cmp_eq_u32_e32 vcc, 35, v248
	s_waitcnt lgkmcnt(0)
	s_barrier
	s_and_saveexec_b64 s[2:3], vcc
	s_cbranch_execz .LBB81_179
; %bb.177:
	s_waitcnt vmcnt(4)
	v_mov_b32_e32 v236, v128
	v_mov_b32_e32 v237, v129
	s_waitcnt vmcnt(3)
	v_mov_b32_e32 v238, v88
	v_mov_b32_e32 v239, v89
	ds_write_b64 v246, v[90:91]
	ds_write2_b64 v247, v[236:237], v[238:239] offset0:36 offset1:37
	s_waitcnt vmcnt(2)
	v_mov_b32_e32 v236, v126
	v_mov_b32_e32 v237, v127
	s_waitcnt vmcnt(1)
	v_mov_b32_e32 v238, v86
	v_mov_b32_e32 v239, v87
	ds_write2_b64 v247, v[236:237], v[238:239] offset0:38 offset1:39
	s_waitcnt vmcnt(0)
	ds_write_b64 v247, v[164:165] offset:320
	ds_read_b64 v[236:237], v246
	s_waitcnt lgkmcnt(0)
	v_cmp_neq_f64_e32 vcc, 0, v[236:237]
	s_and_b64 exec, exec, vcc
	s_cbranch_execz .LBB81_179
; %bb.178:
	v_div_scale_f64 v[238:239], s[6:7], v[236:237], v[236:237], 1.0
	v_rcp_f64_e32 v[240:241], v[238:239]
	v_div_scale_f64 v[242:243], vcc, 1.0, v[236:237], 1.0
	v_fma_f64 v[244:245], -v[238:239], v[240:241], 1.0
	v_fmac_f64_e32 v[240:241], v[240:241], v[244:245]
	v_fma_f64 v[244:245], -v[238:239], v[240:241], 1.0
	v_fmac_f64_e32 v[240:241], v[240:241], v[244:245]
	v_mul_f64 v[244:245], v[242:243], v[240:241]
	v_fma_f64 v[238:239], -v[238:239], v[244:245], v[242:243]
	v_div_fmas_f64 v[238:239], v[238:239], v[240:241], v[244:245]
	v_div_fixup_f64 v[236:237], v[238:239], v[236:237], 1.0
	ds_write_b64 v246, v[236:237]
.LBB81_179:
	s_or_b64 exec, exec, s[2:3]
	s_waitcnt lgkmcnt(0)
	s_barrier
	ds_read_b64 v[236:237], v246
	v_cmp_lt_u32_e32 vcc, 35, v248
	s_and_saveexec_b64 s[2:3], vcc
	s_cbranch_execz .LBB81_181
; %bb.180:
	ds_read2_b64 v[238:241], v247 offset0:36 offset1:37
	ds_read2_b64 v[242:245], v247 offset0:38 offset1:39
	ds_read_b64 v[250:251], v247 offset:320
	s_waitcnt vmcnt(5) lgkmcnt(3)
	v_mul_f64 v[90:91], v[236:237], v[90:91]
	s_waitcnt vmcnt(4) lgkmcnt(2)
	v_fma_f64 v[128:129], -v[90:91], v[238:239], v[128:129]
	s_waitcnt vmcnt(3)
	v_fma_f64 v[88:89], -v[90:91], v[240:241], v[88:89]
	s_waitcnt vmcnt(2) lgkmcnt(1)
	v_fma_f64 v[126:127], -v[90:91], v[242:243], v[126:127]
	s_waitcnt vmcnt(1)
	v_fma_f64 v[86:87], -v[90:91], v[244:245], v[86:87]
	s_waitcnt vmcnt(0) lgkmcnt(0)
	v_fma_f64 v[164:165], -v[90:91], v[250:251], v[164:165]
.LBB81_181:
	s_or_b64 exec, exec, s[2:3]
	v_cmp_eq_u32_e32 vcc, 36, v248
	s_waitcnt lgkmcnt(0)
	s_barrier
	s_and_saveexec_b64 s[2:3], vcc
	s_cbranch_execz .LBB81_184
; %bb.182:
	s_waitcnt vmcnt(4)
	ds_write_b64 v246, v[128:129]
	s_waitcnt vmcnt(2)
	ds_write2_b64 v247, v[88:89], v[126:127] offset0:37 offset1:38
	s_waitcnt vmcnt(0)
	ds_write2_b64 v247, v[86:87], v[164:165] offset0:39 offset1:40
	ds_read_b64 v[238:239], v246
	s_waitcnt lgkmcnt(0)
	v_cmp_neq_f64_e32 vcc, 0, v[238:239]
	s_and_b64 exec, exec, vcc
	s_cbranch_execz .LBB81_184
; %bb.183:
	v_div_scale_f64 v[240:241], s[6:7], v[238:239], v[238:239], 1.0
	v_rcp_f64_e32 v[242:243], v[240:241]
	v_div_scale_f64 v[244:245], vcc, 1.0, v[238:239], 1.0
	v_fma_f64 v[250:251], -v[240:241], v[242:243], 1.0
	v_fmac_f64_e32 v[242:243], v[242:243], v[250:251]
	v_fma_f64 v[250:251], -v[240:241], v[242:243], 1.0
	v_fmac_f64_e32 v[242:243], v[242:243], v[250:251]
	v_mul_f64 v[250:251], v[244:245], v[242:243]
	v_fma_f64 v[240:241], -v[240:241], v[250:251], v[244:245]
	v_div_fmas_f64 v[240:241], v[240:241], v[242:243], v[250:251]
	v_div_fixup_f64 v[238:239], v[240:241], v[238:239], 1.0
	ds_write_b64 v246, v[238:239]
.LBB81_184:
	s_or_b64 exec, exec, s[2:3]
	s_waitcnt lgkmcnt(0)
	s_barrier
	ds_read_b64 v[238:239], v246
	v_cmp_lt_u32_e32 vcc, 36, v248
	s_and_saveexec_b64 s[2:3], vcc
	s_cbranch_execz .LBB81_186
; %bb.185:
	ds_read2_b64 v[240:243], v247 offset0:37 offset1:38
	ds_read2_b64 v[250:253], v247 offset0:39 offset1:40
	s_waitcnt vmcnt(4) lgkmcnt(2)
	v_mul_f64 v[128:129], v[238:239], v[128:129]
	s_waitcnt vmcnt(3) lgkmcnt(1)
	v_fma_f64 v[88:89], -v[128:129], v[240:241], v[88:89]
	s_waitcnt vmcnt(2)
	v_fma_f64 v[126:127], -v[128:129], v[242:243], v[126:127]
	s_waitcnt vmcnt(1) lgkmcnt(0)
	v_fma_f64 v[86:87], -v[128:129], v[250:251], v[86:87]
	s_waitcnt vmcnt(0)
	v_fma_f64 v[164:165], -v[128:129], v[252:253], v[164:165]
.LBB81_186:
	s_or_b64 exec, exec, s[2:3]
	v_cmp_eq_u32_e32 vcc, 37, v248
	s_waitcnt lgkmcnt(0)
	s_barrier
	s_and_saveexec_b64 s[2:3], vcc
	s_cbranch_execz .LBB81_189
; %bb.187:
	s_waitcnt vmcnt(2)
	v_mov_b32_e32 v240, v126
	v_mov_b32_e32 v241, v127
	s_waitcnt vmcnt(1)
	v_mov_b32_e32 v242, v86
	v_mov_b32_e32 v243, v87
	ds_write_b64 v246, v[88:89]
	ds_write2_b64 v247, v[240:241], v[242:243] offset0:38 offset1:39
	s_waitcnt vmcnt(0)
	ds_write_b64 v247, v[164:165] offset:320
	ds_read_b64 v[240:241], v246
	s_waitcnt lgkmcnt(0)
	v_cmp_neq_f64_e32 vcc, 0, v[240:241]
	s_and_b64 exec, exec, vcc
	s_cbranch_execz .LBB81_189
; %bb.188:
	v_div_scale_f64 v[242:243], s[6:7], v[240:241], v[240:241], 1.0
	v_rcp_f64_e32 v[244:245], v[242:243]
	v_div_scale_f64 v[250:251], vcc, 1.0, v[240:241], 1.0
	v_fma_f64 v[252:253], -v[242:243], v[244:245], 1.0
	v_fmac_f64_e32 v[244:245], v[244:245], v[252:253]
	v_fma_f64 v[252:253], -v[242:243], v[244:245], 1.0
	v_fmac_f64_e32 v[244:245], v[244:245], v[252:253]
	v_mul_f64 v[252:253], v[250:251], v[244:245]
	v_fma_f64 v[242:243], -v[242:243], v[252:253], v[250:251]
	v_div_fmas_f64 v[242:243], v[242:243], v[244:245], v[252:253]
	v_div_fixup_f64 v[240:241], v[242:243], v[240:241], 1.0
	ds_write_b64 v246, v[240:241]
.LBB81_189:
	s_or_b64 exec, exec, s[2:3]
	s_waitcnt lgkmcnt(0)
	s_barrier
	ds_read_b64 v[240:241], v246
	v_cmp_lt_u32_e32 vcc, 37, v248
	s_and_saveexec_b64 s[2:3], vcc
	s_cbranch_execz .LBB81_191
; %bb.190:
	ds_read2_b64 v[242:245], v247 offset0:38 offset1:39
	ds_read_b64 v[250:251], v247 offset:320
	s_waitcnt vmcnt(3) lgkmcnt(2)
	v_mul_f64 v[88:89], v[240:241], v[88:89]
	s_waitcnt vmcnt(2) lgkmcnt(1)
	v_fma_f64 v[126:127], -v[88:89], v[242:243], v[126:127]
	s_waitcnt vmcnt(1)
	v_fma_f64 v[86:87], -v[88:89], v[244:245], v[86:87]
	s_waitcnt vmcnt(0) lgkmcnt(0)
	v_fma_f64 v[164:165], -v[88:89], v[250:251], v[164:165]
.LBB81_191:
	s_or_b64 exec, exec, s[2:3]
	v_cmp_eq_u32_e32 vcc, 38, v248
	s_waitcnt lgkmcnt(0)
	s_barrier
	s_and_saveexec_b64 s[2:3], vcc
	s_cbranch_execz .LBB81_194
; %bb.192:
	s_waitcnt vmcnt(2)
	ds_write_b64 v246, v[126:127]
	s_waitcnt vmcnt(0)
	ds_write2_b64 v247, v[86:87], v[164:165] offset0:39 offset1:40
	ds_read_b64 v[242:243], v246
	s_waitcnt lgkmcnt(0)
	v_cmp_neq_f64_e32 vcc, 0, v[242:243]
	s_and_b64 exec, exec, vcc
	s_cbranch_execz .LBB81_194
; %bb.193:
	v_div_scale_f64 v[244:245], s[6:7], v[242:243], v[242:243], 1.0
	v_rcp_f64_e32 v[250:251], v[244:245]
	v_pk_mov_b32 v[166:167], v[254:255], v[254:255] op_sel:[0,1]
	v_div_scale_f64 v[252:253], vcc, 1.0, v[242:243], 1.0
	v_fma_f64 v[254:255], -v[244:245], v[250:251], 1.0
	v_fmac_f64_e32 v[250:251], v[250:251], v[254:255]
	v_fma_f64 v[254:255], -v[244:245], v[250:251], 1.0
	v_fmac_f64_e32 v[250:251], v[250:251], v[254:255]
	v_mul_f64 v[254:255], v[252:253], v[250:251]
	v_fma_f64 v[244:245], -v[244:245], v[254:255], v[252:253]
	v_div_fmas_f64 v[244:245], v[244:245], v[250:251], v[254:255]
	v_pk_mov_b32 v[254:255], v[166:167], v[166:167] op_sel:[0,1]
	v_div_fixup_f64 v[242:243], v[244:245], v[242:243], 1.0
	ds_write_b64 v246, v[242:243]
.LBB81_194:
	s_or_b64 exec, exec, s[2:3]
	s_waitcnt lgkmcnt(0)
	s_barrier
	ds_read_b64 v[242:243], v246
	v_cmp_lt_u32_e32 vcc, 38, v248
	s_and_saveexec_b64 s[2:3], vcc
	s_cbranch_execz .LBB81_196
; %bb.195:
	ds_read2_b64 v[250:253], v247 offset0:39 offset1:40
	s_waitcnt vmcnt(2) lgkmcnt(1)
	v_mul_f64 v[126:127], v[242:243], v[126:127]
	s_waitcnt vmcnt(1) lgkmcnt(0)
	v_fma_f64 v[86:87], -v[126:127], v[250:251], v[86:87]
	s_waitcnt vmcnt(0)
	v_fma_f64 v[164:165], -v[126:127], v[252:253], v[164:165]
.LBB81_196:
	s_or_b64 exec, exec, s[2:3]
	v_cmp_eq_u32_e32 vcc, 39, v248
	s_waitcnt lgkmcnt(0)
	s_barrier
	s_and_saveexec_b64 s[2:3], vcc
	s_cbranch_execz .LBB81_199
; %bb.197:
	s_waitcnt vmcnt(1)
	ds_write_b64 v246, v[86:87]
	s_waitcnt vmcnt(0)
	ds_write_b64 v247, v[164:165] offset:320
	ds_read_b64 v[244:245], v246
	s_waitcnt lgkmcnt(0)
	v_cmp_neq_f64_e32 vcc, 0, v[244:245]
	s_and_b64 exec, exec, vcc
	s_cbranch_execz .LBB81_199
; %bb.198:
	v_div_scale_f64 v[250:251], s[6:7], v[244:245], v[244:245], 1.0
	v_rcp_f64_e32 v[252:253], v[250:251]
	v_pk_mov_b32 v[196:197], v[194:195], v[194:195] op_sel:[0,1]
	v_pk_mov_b32 v[194:195], v[192:193], v[192:193] op_sel:[0,1]
	;; [unrolled: 1-line block ×3, first 2 shown]
	v_fma_f64 v[166:167], -v[250:251], v[252:253], 1.0
	v_fmac_f64_e32 v[252:253], v[252:253], v[166:167]
	v_fma_f64 v[166:167], -v[250:251], v[252:253], 1.0
	v_pk_mov_b32 v[2:3], v[186:187], v[186:187] op_sel:[0,1]
	v_pk_mov_b32 v[186:187], v[184:185], v[184:185] op_sel:[0,1]
	v_pk_mov_b32 v[184:185], v[182:183], v[182:183] op_sel:[0,1]
	v_pk_mov_b32 v[182:183], v[180:181], v[180:181] op_sel:[0,1]
	v_pk_mov_b32 v[180:181], v[178:179], v[178:179] op_sel:[0,1]
	v_pk_mov_b32 v[178:179], v[176:177], v[176:177] op_sel:[0,1]
	v_pk_mov_b32 v[176:177], v[174:175], v[174:175] op_sel:[0,1]
	v_pk_mov_b32 v[174:175], v[172:173], v[172:173] op_sel:[0,1]
	v_pk_mov_b32 v[172:173], v[170:171], v[170:171] op_sel:[0,1]
	v_pk_mov_b32 v[170:171], v[168:169], v[168:169] op_sel:[0,1]
	v_pk_mov_b32 v[168:169], v[254:255], v[254:255] op_sel:[0,1]
	v_div_scale_f64 v[254:255], vcc, 1.0, v[244:245], 1.0
	v_fmac_f64_e32 v[252:253], v[252:253], v[166:167]
	v_mul_f64 v[166:167], v[254:255], v[252:253]
	v_fma_f64 v[250:251], -v[250:251], v[166:167], v[254:255]
	s_nop 0
	v_div_fmas_f64 v[166:167], v[250:251], v[252:253], v[166:167]
	v_pk_mov_b32 v[254:255], v[168:169], v[168:169] op_sel:[0,1]
	v_pk_mov_b32 v[168:169], v[170:171], v[170:171] op_sel:[0,1]
	;; [unrolled: 1-line block ×14, first 2 shown]
	v_div_fixup_f64 v[166:167], v[166:167], v[244:245], 1.0
	ds_write_b64 v246, v[166:167]
.LBB81_199:
	s_or_b64 exec, exec, s[2:3]
	s_waitcnt lgkmcnt(0)
	s_barrier
	ds_read_b64 v[244:245], v246
	v_cmp_lt_u32_e32 vcc, 39, v248
	s_and_saveexec_b64 s[2:3], vcc
	s_cbranch_execz .LBB81_201
; %bb.200:
	ds_read_b64 v[166:167], v247 offset:320
	s_waitcnt vmcnt(1) lgkmcnt(1)
	v_mul_f64 v[86:87], v[244:245], v[86:87]
	s_waitcnt vmcnt(0) lgkmcnt(0)
	v_fma_f64 v[164:165], -v[86:87], v[166:167], v[164:165]
.LBB81_201:
	s_or_b64 exec, exec, s[2:3]
	v_cmp_eq_u32_e32 vcc, 40, v248
	s_waitcnt lgkmcnt(0)
	s_barrier
	s_and_saveexec_b64 s[2:3], vcc
	s_cbranch_execz .LBB81_204
; %bb.202:
	s_waitcnt vmcnt(0)
	v_cmp_neq_f64_e32 vcc, 0, v[164:165]
	ds_write_b64 v246, v[164:165]
	s_and_b64 exec, exec, vcc
	s_cbranch_execz .LBB81_204
; %bb.203:
	v_div_scale_f64 v[166:167], s[6:7], v[164:165], v[164:165], 1.0
	v_rcp_f64_e32 v[250:251], v[166:167]
	v_pk_mov_b32 v[196:197], v[194:195], v[194:195] op_sel:[0,1]
	v_pk_mov_b32 v[194:195], v[192:193], v[192:193] op_sel:[0,1]
	;; [unrolled: 1-line block ×16, first 2 shown]
	v_fma_f64 v[254:255], -v[166:167], v[250:251], 1.0
	v_fmac_f64_e32 v[250:251], v[250:251], v[254:255]
	v_fma_f64 v[254:255], -v[166:167], v[250:251], 1.0
	v_div_scale_f64 v[252:253], vcc, 1.0, v[164:165], 1.0
	v_fmac_f64_e32 v[250:251], v[250:251], v[254:255]
	v_mul_f64 v[254:255], v[252:253], v[250:251]
	v_fma_f64 v[166:167], -v[166:167], v[254:255], v[252:253]
	s_nop 0
	v_div_fmas_f64 v[166:167], v[166:167], v[250:251], v[254:255]
	v_pk_mov_b32 v[254:255], v[168:169], v[168:169] op_sel:[0,1]
	v_pk_mov_b32 v[168:169], v[170:171], v[170:171] op_sel:[0,1]
	;; [unrolled: 1-line block ×16, first 2 shown]
	v_div_fixup_f64 v[166:167], v[166:167], v[164:165], 1.0
	ds_write_b64 v246, v[166:167]
.LBB81_204:
	s_or_b64 exec, exec, s[2:3]
	s_waitcnt lgkmcnt(0)
	s_barrier
	ds_read_b64 v[246:247], v246
	s_waitcnt lgkmcnt(0)
	s_barrier
	s_and_saveexec_b64 s[2:3], s[0:1]
	s_cbranch_execz .LBB81_207
; %bb.205:
	v_cmp_eq_f64_e32 vcc, 0, v[254:255]
	v_cmp_neq_f64_e64 s[0:1], 0, v[168:169]
	v_cndmask_b32_e64 v166, 0, 1, vcc
	s_or_b64 vcc, s[0:1], vcc
	v_cndmask_b32_e32 v166, 2, v166, vcc
	v_cmp_eq_f64_e32 vcc, 0, v[170:171]
	v_cmp_eq_u32_e64 s[0:1], 0, v166
	s_and_b64 s[0:1], vcc, s[0:1]
	v_cndmask_b32_e64 v166, v166, 3, s[0:1]
	v_cmp_eq_f64_e32 vcc, 0, v[172:173]
	v_cmp_eq_u32_e64 s[0:1], 0, v166
	s_and_b64 s[0:1], vcc, s[0:1]
	v_cndmask_b32_e64 v166, v166, 4, s[0:1]
	;; [unrolled: 4-line block ×17, first 2 shown]
	v_cmp_eq_f64_e32 vcc, 0, v[204:205]
	v_cmp_eq_u32_e64 s[0:1], 0, v166
	s_load_dwordx2 s[4:5], s[4:5], 0x28
	s_and_b64 s[0:1], vcc, s[0:1]
	v_cndmask_b32_e64 v166, v166, 20, s[0:1]
	v_cmp_eq_f64_e32 vcc, 0, v[206:207]
	v_cmp_eq_u32_e64 s[0:1], 0, v166
	s_and_b64 s[0:1], vcc, s[0:1]
	v_lshlrev_b64 v[2:3], 2, v[2:3]
	v_cndmask_b32_e64 v166, v166, 21, s[0:1]
	s_waitcnt lgkmcnt(0)
	v_mov_b32_e32 v167, s5
	v_add_co_u32_e64 v2, s[0:1], s4, v2
	v_addc_co_u32_e64 v3, s[0:1], v167, v3, s[0:1]
	global_load_dword v167, v[2:3], off
	v_cmp_eq_f64_e32 vcc, 0, v[208:209]
	v_cmp_eq_u32_e64 s[0:1], 0, v166
	s_and_b64 s[0:1], vcc, s[0:1]
	v_cndmask_b32_e64 v166, v166, 22, s[0:1]
	v_cmp_eq_f64_e32 vcc, 0, v[210:211]
	v_cmp_eq_u32_e64 s[0:1], 0, v166
	s_and_b64 s[0:1], vcc, s[0:1]
	v_cndmask_b32_e64 v166, v166, 23, s[0:1]
	;; [unrolled: 4-line block ×20, first 2 shown]
	s_waitcnt vmcnt(0)
	v_cmp_eq_u32_e32 vcc, 0, v167
	v_cmp_ne_u32_e64 s[0:1], 0, v166
	s_and_b64 s[0:1], vcc, s[0:1]
	s_and_b64 exec, exec, s[0:1]
	s_cbranch_execz .LBB81_207
; %bb.206:
	v_add_u32_e32 v166, s9, v166
	global_store_dword v[2:3], v166, off
.LBB81_207:
	s_or_b64 exec, exec, s[2:3]
	s_waitcnt vmcnt(42)
	global_store_dwordx2 v[80:81], v[84:85], off
	s_waitcnt vmcnt(42)
	global_store_dwordx2 v[82:83], v[124:125], off
	buffer_load_dword v0, off, s[16:19], 0  ; 4-byte Folded Reload
	buffer_load_dword v1, off, s[16:19], 0 offset:4 ; 4-byte Folded Reload
	s_waitcnt vmcnt(4)
	v_mul_f64 v[2:3], v[246:247], v[164:165]
	v_cmp_lt_u32_e32 vcc, 40, v248
	v_cndmask_b32_e32 v3, v165, v3, vcc
	v_cndmask_b32_e32 v2, v164, v2, vcc
	s_waitcnt vmcnt(0)
	global_store_dwordx2 v[0:1], v[162:163], off
	global_store_dwordx2 v[4:5], v[122:123], off
	;; [unrolled: 1-line block ×39, first 2 shown]
.LBB81_208:
	s_endpgm
	.section	.rodata,"a",@progbits
	.p2align	6, 0x0
	.amdhsa_kernel _ZN9rocsolver6v33100L23getf2_npvt_small_kernelILi41EdiiPKPdEEvT1_T3_lS5_lPT2_S5_S5_
		.amdhsa_group_segment_fixed_size 0
		.amdhsa_private_segment_fixed_size 12
		.amdhsa_kernarg_size 312
		.amdhsa_user_sgpr_count 6
		.amdhsa_user_sgpr_private_segment_buffer 1
		.amdhsa_user_sgpr_dispatch_ptr 0
		.amdhsa_user_sgpr_queue_ptr 0
		.amdhsa_user_sgpr_kernarg_segment_ptr 1
		.amdhsa_user_sgpr_dispatch_id 0
		.amdhsa_user_sgpr_flat_scratch_init 0
		.amdhsa_user_sgpr_kernarg_preload_length 0
		.amdhsa_user_sgpr_kernarg_preload_offset 0
		.amdhsa_user_sgpr_private_segment_size 0
		.amdhsa_uses_dynamic_stack 0
		.amdhsa_system_sgpr_private_segment_wavefront_offset 1
		.amdhsa_system_sgpr_workgroup_id_x 1
		.amdhsa_system_sgpr_workgroup_id_y 1
		.amdhsa_system_sgpr_workgroup_id_z 0
		.amdhsa_system_sgpr_workgroup_info 0
		.amdhsa_system_vgpr_workitem_id 1
		.amdhsa_next_free_vgpr 256
		.amdhsa_next_free_sgpr 20
		.amdhsa_accum_offset 256
		.amdhsa_reserve_vcc 1
		.amdhsa_reserve_flat_scratch 0
		.amdhsa_float_round_mode_32 0
		.amdhsa_float_round_mode_16_64 0
		.amdhsa_float_denorm_mode_32 3
		.amdhsa_float_denorm_mode_16_64 3
		.amdhsa_dx10_clamp 1
		.amdhsa_ieee_mode 1
		.amdhsa_fp16_overflow 0
		.amdhsa_tg_split 0
		.amdhsa_exception_fp_ieee_invalid_op 0
		.amdhsa_exception_fp_denorm_src 0
		.amdhsa_exception_fp_ieee_div_zero 0
		.amdhsa_exception_fp_ieee_overflow 0
		.amdhsa_exception_fp_ieee_underflow 0
		.amdhsa_exception_fp_ieee_inexact 0
		.amdhsa_exception_int_div_zero 0
	.end_amdhsa_kernel
	.section	.text._ZN9rocsolver6v33100L23getf2_npvt_small_kernelILi41EdiiPKPdEEvT1_T3_lS5_lPT2_S5_S5_,"axG",@progbits,_ZN9rocsolver6v33100L23getf2_npvt_small_kernelILi41EdiiPKPdEEvT1_T3_lS5_lPT2_S5_S5_,comdat
.Lfunc_end81:
	.size	_ZN9rocsolver6v33100L23getf2_npvt_small_kernelILi41EdiiPKPdEEvT1_T3_lS5_lPT2_S5_S5_, .Lfunc_end81-_ZN9rocsolver6v33100L23getf2_npvt_small_kernelILi41EdiiPKPdEEvT1_T3_lS5_lPT2_S5_S5_
                                        ; -- End function
	.section	.AMDGPU.csdata,"",@progbits
; Kernel info:
; codeLenInByte = 33084
; NumSgprs: 24
; NumVgprs: 256
; NumAgprs: 0
; TotalNumVgprs: 256
; ScratchSize: 12
; MemoryBound: 0
; FloatMode: 240
; IeeeMode: 1
; LDSByteSize: 0 bytes/workgroup (compile time only)
; SGPRBlocks: 2
; VGPRBlocks: 31
; NumSGPRsForWavesPerEU: 24
; NumVGPRsForWavesPerEU: 256
; AccumOffset: 256
; Occupancy: 2
; WaveLimiterHint : 1
; COMPUTE_PGM_RSRC2:SCRATCH_EN: 1
; COMPUTE_PGM_RSRC2:USER_SGPR: 6
; COMPUTE_PGM_RSRC2:TRAP_HANDLER: 0
; COMPUTE_PGM_RSRC2:TGID_X_EN: 1
; COMPUTE_PGM_RSRC2:TGID_Y_EN: 1
; COMPUTE_PGM_RSRC2:TGID_Z_EN: 0
; COMPUTE_PGM_RSRC2:TIDIG_COMP_CNT: 1
; COMPUTE_PGM_RSRC3_GFX90A:ACCUM_OFFSET: 63
; COMPUTE_PGM_RSRC3_GFX90A:TG_SPLIT: 0
	.section	.text._ZN9rocsolver6v33100L18getf2_small_kernelILi42EdiiPKPdEEvT1_T3_lS5_lPS5_llPT2_S5_S5_S7_l,"axG",@progbits,_ZN9rocsolver6v33100L18getf2_small_kernelILi42EdiiPKPdEEvT1_T3_lS5_lPS5_llPT2_S5_S5_S7_l,comdat
	.globl	_ZN9rocsolver6v33100L18getf2_small_kernelILi42EdiiPKPdEEvT1_T3_lS5_lPS5_llPT2_S5_S5_S7_l ; -- Begin function _ZN9rocsolver6v33100L18getf2_small_kernelILi42EdiiPKPdEEvT1_T3_lS5_lPS5_llPT2_S5_S5_S7_l
	.p2align	8
	.type	_ZN9rocsolver6v33100L18getf2_small_kernelILi42EdiiPKPdEEvT1_T3_lS5_lPS5_llPT2_S5_S5_S7_l,@function
_ZN9rocsolver6v33100L18getf2_small_kernelILi42EdiiPKPdEEvT1_T3_lS5_lPS5_llPT2_S5_S5_S7_l: ; @_ZN9rocsolver6v33100L18getf2_small_kernelILi42EdiiPKPdEEvT1_T3_lS5_lPS5_llPT2_S5_S5_S7_l
; %bb.0:
	s_load_dword s0, s[4:5], 0x6c
	s_load_dwordx2 s[12:13], s[4:5], 0x48
	v_bfe_u32 v88, v0, 10, 10
	s_waitcnt lgkmcnt(0)
	s_lshr_b32 s0, s0, 16
	s_mul_i32 s7, s7, s0
	v_add_u32_e32 v2, s7, v88
	v_cmp_gt_i32_e32 vcc, s12, v2
	s_and_saveexec_b64 s[0:1], vcc
	s_cbranch_execz .LBB82_711
; %bb.1:
	s_load_dwordx4 s[0:3], s[4:5], 0x8
	s_load_dwordx4 s[8:11], s[4:5], 0x50
	v_ashrrev_i32_e32 v3, 31, v2
	v_lshlrev_b64 v[4:5], 3, v[2:3]
	s_waitcnt lgkmcnt(0)
	v_mov_b32_e32 v1, s1
	v_add_co_u32_e32 v4, vcc, s0, v4
	v_addc_co_u32_e32 v5, vcc, v1, v5, vcc
	global_load_dwordx2 v[6:7], v[4:5], off
	s_cmp_eq_u64 s[8:9], 0
	s_cselect_b64 s[6:7], -1, 0
	s_and_b64 vcc, exec, s[6:7]
	v_pk_mov_b32 v[4:5], 0, 0
	s_cbranch_vccnz .LBB82_3
; %bb.2:
	v_mul_lo_u32 v1, v3, s10
	v_mul_lo_u32 v8, v2, s11
	v_mad_u64_u32 v[4:5], s[0:1], v2, s10, 0
	v_add3_u32 v5, v5, v8, v1
	v_lshlrev_b64 v[4:5], 2, v[4:5]
	v_mov_b32_e32 v1, s9
	v_add_co_u32_e32 v4, vcc, s8, v4
	v_addc_co_u32_e32 v5, vcc, v1, v5, vcc
.LBB82_3:
	s_load_dword s8, s[4:5], 0x18
	s_load_dword s18, s[4:5], 0x0
	s_lshl_b64 s[0:1], s[2:3], 3
	v_and_b32_e32 v96, 0x3ff, v0
	v_mov_b32_e32 v1, s1
	s_waitcnt lgkmcnt(0)
	s_add_i32 s12, s8, s8
	s_waitcnt vmcnt(0)
	v_add_co_u32_e32 v94, vcc, s0, v6
	v_add_u32_e32 v0, s12, v96
	v_addc_co_u32_e32 v95, vcc, v7, v1, vcc
	v_ashrrev_i32_e32 v1, 31, v0
	v_lshlrev_b64 v[6:7], 3, v[0:1]
	v_add_u32_e32 v0, s8, v0
	v_add_co_u32_e32 v6, vcc, v94, v6
	v_ashrrev_i32_e32 v1, 31, v0
	v_addc_co_u32_e32 v7, vcc, v95, v7, vcc
	v_lshlrev_b64 v[8:9], 3, v[0:1]
	v_add_u32_e32 v0, s8, v0
	v_add_co_u32_e32 v8, vcc, v94, v8
	v_ashrrev_i32_e32 v1, 31, v0
	v_addc_co_u32_e32 v9, vcc, v95, v9, vcc
	;; [unrolled: 5-line block ×39, first 2 shown]
	v_lshlrev_b64 v[0:1], 3, v[0:1]
	v_add_co_u32_e32 v144, vcc, v94, v0
	v_addc_co_u32_e32 v145, vcc, v95, v1, vcc
	v_lshlrev_b32_e32 v89, 3, v96
	v_add_co_u32_e32 v0, vcc, v94, v89
	s_ashr_i32 s9, s8, 31
	v_addc_co_u32_e32 v1, vcc, 0, v95, vcc
	s_lshl_b64 s[10:11], s[8:9], 3
	v_mov_b32_e32 v33, s11
	v_add_co_u32_e32 v32, vcc, s10, v0
	v_addc_co_u32_e32 v33, vcc, v1, v33, vcc
	global_load_dwordx2 v[84:85], v[0:1], off
	global_load_dwordx2 v[82:83], v[32:33], off
	;; [unrolled: 1-line block ×15, first 2 shown]
                                        ; kill: killed $vgpr16 killed $vgpr17
                                        ; kill: killed $vgpr20 killed $vgpr21
                                        ; kill: killed $vgpr24 killed $vgpr25
                                        ; kill: killed $vgpr28 killed $vgpr29
                                        ; kill: killed $vgpr0 killed $vgpr1
                                        ; kill: killed $vgpr6 killed $vgpr7
                                        ; kill: killed $vgpr32 killed $vgpr33
                                        ; kill: killed $vgpr10 killed $vgpr11
                                        ; kill: killed $vgpr14 killed $vgpr15
                                        ; kill: killed $vgpr18 killed $vgpr19
                                        ; kill: killed $vgpr22 killed $vgpr23
                                        ; kill: killed $vgpr26 killed $vgpr27
                                        ; kill: killed $vgpr30 killed $vgpr31
                                        ; kill: killed $vgpr8 killed $vgpr9
                                        ; kill: killed $vgpr12 killed $vgpr13
	global_load_dwordx2 v[56:57], v[86:87], off
	global_load_dwordx2 v[52:53], v[90:91], off
	;; [unrolled: 1-line block ×15, first 2 shown]
                                        ; kill: killed $vgpr106 killed $vgpr107
                                        ; kill: killed $vgpr110 killed $vgpr111
                                        ; kill: killed $vgpr114 killed $vgpr115
                                        ; kill: killed $vgpr118 killed $vgpr119
                                        ; kill: killed $vgpr86 killed $vgpr87
                                        ; kill: killed $vgpr92 killed $vgpr93
                                        ; kill: killed $vgpr100 killed $vgpr101
                                        ; kill: killed $vgpr104 killed $vgpr105
                                        ; kill: killed $vgpr108 killed $vgpr109
                                        ; kill: killed $vgpr112 killed $vgpr113
                                        ; kill: killed $vgpr116 killed $vgpr117
                                        ; kill: killed $vgpr120 killed $vgpr121
                                        ; kill: killed $vgpr90 killed $vgpr91
                                        ; kill: killed $vgpr98 killed $vgpr99
                                        ; kill: killed $vgpr102 killed $vgpr103
	global_load_dwordx2 v[26:27], v[122:123], off
	global_load_dwordx2 v[22:23], v[124:125], off
	global_load_dwordx2 v[20:21], v[126:127], off
	global_load_dwordx2 v[18:19], v[128:129], off
	global_load_dwordx2 v[16:17], v[130:131], off
	global_load_dwordx2 v[14:15], v[132:133], off
	global_load_dwordx2 v[12:13], v[134:135], off
	global_load_dwordx2 v[10:11], v[136:137], off
	global_load_dwordx2 v[8:9], v[138:139], off
	global_load_dwordx2 v[6:7], v[140:141], off
	global_load_dwordx2 v[0:1], v[142:143], off
	global_load_dwordx2 v[86:87], v[144:145], off
	s_max_i32 s0, s18, 42
	v_mul_lo_u32 v90, s0, v88
	v_lshl_add_u32 v92, v90, 3, 0
	v_add_u32_e32 v88, v92, v89
	s_cmp_lt_i32 s18, 2
	v_lshlrev_b32_e32 v97, 3, v90
	v_mov_b32_e32 v90, 0
	s_waitcnt vmcnt(41)
	ds_write_b64 v88, v[84:85]
	s_waitcnt lgkmcnt(0)
	s_barrier
	ds_read_b64 v[88:89], v92
	s_cbranch_scc1 .LBB82_6
; %bb.4:
	v_add3_u32 v91, v97, 0, 8
	s_mov_b32 s0, 1
	v_mov_b32_e32 v90, 0
.LBB82_5:                               ; =>This Inner Loop Header: Depth=1
	ds_read_b64 v[98:99], v91
	v_mov_b32_e32 v93, s0
	s_add_i32 s0, s0, 1
	v_add_u32_e32 v91, 8, v91
	s_cmp_eq_u32 s18, s0
	s_waitcnt lgkmcnt(0)
	v_cmp_lt_f64_e64 vcc, |v[88:89]|, |v[98:99]|
	v_cndmask_b32_e32 v89, v89, v99, vcc
	v_cndmask_b32_e32 v88, v88, v98, vcc
	;; [unrolled: 1-line block ×3, first 2 shown]
	s_cbranch_scc0 .LBB82_5
.LBB82_6:
	v_cmp_ne_u32_e32 vcc, v96, v90
                                        ; implicit-def: $vgpr93
	s_and_saveexec_b64 s[0:1], vcc
	s_xor_b64 s[0:1], exec, s[0:1]
	s_cbranch_execz .LBB82_12
; %bb.7:
	v_cmp_eq_u32_e32 vcc, 0, v96
	s_and_saveexec_b64 s[2:3], vcc
	s_cbranch_execz .LBB82_11
; %bb.8:
	v_cmp_ne_u32_e32 vcc, 0, v90
	s_xor_b64 s[14:15], s[6:7], -1
	s_and_b64 s[16:17], s[14:15], vcc
	s_and_saveexec_b64 s[14:15], s[16:17]
	s_cbranch_execz .LBB82_10
; %bb.9:
	v_ashrrev_i32_e32 v91, 31, v90
	v_lshlrev_b64 v[98:99], 2, v[90:91]
	v_add_co_u32_e32 v98, vcc, v4, v98
	v_addc_co_u32_e32 v99, vcc, v5, v99, vcc
	flat_load_dword v91, v[98:99]
	flat_load_dword v93, v[4:5]
	s_waitcnt vmcnt(0) lgkmcnt(0)
	flat_store_dword v[4:5], v91
	flat_store_dword v[98:99], v93
.LBB82_10:
	s_or_b64 exec, exec, s[14:15]
	v_mov_b32_e32 v96, v90
.LBB82_11:
	s_or_b64 exec, exec, s[2:3]
	v_mov_b32_e32 v93, v96
                                        ; implicit-def: $vgpr96
.LBB82_12:
	s_or_saveexec_b64 s[0:1], s[0:1]
	v_mov_b32_e32 v91, v93
	s_xor_b64 exec, exec, s[0:1]
	s_cbranch_execz .LBB82_14
; %bb.13:
	v_mov_b32_e32 v93, 0
	v_mov_b32_e32 v91, v96
	s_waitcnt vmcnt(0)
	ds_write2_b64 v92, v[82:83], v[80:81] offset0:1 offset1:2
	ds_write2_b64 v92, v[78:79], v[76:77] offset0:3 offset1:4
	;; [unrolled: 1-line block ×20, first 2 shown]
	ds_write_b64 v92, v[86:87] offset:328
.LBB82_14:
	s_or_b64 exec, exec, s[0:1]
	s_waitcnt lgkmcnt(0)
	v_cmp_eq_f64_e64 s[0:1], 0, v[88:89]
	v_cmp_lt_i32_e32 vcc, 0, v93
	s_barrier
	s_and_saveexec_b64 s[2:3], vcc
	s_cbranch_execz .LBB82_16
; %bb.15:
	v_div_scale_f64 v[98:99], s[14:15], v[88:89], v[88:89], 1.0
	v_rcp_f64_e32 v[100:101], v[98:99]
	v_div_scale_f64 v[102:103], vcc, 1.0, v[88:89], 1.0
	ds_read2_b64 v[106:109], v92 offset0:5 offset1:6
	v_fma_f64 v[104:105], -v[98:99], v[100:101], 1.0
	v_fmac_f64_e32 v[100:101], v[100:101], v[104:105]
	v_fma_f64 v[104:105], -v[98:99], v[100:101], 1.0
	v_fmac_f64_e32 v[100:101], v[100:101], v[104:105]
	v_mul_f64 v[104:105], v[102:103], v[100:101]
	v_fma_f64 v[98:99], -v[98:99], v[104:105], v[102:103]
	v_div_fmas_f64 v[98:99], v[98:99], v[100:101], v[104:105]
	v_div_fixup_f64 v[102:103], v[98:99], v[88:89], 1.0
	ds_read2_b64 v[98:101], v92 offset0:1 offset1:2
	v_cndmask_b32_e64 v89, v103, v89, s[0:1]
	v_cndmask_b32_e64 v88, v102, v88, s[0:1]
	ds_read2_b64 v[102:105], v92 offset0:3 offset1:4
	v_mul_f64 v[84:85], v[88:89], v[84:85]
	s_waitcnt vmcnt(0) lgkmcnt(0)
	v_fma_f64 v[82:83], -v[84:85], v[98:99], v[82:83]
	v_fma_f64 v[80:81], -v[84:85], v[100:101], v[80:81]
	ds_read2_b64 v[98:101], v92 offset0:7 offset1:8
	v_fma_f64 v[78:79], -v[84:85], v[102:103], v[78:79]
	v_fma_f64 v[76:77], -v[84:85], v[104:105], v[76:77]
	ds_read2_b64 v[102:105], v92 offset0:9 offset1:10
	;; [unrolled: 3-line block ×3, first 2 shown]
	s_waitcnt lgkmcnt(2)
	v_fma_f64 v[70:71], -v[84:85], v[98:99], v[70:71]
	v_fma_f64 v[68:69], -v[84:85], v[100:101], v[68:69]
	s_waitcnt lgkmcnt(1)
	v_fma_f64 v[66:67], -v[84:85], v[102:103], v[66:67]
	ds_read2_b64 v[98:101], v92 offset0:13 offset1:14
	v_fma_f64 v[64:65], -v[84:85], v[104:105], v[64:65]
	ds_read2_b64 v[102:105], v92 offset0:15 offset1:16
	s_waitcnt lgkmcnt(2)
	v_fma_f64 v[62:63], -v[84:85], v[106:107], v[62:63]
	v_fma_f64 v[60:61], -v[84:85], v[108:109], v[60:61]
	s_waitcnt lgkmcnt(1)
	v_fma_f64 v[58:59], -v[84:85], v[98:99], v[58:59]
	ds_read2_b64 v[106:109], v92 offset0:17 offset1:18
	v_fma_f64 v[54:55], -v[84:85], v[100:101], v[54:55]
	ds_read2_b64 v[98:101], v92 offset0:19 offset1:20
	s_waitcnt lgkmcnt(2)
	v_fma_f64 v[56:57], -v[84:85], v[102:103], v[56:57]
	v_fma_f64 v[52:53], -v[84:85], v[104:105], v[52:53]
	ds_read2_b64 v[102:105], v92 offset0:21 offset1:22
	s_waitcnt lgkmcnt(2)
	v_fma_f64 v[50:51], -v[84:85], v[106:107], v[50:51]
	;; [unrolled: 4-line block ×3, first 2 shown]
	v_fma_f64 v[44:45], -v[84:85], v[100:101], v[44:45]
	s_waitcnt lgkmcnt(1)
	v_fma_f64 v[42:43], -v[84:85], v[102:103], v[42:43]
	ds_read2_b64 v[98:101], v92 offset0:25 offset1:26
	v_fma_f64 v[40:41], -v[84:85], v[104:105], v[40:41]
	ds_read2_b64 v[102:105], v92 offset0:27 offset1:28
	s_waitcnt lgkmcnt(2)
	v_fma_f64 v[38:39], -v[84:85], v[106:107], v[38:39]
	v_fma_f64 v[36:37], -v[84:85], v[108:109], v[36:37]
	s_waitcnt lgkmcnt(1)
	v_fma_f64 v[34:35], -v[84:85], v[98:99], v[34:35]
	ds_read2_b64 v[106:109], v92 offset0:29 offset1:30
	v_fma_f64 v[32:33], -v[84:85], v[100:101], v[32:33]
	ds_read2_b64 v[98:101], v92 offset0:31 offset1:32
	s_waitcnt lgkmcnt(2)
	v_fma_f64 v[30:31], -v[84:85], v[102:103], v[30:31]
	v_fma_f64 v[28:29], -v[84:85], v[104:105], v[28:29]
	ds_read2_b64 v[102:105], v92 offset0:33 offset1:34
	s_waitcnt lgkmcnt(2)
	v_fma_f64 v[24:25], -v[84:85], v[106:107], v[24:25]
	;; [unrolled: 4-line block ×3, first 2 shown]
	v_fma_f64 v[20:21], -v[84:85], v[100:101], v[20:21]
	s_waitcnt lgkmcnt(1)
	v_fma_f64 v[18:19], -v[84:85], v[102:103], v[18:19]
	v_fma_f64 v[16:17], -v[84:85], v[104:105], v[16:17]
	ds_read2_b64 v[98:101], v92 offset0:37 offset1:38
	ds_read2_b64 v[102:105], v92 offset0:39 offset1:40
	ds_read_b64 v[88:89], v92 offset:328
	s_waitcnt lgkmcnt(3)
	v_fma_f64 v[14:15], -v[84:85], v[106:107], v[14:15]
	v_fma_f64 v[12:13], -v[84:85], v[108:109], v[12:13]
	s_waitcnt lgkmcnt(2)
	v_fma_f64 v[10:11], -v[84:85], v[98:99], v[10:11]
	v_fma_f64 v[8:9], -v[84:85], v[100:101], v[8:9]
	;; [unrolled: 3-line block ×3, first 2 shown]
	s_waitcnt lgkmcnt(0)
	v_fma_f64 v[86:87], -v[84:85], v[88:89], v[86:87]
.LBB82_16:
	s_or_b64 exec, exec, s[2:3]
	v_lshl_add_u32 v88, v93, 3, v92
	s_barrier
	s_waitcnt vmcnt(0)
	ds_write_b64 v88, v[82:83]
	s_waitcnt lgkmcnt(0)
	s_barrier
	ds_read_b64 v[88:89], v92 offset:8
	s_cmp_lt_i32 s18, 3
	v_mov_b32_e32 v90, 1
	s_cbranch_scc1 .LBB82_19
; %bb.17:
	v_add3_u32 v96, v97, 0, 16
	s_mov_b32 s2, 2
	v_mov_b32_e32 v90, 1
.LBB82_18:                              ; =>This Inner Loop Header: Depth=1
	ds_read_b64 v[98:99], v96
	v_mov_b32_e32 v100, s2
	s_add_i32 s2, s2, 1
	v_add_u32_e32 v96, 8, v96
	s_cmp_lg_u32 s18, s2
	s_waitcnt lgkmcnt(0)
	v_cmp_lt_f64_e64 vcc, |v[88:89]|, |v[98:99]|
	v_cndmask_b32_e32 v89, v89, v99, vcc
	v_cndmask_b32_e32 v88, v88, v98, vcc
	;; [unrolled: 1-line block ×3, first 2 shown]
	s_cbranch_scc1 .LBB82_18
.LBB82_19:
	v_cmp_ne_u32_e32 vcc, v93, v90
	s_and_saveexec_b64 s[2:3], vcc
	s_xor_b64 s[2:3], exec, s[2:3]
	s_cbranch_execz .LBB82_25
; %bb.20:
	v_cmp_eq_u32_e32 vcc, 1, v93
	s_and_saveexec_b64 s[14:15], vcc
	s_cbranch_execz .LBB82_24
; %bb.21:
	v_cmp_ne_u32_e32 vcc, 1, v90
	s_xor_b64 s[16:17], s[6:7], -1
	s_and_b64 s[20:21], s[16:17], vcc
	s_and_saveexec_b64 s[16:17], s[20:21]
	s_cbranch_execz .LBB82_23
; %bb.22:
	v_ashrrev_i32_e32 v91, 31, v90
	v_lshlrev_b64 v[98:99], 2, v[90:91]
	v_add_co_u32_e32 v98, vcc, v4, v98
	v_addc_co_u32_e32 v99, vcc, v5, v99, vcc
	flat_load_dword v91, v[98:99]
	flat_load_dword v93, v[4:5] offset:4
	s_waitcnt vmcnt(0) lgkmcnt(0)
	flat_store_dword v[4:5], v91 offset:4
	flat_store_dword v[98:99], v93
.LBB82_23:
	s_or_b64 exec, exec, s[16:17]
	v_mov_b32_e32 v91, v90
	v_mov_b32_e32 v93, v90
.LBB82_24:
	s_or_b64 exec, exec, s[14:15]
.LBB82_25:
	s_andn2_saveexec_b64 s[2:3], s[2:3]
	s_cbranch_execz .LBB82_27
; %bb.26:
	v_mov_b32_e32 v98, v80
	v_mov_b32_e32 v99, v81
	v_mov_b32_e32 v100, v78
	v_mov_b32_e32 v101, v79
	ds_write2_b64 v92, v[98:99], v[100:101] offset0:2 offset1:3
	v_mov_b32_e32 v98, v76
	v_mov_b32_e32 v99, v77
	v_mov_b32_e32 v100, v74
	v_mov_b32_e32 v101, v75
	ds_write2_b64 v92, v[98:99], v[100:101] offset0:4 offset1:5
	;; [unrolled: 5-line block ×19, first 2 shown]
	v_mov_b32_e32 v98, v0
	v_mov_b32_e32 v99, v1
	;; [unrolled: 1-line block ×3, first 2 shown]
	ds_write2_b64 v92, v[98:99], v[86:87] offset0:40 offset1:41
.LBB82_27:
	s_or_b64 exec, exec, s[2:3]
	s_waitcnt lgkmcnt(0)
	v_cmp_neq_f64_e64 s[2:3], 0, v[88:89]
	v_cmp_lt_i32_e32 vcc, 1, v93
	s_barrier
	s_and_saveexec_b64 s[14:15], vcc
	s_cbranch_execz .LBB82_29
; %bb.28:
	v_div_scale_f64 v[98:99], s[16:17], v[88:89], v[88:89], 1.0
	v_rcp_f64_e32 v[100:101], v[98:99]
	v_div_scale_f64 v[102:103], vcc, 1.0, v[88:89], 1.0
	ds_read2_b64 v[106:109], v92 offset0:6 offset1:7
	v_fma_f64 v[104:105], -v[98:99], v[100:101], 1.0
	v_fmac_f64_e32 v[100:101], v[100:101], v[104:105]
	v_fma_f64 v[104:105], -v[98:99], v[100:101], 1.0
	v_fmac_f64_e32 v[100:101], v[100:101], v[104:105]
	v_mul_f64 v[104:105], v[102:103], v[100:101]
	v_fma_f64 v[98:99], -v[98:99], v[104:105], v[102:103]
	v_div_fmas_f64 v[98:99], v[98:99], v[100:101], v[104:105]
	v_div_fixup_f64 v[102:103], v[98:99], v[88:89], 1.0
	ds_read2_b64 v[98:101], v92 offset0:2 offset1:3
	v_cndmask_b32_e64 v89, v89, v103, s[2:3]
	v_cndmask_b32_e64 v88, v88, v102, s[2:3]
	ds_read2_b64 v[102:105], v92 offset0:4 offset1:5
	v_mul_f64 v[82:83], v[88:89], v[82:83]
	s_waitcnt lgkmcnt(0)
	v_fma_f64 v[80:81], -v[82:83], v[98:99], v[80:81]
	v_fma_f64 v[78:79], -v[82:83], v[100:101], v[78:79]
	ds_read2_b64 v[98:101], v92 offset0:8 offset1:9
	v_fma_f64 v[76:77], -v[82:83], v[102:103], v[76:77]
	v_fma_f64 v[74:75], -v[82:83], v[104:105], v[74:75]
	ds_read2_b64 v[102:105], v92 offset0:10 offset1:11
	;; [unrolled: 3-line block ×3, first 2 shown]
	s_waitcnt lgkmcnt(0)
	v_fma_f64 v[68:69], -v[82:83], v[98:99], v[68:69]
	v_fma_f64 v[66:67], -v[82:83], v[100:101], v[66:67]
	v_fma_f64 v[64:65], -v[82:83], v[102:103], v[64:65]
	ds_read2_b64 v[98:101], v92 offset0:14 offset1:15
	v_fma_f64 v[62:63], -v[82:83], v[104:105], v[62:63]
	ds_read2_b64 v[102:105], v92 offset0:16 offset1:17
	v_fma_f64 v[60:61], -v[82:83], v[106:107], v[60:61]
	v_fma_f64 v[58:59], -v[82:83], v[108:109], v[58:59]
	s_waitcnt lgkmcnt(0)
	v_fma_f64 v[54:55], -v[82:83], v[98:99], v[54:55]
	ds_read2_b64 v[106:109], v92 offset0:18 offset1:19
	v_fma_f64 v[56:57], -v[82:83], v[100:101], v[56:57]
	ds_read2_b64 v[98:101], v92 offset0:20 offset1:21
	v_fma_f64 v[52:53], -v[82:83], v[102:103], v[52:53]
	v_fma_f64 v[50:51], -v[82:83], v[104:105], v[50:51]
	ds_read2_b64 v[102:105], v92 offset0:22 offset1:23
	s_waitcnt lgkmcnt(0)
	v_fma_f64 v[48:49], -v[82:83], v[106:107], v[48:49]
	v_fma_f64 v[46:47], -v[82:83], v[108:109], v[46:47]
	ds_read2_b64 v[106:109], v92 offset0:24 offset1:25
	v_fma_f64 v[44:45], -v[82:83], v[98:99], v[44:45]
	v_fma_f64 v[42:43], -v[82:83], v[100:101], v[42:43]
	;; [unrolled: 1-line block ×3, first 2 shown]
	ds_read2_b64 v[98:101], v92 offset0:26 offset1:27
	v_fma_f64 v[38:39], -v[82:83], v[104:105], v[38:39]
	ds_read2_b64 v[102:105], v92 offset0:28 offset1:29
	s_waitcnt lgkmcnt(0)
	v_fma_f64 v[36:37], -v[82:83], v[106:107], v[36:37]
	v_fma_f64 v[34:35], -v[82:83], v[108:109], v[34:35]
	;; [unrolled: 1-line block ×3, first 2 shown]
	ds_read2_b64 v[106:109], v92 offset0:30 offset1:31
	v_fma_f64 v[30:31], -v[82:83], v[100:101], v[30:31]
	ds_read2_b64 v[98:101], v92 offset0:32 offset1:33
	v_fma_f64 v[28:29], -v[82:83], v[102:103], v[28:29]
	v_fma_f64 v[24:25], -v[82:83], v[104:105], v[24:25]
	ds_read2_b64 v[102:105], v92 offset0:34 offset1:35
	s_waitcnt lgkmcnt(0)
	v_fma_f64 v[26:27], -v[82:83], v[106:107], v[26:27]
	v_fma_f64 v[22:23], -v[82:83], v[108:109], v[22:23]
	;; [unrolled: 1-line block ×4, first 2 shown]
	ds_read2_b64 v[98:101], v92 offset0:36 offset1:37
	v_fma_f64 v[16:17], -v[82:83], v[102:103], v[16:17]
	ds_read2_b64 v[106:109], v92 offset0:38 offset1:39
	v_fma_f64 v[14:15], -v[82:83], v[104:105], v[14:15]
	ds_read2_b64 v[102:105], v92 offset0:40 offset1:41
	s_waitcnt lgkmcnt(0)
	v_fma_f64 v[12:13], -v[82:83], v[98:99], v[12:13]
	v_fma_f64 v[10:11], -v[82:83], v[100:101], v[10:11]
	;; [unrolled: 1-line block ×6, first 2 shown]
.LBB82_29:
	s_or_b64 exec, exec, s[14:15]
	v_lshl_add_u32 v88, v93, 3, v92
	s_barrier
	ds_write_b64 v88, v[80:81]
	s_waitcnt lgkmcnt(0)
	s_barrier
	ds_read_b64 v[88:89], v92 offset:16
	s_mov_b32 s9, 3
	s_cmp_lt_i32 s18, 4
	v_mov_b32_e32 v90, 2
	s_cbranch_scc1 .LBB82_32
; %bb.30:
	v_add3_u32 v96, v97, 0, 24
	v_mov_b32_e32 v90, 2
.LBB82_31:                              ; =>This Inner Loop Header: Depth=1
	ds_read_b64 v[98:99], v96
	v_mov_b32_e32 v100, s9
	s_add_i32 s9, s9, 1
	v_add_u32_e32 v96, 8, v96
	s_cmp_lg_u32 s18, s9
	s_waitcnt lgkmcnt(0)
	v_cmp_lt_f64_e64 vcc, |v[88:89]|, |v[98:99]|
	v_cndmask_b32_e32 v89, v89, v99, vcc
	v_cndmask_b32_e32 v88, v88, v98, vcc
	v_cndmask_b32_e32 v90, v90, v100, vcc
	s_cbranch_scc1 .LBB82_31
.LBB82_32:
	v_cndmask_b32_e64 v96, 2, 1, s[0:1]
	v_cndmask_b32_e64 v98, 0, 1, s[0:1]
	;; [unrolled: 1-line block ×3, first 2 shown]
	s_waitcnt lgkmcnt(0)
	v_cmp_eq_f64_e32 vcc, 0, v[88:89]
	s_and_saveexec_b64 s[0:1], vcc
	s_xor_b64 s[0:1], exec, s[0:1]
; %bb.33:
	v_cmp_ne_u32_e32 vcc, 0, v96
	v_cndmask_b32_e32 v96, 3, v96, vcc
; %bb.34:
	s_andn2_saveexec_b64 s[0:1], s[0:1]
; %bb.35:
	v_div_scale_f64 v[98:99], s[2:3], v[88:89], v[88:89], 1.0
	v_rcp_f64_e32 v[100:101], v[98:99]
	v_div_scale_f64 v[102:103], vcc, 1.0, v[88:89], 1.0
	v_fma_f64 v[104:105], -v[98:99], v[100:101], 1.0
	v_fmac_f64_e32 v[100:101], v[100:101], v[104:105]
	v_fma_f64 v[104:105], -v[98:99], v[100:101], 1.0
	v_fmac_f64_e32 v[100:101], v[100:101], v[104:105]
	v_mul_f64 v[104:105], v[102:103], v[100:101]
	v_fma_f64 v[98:99], -v[98:99], v[104:105], v[102:103]
	v_div_fmas_f64 v[98:99], v[98:99], v[100:101], v[104:105]
	v_div_fixup_f64 v[88:89], v[98:99], v[88:89], 1.0
; %bb.36:
	s_or_b64 exec, exec, s[0:1]
	v_cmp_ne_u32_e32 vcc, v93, v90
	s_and_saveexec_b64 s[0:1], vcc
	s_xor_b64 s[0:1], exec, s[0:1]
	s_cbranch_execz .LBB82_42
; %bb.37:
	v_cmp_eq_u32_e32 vcc, 2, v93
	s_and_saveexec_b64 s[2:3], vcc
	s_cbranch_execz .LBB82_41
; %bb.38:
	v_cmp_ne_u32_e32 vcc, 2, v90
	s_xor_b64 s[14:15], s[6:7], -1
	s_and_b64 s[16:17], s[14:15], vcc
	s_and_saveexec_b64 s[14:15], s[16:17]
	s_cbranch_execz .LBB82_40
; %bb.39:
	v_ashrrev_i32_e32 v91, 31, v90
	v_lshlrev_b64 v[98:99], 2, v[90:91]
	v_add_co_u32_e32 v98, vcc, v4, v98
	v_addc_co_u32_e32 v99, vcc, v5, v99, vcc
	flat_load_dword v91, v[98:99]
	flat_load_dword v93, v[4:5] offset:8
	s_waitcnt vmcnt(0) lgkmcnt(0)
	flat_store_dword v[4:5], v91 offset:8
	flat_store_dword v[98:99], v93
.LBB82_40:
	s_or_b64 exec, exec, s[14:15]
	v_mov_b32_e32 v91, v90
	v_mov_b32_e32 v93, v90
.LBB82_41:
	s_or_b64 exec, exec, s[2:3]
.LBB82_42:
	s_andn2_saveexec_b64 s[0:1], s[0:1]
	s_cbranch_execz .LBB82_44
; %bb.43:
	v_mov_b32_e32 v93, 2
	ds_write2_b64 v92, v[78:79], v[76:77] offset0:3 offset1:4
	ds_write2_b64 v92, v[74:75], v[72:73] offset0:5 offset1:6
	;; [unrolled: 1-line block ×19, first 2 shown]
	ds_write_b64 v92, v[86:87] offset:328
.LBB82_44:
	s_or_b64 exec, exec, s[0:1]
	v_cmp_lt_i32_e32 vcc, 2, v93
	s_waitcnt lgkmcnt(0)
	s_barrier
	s_and_saveexec_b64 s[0:1], vcc
	s_cbranch_execz .LBB82_46
; %bb.45:
	ds_read2_b64 v[98:101], v92 offset0:3 offset1:4
	ds_read2_b64 v[102:105], v92 offset0:5 offset1:6
	v_mul_f64 v[80:81], v[88:89], v[80:81]
	ds_read2_b64 v[106:109], v92 offset0:7 offset1:8
	ds_read_b64 v[88:89], v92 offset:328
	s_waitcnt lgkmcnt(0)
	v_fma_f64 v[78:79], -v[80:81], v[98:99], v[78:79]
	v_fma_f64 v[76:77], -v[80:81], v[100:101], v[76:77]
	ds_read2_b64 v[98:101], v92 offset0:9 offset1:10
	v_fma_f64 v[74:75], -v[80:81], v[102:103], v[74:75]
	v_fma_f64 v[72:73], -v[80:81], v[104:105], v[72:73]
	;; [unrolled: 1-line block ×3, first 2 shown]
	ds_read2_b64 v[102:105], v92 offset0:11 offset1:12
	v_fma_f64 v[68:69], -v[80:81], v[108:109], v[68:69]
	ds_read2_b64 v[106:109], v92 offset0:13 offset1:14
	s_waitcnt lgkmcnt(0)
	v_fma_f64 v[66:67], -v[80:81], v[98:99], v[66:67]
	v_fma_f64 v[64:65], -v[80:81], v[100:101], v[64:65]
	ds_read2_b64 v[98:101], v92 offset0:15 offset1:16
	v_fma_f64 v[62:63], -v[80:81], v[102:103], v[62:63]
	v_fma_f64 v[60:61], -v[80:81], v[104:105], v[60:61]
	ds_read2_b64 v[102:105], v92 offset0:17 offset1:18
	v_fma_f64 v[58:59], -v[80:81], v[106:107], v[58:59]
	v_fma_f64 v[54:55], -v[80:81], v[108:109], v[54:55]
	s_waitcnt lgkmcnt(0)
	v_fma_f64 v[56:57], -v[80:81], v[98:99], v[56:57]
	ds_read2_b64 v[106:109], v92 offset0:19 offset1:20
	v_fma_f64 v[52:53], -v[80:81], v[100:101], v[52:53]
	ds_read2_b64 v[98:101], v92 offset0:21 offset1:22
	v_fma_f64 v[50:51], -v[80:81], v[102:103], v[50:51]
	v_fma_f64 v[48:49], -v[80:81], v[104:105], v[48:49]
	s_waitcnt lgkmcnt(0)
	v_fma_f64 v[46:47], -v[80:81], v[106:107], v[46:47]
	ds_read2_b64 v[102:105], v92 offset0:23 offset1:24
	v_fma_f64 v[44:45], -v[80:81], v[108:109], v[44:45]
	ds_read2_b64 v[106:109], v92 offset0:25 offset1:26
	v_fma_f64 v[42:43], -v[80:81], v[98:99], v[42:43]
	v_fma_f64 v[40:41], -v[80:81], v[100:101], v[40:41]
	ds_read2_b64 v[98:101], v92 offset0:27 offset1:28
	s_waitcnt lgkmcnt(0)
	v_fma_f64 v[38:39], -v[80:81], v[102:103], v[38:39]
	v_fma_f64 v[36:37], -v[80:81], v[104:105], v[36:37]
	ds_read2_b64 v[102:105], v92 offset0:29 offset1:30
	v_fma_f64 v[34:35], -v[80:81], v[106:107], v[34:35]
	v_fma_f64 v[32:33], -v[80:81], v[108:109], v[32:33]
	;; [unrolled: 1-line block ×3, first 2 shown]
	ds_read2_b64 v[106:109], v92 offset0:31 offset1:32
	v_fma_f64 v[28:29], -v[80:81], v[100:101], v[28:29]
	ds_read2_b64 v[98:101], v92 offset0:33 offset1:34
	s_waitcnt lgkmcnt(0)
	v_fma_f64 v[24:25], -v[80:81], v[102:103], v[24:25]
	v_fma_f64 v[26:27], -v[80:81], v[104:105], v[26:27]
	;; [unrolled: 1-line block ×3, first 2 shown]
	ds_read2_b64 v[102:105], v92 offset0:35 offset1:36
	v_fma_f64 v[20:21], -v[80:81], v[108:109], v[20:21]
	v_fma_f64 v[18:19], -v[80:81], v[98:99], v[18:19]
	;; [unrolled: 1-line block ×3, first 2 shown]
	ds_read2_b64 v[98:101], v92 offset0:37 offset1:38
	ds_read2_b64 v[106:109], v92 offset0:39 offset1:40
	s_waitcnt lgkmcnt(0)
	v_fma_f64 v[14:15], -v[80:81], v[102:103], v[14:15]
	v_fma_f64 v[12:13], -v[80:81], v[104:105], v[12:13]
	v_fma_f64 v[86:87], -v[80:81], v[88:89], v[86:87]
	v_fma_f64 v[10:11], -v[80:81], v[98:99], v[10:11]
	v_fma_f64 v[8:9], -v[80:81], v[100:101], v[8:9]
	v_fma_f64 v[6:7], -v[80:81], v[106:107], v[6:7]
	v_fma_f64 v[0:1], -v[80:81], v[108:109], v[0:1]
.LBB82_46:
	s_or_b64 exec, exec, s[0:1]
	v_lshl_add_u32 v88, v93, 3, v92
	s_barrier
	ds_write_b64 v88, v[78:79]
	s_waitcnt lgkmcnt(0)
	s_barrier
	ds_read_b64 v[88:89], v92 offset:24
	s_cmp_lt_i32 s18, 5
	v_mov_b32_e32 v90, 3
	s_cbranch_scc1 .LBB82_49
; %bb.47:
	v_add3_u32 v98, v97, 0, 32
	s_mov_b32 s0, 4
	v_mov_b32_e32 v90, 3
.LBB82_48:                              ; =>This Inner Loop Header: Depth=1
	ds_read_b64 v[100:101], v98
	v_mov_b32_e32 v99, s0
	s_add_i32 s0, s0, 1
	v_add_u32_e32 v98, 8, v98
	s_cmp_lg_u32 s18, s0
	s_waitcnt lgkmcnt(0)
	v_cmp_lt_f64_e64 vcc, |v[88:89]|, |v[100:101]|
	v_cndmask_b32_e32 v89, v89, v101, vcc
	v_cndmask_b32_e32 v88, v88, v100, vcc
	;; [unrolled: 1-line block ×3, first 2 shown]
	s_cbranch_scc1 .LBB82_48
.LBB82_49:
	s_waitcnt lgkmcnt(0)
	v_cmp_eq_f64_e32 vcc, 0, v[88:89]
	s_and_saveexec_b64 s[0:1], vcc
	s_xor_b64 s[0:1], exec, s[0:1]
; %bb.50:
	v_cmp_ne_u32_e32 vcc, 0, v96
	v_cndmask_b32_e32 v96, 4, v96, vcc
; %bb.51:
	s_andn2_saveexec_b64 s[0:1], s[0:1]
; %bb.52:
	v_div_scale_f64 v[98:99], s[2:3], v[88:89], v[88:89], 1.0
	v_rcp_f64_e32 v[100:101], v[98:99]
	v_div_scale_f64 v[102:103], vcc, 1.0, v[88:89], 1.0
	v_fma_f64 v[104:105], -v[98:99], v[100:101], 1.0
	v_fmac_f64_e32 v[100:101], v[100:101], v[104:105]
	v_fma_f64 v[104:105], -v[98:99], v[100:101], 1.0
	v_fmac_f64_e32 v[100:101], v[100:101], v[104:105]
	v_mul_f64 v[104:105], v[102:103], v[100:101]
	v_fma_f64 v[98:99], -v[98:99], v[104:105], v[102:103]
	v_div_fmas_f64 v[98:99], v[98:99], v[100:101], v[104:105]
	v_div_fixup_f64 v[88:89], v[98:99], v[88:89], 1.0
; %bb.53:
	s_or_b64 exec, exec, s[0:1]
	v_cmp_ne_u32_e32 vcc, v93, v90
	s_and_saveexec_b64 s[0:1], vcc
	s_xor_b64 s[0:1], exec, s[0:1]
	s_cbranch_execz .LBB82_59
; %bb.54:
	v_cmp_eq_u32_e32 vcc, 3, v93
	s_and_saveexec_b64 s[2:3], vcc
	s_cbranch_execz .LBB82_58
; %bb.55:
	v_cmp_ne_u32_e32 vcc, 3, v90
	s_xor_b64 s[14:15], s[6:7], -1
	s_and_b64 s[16:17], s[14:15], vcc
	s_and_saveexec_b64 s[14:15], s[16:17]
	s_cbranch_execz .LBB82_57
; %bb.56:
	v_ashrrev_i32_e32 v91, 31, v90
	v_lshlrev_b64 v[98:99], 2, v[90:91]
	v_add_co_u32_e32 v98, vcc, v4, v98
	v_addc_co_u32_e32 v99, vcc, v5, v99, vcc
	flat_load_dword v91, v[98:99]
	flat_load_dword v93, v[4:5] offset:12
	s_waitcnt vmcnt(0) lgkmcnt(0)
	flat_store_dword v[4:5], v91 offset:12
	flat_store_dword v[98:99], v93
.LBB82_57:
	s_or_b64 exec, exec, s[14:15]
	v_mov_b32_e32 v91, v90
	v_mov_b32_e32 v93, v90
.LBB82_58:
	s_or_b64 exec, exec, s[2:3]
.LBB82_59:
	s_andn2_saveexec_b64 s[0:1], s[0:1]
	s_cbranch_execz .LBB82_61
; %bb.60:
	v_mov_b32_e32 v98, v76
	v_mov_b32_e32 v99, v77
	v_mov_b32_e32 v100, v74
	v_mov_b32_e32 v101, v75
	ds_write2_b64 v92, v[98:99], v[100:101] offset0:4 offset1:5
	v_mov_b32_e32 v98, v72
	v_mov_b32_e32 v99, v73
	v_mov_b32_e32 v100, v70
	v_mov_b32_e32 v101, v71
	ds_write2_b64 v92, v[98:99], v[100:101] offset0:6 offset1:7
	;; [unrolled: 5-line block ×18, first 2 shown]
	v_mov_b32_e32 v98, v0
	v_mov_b32_e32 v99, v1
	;; [unrolled: 1-line block ×3, first 2 shown]
	ds_write2_b64 v92, v[98:99], v[86:87] offset0:40 offset1:41
.LBB82_61:
	s_or_b64 exec, exec, s[0:1]
	v_cmp_lt_i32_e32 vcc, 3, v93
	s_waitcnt lgkmcnt(0)
	s_barrier
	s_and_saveexec_b64 s[0:1], vcc
	s_cbranch_execz .LBB82_63
; %bb.62:
	ds_read2_b64 v[98:101], v92 offset0:4 offset1:5
	ds_read2_b64 v[102:105], v92 offset0:6 offset1:7
	v_mul_f64 v[78:79], v[88:89], v[78:79]
	ds_read2_b64 v[106:109], v92 offset0:8 offset1:9
	s_waitcnt lgkmcnt(0)
	v_fma_f64 v[76:77], -v[78:79], v[98:99], v[76:77]
	v_fma_f64 v[74:75], -v[78:79], v[100:101], v[74:75]
	ds_read2_b64 v[98:101], v92 offset0:10 offset1:11
	v_fma_f64 v[72:73], -v[78:79], v[102:103], v[72:73]
	v_fma_f64 v[70:71], -v[78:79], v[104:105], v[70:71]
	;; [unrolled: 1-line block ×3, first 2 shown]
	ds_read2_b64 v[102:105], v92 offset0:12 offset1:13
	v_fma_f64 v[66:67], -v[78:79], v[108:109], v[66:67]
	ds_read2_b64 v[106:109], v92 offset0:14 offset1:15
	s_waitcnt lgkmcnt(0)
	v_fma_f64 v[64:65], -v[78:79], v[98:99], v[64:65]
	v_fma_f64 v[62:63], -v[78:79], v[100:101], v[62:63]
	ds_read2_b64 v[98:101], v92 offset0:16 offset1:17
	v_fma_f64 v[60:61], -v[78:79], v[102:103], v[60:61]
	v_fma_f64 v[58:59], -v[78:79], v[104:105], v[58:59]
	ds_read2_b64 v[102:105], v92 offset0:18 offset1:19
	v_fma_f64 v[54:55], -v[78:79], v[106:107], v[54:55]
	v_fma_f64 v[56:57], -v[78:79], v[108:109], v[56:57]
	s_waitcnt lgkmcnt(0)
	v_fma_f64 v[52:53], -v[78:79], v[98:99], v[52:53]
	ds_read2_b64 v[106:109], v92 offset0:20 offset1:21
	v_fma_f64 v[50:51], -v[78:79], v[100:101], v[50:51]
	ds_read2_b64 v[98:101], v92 offset0:22 offset1:23
	v_fma_f64 v[48:49], -v[78:79], v[102:103], v[48:49]
	v_fma_f64 v[46:47], -v[78:79], v[104:105], v[46:47]
	s_waitcnt lgkmcnt(0)
	v_fma_f64 v[44:45], -v[78:79], v[106:107], v[44:45]
	ds_read2_b64 v[102:105], v92 offset0:24 offset1:25
	v_fma_f64 v[42:43], -v[78:79], v[108:109], v[42:43]
	ds_read2_b64 v[106:109], v92 offset0:26 offset1:27
	v_fma_f64 v[40:41], -v[78:79], v[98:99], v[40:41]
	v_fma_f64 v[38:39], -v[78:79], v[100:101], v[38:39]
	ds_read2_b64 v[98:101], v92 offset0:28 offset1:29
	s_waitcnt lgkmcnt(0)
	v_fma_f64 v[36:37], -v[78:79], v[102:103], v[36:37]
	v_fma_f64 v[34:35], -v[78:79], v[104:105], v[34:35]
	ds_read2_b64 v[102:105], v92 offset0:30 offset1:31
	v_fma_f64 v[32:33], -v[78:79], v[106:107], v[32:33]
	v_fma_f64 v[30:31], -v[78:79], v[108:109], v[30:31]
	v_fma_f64 v[28:29], -v[78:79], v[98:99], v[28:29]
	ds_read2_b64 v[106:109], v92 offset0:32 offset1:33
	v_fma_f64 v[24:25], -v[78:79], v[100:101], v[24:25]
	ds_read2_b64 v[98:101], v92 offset0:34 offset1:35
	s_waitcnt lgkmcnt(0)
	v_fma_f64 v[26:27], -v[78:79], v[102:103], v[26:27]
	v_fma_f64 v[22:23], -v[78:79], v[104:105], v[22:23]
	;; [unrolled: 1-line block ×4, first 2 shown]
	ds_read2_b64 v[102:105], v92 offset0:36 offset1:37
	ds_read2_b64 v[106:109], v92 offset0:38 offset1:39
	v_fma_f64 v[16:17], -v[78:79], v[98:99], v[16:17]
	v_fma_f64 v[14:15], -v[78:79], v[100:101], v[14:15]
	ds_read2_b64 v[98:101], v92 offset0:40 offset1:41
	s_waitcnt lgkmcnt(0)
	v_fma_f64 v[12:13], -v[78:79], v[102:103], v[12:13]
	v_fma_f64 v[10:11], -v[78:79], v[104:105], v[10:11]
	;; [unrolled: 1-line block ×6, first 2 shown]
.LBB82_63:
	s_or_b64 exec, exec, s[0:1]
	v_lshl_add_u32 v88, v93, 3, v92
	s_barrier
	ds_write_b64 v88, v[76:77]
	s_waitcnt lgkmcnt(0)
	s_barrier
	ds_read_b64 v[88:89], v92 offset:32
	s_cmp_lt_i32 s18, 6
	v_mov_b32_e32 v90, 4
	s_cbranch_scc1 .LBB82_66
; %bb.64:
	v_add3_u32 v98, v97, 0, 40
	s_mov_b32 s0, 5
	v_mov_b32_e32 v90, 4
.LBB82_65:                              ; =>This Inner Loop Header: Depth=1
	ds_read_b64 v[100:101], v98
	v_mov_b32_e32 v99, s0
	s_add_i32 s0, s0, 1
	v_add_u32_e32 v98, 8, v98
	s_cmp_lg_u32 s18, s0
	s_waitcnt lgkmcnt(0)
	v_cmp_lt_f64_e64 vcc, |v[88:89]|, |v[100:101]|
	v_cndmask_b32_e32 v89, v89, v101, vcc
	v_cndmask_b32_e32 v88, v88, v100, vcc
	;; [unrolled: 1-line block ×3, first 2 shown]
	s_cbranch_scc1 .LBB82_65
.LBB82_66:
	s_waitcnt lgkmcnt(0)
	v_cmp_eq_f64_e32 vcc, 0, v[88:89]
	s_and_saveexec_b64 s[0:1], vcc
	s_xor_b64 s[0:1], exec, s[0:1]
; %bb.67:
	v_cmp_ne_u32_e32 vcc, 0, v96
	v_cndmask_b32_e32 v96, 5, v96, vcc
; %bb.68:
	s_andn2_saveexec_b64 s[0:1], s[0:1]
; %bb.69:
	v_div_scale_f64 v[98:99], s[2:3], v[88:89], v[88:89], 1.0
	v_rcp_f64_e32 v[100:101], v[98:99]
	v_div_scale_f64 v[102:103], vcc, 1.0, v[88:89], 1.0
	v_fma_f64 v[104:105], -v[98:99], v[100:101], 1.0
	v_fmac_f64_e32 v[100:101], v[100:101], v[104:105]
	v_fma_f64 v[104:105], -v[98:99], v[100:101], 1.0
	v_fmac_f64_e32 v[100:101], v[100:101], v[104:105]
	v_mul_f64 v[104:105], v[102:103], v[100:101]
	v_fma_f64 v[98:99], -v[98:99], v[104:105], v[102:103]
	v_div_fmas_f64 v[98:99], v[98:99], v[100:101], v[104:105]
	v_div_fixup_f64 v[88:89], v[98:99], v[88:89], 1.0
; %bb.70:
	s_or_b64 exec, exec, s[0:1]
	v_cmp_ne_u32_e32 vcc, v93, v90
	s_and_saveexec_b64 s[0:1], vcc
	s_xor_b64 s[0:1], exec, s[0:1]
	s_cbranch_execz .LBB82_76
; %bb.71:
	v_cmp_eq_u32_e32 vcc, 4, v93
	s_and_saveexec_b64 s[2:3], vcc
	s_cbranch_execz .LBB82_75
; %bb.72:
	v_cmp_ne_u32_e32 vcc, 4, v90
	s_xor_b64 s[14:15], s[6:7], -1
	s_and_b64 s[16:17], s[14:15], vcc
	s_and_saveexec_b64 s[14:15], s[16:17]
	s_cbranch_execz .LBB82_74
; %bb.73:
	v_ashrrev_i32_e32 v91, 31, v90
	v_lshlrev_b64 v[98:99], 2, v[90:91]
	v_add_co_u32_e32 v98, vcc, v4, v98
	v_addc_co_u32_e32 v99, vcc, v5, v99, vcc
	flat_load_dword v91, v[98:99]
	flat_load_dword v93, v[4:5] offset:16
	s_waitcnt vmcnt(0) lgkmcnt(0)
	flat_store_dword v[4:5], v91 offset:16
	flat_store_dword v[98:99], v93
.LBB82_74:
	s_or_b64 exec, exec, s[14:15]
	v_mov_b32_e32 v91, v90
	v_mov_b32_e32 v93, v90
.LBB82_75:
	s_or_b64 exec, exec, s[2:3]
.LBB82_76:
	s_andn2_saveexec_b64 s[0:1], s[0:1]
	s_cbranch_execz .LBB82_78
; %bb.77:
	v_mov_b32_e32 v93, 4
	ds_write2_b64 v92, v[74:75], v[72:73] offset0:5 offset1:6
	ds_write2_b64 v92, v[70:71], v[68:69] offset0:7 offset1:8
	;; [unrolled: 1-line block ×18, first 2 shown]
	ds_write_b64 v92, v[86:87] offset:328
.LBB82_78:
	s_or_b64 exec, exec, s[0:1]
	v_cmp_lt_i32_e32 vcc, 4, v93
	s_waitcnt lgkmcnt(0)
	s_barrier
	s_and_saveexec_b64 s[0:1], vcc
	s_cbranch_execz .LBB82_80
; %bb.79:
	ds_read2_b64 v[98:101], v92 offset0:5 offset1:6
	ds_read2_b64 v[102:105], v92 offset0:7 offset1:8
	;; [unrolled: 1-line block ×3, first 2 shown]
	v_mul_f64 v[76:77], v[88:89], v[76:77]
	ds_read_b64 v[88:89], v92 offset:328
	s_waitcnt lgkmcnt(0)
	v_fma_f64 v[74:75], -v[76:77], v[98:99], v[74:75]
	v_fma_f64 v[72:73], -v[76:77], v[100:101], v[72:73]
	ds_read2_b64 v[98:101], v92 offset0:11 offset1:12
	v_fma_f64 v[70:71], -v[76:77], v[102:103], v[70:71]
	v_fma_f64 v[68:69], -v[76:77], v[104:105], v[68:69]
	;; [unrolled: 1-line block ×3, first 2 shown]
	ds_read2_b64 v[102:105], v92 offset0:13 offset1:14
	v_fma_f64 v[64:65], -v[76:77], v[108:109], v[64:65]
	ds_read2_b64 v[106:109], v92 offset0:15 offset1:16
	s_waitcnt lgkmcnt(0)
	v_fma_f64 v[62:63], -v[76:77], v[98:99], v[62:63]
	v_fma_f64 v[60:61], -v[76:77], v[100:101], v[60:61]
	;; [unrolled: 1-line block ×3, first 2 shown]
	ds_read2_b64 v[98:101], v92 offset0:17 offset1:18
	v_fma_f64 v[54:55], -v[76:77], v[104:105], v[54:55]
	ds_read2_b64 v[102:105], v92 offset0:19 offset1:20
	v_fma_f64 v[56:57], -v[76:77], v[106:107], v[56:57]
	v_fma_f64 v[52:53], -v[76:77], v[108:109], v[52:53]
	ds_read2_b64 v[106:109], v92 offset0:21 offset1:22
	s_waitcnt lgkmcnt(0)
	v_fma_f64 v[50:51], -v[76:77], v[98:99], v[50:51]
	v_fma_f64 v[48:49], -v[76:77], v[100:101], v[48:49]
	ds_read2_b64 v[98:101], v92 offset0:23 offset1:24
	v_fma_f64 v[46:47], -v[76:77], v[102:103], v[46:47]
	v_fma_f64 v[44:45], -v[76:77], v[104:105], v[44:45]
	;; [unrolled: 1-line block ×3, first 2 shown]
	ds_read2_b64 v[102:105], v92 offset0:25 offset1:26
	v_fma_f64 v[40:41], -v[76:77], v[108:109], v[40:41]
	ds_read2_b64 v[106:109], v92 offset0:27 offset1:28
	s_waitcnt lgkmcnt(0)
	v_fma_f64 v[38:39], -v[76:77], v[98:99], v[38:39]
	v_fma_f64 v[36:37], -v[76:77], v[100:101], v[36:37]
	;; [unrolled: 1-line block ×3, first 2 shown]
	ds_read2_b64 v[98:101], v92 offset0:29 offset1:30
	v_fma_f64 v[32:33], -v[76:77], v[104:105], v[32:33]
	ds_read2_b64 v[102:105], v92 offset0:31 offset1:32
	v_fma_f64 v[30:31], -v[76:77], v[106:107], v[30:31]
	v_fma_f64 v[28:29], -v[76:77], v[108:109], v[28:29]
	ds_read2_b64 v[106:109], v92 offset0:33 offset1:34
	s_waitcnt lgkmcnt(0)
	v_fma_f64 v[24:25], -v[76:77], v[98:99], v[24:25]
	v_fma_f64 v[26:27], -v[76:77], v[100:101], v[26:27]
	ds_read2_b64 v[98:101], v92 offset0:35 offset1:36
	v_fma_f64 v[22:23], -v[76:77], v[102:103], v[22:23]
	v_fma_f64 v[20:21], -v[76:77], v[104:105], v[20:21]
	;; [unrolled: 1-line block ×4, first 2 shown]
	ds_read2_b64 v[102:105], v92 offset0:37 offset1:38
	ds_read2_b64 v[106:109], v92 offset0:39 offset1:40
	s_waitcnt lgkmcnt(0)
	v_fma_f64 v[14:15], -v[76:77], v[98:99], v[14:15]
	v_fma_f64 v[12:13], -v[76:77], v[100:101], v[12:13]
	;; [unrolled: 1-line block ×7, first 2 shown]
.LBB82_80:
	s_or_b64 exec, exec, s[0:1]
	v_lshl_add_u32 v88, v93, 3, v92
	s_barrier
	ds_write_b64 v88, v[74:75]
	s_waitcnt lgkmcnt(0)
	s_barrier
	ds_read_b64 v[88:89], v92 offset:40
	s_cmp_lt_i32 s18, 7
	v_mov_b32_e32 v90, 5
	s_cbranch_scc1 .LBB82_83
; %bb.81:
	v_add3_u32 v98, v97, 0, 48
	s_mov_b32 s0, 6
	v_mov_b32_e32 v90, 5
.LBB82_82:                              ; =>This Inner Loop Header: Depth=1
	ds_read_b64 v[100:101], v98
	v_mov_b32_e32 v99, s0
	s_add_i32 s0, s0, 1
	v_add_u32_e32 v98, 8, v98
	s_cmp_lg_u32 s18, s0
	s_waitcnt lgkmcnt(0)
	v_cmp_lt_f64_e64 vcc, |v[88:89]|, |v[100:101]|
	v_cndmask_b32_e32 v89, v89, v101, vcc
	v_cndmask_b32_e32 v88, v88, v100, vcc
	;; [unrolled: 1-line block ×3, first 2 shown]
	s_cbranch_scc1 .LBB82_82
.LBB82_83:
	s_waitcnt lgkmcnt(0)
	v_cmp_eq_f64_e32 vcc, 0, v[88:89]
	s_and_saveexec_b64 s[0:1], vcc
	s_xor_b64 s[0:1], exec, s[0:1]
; %bb.84:
	v_cmp_ne_u32_e32 vcc, 0, v96
	v_cndmask_b32_e32 v96, 6, v96, vcc
; %bb.85:
	s_andn2_saveexec_b64 s[0:1], s[0:1]
; %bb.86:
	v_div_scale_f64 v[98:99], s[2:3], v[88:89], v[88:89], 1.0
	v_rcp_f64_e32 v[100:101], v[98:99]
	v_div_scale_f64 v[102:103], vcc, 1.0, v[88:89], 1.0
	v_fma_f64 v[104:105], -v[98:99], v[100:101], 1.0
	v_fmac_f64_e32 v[100:101], v[100:101], v[104:105]
	v_fma_f64 v[104:105], -v[98:99], v[100:101], 1.0
	v_fmac_f64_e32 v[100:101], v[100:101], v[104:105]
	v_mul_f64 v[104:105], v[102:103], v[100:101]
	v_fma_f64 v[98:99], -v[98:99], v[104:105], v[102:103]
	v_div_fmas_f64 v[98:99], v[98:99], v[100:101], v[104:105]
	v_div_fixup_f64 v[88:89], v[98:99], v[88:89], 1.0
; %bb.87:
	s_or_b64 exec, exec, s[0:1]
	v_cmp_ne_u32_e32 vcc, v93, v90
	s_and_saveexec_b64 s[0:1], vcc
	s_xor_b64 s[0:1], exec, s[0:1]
	s_cbranch_execz .LBB82_93
; %bb.88:
	v_cmp_eq_u32_e32 vcc, 5, v93
	s_and_saveexec_b64 s[2:3], vcc
	s_cbranch_execz .LBB82_92
; %bb.89:
	v_cmp_ne_u32_e32 vcc, 5, v90
	s_xor_b64 s[14:15], s[6:7], -1
	s_and_b64 s[16:17], s[14:15], vcc
	s_and_saveexec_b64 s[14:15], s[16:17]
	s_cbranch_execz .LBB82_91
; %bb.90:
	v_ashrrev_i32_e32 v91, 31, v90
	v_lshlrev_b64 v[98:99], 2, v[90:91]
	v_add_co_u32_e32 v98, vcc, v4, v98
	v_addc_co_u32_e32 v99, vcc, v5, v99, vcc
	flat_load_dword v91, v[98:99]
	flat_load_dword v93, v[4:5] offset:20
	s_waitcnt vmcnt(0) lgkmcnt(0)
	flat_store_dword v[4:5], v91 offset:20
	flat_store_dword v[98:99], v93
.LBB82_91:
	s_or_b64 exec, exec, s[14:15]
	v_mov_b32_e32 v91, v90
	v_mov_b32_e32 v93, v90
.LBB82_92:
	s_or_b64 exec, exec, s[2:3]
.LBB82_93:
	s_andn2_saveexec_b64 s[0:1], s[0:1]
	s_cbranch_execz .LBB82_95
; %bb.94:
	v_mov_b32_e32 v98, v72
	v_mov_b32_e32 v99, v73
	v_mov_b32_e32 v100, v70
	v_mov_b32_e32 v101, v71
	ds_write2_b64 v92, v[98:99], v[100:101] offset0:6 offset1:7
	v_mov_b32_e32 v98, v68
	v_mov_b32_e32 v99, v69
	v_mov_b32_e32 v100, v66
	v_mov_b32_e32 v101, v67
	ds_write2_b64 v92, v[98:99], v[100:101] offset0:8 offset1:9
	;; [unrolled: 5-line block ×17, first 2 shown]
	v_mov_b32_e32 v98, v0
	v_mov_b32_e32 v99, v1
	;; [unrolled: 1-line block ×3, first 2 shown]
	ds_write2_b64 v92, v[98:99], v[86:87] offset0:40 offset1:41
.LBB82_95:
	s_or_b64 exec, exec, s[0:1]
	v_cmp_lt_i32_e32 vcc, 5, v93
	s_waitcnt lgkmcnt(0)
	s_barrier
	s_and_saveexec_b64 s[0:1], vcc
	s_cbranch_execz .LBB82_97
; %bb.96:
	ds_read2_b64 v[98:101], v92 offset0:6 offset1:7
	ds_read2_b64 v[102:105], v92 offset0:8 offset1:9
	;; [unrolled: 1-line block ×3, first 2 shown]
	v_mul_f64 v[74:75], v[88:89], v[74:75]
	s_waitcnt lgkmcnt(0)
	v_fma_f64 v[72:73], -v[74:75], v[98:99], v[72:73]
	v_fma_f64 v[70:71], -v[74:75], v[100:101], v[70:71]
	ds_read2_b64 v[98:101], v92 offset0:12 offset1:13
	v_fma_f64 v[68:69], -v[74:75], v[102:103], v[68:69]
	v_fma_f64 v[66:67], -v[74:75], v[104:105], v[66:67]
	;; [unrolled: 1-line block ×3, first 2 shown]
	ds_read2_b64 v[102:105], v92 offset0:14 offset1:15
	v_fma_f64 v[62:63], -v[74:75], v[108:109], v[62:63]
	ds_read2_b64 v[106:109], v92 offset0:16 offset1:17
	s_waitcnt lgkmcnt(0)
	v_fma_f64 v[60:61], -v[74:75], v[98:99], v[60:61]
	v_fma_f64 v[58:59], -v[74:75], v[100:101], v[58:59]
	;; [unrolled: 1-line block ×3, first 2 shown]
	ds_read2_b64 v[98:101], v92 offset0:18 offset1:19
	v_fma_f64 v[56:57], -v[74:75], v[104:105], v[56:57]
	ds_read2_b64 v[102:105], v92 offset0:20 offset1:21
	v_fma_f64 v[52:53], -v[74:75], v[106:107], v[52:53]
	v_fma_f64 v[50:51], -v[74:75], v[108:109], v[50:51]
	ds_read2_b64 v[106:109], v92 offset0:22 offset1:23
	s_waitcnt lgkmcnt(0)
	v_fma_f64 v[48:49], -v[74:75], v[98:99], v[48:49]
	v_fma_f64 v[46:47], -v[74:75], v[100:101], v[46:47]
	ds_read2_b64 v[98:101], v92 offset0:24 offset1:25
	v_fma_f64 v[44:45], -v[74:75], v[102:103], v[44:45]
	v_fma_f64 v[42:43], -v[74:75], v[104:105], v[42:43]
	;; [unrolled: 1-line block ×3, first 2 shown]
	ds_read2_b64 v[102:105], v92 offset0:26 offset1:27
	v_fma_f64 v[38:39], -v[74:75], v[108:109], v[38:39]
	ds_read2_b64 v[106:109], v92 offset0:28 offset1:29
	s_waitcnt lgkmcnt(0)
	v_fma_f64 v[36:37], -v[74:75], v[98:99], v[36:37]
	v_fma_f64 v[34:35], -v[74:75], v[100:101], v[34:35]
	;; [unrolled: 1-line block ×3, first 2 shown]
	ds_read2_b64 v[98:101], v92 offset0:30 offset1:31
	v_fma_f64 v[30:31], -v[74:75], v[104:105], v[30:31]
	ds_read2_b64 v[102:105], v92 offset0:32 offset1:33
	v_fma_f64 v[28:29], -v[74:75], v[106:107], v[28:29]
	v_fma_f64 v[24:25], -v[74:75], v[108:109], v[24:25]
	ds_read2_b64 v[106:109], v92 offset0:34 offset1:35
	s_waitcnt lgkmcnt(0)
	v_fma_f64 v[26:27], -v[74:75], v[98:99], v[26:27]
	v_fma_f64 v[22:23], -v[74:75], v[100:101], v[22:23]
	ds_read2_b64 v[98:101], v92 offset0:36 offset1:37
	v_fma_f64 v[20:21], -v[74:75], v[102:103], v[20:21]
	v_fma_f64 v[18:19], -v[74:75], v[104:105], v[18:19]
	;; [unrolled: 1-line block ×3, first 2 shown]
	ds_read2_b64 v[102:105], v92 offset0:38 offset1:39
	v_fma_f64 v[14:15], -v[74:75], v[108:109], v[14:15]
	ds_read2_b64 v[106:109], v92 offset0:40 offset1:41
	s_waitcnt lgkmcnt(0)
	v_fma_f64 v[12:13], -v[74:75], v[98:99], v[12:13]
	v_fma_f64 v[10:11], -v[74:75], v[100:101], v[10:11]
	;; [unrolled: 1-line block ×6, first 2 shown]
.LBB82_97:
	s_or_b64 exec, exec, s[0:1]
	v_lshl_add_u32 v88, v93, 3, v92
	s_barrier
	ds_write_b64 v88, v[72:73]
	s_waitcnt lgkmcnt(0)
	s_barrier
	ds_read_b64 v[88:89], v92 offset:48
	s_cmp_lt_i32 s18, 8
	v_mov_b32_e32 v90, 6
	s_cbranch_scc1 .LBB82_100
; %bb.98:
	v_add3_u32 v98, v97, 0, 56
	s_mov_b32 s0, 7
	v_mov_b32_e32 v90, 6
.LBB82_99:                              ; =>This Inner Loop Header: Depth=1
	ds_read_b64 v[100:101], v98
	v_mov_b32_e32 v99, s0
	s_add_i32 s0, s0, 1
	v_add_u32_e32 v98, 8, v98
	s_cmp_lg_u32 s18, s0
	s_waitcnt lgkmcnt(0)
	v_cmp_lt_f64_e64 vcc, |v[88:89]|, |v[100:101]|
	v_cndmask_b32_e32 v89, v89, v101, vcc
	v_cndmask_b32_e32 v88, v88, v100, vcc
	;; [unrolled: 1-line block ×3, first 2 shown]
	s_cbranch_scc1 .LBB82_99
.LBB82_100:
	s_waitcnt lgkmcnt(0)
	v_cmp_eq_f64_e32 vcc, 0, v[88:89]
	s_and_saveexec_b64 s[0:1], vcc
	s_xor_b64 s[0:1], exec, s[0:1]
; %bb.101:
	v_cmp_ne_u32_e32 vcc, 0, v96
	v_cndmask_b32_e32 v96, 7, v96, vcc
; %bb.102:
	s_andn2_saveexec_b64 s[0:1], s[0:1]
; %bb.103:
	v_div_scale_f64 v[98:99], s[2:3], v[88:89], v[88:89], 1.0
	v_rcp_f64_e32 v[100:101], v[98:99]
	v_div_scale_f64 v[102:103], vcc, 1.0, v[88:89], 1.0
	v_fma_f64 v[104:105], -v[98:99], v[100:101], 1.0
	v_fmac_f64_e32 v[100:101], v[100:101], v[104:105]
	v_fma_f64 v[104:105], -v[98:99], v[100:101], 1.0
	v_fmac_f64_e32 v[100:101], v[100:101], v[104:105]
	v_mul_f64 v[104:105], v[102:103], v[100:101]
	v_fma_f64 v[98:99], -v[98:99], v[104:105], v[102:103]
	v_div_fmas_f64 v[98:99], v[98:99], v[100:101], v[104:105]
	v_div_fixup_f64 v[88:89], v[98:99], v[88:89], 1.0
; %bb.104:
	s_or_b64 exec, exec, s[0:1]
	v_cmp_ne_u32_e32 vcc, v93, v90
	s_and_saveexec_b64 s[0:1], vcc
	s_xor_b64 s[0:1], exec, s[0:1]
	s_cbranch_execz .LBB82_110
; %bb.105:
	v_cmp_eq_u32_e32 vcc, 6, v93
	s_and_saveexec_b64 s[2:3], vcc
	s_cbranch_execz .LBB82_109
; %bb.106:
	v_cmp_ne_u32_e32 vcc, 6, v90
	s_xor_b64 s[14:15], s[6:7], -1
	s_and_b64 s[16:17], s[14:15], vcc
	s_and_saveexec_b64 s[14:15], s[16:17]
	s_cbranch_execz .LBB82_108
; %bb.107:
	v_ashrrev_i32_e32 v91, 31, v90
	v_lshlrev_b64 v[98:99], 2, v[90:91]
	v_add_co_u32_e32 v98, vcc, v4, v98
	v_addc_co_u32_e32 v99, vcc, v5, v99, vcc
	flat_load_dword v91, v[98:99]
	flat_load_dword v93, v[4:5] offset:24
	s_waitcnt vmcnt(0) lgkmcnt(0)
	flat_store_dword v[4:5], v91 offset:24
	flat_store_dword v[98:99], v93
.LBB82_108:
	s_or_b64 exec, exec, s[14:15]
	v_mov_b32_e32 v91, v90
	v_mov_b32_e32 v93, v90
.LBB82_109:
	s_or_b64 exec, exec, s[2:3]
.LBB82_110:
	s_andn2_saveexec_b64 s[0:1], s[0:1]
	s_cbranch_execz .LBB82_112
; %bb.111:
	v_mov_b32_e32 v93, 6
	ds_write2_b64 v92, v[70:71], v[68:69] offset0:7 offset1:8
	ds_write2_b64 v92, v[66:67], v[64:65] offset0:9 offset1:10
	;; [unrolled: 1-line block ×17, first 2 shown]
	ds_write_b64 v92, v[86:87] offset:328
.LBB82_112:
	s_or_b64 exec, exec, s[0:1]
	v_cmp_lt_i32_e32 vcc, 6, v93
	s_waitcnt lgkmcnt(0)
	s_barrier
	s_and_saveexec_b64 s[0:1], vcc
	s_cbranch_execz .LBB82_114
; %bb.113:
	ds_read2_b64 v[98:101], v92 offset0:7 offset1:8
	ds_read2_b64 v[102:105], v92 offset0:9 offset1:10
	v_mul_f64 v[72:73], v[88:89], v[72:73]
	ds_read2_b64 v[106:109], v92 offset0:11 offset1:12
	ds_read_b64 v[88:89], v92 offset:328
	s_waitcnt lgkmcnt(0)
	v_fma_f64 v[70:71], -v[72:73], v[98:99], v[70:71]
	v_fma_f64 v[68:69], -v[72:73], v[100:101], v[68:69]
	ds_read2_b64 v[98:101], v92 offset0:13 offset1:14
	v_fma_f64 v[66:67], -v[72:73], v[102:103], v[66:67]
	v_fma_f64 v[64:65], -v[72:73], v[104:105], v[64:65]
	ds_read2_b64 v[102:105], v92 offset0:15 offset1:16
	;; [unrolled: 3-line block ×3, first 2 shown]
	s_waitcnt lgkmcnt(0)
	v_fma_f64 v[58:59], -v[72:73], v[98:99], v[58:59]
	v_fma_f64 v[54:55], -v[72:73], v[100:101], v[54:55]
	;; [unrolled: 1-line block ×3, first 2 shown]
	ds_read2_b64 v[98:101], v92 offset0:19 offset1:20
	v_fma_f64 v[52:53], -v[72:73], v[104:105], v[52:53]
	ds_read2_b64 v[102:105], v92 offset0:21 offset1:22
	v_fma_f64 v[50:51], -v[72:73], v[106:107], v[50:51]
	v_fma_f64 v[48:49], -v[72:73], v[108:109], v[48:49]
	s_waitcnt lgkmcnt(0)
	v_fma_f64 v[46:47], -v[72:73], v[98:99], v[46:47]
	ds_read2_b64 v[106:109], v92 offset0:23 offset1:24
	v_fma_f64 v[44:45], -v[72:73], v[100:101], v[44:45]
	ds_read2_b64 v[98:101], v92 offset0:25 offset1:26
	v_fma_f64 v[42:43], -v[72:73], v[102:103], v[42:43]
	v_fma_f64 v[40:41], -v[72:73], v[104:105], v[40:41]
	ds_read2_b64 v[102:105], v92 offset0:27 offset1:28
	s_waitcnt lgkmcnt(0)
	v_fma_f64 v[38:39], -v[72:73], v[106:107], v[38:39]
	v_fma_f64 v[36:37], -v[72:73], v[108:109], v[36:37]
	ds_read2_b64 v[106:109], v92 offset0:29 offset1:30
	v_fma_f64 v[34:35], -v[72:73], v[98:99], v[34:35]
	v_fma_f64 v[32:33], -v[72:73], v[100:101], v[32:33]
	;; [unrolled: 1-line block ×3, first 2 shown]
	ds_read2_b64 v[98:101], v92 offset0:31 offset1:32
	v_fma_f64 v[28:29], -v[72:73], v[104:105], v[28:29]
	ds_read2_b64 v[102:105], v92 offset0:33 offset1:34
	s_waitcnt lgkmcnt(0)
	v_fma_f64 v[24:25], -v[72:73], v[106:107], v[24:25]
	v_fma_f64 v[26:27], -v[72:73], v[108:109], v[26:27]
	;; [unrolled: 1-line block ×3, first 2 shown]
	ds_read2_b64 v[106:109], v92 offset0:35 offset1:36
	v_fma_f64 v[20:21], -v[72:73], v[100:101], v[20:21]
	ds_read2_b64 v[98:101], v92 offset0:37 offset1:38
	v_fma_f64 v[18:19], -v[72:73], v[102:103], v[18:19]
	v_fma_f64 v[16:17], -v[72:73], v[104:105], v[16:17]
	ds_read2_b64 v[102:105], v92 offset0:39 offset1:40
	s_waitcnt lgkmcnt(0)
	v_fma_f64 v[14:15], -v[72:73], v[106:107], v[14:15]
	v_fma_f64 v[12:13], -v[72:73], v[108:109], v[12:13]
	;; [unrolled: 1-line block ×7, first 2 shown]
.LBB82_114:
	s_or_b64 exec, exec, s[0:1]
	v_lshl_add_u32 v88, v93, 3, v92
	s_barrier
	ds_write_b64 v88, v[70:71]
	s_waitcnt lgkmcnt(0)
	s_barrier
	ds_read_b64 v[88:89], v92 offset:56
	s_cmp_lt_i32 s18, 9
	v_mov_b32_e32 v90, 7
	s_cbranch_scc1 .LBB82_117
; %bb.115:
	v_add3_u32 v97, v97, 0, 64
	s_mov_b32 s0, 8
	v_mov_b32_e32 v90, 7
.LBB82_116:                             ; =>This Inner Loop Header: Depth=1
	ds_read_b64 v[98:99], v97
	v_mov_b32_e32 v100, s0
	s_add_i32 s0, s0, 1
	v_add_u32_e32 v97, 8, v97
	s_cmp_lg_u32 s18, s0
	s_waitcnt lgkmcnt(0)
	v_cmp_lt_f64_e64 vcc, |v[88:89]|, |v[98:99]|
	v_cndmask_b32_e32 v89, v89, v99, vcc
	v_cndmask_b32_e32 v88, v88, v98, vcc
	;; [unrolled: 1-line block ×3, first 2 shown]
	s_cbranch_scc1 .LBB82_116
.LBB82_117:
	s_waitcnt lgkmcnt(0)
	v_cmp_eq_f64_e32 vcc, 0, v[88:89]
	s_and_saveexec_b64 s[0:1], vcc
	s_xor_b64 s[0:1], exec, s[0:1]
; %bb.118:
	v_cmp_ne_u32_e32 vcc, 0, v96
	v_cndmask_b32_e32 v96, 8, v96, vcc
; %bb.119:
	s_andn2_saveexec_b64 s[0:1], s[0:1]
; %bb.120:
	v_div_scale_f64 v[98:99], s[2:3], v[88:89], v[88:89], 1.0
	v_rcp_f64_e32 v[100:101], v[98:99]
	v_div_scale_f64 v[102:103], vcc, 1.0, v[88:89], 1.0
	v_fma_f64 v[104:105], -v[98:99], v[100:101], 1.0
	v_fmac_f64_e32 v[100:101], v[100:101], v[104:105]
	v_fma_f64 v[104:105], -v[98:99], v[100:101], 1.0
	v_fmac_f64_e32 v[100:101], v[100:101], v[104:105]
	v_mul_f64 v[104:105], v[102:103], v[100:101]
	v_fma_f64 v[98:99], -v[98:99], v[104:105], v[102:103]
	v_div_fmas_f64 v[98:99], v[98:99], v[100:101], v[104:105]
	v_div_fixup_f64 v[88:89], v[98:99], v[88:89], 1.0
; %bb.121:
	s_or_b64 exec, exec, s[0:1]
	v_cmp_ne_u32_e32 vcc, v93, v90
	s_and_saveexec_b64 s[0:1], vcc
	s_xor_b64 s[0:1], exec, s[0:1]
	s_cbranch_execz .LBB82_127
; %bb.122:
	v_cmp_eq_u32_e32 vcc, 7, v93
	s_and_saveexec_b64 s[2:3], vcc
	s_cbranch_execz .LBB82_126
; %bb.123:
	v_cmp_ne_u32_e32 vcc, 7, v90
	s_xor_b64 s[14:15], s[6:7], -1
	s_and_b64 s[16:17], s[14:15], vcc
	s_and_saveexec_b64 s[14:15], s[16:17]
	s_cbranch_execz .LBB82_125
; %bb.124:
	v_ashrrev_i32_e32 v91, 31, v90
	v_lshlrev_b64 v[98:99], 2, v[90:91]
	v_add_co_u32_e32 v98, vcc, v4, v98
	v_addc_co_u32_e32 v99, vcc, v5, v99, vcc
	flat_load_dword v91, v[98:99]
	flat_load_dword v93, v[4:5] offset:28
	s_waitcnt vmcnt(0) lgkmcnt(0)
	flat_store_dword v[4:5], v91 offset:28
	flat_store_dword v[98:99], v93
.LBB82_125:
	s_or_b64 exec, exec, s[14:15]
	v_mov_b32_e32 v91, v90
	v_mov_b32_e32 v93, v90
.LBB82_126:
	s_or_b64 exec, exec, s[2:3]
.LBB82_127:
	s_andn2_saveexec_b64 s[0:1], s[0:1]
	s_cbranch_execz .LBB82_129
; %bb.128:
	v_mov_b32_e32 v98, v68
	v_mov_b32_e32 v99, v69
	v_mov_b32_e32 v100, v66
	v_mov_b32_e32 v101, v67
	ds_write2_b64 v92, v[98:99], v[100:101] offset0:8 offset1:9
	v_mov_b32_e32 v98, v64
	v_mov_b32_e32 v99, v65
	v_mov_b32_e32 v100, v62
	v_mov_b32_e32 v101, v63
	ds_write2_b64 v92, v[98:99], v[100:101] offset0:10 offset1:11
	;; [unrolled: 5-line block ×16, first 2 shown]
	v_mov_b32_e32 v98, v0
	v_mov_b32_e32 v99, v1
	;; [unrolled: 1-line block ×3, first 2 shown]
	ds_write2_b64 v92, v[98:99], v[86:87] offset0:40 offset1:41
.LBB82_129:
	s_or_b64 exec, exec, s[0:1]
	v_cmp_lt_i32_e32 vcc, 7, v93
	s_waitcnt lgkmcnt(0)
	s_barrier
	s_and_saveexec_b64 s[0:1], vcc
	s_cbranch_execz .LBB82_131
; %bb.130:
	ds_read2_b64 v[98:101], v92 offset0:8 offset1:9
	ds_read2_b64 v[102:105], v92 offset0:10 offset1:11
	v_mul_f64 v[70:71], v[88:89], v[70:71]
	ds_read2_b64 v[106:109], v92 offset0:12 offset1:13
	s_waitcnt lgkmcnt(0)
	v_fma_f64 v[68:69], -v[70:71], v[98:99], v[68:69]
	v_fma_f64 v[66:67], -v[70:71], v[100:101], v[66:67]
	ds_read2_b64 v[98:101], v92 offset0:14 offset1:15
	v_fma_f64 v[64:65], -v[70:71], v[102:103], v[64:65]
	v_fma_f64 v[62:63], -v[70:71], v[104:105], v[62:63]
	ds_read2_b64 v[102:105], v92 offset0:16 offset1:17
	;; [unrolled: 3-line block ×3, first 2 shown]
	s_waitcnt lgkmcnt(0)
	v_fma_f64 v[54:55], -v[70:71], v[98:99], v[54:55]
	v_fma_f64 v[56:57], -v[70:71], v[100:101], v[56:57]
	;; [unrolled: 1-line block ×3, first 2 shown]
	ds_read2_b64 v[98:101], v92 offset0:20 offset1:21
	v_fma_f64 v[50:51], -v[70:71], v[104:105], v[50:51]
	ds_read2_b64 v[102:105], v92 offset0:22 offset1:23
	v_fma_f64 v[48:49], -v[70:71], v[106:107], v[48:49]
	v_fma_f64 v[46:47], -v[70:71], v[108:109], v[46:47]
	s_waitcnt lgkmcnt(0)
	v_fma_f64 v[44:45], -v[70:71], v[98:99], v[44:45]
	ds_read2_b64 v[106:109], v92 offset0:24 offset1:25
	v_fma_f64 v[42:43], -v[70:71], v[100:101], v[42:43]
	ds_read2_b64 v[98:101], v92 offset0:26 offset1:27
	v_fma_f64 v[40:41], -v[70:71], v[102:103], v[40:41]
	v_fma_f64 v[38:39], -v[70:71], v[104:105], v[38:39]
	ds_read2_b64 v[102:105], v92 offset0:28 offset1:29
	s_waitcnt lgkmcnt(0)
	v_fma_f64 v[36:37], -v[70:71], v[106:107], v[36:37]
	v_fma_f64 v[34:35], -v[70:71], v[108:109], v[34:35]
	ds_read2_b64 v[106:109], v92 offset0:30 offset1:31
	v_fma_f64 v[32:33], -v[70:71], v[98:99], v[32:33]
	v_fma_f64 v[30:31], -v[70:71], v[100:101], v[30:31]
	;; [unrolled: 1-line block ×3, first 2 shown]
	ds_read2_b64 v[98:101], v92 offset0:32 offset1:33
	v_fma_f64 v[24:25], -v[70:71], v[104:105], v[24:25]
	ds_read2_b64 v[102:105], v92 offset0:34 offset1:35
	s_waitcnt lgkmcnt(0)
	v_fma_f64 v[26:27], -v[70:71], v[106:107], v[26:27]
	v_fma_f64 v[22:23], -v[70:71], v[108:109], v[22:23]
	;; [unrolled: 1-line block ×4, first 2 shown]
	ds_read2_b64 v[98:101], v92 offset0:36 offset1:37
	ds_read2_b64 v[106:109], v92 offset0:38 offset1:39
	v_fma_f64 v[16:17], -v[70:71], v[102:103], v[16:17]
	v_fma_f64 v[14:15], -v[70:71], v[104:105], v[14:15]
	ds_read2_b64 v[102:105], v92 offset0:40 offset1:41
	s_waitcnt lgkmcnt(0)
	v_fma_f64 v[12:13], -v[70:71], v[98:99], v[12:13]
	v_fma_f64 v[10:11], -v[70:71], v[100:101], v[10:11]
	;; [unrolled: 1-line block ×6, first 2 shown]
.LBB82_131:
	s_or_b64 exec, exec, s[0:1]
	v_lshl_add_u32 v88, v93, 3, v92
	s_barrier
	ds_write_b64 v88, v[68:69]
	s_waitcnt lgkmcnt(0)
	s_barrier
	ds_read_b64 v[88:89], v92 offset:64
	s_cmp_lt_i32 s18, 10
	v_mov_b32_e32 v90, 8
	s_cbranch_scc1 .LBB82_134
; %bb.132:
	v_add_u32_e32 v97, 0x48, v92
	s_mov_b32 s0, 9
	v_mov_b32_e32 v90, 8
.LBB82_133:                             ; =>This Inner Loop Header: Depth=1
	ds_read_b64 v[98:99], v97
	v_mov_b32_e32 v100, s0
	s_add_i32 s0, s0, 1
	v_add_u32_e32 v97, 8, v97
	s_cmp_lg_u32 s18, s0
	s_waitcnt lgkmcnt(0)
	v_cmp_lt_f64_e64 vcc, |v[88:89]|, |v[98:99]|
	v_cndmask_b32_e32 v89, v89, v99, vcc
	v_cndmask_b32_e32 v88, v88, v98, vcc
	;; [unrolled: 1-line block ×3, first 2 shown]
	s_cbranch_scc1 .LBB82_133
.LBB82_134:
	s_waitcnt lgkmcnt(0)
	v_cmp_eq_f64_e32 vcc, 0, v[88:89]
	s_and_saveexec_b64 s[0:1], vcc
	s_xor_b64 s[0:1], exec, s[0:1]
; %bb.135:
	v_cmp_ne_u32_e32 vcc, 0, v96
	v_cndmask_b32_e32 v96, 9, v96, vcc
; %bb.136:
	s_andn2_saveexec_b64 s[0:1], s[0:1]
; %bb.137:
	v_div_scale_f64 v[98:99], s[2:3], v[88:89], v[88:89], 1.0
	v_rcp_f64_e32 v[100:101], v[98:99]
	v_div_scale_f64 v[102:103], vcc, 1.0, v[88:89], 1.0
	v_fma_f64 v[104:105], -v[98:99], v[100:101], 1.0
	v_fmac_f64_e32 v[100:101], v[100:101], v[104:105]
	v_fma_f64 v[104:105], -v[98:99], v[100:101], 1.0
	v_fmac_f64_e32 v[100:101], v[100:101], v[104:105]
	v_mul_f64 v[104:105], v[102:103], v[100:101]
	v_fma_f64 v[98:99], -v[98:99], v[104:105], v[102:103]
	v_div_fmas_f64 v[98:99], v[98:99], v[100:101], v[104:105]
	v_div_fixup_f64 v[88:89], v[98:99], v[88:89], 1.0
; %bb.138:
	s_or_b64 exec, exec, s[0:1]
	v_cmp_ne_u32_e32 vcc, v93, v90
	s_and_saveexec_b64 s[0:1], vcc
	s_xor_b64 s[0:1], exec, s[0:1]
	s_cbranch_execz .LBB82_144
; %bb.139:
	v_cmp_eq_u32_e32 vcc, 8, v93
	s_and_saveexec_b64 s[2:3], vcc
	s_cbranch_execz .LBB82_143
; %bb.140:
	v_cmp_ne_u32_e32 vcc, 8, v90
	s_xor_b64 s[14:15], s[6:7], -1
	s_and_b64 s[16:17], s[14:15], vcc
	s_and_saveexec_b64 s[14:15], s[16:17]
	s_cbranch_execz .LBB82_142
; %bb.141:
	v_ashrrev_i32_e32 v91, 31, v90
	v_lshlrev_b64 v[98:99], 2, v[90:91]
	v_add_co_u32_e32 v98, vcc, v4, v98
	v_addc_co_u32_e32 v99, vcc, v5, v99, vcc
	flat_load_dword v91, v[98:99]
	flat_load_dword v93, v[4:5] offset:32
	s_waitcnt vmcnt(0) lgkmcnt(0)
	flat_store_dword v[4:5], v91 offset:32
	flat_store_dword v[98:99], v93
.LBB82_142:
	s_or_b64 exec, exec, s[14:15]
	v_mov_b32_e32 v91, v90
	v_mov_b32_e32 v93, v90
.LBB82_143:
	s_or_b64 exec, exec, s[2:3]
.LBB82_144:
	s_andn2_saveexec_b64 s[0:1], s[0:1]
	s_cbranch_execz .LBB82_146
; %bb.145:
	v_mov_b32_e32 v93, 8
	ds_write2_b64 v92, v[66:67], v[64:65] offset0:9 offset1:10
	ds_write2_b64 v92, v[62:63], v[60:61] offset0:11 offset1:12
	;; [unrolled: 1-line block ×16, first 2 shown]
	ds_write_b64 v92, v[86:87] offset:328
.LBB82_146:
	s_or_b64 exec, exec, s[0:1]
	v_cmp_lt_i32_e32 vcc, 8, v93
	s_waitcnt lgkmcnt(0)
	s_barrier
	s_and_saveexec_b64 s[0:1], vcc
	s_cbranch_execz .LBB82_148
; %bb.147:
	ds_read2_b64 v[98:101], v92 offset0:9 offset1:10
	ds_read2_b64 v[102:105], v92 offset0:11 offset1:12
	v_mul_f64 v[68:69], v[88:89], v[68:69]
	ds_read2_b64 v[106:109], v92 offset0:13 offset1:14
	ds_read_b64 v[88:89], v92 offset:328
	s_waitcnt lgkmcnt(0)
	v_fma_f64 v[66:67], -v[68:69], v[98:99], v[66:67]
	v_fma_f64 v[64:65], -v[68:69], v[100:101], v[64:65]
	ds_read2_b64 v[98:101], v92 offset0:15 offset1:16
	v_fma_f64 v[62:63], -v[68:69], v[102:103], v[62:63]
	v_fma_f64 v[60:61], -v[68:69], v[104:105], v[60:61]
	;; [unrolled: 1-line block ×3, first 2 shown]
	ds_read2_b64 v[102:105], v92 offset0:17 offset1:18
	v_fma_f64 v[54:55], -v[68:69], v[108:109], v[54:55]
	ds_read2_b64 v[106:109], v92 offset0:19 offset1:20
	s_waitcnt lgkmcnt(0)
	v_fma_f64 v[56:57], -v[68:69], v[98:99], v[56:57]
	v_fma_f64 v[52:53], -v[68:69], v[100:101], v[52:53]
	ds_read2_b64 v[98:101], v92 offset0:21 offset1:22
	v_fma_f64 v[50:51], -v[68:69], v[102:103], v[50:51]
	v_fma_f64 v[48:49], -v[68:69], v[104:105], v[48:49]
	ds_read2_b64 v[102:105], v92 offset0:23 offset1:24
	v_fma_f64 v[46:47], -v[68:69], v[106:107], v[46:47]
	v_fma_f64 v[44:45], -v[68:69], v[108:109], v[44:45]
	s_waitcnt lgkmcnt(0)
	v_fma_f64 v[42:43], -v[68:69], v[98:99], v[42:43]
	ds_read2_b64 v[106:109], v92 offset0:25 offset1:26
	v_fma_f64 v[40:41], -v[68:69], v[100:101], v[40:41]
	ds_read2_b64 v[98:101], v92 offset0:27 offset1:28
	v_fma_f64 v[38:39], -v[68:69], v[102:103], v[38:39]
	v_fma_f64 v[36:37], -v[68:69], v[104:105], v[36:37]
	s_waitcnt lgkmcnt(0)
	v_fma_f64 v[34:35], -v[68:69], v[106:107], v[34:35]
	ds_read2_b64 v[102:105], v92 offset0:29 offset1:30
	v_fma_f64 v[32:33], -v[68:69], v[108:109], v[32:33]
	ds_read2_b64 v[106:109], v92 offset0:31 offset1:32
	v_fma_f64 v[30:31], -v[68:69], v[98:99], v[30:31]
	v_fma_f64 v[28:29], -v[68:69], v[100:101], v[28:29]
	ds_read2_b64 v[98:101], v92 offset0:33 offset1:34
	s_waitcnt lgkmcnt(0)
	v_fma_f64 v[24:25], -v[68:69], v[102:103], v[24:25]
	v_fma_f64 v[26:27], -v[68:69], v[104:105], v[26:27]
	ds_read2_b64 v[102:105], v92 offset0:35 offset1:36
	v_fma_f64 v[22:23], -v[68:69], v[106:107], v[22:23]
	v_fma_f64 v[20:21], -v[68:69], v[108:109], v[20:21]
	;; [unrolled: 1-line block ×4, first 2 shown]
	ds_read2_b64 v[98:101], v92 offset0:37 offset1:38
	ds_read2_b64 v[106:109], v92 offset0:39 offset1:40
	s_waitcnt lgkmcnt(0)
	v_fma_f64 v[14:15], -v[68:69], v[102:103], v[14:15]
	v_fma_f64 v[12:13], -v[68:69], v[104:105], v[12:13]
	;; [unrolled: 1-line block ×7, first 2 shown]
.LBB82_148:
	s_or_b64 exec, exec, s[0:1]
	v_lshl_add_u32 v88, v93, 3, v92
	s_barrier
	ds_write_b64 v88, v[66:67]
	s_waitcnt lgkmcnt(0)
	s_barrier
	ds_read_b64 v[88:89], v92 offset:72
	s_cmp_lt_i32 s18, 11
	v_mov_b32_e32 v90, 9
	s_cbranch_scc1 .LBB82_151
; %bb.149:
	v_add_u32_e32 v97, 0x50, v92
	s_mov_b32 s0, 10
	v_mov_b32_e32 v90, 9
.LBB82_150:                             ; =>This Inner Loop Header: Depth=1
	ds_read_b64 v[98:99], v97
	v_mov_b32_e32 v100, s0
	s_add_i32 s0, s0, 1
	v_add_u32_e32 v97, 8, v97
	s_cmp_lg_u32 s18, s0
	s_waitcnt lgkmcnt(0)
	v_cmp_lt_f64_e64 vcc, |v[88:89]|, |v[98:99]|
	v_cndmask_b32_e32 v89, v89, v99, vcc
	v_cndmask_b32_e32 v88, v88, v98, vcc
	;; [unrolled: 1-line block ×3, first 2 shown]
	s_cbranch_scc1 .LBB82_150
.LBB82_151:
	s_waitcnt lgkmcnt(0)
	v_cmp_eq_f64_e32 vcc, 0, v[88:89]
	s_and_saveexec_b64 s[0:1], vcc
	s_xor_b64 s[0:1], exec, s[0:1]
; %bb.152:
	v_cmp_ne_u32_e32 vcc, 0, v96
	v_cndmask_b32_e32 v96, 10, v96, vcc
; %bb.153:
	s_andn2_saveexec_b64 s[0:1], s[0:1]
; %bb.154:
	v_div_scale_f64 v[98:99], s[2:3], v[88:89], v[88:89], 1.0
	v_rcp_f64_e32 v[100:101], v[98:99]
	v_div_scale_f64 v[102:103], vcc, 1.0, v[88:89], 1.0
	v_fma_f64 v[104:105], -v[98:99], v[100:101], 1.0
	v_fmac_f64_e32 v[100:101], v[100:101], v[104:105]
	v_fma_f64 v[104:105], -v[98:99], v[100:101], 1.0
	v_fmac_f64_e32 v[100:101], v[100:101], v[104:105]
	v_mul_f64 v[104:105], v[102:103], v[100:101]
	v_fma_f64 v[98:99], -v[98:99], v[104:105], v[102:103]
	v_div_fmas_f64 v[98:99], v[98:99], v[100:101], v[104:105]
	v_div_fixup_f64 v[88:89], v[98:99], v[88:89], 1.0
; %bb.155:
	s_or_b64 exec, exec, s[0:1]
	v_cmp_ne_u32_e32 vcc, v93, v90
	s_and_saveexec_b64 s[0:1], vcc
	s_xor_b64 s[0:1], exec, s[0:1]
	s_cbranch_execz .LBB82_161
; %bb.156:
	v_cmp_eq_u32_e32 vcc, 9, v93
	s_and_saveexec_b64 s[2:3], vcc
	s_cbranch_execz .LBB82_160
; %bb.157:
	v_cmp_ne_u32_e32 vcc, 9, v90
	s_xor_b64 s[14:15], s[6:7], -1
	s_and_b64 s[16:17], s[14:15], vcc
	s_and_saveexec_b64 s[14:15], s[16:17]
	s_cbranch_execz .LBB82_159
; %bb.158:
	v_ashrrev_i32_e32 v91, 31, v90
	v_lshlrev_b64 v[98:99], 2, v[90:91]
	v_add_co_u32_e32 v98, vcc, v4, v98
	v_addc_co_u32_e32 v99, vcc, v5, v99, vcc
	flat_load_dword v91, v[98:99]
	flat_load_dword v93, v[4:5] offset:36
	s_waitcnt vmcnt(0) lgkmcnt(0)
	flat_store_dword v[4:5], v91 offset:36
	flat_store_dword v[98:99], v93
.LBB82_159:
	s_or_b64 exec, exec, s[14:15]
	v_mov_b32_e32 v91, v90
	v_mov_b32_e32 v93, v90
.LBB82_160:
	s_or_b64 exec, exec, s[2:3]
.LBB82_161:
	s_andn2_saveexec_b64 s[0:1], s[0:1]
	s_cbranch_execz .LBB82_163
; %bb.162:
	v_mov_b32_e32 v98, v64
	v_mov_b32_e32 v99, v65
	v_mov_b32_e32 v100, v62
	v_mov_b32_e32 v101, v63
	ds_write2_b64 v92, v[98:99], v[100:101] offset0:10 offset1:11
	v_mov_b32_e32 v98, v60
	v_mov_b32_e32 v99, v61
	v_mov_b32_e32 v100, v58
	v_mov_b32_e32 v101, v59
	ds_write2_b64 v92, v[98:99], v[100:101] offset0:12 offset1:13
	;; [unrolled: 5-line block ×15, first 2 shown]
	v_mov_b32_e32 v98, v0
	v_mov_b32_e32 v99, v1
	;; [unrolled: 1-line block ×3, first 2 shown]
	ds_write2_b64 v92, v[98:99], v[86:87] offset0:40 offset1:41
.LBB82_163:
	s_or_b64 exec, exec, s[0:1]
	v_cmp_lt_i32_e32 vcc, 9, v93
	s_waitcnt lgkmcnt(0)
	s_barrier
	s_and_saveexec_b64 s[0:1], vcc
	s_cbranch_execz .LBB82_165
; %bb.164:
	ds_read2_b64 v[98:101], v92 offset0:10 offset1:11
	ds_read2_b64 v[102:105], v92 offset0:12 offset1:13
	v_mul_f64 v[66:67], v[88:89], v[66:67]
	ds_read2_b64 v[106:109], v92 offset0:14 offset1:15
	s_waitcnt lgkmcnt(0)
	v_fma_f64 v[64:65], -v[66:67], v[98:99], v[64:65]
	v_fma_f64 v[62:63], -v[66:67], v[100:101], v[62:63]
	ds_read2_b64 v[98:101], v92 offset0:16 offset1:17
	v_fma_f64 v[60:61], -v[66:67], v[102:103], v[60:61]
	v_fma_f64 v[58:59], -v[66:67], v[104:105], v[58:59]
	v_fma_f64 v[54:55], -v[66:67], v[106:107], v[54:55]
	ds_read2_b64 v[102:105], v92 offset0:18 offset1:19
	v_fma_f64 v[56:57], -v[66:67], v[108:109], v[56:57]
	ds_read2_b64 v[106:109], v92 offset0:20 offset1:21
	s_waitcnt lgkmcnt(0)
	v_fma_f64 v[52:53], -v[66:67], v[98:99], v[52:53]
	v_fma_f64 v[50:51], -v[66:67], v[100:101], v[50:51]
	ds_read2_b64 v[98:101], v92 offset0:22 offset1:23
	v_fma_f64 v[48:49], -v[66:67], v[102:103], v[48:49]
	v_fma_f64 v[46:47], -v[66:67], v[104:105], v[46:47]
	ds_read2_b64 v[102:105], v92 offset0:24 offset1:25
	v_fma_f64 v[44:45], -v[66:67], v[106:107], v[44:45]
	v_fma_f64 v[42:43], -v[66:67], v[108:109], v[42:43]
	s_waitcnt lgkmcnt(0)
	v_fma_f64 v[40:41], -v[66:67], v[98:99], v[40:41]
	ds_read2_b64 v[106:109], v92 offset0:26 offset1:27
	v_fma_f64 v[38:39], -v[66:67], v[100:101], v[38:39]
	ds_read2_b64 v[98:101], v92 offset0:28 offset1:29
	v_fma_f64 v[36:37], -v[66:67], v[102:103], v[36:37]
	v_fma_f64 v[34:35], -v[66:67], v[104:105], v[34:35]
	s_waitcnt lgkmcnt(0)
	v_fma_f64 v[32:33], -v[66:67], v[106:107], v[32:33]
	ds_read2_b64 v[102:105], v92 offset0:30 offset1:31
	v_fma_f64 v[30:31], -v[66:67], v[108:109], v[30:31]
	ds_read2_b64 v[106:109], v92 offset0:32 offset1:33
	v_fma_f64 v[28:29], -v[66:67], v[98:99], v[28:29]
	v_fma_f64 v[24:25], -v[66:67], v[100:101], v[24:25]
	ds_read2_b64 v[98:101], v92 offset0:34 offset1:35
	s_waitcnt lgkmcnt(0)
	v_fma_f64 v[26:27], -v[66:67], v[102:103], v[26:27]
	v_fma_f64 v[22:23], -v[66:67], v[104:105], v[22:23]
	ds_read2_b64 v[102:105], v92 offset0:36 offset1:37
	v_fma_f64 v[20:21], -v[66:67], v[106:107], v[20:21]
	v_fma_f64 v[18:19], -v[66:67], v[108:109], v[18:19]
	;; [unrolled: 1-line block ×3, first 2 shown]
	ds_read2_b64 v[106:109], v92 offset0:38 offset1:39
	v_fma_f64 v[14:15], -v[66:67], v[100:101], v[14:15]
	ds_read2_b64 v[98:101], v92 offset0:40 offset1:41
	s_waitcnt lgkmcnt(0)
	v_fma_f64 v[12:13], -v[66:67], v[102:103], v[12:13]
	v_fma_f64 v[10:11], -v[66:67], v[104:105], v[10:11]
	;; [unrolled: 1-line block ×6, first 2 shown]
.LBB82_165:
	s_or_b64 exec, exec, s[0:1]
	v_lshl_add_u32 v88, v93, 3, v92
	s_barrier
	ds_write_b64 v88, v[64:65]
	s_waitcnt lgkmcnt(0)
	s_barrier
	ds_read_b64 v[88:89], v92 offset:80
	s_cmp_lt_i32 s18, 12
	v_mov_b32_e32 v90, 10
	s_cbranch_scc1 .LBB82_168
; %bb.166:
	v_add_u32_e32 v97, 0x58, v92
	s_mov_b32 s0, 11
	v_mov_b32_e32 v90, 10
.LBB82_167:                             ; =>This Inner Loop Header: Depth=1
	ds_read_b64 v[98:99], v97
	v_mov_b32_e32 v100, s0
	s_add_i32 s0, s0, 1
	v_add_u32_e32 v97, 8, v97
	s_cmp_lg_u32 s18, s0
	s_waitcnt lgkmcnt(0)
	v_cmp_lt_f64_e64 vcc, |v[88:89]|, |v[98:99]|
	v_cndmask_b32_e32 v89, v89, v99, vcc
	v_cndmask_b32_e32 v88, v88, v98, vcc
	;; [unrolled: 1-line block ×3, first 2 shown]
	s_cbranch_scc1 .LBB82_167
.LBB82_168:
	s_waitcnt lgkmcnt(0)
	v_cmp_eq_f64_e32 vcc, 0, v[88:89]
	s_and_saveexec_b64 s[0:1], vcc
	s_xor_b64 s[0:1], exec, s[0:1]
; %bb.169:
	v_cmp_ne_u32_e32 vcc, 0, v96
	v_cndmask_b32_e32 v96, 11, v96, vcc
; %bb.170:
	s_andn2_saveexec_b64 s[0:1], s[0:1]
; %bb.171:
	v_div_scale_f64 v[98:99], s[2:3], v[88:89], v[88:89], 1.0
	v_rcp_f64_e32 v[100:101], v[98:99]
	v_div_scale_f64 v[102:103], vcc, 1.0, v[88:89], 1.0
	v_fma_f64 v[104:105], -v[98:99], v[100:101], 1.0
	v_fmac_f64_e32 v[100:101], v[100:101], v[104:105]
	v_fma_f64 v[104:105], -v[98:99], v[100:101], 1.0
	v_fmac_f64_e32 v[100:101], v[100:101], v[104:105]
	v_mul_f64 v[104:105], v[102:103], v[100:101]
	v_fma_f64 v[98:99], -v[98:99], v[104:105], v[102:103]
	v_div_fmas_f64 v[98:99], v[98:99], v[100:101], v[104:105]
	v_div_fixup_f64 v[88:89], v[98:99], v[88:89], 1.0
; %bb.172:
	s_or_b64 exec, exec, s[0:1]
	v_cmp_ne_u32_e32 vcc, v93, v90
	s_and_saveexec_b64 s[0:1], vcc
	s_xor_b64 s[0:1], exec, s[0:1]
	s_cbranch_execz .LBB82_178
; %bb.173:
	v_cmp_eq_u32_e32 vcc, 10, v93
	s_and_saveexec_b64 s[2:3], vcc
	s_cbranch_execz .LBB82_177
; %bb.174:
	v_cmp_ne_u32_e32 vcc, 10, v90
	s_xor_b64 s[14:15], s[6:7], -1
	s_and_b64 s[16:17], s[14:15], vcc
	s_and_saveexec_b64 s[14:15], s[16:17]
	s_cbranch_execz .LBB82_176
; %bb.175:
	v_ashrrev_i32_e32 v91, 31, v90
	v_lshlrev_b64 v[98:99], 2, v[90:91]
	v_add_co_u32_e32 v98, vcc, v4, v98
	v_addc_co_u32_e32 v99, vcc, v5, v99, vcc
	flat_load_dword v91, v[98:99]
	flat_load_dword v93, v[4:5] offset:40
	s_waitcnt vmcnt(0) lgkmcnt(0)
	flat_store_dword v[4:5], v91 offset:40
	flat_store_dword v[98:99], v93
.LBB82_176:
	s_or_b64 exec, exec, s[14:15]
	v_mov_b32_e32 v91, v90
	v_mov_b32_e32 v93, v90
.LBB82_177:
	s_or_b64 exec, exec, s[2:3]
.LBB82_178:
	s_andn2_saveexec_b64 s[0:1], s[0:1]
	s_cbranch_execz .LBB82_180
; %bb.179:
	v_mov_b32_e32 v93, 10
	ds_write2_b64 v92, v[62:63], v[60:61] offset0:11 offset1:12
	ds_write2_b64 v92, v[58:59], v[54:55] offset0:13 offset1:14
	;; [unrolled: 1-line block ×15, first 2 shown]
	ds_write_b64 v92, v[86:87] offset:328
.LBB82_180:
	s_or_b64 exec, exec, s[0:1]
	v_cmp_lt_i32_e32 vcc, 10, v93
	s_waitcnt lgkmcnt(0)
	s_barrier
	s_and_saveexec_b64 s[0:1], vcc
	s_cbranch_execz .LBB82_182
; %bb.181:
	ds_read2_b64 v[98:101], v92 offset0:11 offset1:12
	ds_read2_b64 v[102:105], v92 offset0:13 offset1:14
	;; [unrolled: 1-line block ×3, first 2 shown]
	v_mul_f64 v[64:65], v[88:89], v[64:65]
	ds_read_b64 v[88:89], v92 offset:328
	s_waitcnt lgkmcnt(0)
	v_fma_f64 v[62:63], -v[64:65], v[98:99], v[62:63]
	v_fma_f64 v[60:61], -v[64:65], v[100:101], v[60:61]
	ds_read2_b64 v[98:101], v92 offset0:17 offset1:18
	v_fma_f64 v[58:59], -v[64:65], v[102:103], v[58:59]
	v_fma_f64 v[54:55], -v[64:65], v[104:105], v[54:55]
	;; [unrolled: 1-line block ×3, first 2 shown]
	ds_read2_b64 v[102:105], v92 offset0:19 offset1:20
	v_fma_f64 v[52:53], -v[64:65], v[108:109], v[52:53]
	ds_read2_b64 v[106:109], v92 offset0:21 offset1:22
	s_waitcnt lgkmcnt(0)
	v_fma_f64 v[50:51], -v[64:65], v[98:99], v[50:51]
	v_fma_f64 v[48:49], -v[64:65], v[100:101], v[48:49]
	v_fma_f64 v[46:47], -v[64:65], v[102:103], v[46:47]
	ds_read2_b64 v[98:101], v92 offset0:23 offset1:24
	v_fma_f64 v[44:45], -v[64:65], v[104:105], v[44:45]
	ds_read2_b64 v[102:105], v92 offset0:25 offset1:26
	v_fma_f64 v[42:43], -v[64:65], v[106:107], v[42:43]
	v_fma_f64 v[40:41], -v[64:65], v[108:109], v[40:41]
	ds_read2_b64 v[106:109], v92 offset0:27 offset1:28
	s_waitcnt lgkmcnt(0)
	v_fma_f64 v[38:39], -v[64:65], v[98:99], v[38:39]
	v_fma_f64 v[36:37], -v[64:65], v[100:101], v[36:37]
	ds_read2_b64 v[98:101], v92 offset0:29 offset1:30
	v_fma_f64 v[34:35], -v[64:65], v[102:103], v[34:35]
	v_fma_f64 v[32:33], -v[64:65], v[104:105], v[32:33]
	;; [unrolled: 1-line block ×3, first 2 shown]
	ds_read2_b64 v[102:105], v92 offset0:31 offset1:32
	v_fma_f64 v[28:29], -v[64:65], v[108:109], v[28:29]
	ds_read2_b64 v[106:109], v92 offset0:33 offset1:34
	s_waitcnt lgkmcnt(0)
	v_fma_f64 v[24:25], -v[64:65], v[98:99], v[24:25]
	v_fma_f64 v[26:27], -v[64:65], v[100:101], v[26:27]
	;; [unrolled: 1-line block ×3, first 2 shown]
	ds_read2_b64 v[98:101], v92 offset0:35 offset1:36
	v_fma_f64 v[20:21], -v[64:65], v[104:105], v[20:21]
	ds_read2_b64 v[102:105], v92 offset0:37 offset1:38
	v_fma_f64 v[18:19], -v[64:65], v[106:107], v[18:19]
	v_fma_f64 v[16:17], -v[64:65], v[108:109], v[16:17]
	ds_read2_b64 v[106:109], v92 offset0:39 offset1:40
	s_waitcnt lgkmcnt(0)
	v_fma_f64 v[14:15], -v[64:65], v[98:99], v[14:15]
	v_fma_f64 v[12:13], -v[64:65], v[100:101], v[12:13]
	;; [unrolled: 1-line block ×7, first 2 shown]
.LBB82_182:
	s_or_b64 exec, exec, s[0:1]
	v_lshl_add_u32 v88, v93, 3, v92
	s_barrier
	ds_write_b64 v88, v[62:63]
	s_waitcnt lgkmcnt(0)
	s_barrier
	ds_read_b64 v[88:89], v92 offset:88
	s_cmp_lt_i32 s18, 13
	v_mov_b32_e32 v90, 11
	s_cbranch_scc1 .LBB82_185
; %bb.183:
	v_add_u32_e32 v97, 0x60, v92
	s_mov_b32 s0, 12
	v_mov_b32_e32 v90, 11
.LBB82_184:                             ; =>This Inner Loop Header: Depth=1
	ds_read_b64 v[98:99], v97
	v_mov_b32_e32 v100, s0
	s_add_i32 s0, s0, 1
	v_add_u32_e32 v97, 8, v97
	s_cmp_lg_u32 s18, s0
	s_waitcnt lgkmcnt(0)
	v_cmp_lt_f64_e64 vcc, |v[88:89]|, |v[98:99]|
	v_cndmask_b32_e32 v89, v89, v99, vcc
	v_cndmask_b32_e32 v88, v88, v98, vcc
	;; [unrolled: 1-line block ×3, first 2 shown]
	s_cbranch_scc1 .LBB82_184
.LBB82_185:
	s_waitcnt lgkmcnt(0)
	v_cmp_eq_f64_e32 vcc, 0, v[88:89]
	s_and_saveexec_b64 s[0:1], vcc
	s_xor_b64 s[0:1], exec, s[0:1]
; %bb.186:
	v_cmp_ne_u32_e32 vcc, 0, v96
	v_cndmask_b32_e32 v96, 12, v96, vcc
; %bb.187:
	s_andn2_saveexec_b64 s[0:1], s[0:1]
; %bb.188:
	v_div_scale_f64 v[98:99], s[2:3], v[88:89], v[88:89], 1.0
	v_rcp_f64_e32 v[100:101], v[98:99]
	v_div_scale_f64 v[102:103], vcc, 1.0, v[88:89], 1.0
	v_fma_f64 v[104:105], -v[98:99], v[100:101], 1.0
	v_fmac_f64_e32 v[100:101], v[100:101], v[104:105]
	v_fma_f64 v[104:105], -v[98:99], v[100:101], 1.0
	v_fmac_f64_e32 v[100:101], v[100:101], v[104:105]
	v_mul_f64 v[104:105], v[102:103], v[100:101]
	v_fma_f64 v[98:99], -v[98:99], v[104:105], v[102:103]
	v_div_fmas_f64 v[98:99], v[98:99], v[100:101], v[104:105]
	v_div_fixup_f64 v[88:89], v[98:99], v[88:89], 1.0
; %bb.189:
	s_or_b64 exec, exec, s[0:1]
	v_cmp_ne_u32_e32 vcc, v93, v90
	s_and_saveexec_b64 s[0:1], vcc
	s_xor_b64 s[0:1], exec, s[0:1]
	s_cbranch_execz .LBB82_195
; %bb.190:
	v_cmp_eq_u32_e32 vcc, 11, v93
	s_and_saveexec_b64 s[2:3], vcc
	s_cbranch_execz .LBB82_194
; %bb.191:
	v_cmp_ne_u32_e32 vcc, 11, v90
	s_xor_b64 s[14:15], s[6:7], -1
	s_and_b64 s[16:17], s[14:15], vcc
	s_and_saveexec_b64 s[14:15], s[16:17]
	s_cbranch_execz .LBB82_193
; %bb.192:
	v_ashrrev_i32_e32 v91, 31, v90
	v_lshlrev_b64 v[98:99], 2, v[90:91]
	v_add_co_u32_e32 v98, vcc, v4, v98
	v_addc_co_u32_e32 v99, vcc, v5, v99, vcc
	flat_load_dword v91, v[98:99]
	flat_load_dword v93, v[4:5] offset:44
	s_waitcnt vmcnt(0) lgkmcnt(0)
	flat_store_dword v[4:5], v91 offset:44
	flat_store_dword v[98:99], v93
.LBB82_193:
	s_or_b64 exec, exec, s[14:15]
	v_mov_b32_e32 v91, v90
	v_mov_b32_e32 v93, v90
.LBB82_194:
	s_or_b64 exec, exec, s[2:3]
.LBB82_195:
	s_andn2_saveexec_b64 s[0:1], s[0:1]
	s_cbranch_execz .LBB82_197
; %bb.196:
	v_mov_b32_e32 v98, v60
	v_mov_b32_e32 v99, v61
	v_mov_b32_e32 v100, v58
	v_mov_b32_e32 v101, v59
	ds_write2_b64 v92, v[98:99], v[100:101] offset0:12 offset1:13
	v_mov_b32_e32 v98, v54
	v_mov_b32_e32 v99, v55
	v_mov_b32_e32 v100, v56
	v_mov_b32_e32 v101, v57
	ds_write2_b64 v92, v[98:99], v[100:101] offset0:14 offset1:15
	;; [unrolled: 5-line block ×14, first 2 shown]
	v_mov_b32_e32 v98, v0
	v_mov_b32_e32 v99, v1
	;; [unrolled: 1-line block ×3, first 2 shown]
	ds_write2_b64 v92, v[98:99], v[86:87] offset0:40 offset1:41
.LBB82_197:
	s_or_b64 exec, exec, s[0:1]
	v_cmp_lt_i32_e32 vcc, 11, v93
	s_waitcnt lgkmcnt(0)
	s_barrier
	s_and_saveexec_b64 s[0:1], vcc
	s_cbranch_execz .LBB82_199
; %bb.198:
	ds_read2_b64 v[98:101], v92 offset0:12 offset1:13
	ds_read2_b64 v[102:105], v92 offset0:14 offset1:15
	;; [unrolled: 1-line block ×3, first 2 shown]
	v_mul_f64 v[62:63], v[88:89], v[62:63]
	s_waitcnt lgkmcnt(0)
	v_fma_f64 v[60:61], -v[62:63], v[98:99], v[60:61]
	v_fma_f64 v[58:59], -v[62:63], v[100:101], v[58:59]
	ds_read2_b64 v[98:101], v92 offset0:18 offset1:19
	v_fma_f64 v[54:55], -v[62:63], v[102:103], v[54:55]
	v_fma_f64 v[56:57], -v[62:63], v[104:105], v[56:57]
	;; [unrolled: 1-line block ×3, first 2 shown]
	ds_read2_b64 v[102:105], v92 offset0:20 offset1:21
	v_fma_f64 v[50:51], -v[62:63], v[108:109], v[50:51]
	ds_read2_b64 v[106:109], v92 offset0:22 offset1:23
	s_waitcnt lgkmcnt(0)
	v_fma_f64 v[48:49], -v[62:63], v[98:99], v[48:49]
	v_fma_f64 v[46:47], -v[62:63], v[100:101], v[46:47]
	;; [unrolled: 1-line block ×3, first 2 shown]
	ds_read2_b64 v[98:101], v92 offset0:24 offset1:25
	v_fma_f64 v[42:43], -v[62:63], v[104:105], v[42:43]
	ds_read2_b64 v[102:105], v92 offset0:26 offset1:27
	v_fma_f64 v[40:41], -v[62:63], v[106:107], v[40:41]
	v_fma_f64 v[38:39], -v[62:63], v[108:109], v[38:39]
	ds_read2_b64 v[106:109], v92 offset0:28 offset1:29
	s_waitcnt lgkmcnt(0)
	v_fma_f64 v[36:37], -v[62:63], v[98:99], v[36:37]
	v_fma_f64 v[34:35], -v[62:63], v[100:101], v[34:35]
	ds_read2_b64 v[98:101], v92 offset0:30 offset1:31
	v_fma_f64 v[32:33], -v[62:63], v[102:103], v[32:33]
	v_fma_f64 v[30:31], -v[62:63], v[104:105], v[30:31]
	;; [unrolled: 1-line block ×3, first 2 shown]
	ds_read2_b64 v[102:105], v92 offset0:32 offset1:33
	v_fma_f64 v[24:25], -v[62:63], v[108:109], v[24:25]
	ds_read2_b64 v[106:109], v92 offset0:34 offset1:35
	s_waitcnt lgkmcnt(0)
	v_fma_f64 v[26:27], -v[62:63], v[98:99], v[26:27]
	v_fma_f64 v[22:23], -v[62:63], v[100:101], v[22:23]
	;; [unrolled: 1-line block ×4, first 2 shown]
	ds_read2_b64 v[98:101], v92 offset0:36 offset1:37
	ds_read2_b64 v[102:105], v92 offset0:38 offset1:39
	v_fma_f64 v[16:17], -v[62:63], v[106:107], v[16:17]
	v_fma_f64 v[14:15], -v[62:63], v[108:109], v[14:15]
	ds_read2_b64 v[106:109], v92 offset0:40 offset1:41
	s_waitcnt lgkmcnt(0)
	v_fma_f64 v[12:13], -v[62:63], v[98:99], v[12:13]
	v_fma_f64 v[10:11], -v[62:63], v[100:101], v[10:11]
	;; [unrolled: 1-line block ×6, first 2 shown]
.LBB82_199:
	s_or_b64 exec, exec, s[0:1]
	v_lshl_add_u32 v88, v93, 3, v92
	s_barrier
	ds_write_b64 v88, v[60:61]
	s_waitcnt lgkmcnt(0)
	s_barrier
	ds_read_b64 v[88:89], v92 offset:96
	s_cmp_lt_i32 s18, 14
	v_mov_b32_e32 v90, 12
	s_cbranch_scc1 .LBB82_202
; %bb.200:
	v_add_u32_e32 v97, 0x68, v92
	s_mov_b32 s0, 13
	v_mov_b32_e32 v90, 12
.LBB82_201:                             ; =>This Inner Loop Header: Depth=1
	ds_read_b64 v[98:99], v97
	v_mov_b32_e32 v100, s0
	s_add_i32 s0, s0, 1
	v_add_u32_e32 v97, 8, v97
	s_cmp_lg_u32 s18, s0
	s_waitcnt lgkmcnt(0)
	v_cmp_lt_f64_e64 vcc, |v[88:89]|, |v[98:99]|
	v_cndmask_b32_e32 v89, v89, v99, vcc
	v_cndmask_b32_e32 v88, v88, v98, vcc
	;; [unrolled: 1-line block ×3, first 2 shown]
	s_cbranch_scc1 .LBB82_201
.LBB82_202:
	s_waitcnt lgkmcnt(0)
	v_cmp_eq_f64_e32 vcc, 0, v[88:89]
	s_and_saveexec_b64 s[0:1], vcc
	s_xor_b64 s[0:1], exec, s[0:1]
; %bb.203:
	v_cmp_ne_u32_e32 vcc, 0, v96
	v_cndmask_b32_e32 v96, 13, v96, vcc
; %bb.204:
	s_andn2_saveexec_b64 s[0:1], s[0:1]
; %bb.205:
	v_div_scale_f64 v[98:99], s[2:3], v[88:89], v[88:89], 1.0
	v_rcp_f64_e32 v[100:101], v[98:99]
	v_div_scale_f64 v[102:103], vcc, 1.0, v[88:89], 1.0
	v_fma_f64 v[104:105], -v[98:99], v[100:101], 1.0
	v_fmac_f64_e32 v[100:101], v[100:101], v[104:105]
	v_fma_f64 v[104:105], -v[98:99], v[100:101], 1.0
	v_fmac_f64_e32 v[100:101], v[100:101], v[104:105]
	v_mul_f64 v[104:105], v[102:103], v[100:101]
	v_fma_f64 v[98:99], -v[98:99], v[104:105], v[102:103]
	v_div_fmas_f64 v[98:99], v[98:99], v[100:101], v[104:105]
	v_div_fixup_f64 v[88:89], v[98:99], v[88:89], 1.0
; %bb.206:
	s_or_b64 exec, exec, s[0:1]
	v_cmp_ne_u32_e32 vcc, v93, v90
	s_and_saveexec_b64 s[0:1], vcc
	s_xor_b64 s[0:1], exec, s[0:1]
	s_cbranch_execz .LBB82_212
; %bb.207:
	v_cmp_eq_u32_e32 vcc, 12, v93
	s_and_saveexec_b64 s[2:3], vcc
	s_cbranch_execz .LBB82_211
; %bb.208:
	v_cmp_ne_u32_e32 vcc, 12, v90
	s_xor_b64 s[14:15], s[6:7], -1
	s_and_b64 s[16:17], s[14:15], vcc
	s_and_saveexec_b64 s[14:15], s[16:17]
	s_cbranch_execz .LBB82_210
; %bb.209:
	v_ashrrev_i32_e32 v91, 31, v90
	v_lshlrev_b64 v[98:99], 2, v[90:91]
	v_add_co_u32_e32 v98, vcc, v4, v98
	v_addc_co_u32_e32 v99, vcc, v5, v99, vcc
	flat_load_dword v91, v[98:99]
	flat_load_dword v93, v[4:5] offset:48
	s_waitcnt vmcnt(0) lgkmcnt(0)
	flat_store_dword v[4:5], v91 offset:48
	flat_store_dword v[98:99], v93
.LBB82_210:
	s_or_b64 exec, exec, s[14:15]
	v_mov_b32_e32 v91, v90
	v_mov_b32_e32 v93, v90
.LBB82_211:
	s_or_b64 exec, exec, s[2:3]
.LBB82_212:
	s_andn2_saveexec_b64 s[0:1], s[0:1]
	s_cbranch_execz .LBB82_214
; %bb.213:
	v_mov_b32_e32 v93, 12
	ds_write2_b64 v92, v[58:59], v[54:55] offset0:13 offset1:14
	ds_write2_b64 v92, v[56:57], v[52:53] offset0:15 offset1:16
	;; [unrolled: 1-line block ×14, first 2 shown]
	ds_write_b64 v92, v[86:87] offset:328
.LBB82_214:
	s_or_b64 exec, exec, s[0:1]
	v_cmp_lt_i32_e32 vcc, 12, v93
	s_waitcnt lgkmcnt(0)
	s_barrier
	s_and_saveexec_b64 s[0:1], vcc
	s_cbranch_execz .LBB82_216
; %bb.215:
	ds_read2_b64 v[98:101], v92 offset0:13 offset1:14
	ds_read2_b64 v[102:105], v92 offset0:15 offset1:16
	v_mul_f64 v[60:61], v[88:89], v[60:61]
	ds_read2_b64 v[106:109], v92 offset0:17 offset1:18
	ds_read_b64 v[88:89], v92 offset:328
	s_waitcnt lgkmcnt(0)
	v_fma_f64 v[58:59], -v[60:61], v[98:99], v[58:59]
	v_fma_f64 v[54:55], -v[60:61], v[100:101], v[54:55]
	ds_read2_b64 v[98:101], v92 offset0:19 offset1:20
	v_fma_f64 v[56:57], -v[60:61], v[102:103], v[56:57]
	v_fma_f64 v[52:53], -v[60:61], v[104:105], v[52:53]
	ds_read2_b64 v[102:105], v92 offset0:21 offset1:22
	;; [unrolled: 3-line block ×3, first 2 shown]
	s_waitcnt lgkmcnt(0)
	v_fma_f64 v[46:47], -v[60:61], v[98:99], v[46:47]
	v_fma_f64 v[44:45], -v[60:61], v[100:101], v[44:45]
	;; [unrolled: 1-line block ×3, first 2 shown]
	ds_read2_b64 v[98:101], v92 offset0:25 offset1:26
	v_fma_f64 v[40:41], -v[60:61], v[104:105], v[40:41]
	ds_read2_b64 v[102:105], v92 offset0:27 offset1:28
	v_fma_f64 v[38:39], -v[60:61], v[106:107], v[38:39]
	v_fma_f64 v[36:37], -v[60:61], v[108:109], v[36:37]
	s_waitcnt lgkmcnt(0)
	v_fma_f64 v[34:35], -v[60:61], v[98:99], v[34:35]
	ds_read2_b64 v[106:109], v92 offset0:29 offset1:30
	v_fma_f64 v[32:33], -v[60:61], v[100:101], v[32:33]
	ds_read2_b64 v[98:101], v92 offset0:31 offset1:32
	v_fma_f64 v[30:31], -v[60:61], v[102:103], v[30:31]
	v_fma_f64 v[28:29], -v[60:61], v[104:105], v[28:29]
	ds_read2_b64 v[102:105], v92 offset0:33 offset1:34
	s_waitcnt lgkmcnt(0)
	v_fma_f64 v[24:25], -v[60:61], v[106:107], v[24:25]
	v_fma_f64 v[26:27], -v[60:61], v[108:109], v[26:27]
	ds_read2_b64 v[106:109], v92 offset0:35 offset1:36
	v_fma_f64 v[22:23], -v[60:61], v[98:99], v[22:23]
	v_fma_f64 v[20:21], -v[60:61], v[100:101], v[20:21]
	;; [unrolled: 1-line block ×4, first 2 shown]
	ds_read2_b64 v[98:101], v92 offset0:37 offset1:38
	ds_read2_b64 v[102:105], v92 offset0:39 offset1:40
	s_waitcnt lgkmcnt(0)
	v_fma_f64 v[14:15], -v[60:61], v[106:107], v[14:15]
	v_fma_f64 v[12:13], -v[60:61], v[108:109], v[12:13]
	;; [unrolled: 1-line block ×7, first 2 shown]
.LBB82_216:
	s_or_b64 exec, exec, s[0:1]
	v_lshl_add_u32 v88, v93, 3, v92
	s_barrier
	ds_write_b64 v88, v[58:59]
	s_waitcnt lgkmcnt(0)
	s_barrier
	ds_read_b64 v[88:89], v92 offset:104
	s_cmp_lt_i32 s18, 15
	v_mov_b32_e32 v90, 13
	s_cbranch_scc1 .LBB82_219
; %bb.217:
	v_add_u32_e32 v97, 0x70, v92
	s_mov_b32 s0, 14
	v_mov_b32_e32 v90, 13
.LBB82_218:                             ; =>This Inner Loop Header: Depth=1
	ds_read_b64 v[98:99], v97
	v_mov_b32_e32 v100, s0
	s_add_i32 s0, s0, 1
	v_add_u32_e32 v97, 8, v97
	s_cmp_lg_u32 s18, s0
	s_waitcnt lgkmcnt(0)
	v_cmp_lt_f64_e64 vcc, |v[88:89]|, |v[98:99]|
	v_cndmask_b32_e32 v89, v89, v99, vcc
	v_cndmask_b32_e32 v88, v88, v98, vcc
	;; [unrolled: 1-line block ×3, first 2 shown]
	s_cbranch_scc1 .LBB82_218
.LBB82_219:
	s_waitcnt lgkmcnt(0)
	v_cmp_eq_f64_e32 vcc, 0, v[88:89]
	s_and_saveexec_b64 s[0:1], vcc
	s_xor_b64 s[0:1], exec, s[0:1]
; %bb.220:
	v_cmp_ne_u32_e32 vcc, 0, v96
	v_cndmask_b32_e32 v96, 14, v96, vcc
; %bb.221:
	s_andn2_saveexec_b64 s[0:1], s[0:1]
; %bb.222:
	v_div_scale_f64 v[98:99], s[2:3], v[88:89], v[88:89], 1.0
	v_rcp_f64_e32 v[100:101], v[98:99]
	v_div_scale_f64 v[102:103], vcc, 1.0, v[88:89], 1.0
	v_fma_f64 v[104:105], -v[98:99], v[100:101], 1.0
	v_fmac_f64_e32 v[100:101], v[100:101], v[104:105]
	v_fma_f64 v[104:105], -v[98:99], v[100:101], 1.0
	v_fmac_f64_e32 v[100:101], v[100:101], v[104:105]
	v_mul_f64 v[104:105], v[102:103], v[100:101]
	v_fma_f64 v[98:99], -v[98:99], v[104:105], v[102:103]
	v_div_fmas_f64 v[98:99], v[98:99], v[100:101], v[104:105]
	v_div_fixup_f64 v[88:89], v[98:99], v[88:89], 1.0
; %bb.223:
	s_or_b64 exec, exec, s[0:1]
	v_cmp_ne_u32_e32 vcc, v93, v90
	s_and_saveexec_b64 s[0:1], vcc
	s_xor_b64 s[0:1], exec, s[0:1]
	s_cbranch_execz .LBB82_229
; %bb.224:
	v_cmp_eq_u32_e32 vcc, 13, v93
	s_and_saveexec_b64 s[2:3], vcc
	s_cbranch_execz .LBB82_228
; %bb.225:
	v_cmp_ne_u32_e32 vcc, 13, v90
	s_xor_b64 s[14:15], s[6:7], -1
	s_and_b64 s[16:17], s[14:15], vcc
	s_and_saveexec_b64 s[14:15], s[16:17]
	s_cbranch_execz .LBB82_227
; %bb.226:
	v_ashrrev_i32_e32 v91, 31, v90
	v_lshlrev_b64 v[98:99], 2, v[90:91]
	v_add_co_u32_e32 v98, vcc, v4, v98
	v_addc_co_u32_e32 v99, vcc, v5, v99, vcc
	flat_load_dword v91, v[98:99]
	flat_load_dword v93, v[4:5] offset:52
	s_waitcnt vmcnt(0) lgkmcnt(0)
	flat_store_dword v[4:5], v91 offset:52
	flat_store_dword v[98:99], v93
.LBB82_227:
	s_or_b64 exec, exec, s[14:15]
	v_mov_b32_e32 v91, v90
	v_mov_b32_e32 v93, v90
.LBB82_228:
	s_or_b64 exec, exec, s[2:3]
.LBB82_229:
	s_andn2_saveexec_b64 s[0:1], s[0:1]
	s_cbranch_execz .LBB82_231
; %bb.230:
	v_mov_b32_e32 v98, v54
	v_mov_b32_e32 v99, v55
	v_mov_b32_e32 v100, v56
	v_mov_b32_e32 v101, v57
	ds_write2_b64 v92, v[98:99], v[100:101] offset0:14 offset1:15
	v_mov_b32_e32 v98, v52
	v_mov_b32_e32 v99, v53
	v_mov_b32_e32 v100, v50
	v_mov_b32_e32 v101, v51
	ds_write2_b64 v92, v[98:99], v[100:101] offset0:16 offset1:17
	;; [unrolled: 5-line block ×13, first 2 shown]
	v_mov_b32_e32 v98, v0
	v_mov_b32_e32 v99, v1
	;; [unrolled: 1-line block ×3, first 2 shown]
	ds_write2_b64 v92, v[98:99], v[86:87] offset0:40 offset1:41
.LBB82_231:
	s_or_b64 exec, exec, s[0:1]
	v_cmp_lt_i32_e32 vcc, 13, v93
	s_waitcnt lgkmcnt(0)
	s_barrier
	s_and_saveexec_b64 s[0:1], vcc
	s_cbranch_execz .LBB82_233
; %bb.232:
	ds_read2_b64 v[98:101], v92 offset0:14 offset1:15
	ds_read2_b64 v[102:105], v92 offset0:16 offset1:17
	v_mul_f64 v[58:59], v[88:89], v[58:59]
	ds_read2_b64 v[106:109], v92 offset0:18 offset1:19
	s_waitcnt lgkmcnt(0)
	v_fma_f64 v[54:55], -v[58:59], v[98:99], v[54:55]
	v_fma_f64 v[56:57], -v[58:59], v[100:101], v[56:57]
	ds_read2_b64 v[98:101], v92 offset0:20 offset1:21
	v_fma_f64 v[52:53], -v[58:59], v[102:103], v[52:53]
	v_fma_f64 v[50:51], -v[58:59], v[104:105], v[50:51]
	ds_read2_b64 v[102:105], v92 offset0:22 offset1:23
	;; [unrolled: 3-line block ×3, first 2 shown]
	s_waitcnt lgkmcnt(0)
	v_fma_f64 v[44:45], -v[58:59], v[98:99], v[44:45]
	v_fma_f64 v[42:43], -v[58:59], v[100:101], v[42:43]
	;; [unrolled: 1-line block ×3, first 2 shown]
	ds_read2_b64 v[98:101], v92 offset0:26 offset1:27
	v_fma_f64 v[38:39], -v[58:59], v[104:105], v[38:39]
	ds_read2_b64 v[102:105], v92 offset0:28 offset1:29
	v_fma_f64 v[36:37], -v[58:59], v[106:107], v[36:37]
	v_fma_f64 v[34:35], -v[58:59], v[108:109], v[34:35]
	s_waitcnt lgkmcnt(0)
	v_fma_f64 v[32:33], -v[58:59], v[98:99], v[32:33]
	ds_read2_b64 v[106:109], v92 offset0:30 offset1:31
	v_fma_f64 v[30:31], -v[58:59], v[100:101], v[30:31]
	ds_read2_b64 v[98:101], v92 offset0:32 offset1:33
	v_fma_f64 v[28:29], -v[58:59], v[102:103], v[28:29]
	v_fma_f64 v[24:25], -v[58:59], v[104:105], v[24:25]
	ds_read2_b64 v[102:105], v92 offset0:34 offset1:35
	s_waitcnt lgkmcnt(0)
	v_fma_f64 v[26:27], -v[58:59], v[106:107], v[26:27]
	v_fma_f64 v[22:23], -v[58:59], v[108:109], v[22:23]
	v_fma_f64 v[20:21], -v[58:59], v[98:99], v[20:21]
	v_fma_f64 v[18:19], -v[58:59], v[100:101], v[18:19]
	ds_read2_b64 v[98:101], v92 offset0:36 offset1:37
	v_fma_f64 v[16:17], -v[58:59], v[102:103], v[16:17]
	ds_read2_b64 v[106:109], v92 offset0:38 offset1:39
	v_fma_f64 v[14:15], -v[58:59], v[104:105], v[14:15]
	ds_read2_b64 v[102:105], v92 offset0:40 offset1:41
	s_waitcnt lgkmcnt(0)
	v_fma_f64 v[12:13], -v[58:59], v[98:99], v[12:13]
	v_fma_f64 v[10:11], -v[58:59], v[100:101], v[10:11]
	;; [unrolled: 1-line block ×6, first 2 shown]
.LBB82_233:
	s_or_b64 exec, exec, s[0:1]
	v_lshl_add_u32 v88, v93, 3, v92
	s_barrier
	ds_write_b64 v88, v[54:55]
	s_waitcnt lgkmcnt(0)
	s_barrier
	ds_read_b64 v[88:89], v92 offset:112
	s_cmp_lt_i32 s18, 16
	v_mov_b32_e32 v90, 14
	s_cbranch_scc1 .LBB82_236
; %bb.234:
	v_add_u32_e32 v97, 0x78, v92
	s_mov_b32 s0, 15
	v_mov_b32_e32 v90, 14
.LBB82_235:                             ; =>This Inner Loop Header: Depth=1
	ds_read_b64 v[98:99], v97
	v_mov_b32_e32 v100, s0
	s_add_i32 s0, s0, 1
	v_add_u32_e32 v97, 8, v97
	s_cmp_lg_u32 s18, s0
	s_waitcnt lgkmcnt(0)
	v_cmp_lt_f64_e64 vcc, |v[88:89]|, |v[98:99]|
	v_cndmask_b32_e32 v89, v89, v99, vcc
	v_cndmask_b32_e32 v88, v88, v98, vcc
	;; [unrolled: 1-line block ×3, first 2 shown]
	s_cbranch_scc1 .LBB82_235
.LBB82_236:
	s_waitcnt lgkmcnt(0)
	v_cmp_eq_f64_e32 vcc, 0, v[88:89]
	s_and_saveexec_b64 s[0:1], vcc
	s_xor_b64 s[0:1], exec, s[0:1]
; %bb.237:
	v_cmp_ne_u32_e32 vcc, 0, v96
	v_cndmask_b32_e32 v96, 15, v96, vcc
; %bb.238:
	s_andn2_saveexec_b64 s[0:1], s[0:1]
; %bb.239:
	v_div_scale_f64 v[98:99], s[2:3], v[88:89], v[88:89], 1.0
	v_rcp_f64_e32 v[100:101], v[98:99]
	v_div_scale_f64 v[102:103], vcc, 1.0, v[88:89], 1.0
	v_fma_f64 v[104:105], -v[98:99], v[100:101], 1.0
	v_fmac_f64_e32 v[100:101], v[100:101], v[104:105]
	v_fma_f64 v[104:105], -v[98:99], v[100:101], 1.0
	v_fmac_f64_e32 v[100:101], v[100:101], v[104:105]
	v_mul_f64 v[104:105], v[102:103], v[100:101]
	v_fma_f64 v[98:99], -v[98:99], v[104:105], v[102:103]
	v_div_fmas_f64 v[98:99], v[98:99], v[100:101], v[104:105]
	v_div_fixup_f64 v[88:89], v[98:99], v[88:89], 1.0
; %bb.240:
	s_or_b64 exec, exec, s[0:1]
	v_cmp_ne_u32_e32 vcc, v93, v90
	s_and_saveexec_b64 s[0:1], vcc
	s_xor_b64 s[0:1], exec, s[0:1]
	s_cbranch_execz .LBB82_246
; %bb.241:
	v_cmp_eq_u32_e32 vcc, 14, v93
	s_and_saveexec_b64 s[2:3], vcc
	s_cbranch_execz .LBB82_245
; %bb.242:
	v_cmp_ne_u32_e32 vcc, 14, v90
	s_xor_b64 s[14:15], s[6:7], -1
	s_and_b64 s[16:17], s[14:15], vcc
	s_and_saveexec_b64 s[14:15], s[16:17]
	s_cbranch_execz .LBB82_244
; %bb.243:
	v_ashrrev_i32_e32 v91, 31, v90
	v_lshlrev_b64 v[98:99], 2, v[90:91]
	v_add_co_u32_e32 v98, vcc, v4, v98
	v_addc_co_u32_e32 v99, vcc, v5, v99, vcc
	flat_load_dword v91, v[98:99]
	flat_load_dword v93, v[4:5] offset:56
	s_waitcnt vmcnt(0) lgkmcnt(0)
	flat_store_dword v[4:5], v91 offset:56
	flat_store_dword v[98:99], v93
.LBB82_244:
	s_or_b64 exec, exec, s[14:15]
	v_mov_b32_e32 v91, v90
	v_mov_b32_e32 v93, v90
.LBB82_245:
	s_or_b64 exec, exec, s[2:3]
.LBB82_246:
	s_andn2_saveexec_b64 s[0:1], s[0:1]
	s_cbranch_execz .LBB82_248
; %bb.247:
	v_mov_b32_e32 v93, 14
	ds_write2_b64 v92, v[56:57], v[52:53] offset0:15 offset1:16
	ds_write2_b64 v92, v[50:51], v[48:49] offset0:17 offset1:18
	;; [unrolled: 1-line block ×13, first 2 shown]
	ds_write_b64 v92, v[86:87] offset:328
.LBB82_248:
	s_or_b64 exec, exec, s[0:1]
	v_cmp_lt_i32_e32 vcc, 14, v93
	s_waitcnt lgkmcnt(0)
	s_barrier
	s_and_saveexec_b64 s[0:1], vcc
	s_cbranch_execz .LBB82_250
; %bb.249:
	ds_read2_b64 v[98:101], v92 offset0:15 offset1:16
	ds_read2_b64 v[102:105], v92 offset0:17 offset1:18
	v_mul_f64 v[54:55], v[88:89], v[54:55]
	ds_read2_b64 v[106:109], v92 offset0:19 offset1:20
	ds_read_b64 v[88:89], v92 offset:328
	s_waitcnt lgkmcnt(0)
	v_fma_f64 v[56:57], -v[54:55], v[98:99], v[56:57]
	v_fma_f64 v[52:53], -v[54:55], v[100:101], v[52:53]
	ds_read2_b64 v[98:101], v92 offset0:21 offset1:22
	v_fma_f64 v[50:51], -v[54:55], v[102:103], v[50:51]
	v_fma_f64 v[48:49], -v[54:55], v[104:105], v[48:49]
	;; [unrolled: 1-line block ×3, first 2 shown]
	ds_read2_b64 v[102:105], v92 offset0:23 offset1:24
	v_fma_f64 v[44:45], -v[54:55], v[108:109], v[44:45]
	ds_read2_b64 v[106:109], v92 offset0:25 offset1:26
	s_waitcnt lgkmcnt(0)
	v_fma_f64 v[42:43], -v[54:55], v[98:99], v[42:43]
	v_fma_f64 v[40:41], -v[54:55], v[100:101], v[40:41]
	ds_read2_b64 v[98:101], v92 offset0:27 offset1:28
	v_fma_f64 v[38:39], -v[54:55], v[102:103], v[38:39]
	v_fma_f64 v[36:37], -v[54:55], v[104:105], v[36:37]
	ds_read2_b64 v[102:105], v92 offset0:29 offset1:30
	v_fma_f64 v[34:35], -v[54:55], v[106:107], v[34:35]
	v_fma_f64 v[32:33], -v[54:55], v[108:109], v[32:33]
	s_waitcnt lgkmcnt(0)
	v_fma_f64 v[30:31], -v[54:55], v[98:99], v[30:31]
	ds_read2_b64 v[106:109], v92 offset0:31 offset1:32
	v_fma_f64 v[28:29], -v[54:55], v[100:101], v[28:29]
	ds_read2_b64 v[98:101], v92 offset0:33 offset1:34
	v_fma_f64 v[24:25], -v[54:55], v[102:103], v[24:25]
	v_fma_f64 v[26:27], -v[54:55], v[104:105], v[26:27]
	s_waitcnt lgkmcnt(0)
	v_fma_f64 v[22:23], -v[54:55], v[106:107], v[22:23]
	ds_read2_b64 v[102:105], v92 offset0:35 offset1:36
	v_fma_f64 v[20:21], -v[54:55], v[108:109], v[20:21]
	v_fma_f64 v[18:19], -v[54:55], v[98:99], v[18:19]
	;; [unrolled: 1-line block ×3, first 2 shown]
	ds_read2_b64 v[98:101], v92 offset0:37 offset1:38
	ds_read2_b64 v[106:109], v92 offset0:39 offset1:40
	s_waitcnt lgkmcnt(0)
	v_fma_f64 v[14:15], -v[54:55], v[102:103], v[14:15]
	v_fma_f64 v[12:13], -v[54:55], v[104:105], v[12:13]
	;; [unrolled: 1-line block ×7, first 2 shown]
.LBB82_250:
	s_or_b64 exec, exec, s[0:1]
	v_lshl_add_u32 v88, v93, 3, v92
	s_barrier
	ds_write_b64 v88, v[56:57]
	s_waitcnt lgkmcnt(0)
	s_barrier
	ds_read_b64 v[88:89], v92 offset:120
	s_cmp_lt_i32 s18, 17
	v_mov_b32_e32 v90, 15
	s_cbranch_scc1 .LBB82_253
; %bb.251:
	v_add_u32_e32 v97, 0x80, v92
	s_mov_b32 s0, 16
	v_mov_b32_e32 v90, 15
.LBB82_252:                             ; =>This Inner Loop Header: Depth=1
	ds_read_b64 v[98:99], v97
	v_mov_b32_e32 v100, s0
	s_add_i32 s0, s0, 1
	v_add_u32_e32 v97, 8, v97
	s_cmp_lg_u32 s18, s0
	s_waitcnt lgkmcnt(0)
	v_cmp_lt_f64_e64 vcc, |v[88:89]|, |v[98:99]|
	v_cndmask_b32_e32 v89, v89, v99, vcc
	v_cndmask_b32_e32 v88, v88, v98, vcc
	v_cndmask_b32_e32 v90, v90, v100, vcc
	s_cbranch_scc1 .LBB82_252
.LBB82_253:
	s_waitcnt lgkmcnt(0)
	v_cmp_eq_f64_e32 vcc, 0, v[88:89]
	s_and_saveexec_b64 s[0:1], vcc
	s_xor_b64 s[0:1], exec, s[0:1]
; %bb.254:
	v_cmp_ne_u32_e32 vcc, 0, v96
	v_cndmask_b32_e32 v96, 16, v96, vcc
; %bb.255:
	s_andn2_saveexec_b64 s[0:1], s[0:1]
; %bb.256:
	v_div_scale_f64 v[98:99], s[2:3], v[88:89], v[88:89], 1.0
	v_rcp_f64_e32 v[100:101], v[98:99]
	v_div_scale_f64 v[102:103], vcc, 1.0, v[88:89], 1.0
	v_fma_f64 v[104:105], -v[98:99], v[100:101], 1.0
	v_fmac_f64_e32 v[100:101], v[100:101], v[104:105]
	v_fma_f64 v[104:105], -v[98:99], v[100:101], 1.0
	v_fmac_f64_e32 v[100:101], v[100:101], v[104:105]
	v_mul_f64 v[104:105], v[102:103], v[100:101]
	v_fma_f64 v[98:99], -v[98:99], v[104:105], v[102:103]
	v_div_fmas_f64 v[98:99], v[98:99], v[100:101], v[104:105]
	v_div_fixup_f64 v[88:89], v[98:99], v[88:89], 1.0
; %bb.257:
	s_or_b64 exec, exec, s[0:1]
	v_cmp_ne_u32_e32 vcc, v93, v90
	s_and_saveexec_b64 s[0:1], vcc
	s_xor_b64 s[0:1], exec, s[0:1]
	s_cbranch_execz .LBB82_263
; %bb.258:
	v_cmp_eq_u32_e32 vcc, 15, v93
	s_and_saveexec_b64 s[2:3], vcc
	s_cbranch_execz .LBB82_262
; %bb.259:
	v_cmp_ne_u32_e32 vcc, 15, v90
	s_xor_b64 s[14:15], s[6:7], -1
	s_and_b64 s[16:17], s[14:15], vcc
	s_and_saveexec_b64 s[14:15], s[16:17]
	s_cbranch_execz .LBB82_261
; %bb.260:
	v_ashrrev_i32_e32 v91, 31, v90
	v_lshlrev_b64 v[98:99], 2, v[90:91]
	v_add_co_u32_e32 v98, vcc, v4, v98
	v_addc_co_u32_e32 v99, vcc, v5, v99, vcc
	flat_load_dword v91, v[98:99]
	flat_load_dword v93, v[4:5] offset:60
	s_waitcnt vmcnt(0) lgkmcnt(0)
	flat_store_dword v[4:5], v91 offset:60
	flat_store_dword v[98:99], v93
.LBB82_261:
	s_or_b64 exec, exec, s[14:15]
	v_mov_b32_e32 v91, v90
	v_mov_b32_e32 v93, v90
.LBB82_262:
	s_or_b64 exec, exec, s[2:3]
.LBB82_263:
	s_andn2_saveexec_b64 s[0:1], s[0:1]
	s_cbranch_execz .LBB82_265
; %bb.264:
	v_mov_b32_e32 v98, v52
	v_mov_b32_e32 v99, v53
	v_mov_b32_e32 v100, v50
	v_mov_b32_e32 v101, v51
	ds_write2_b64 v92, v[98:99], v[100:101] offset0:16 offset1:17
	v_mov_b32_e32 v98, v48
	v_mov_b32_e32 v99, v49
	v_mov_b32_e32 v100, v46
	v_mov_b32_e32 v101, v47
	ds_write2_b64 v92, v[98:99], v[100:101] offset0:18 offset1:19
	;; [unrolled: 5-line block ×12, first 2 shown]
	v_mov_b32_e32 v98, v0
	v_mov_b32_e32 v99, v1
	;; [unrolled: 1-line block ×3, first 2 shown]
	ds_write2_b64 v92, v[98:99], v[86:87] offset0:40 offset1:41
.LBB82_265:
	s_or_b64 exec, exec, s[0:1]
	v_cmp_lt_i32_e32 vcc, 15, v93
	s_waitcnt lgkmcnt(0)
	s_barrier
	s_and_saveexec_b64 s[0:1], vcc
	s_cbranch_execz .LBB82_267
; %bb.266:
	ds_read2_b64 v[98:101], v92 offset0:16 offset1:17
	ds_read2_b64 v[102:105], v92 offset0:18 offset1:19
	v_mul_f64 v[56:57], v[88:89], v[56:57]
	ds_read2_b64 v[106:109], v92 offset0:20 offset1:21
	s_waitcnt lgkmcnt(0)
	v_fma_f64 v[52:53], -v[56:57], v[98:99], v[52:53]
	v_fma_f64 v[50:51], -v[56:57], v[100:101], v[50:51]
	ds_read2_b64 v[98:101], v92 offset0:22 offset1:23
	v_fma_f64 v[48:49], -v[56:57], v[102:103], v[48:49]
	v_fma_f64 v[46:47], -v[56:57], v[104:105], v[46:47]
	;; [unrolled: 1-line block ×3, first 2 shown]
	ds_read2_b64 v[102:105], v92 offset0:24 offset1:25
	v_fma_f64 v[42:43], -v[56:57], v[108:109], v[42:43]
	ds_read2_b64 v[106:109], v92 offset0:26 offset1:27
	s_waitcnt lgkmcnt(0)
	v_fma_f64 v[40:41], -v[56:57], v[98:99], v[40:41]
	v_fma_f64 v[38:39], -v[56:57], v[100:101], v[38:39]
	ds_read2_b64 v[98:101], v92 offset0:28 offset1:29
	v_fma_f64 v[36:37], -v[56:57], v[102:103], v[36:37]
	v_fma_f64 v[34:35], -v[56:57], v[104:105], v[34:35]
	ds_read2_b64 v[102:105], v92 offset0:30 offset1:31
	v_fma_f64 v[32:33], -v[56:57], v[106:107], v[32:33]
	v_fma_f64 v[30:31], -v[56:57], v[108:109], v[30:31]
	s_waitcnt lgkmcnt(0)
	v_fma_f64 v[28:29], -v[56:57], v[98:99], v[28:29]
	ds_read2_b64 v[106:109], v92 offset0:32 offset1:33
	v_fma_f64 v[24:25], -v[56:57], v[100:101], v[24:25]
	ds_read2_b64 v[98:101], v92 offset0:34 offset1:35
	v_fma_f64 v[26:27], -v[56:57], v[102:103], v[26:27]
	v_fma_f64 v[22:23], -v[56:57], v[104:105], v[22:23]
	s_waitcnt lgkmcnt(0)
	v_fma_f64 v[20:21], -v[56:57], v[106:107], v[20:21]
	v_fma_f64 v[18:19], -v[56:57], v[108:109], v[18:19]
	ds_read2_b64 v[102:105], v92 offset0:36 offset1:37
	ds_read2_b64 v[106:109], v92 offset0:38 offset1:39
	v_fma_f64 v[16:17], -v[56:57], v[98:99], v[16:17]
	v_fma_f64 v[14:15], -v[56:57], v[100:101], v[14:15]
	ds_read2_b64 v[98:101], v92 offset0:40 offset1:41
	s_waitcnt lgkmcnt(0)
	v_fma_f64 v[12:13], -v[56:57], v[102:103], v[12:13]
	v_fma_f64 v[10:11], -v[56:57], v[104:105], v[10:11]
	;; [unrolled: 1-line block ×6, first 2 shown]
.LBB82_267:
	s_or_b64 exec, exec, s[0:1]
	v_lshl_add_u32 v88, v93, 3, v92
	s_barrier
	ds_write_b64 v88, v[52:53]
	s_waitcnt lgkmcnt(0)
	s_barrier
	ds_read_b64 v[88:89], v92 offset:128
	s_cmp_lt_i32 s18, 18
	v_mov_b32_e32 v90, 16
	s_cbranch_scc1 .LBB82_270
; %bb.268:
	v_add_u32_e32 v97, 0x88, v92
	s_mov_b32 s0, 17
	v_mov_b32_e32 v90, 16
.LBB82_269:                             ; =>This Inner Loop Header: Depth=1
	ds_read_b64 v[98:99], v97
	v_mov_b32_e32 v100, s0
	s_add_i32 s0, s0, 1
	v_add_u32_e32 v97, 8, v97
	s_cmp_lg_u32 s18, s0
	s_waitcnt lgkmcnt(0)
	v_cmp_lt_f64_e64 vcc, |v[88:89]|, |v[98:99]|
	v_cndmask_b32_e32 v89, v89, v99, vcc
	v_cndmask_b32_e32 v88, v88, v98, vcc
	;; [unrolled: 1-line block ×3, first 2 shown]
	s_cbranch_scc1 .LBB82_269
.LBB82_270:
	s_waitcnt lgkmcnt(0)
	v_cmp_eq_f64_e32 vcc, 0, v[88:89]
	s_and_saveexec_b64 s[0:1], vcc
	s_xor_b64 s[0:1], exec, s[0:1]
; %bb.271:
	v_cmp_ne_u32_e32 vcc, 0, v96
	v_cndmask_b32_e32 v96, 17, v96, vcc
; %bb.272:
	s_andn2_saveexec_b64 s[0:1], s[0:1]
; %bb.273:
	v_div_scale_f64 v[98:99], s[2:3], v[88:89], v[88:89], 1.0
	v_rcp_f64_e32 v[100:101], v[98:99]
	v_div_scale_f64 v[102:103], vcc, 1.0, v[88:89], 1.0
	v_fma_f64 v[104:105], -v[98:99], v[100:101], 1.0
	v_fmac_f64_e32 v[100:101], v[100:101], v[104:105]
	v_fma_f64 v[104:105], -v[98:99], v[100:101], 1.0
	v_fmac_f64_e32 v[100:101], v[100:101], v[104:105]
	v_mul_f64 v[104:105], v[102:103], v[100:101]
	v_fma_f64 v[98:99], -v[98:99], v[104:105], v[102:103]
	v_div_fmas_f64 v[98:99], v[98:99], v[100:101], v[104:105]
	v_div_fixup_f64 v[88:89], v[98:99], v[88:89], 1.0
; %bb.274:
	s_or_b64 exec, exec, s[0:1]
	v_cmp_ne_u32_e32 vcc, v93, v90
	s_and_saveexec_b64 s[0:1], vcc
	s_xor_b64 s[0:1], exec, s[0:1]
	s_cbranch_execz .LBB82_280
; %bb.275:
	v_cmp_eq_u32_e32 vcc, 16, v93
	s_and_saveexec_b64 s[2:3], vcc
	s_cbranch_execz .LBB82_279
; %bb.276:
	v_cmp_ne_u32_e32 vcc, 16, v90
	s_xor_b64 s[14:15], s[6:7], -1
	s_and_b64 s[16:17], s[14:15], vcc
	s_and_saveexec_b64 s[14:15], s[16:17]
	s_cbranch_execz .LBB82_278
; %bb.277:
	v_ashrrev_i32_e32 v91, 31, v90
	v_lshlrev_b64 v[98:99], 2, v[90:91]
	v_add_co_u32_e32 v98, vcc, v4, v98
	v_addc_co_u32_e32 v99, vcc, v5, v99, vcc
	flat_load_dword v91, v[98:99]
	flat_load_dword v93, v[4:5] offset:64
	s_waitcnt vmcnt(0) lgkmcnt(0)
	flat_store_dword v[4:5], v91 offset:64
	flat_store_dword v[98:99], v93
.LBB82_278:
	s_or_b64 exec, exec, s[14:15]
	v_mov_b32_e32 v91, v90
	v_mov_b32_e32 v93, v90
.LBB82_279:
	s_or_b64 exec, exec, s[2:3]
.LBB82_280:
	s_andn2_saveexec_b64 s[0:1], s[0:1]
	s_cbranch_execz .LBB82_282
; %bb.281:
	v_mov_b32_e32 v93, 16
	ds_write2_b64 v92, v[50:51], v[48:49] offset0:17 offset1:18
	ds_write2_b64 v92, v[46:47], v[44:45] offset0:19 offset1:20
	;; [unrolled: 1-line block ×12, first 2 shown]
	ds_write_b64 v92, v[86:87] offset:328
.LBB82_282:
	s_or_b64 exec, exec, s[0:1]
	v_cmp_lt_i32_e32 vcc, 16, v93
	s_waitcnt lgkmcnt(0)
	s_barrier
	s_and_saveexec_b64 s[0:1], vcc
	s_cbranch_execz .LBB82_284
; %bb.283:
	ds_read2_b64 v[98:101], v92 offset0:17 offset1:18
	ds_read2_b64 v[102:105], v92 offset0:19 offset1:20
	;; [unrolled: 1-line block ×3, first 2 shown]
	v_mul_f64 v[52:53], v[88:89], v[52:53]
	ds_read_b64 v[88:89], v92 offset:328
	s_waitcnt lgkmcnt(0)
	v_fma_f64 v[50:51], -v[52:53], v[98:99], v[50:51]
	v_fma_f64 v[48:49], -v[52:53], v[100:101], v[48:49]
	ds_read2_b64 v[98:101], v92 offset0:23 offset1:24
	v_fma_f64 v[46:47], -v[52:53], v[102:103], v[46:47]
	v_fma_f64 v[44:45], -v[52:53], v[104:105], v[44:45]
	;; [unrolled: 1-line block ×3, first 2 shown]
	ds_read2_b64 v[102:105], v92 offset0:25 offset1:26
	v_fma_f64 v[40:41], -v[52:53], v[108:109], v[40:41]
	ds_read2_b64 v[106:109], v92 offset0:27 offset1:28
	s_waitcnt lgkmcnt(0)
	v_fma_f64 v[38:39], -v[52:53], v[98:99], v[38:39]
	v_fma_f64 v[36:37], -v[52:53], v[100:101], v[36:37]
	v_fma_f64 v[34:35], -v[52:53], v[102:103], v[34:35]
	ds_read2_b64 v[98:101], v92 offset0:29 offset1:30
	v_fma_f64 v[32:33], -v[52:53], v[104:105], v[32:33]
	ds_read2_b64 v[102:105], v92 offset0:31 offset1:32
	v_fma_f64 v[30:31], -v[52:53], v[106:107], v[30:31]
	v_fma_f64 v[28:29], -v[52:53], v[108:109], v[28:29]
	ds_read2_b64 v[106:109], v92 offset0:33 offset1:34
	s_waitcnt lgkmcnt(0)
	v_fma_f64 v[24:25], -v[52:53], v[98:99], v[24:25]
	v_fma_f64 v[26:27], -v[52:53], v[100:101], v[26:27]
	ds_read2_b64 v[98:101], v92 offset0:35 offset1:36
	v_fma_f64 v[22:23], -v[52:53], v[102:103], v[22:23]
	v_fma_f64 v[20:21], -v[52:53], v[104:105], v[20:21]
	;; [unrolled: 1-line block ×4, first 2 shown]
	ds_read2_b64 v[102:105], v92 offset0:37 offset1:38
	ds_read2_b64 v[106:109], v92 offset0:39 offset1:40
	s_waitcnt lgkmcnt(0)
	v_fma_f64 v[14:15], -v[52:53], v[98:99], v[14:15]
	v_fma_f64 v[12:13], -v[52:53], v[100:101], v[12:13]
	;; [unrolled: 1-line block ×7, first 2 shown]
.LBB82_284:
	s_or_b64 exec, exec, s[0:1]
	v_lshl_add_u32 v88, v93, 3, v92
	s_barrier
	ds_write_b64 v88, v[50:51]
	s_waitcnt lgkmcnt(0)
	s_barrier
	ds_read_b64 v[88:89], v92 offset:136
	s_cmp_lt_i32 s18, 19
	v_mov_b32_e32 v90, 17
	s_cbranch_scc1 .LBB82_287
; %bb.285:
	v_add_u32_e32 v97, 0x90, v92
	s_mov_b32 s0, 18
	v_mov_b32_e32 v90, 17
.LBB82_286:                             ; =>This Inner Loop Header: Depth=1
	ds_read_b64 v[98:99], v97
	v_mov_b32_e32 v100, s0
	s_add_i32 s0, s0, 1
	v_add_u32_e32 v97, 8, v97
	s_cmp_lg_u32 s18, s0
	s_waitcnt lgkmcnt(0)
	v_cmp_lt_f64_e64 vcc, |v[88:89]|, |v[98:99]|
	v_cndmask_b32_e32 v89, v89, v99, vcc
	v_cndmask_b32_e32 v88, v88, v98, vcc
	;; [unrolled: 1-line block ×3, first 2 shown]
	s_cbranch_scc1 .LBB82_286
.LBB82_287:
	s_waitcnt lgkmcnt(0)
	v_cmp_eq_f64_e32 vcc, 0, v[88:89]
	s_and_saveexec_b64 s[0:1], vcc
	s_xor_b64 s[0:1], exec, s[0:1]
; %bb.288:
	v_cmp_ne_u32_e32 vcc, 0, v96
	v_cndmask_b32_e32 v96, 18, v96, vcc
; %bb.289:
	s_andn2_saveexec_b64 s[0:1], s[0:1]
; %bb.290:
	v_div_scale_f64 v[98:99], s[2:3], v[88:89], v[88:89], 1.0
	v_rcp_f64_e32 v[100:101], v[98:99]
	v_div_scale_f64 v[102:103], vcc, 1.0, v[88:89], 1.0
	v_fma_f64 v[104:105], -v[98:99], v[100:101], 1.0
	v_fmac_f64_e32 v[100:101], v[100:101], v[104:105]
	v_fma_f64 v[104:105], -v[98:99], v[100:101], 1.0
	v_fmac_f64_e32 v[100:101], v[100:101], v[104:105]
	v_mul_f64 v[104:105], v[102:103], v[100:101]
	v_fma_f64 v[98:99], -v[98:99], v[104:105], v[102:103]
	v_div_fmas_f64 v[98:99], v[98:99], v[100:101], v[104:105]
	v_div_fixup_f64 v[88:89], v[98:99], v[88:89], 1.0
; %bb.291:
	s_or_b64 exec, exec, s[0:1]
	v_cmp_ne_u32_e32 vcc, v93, v90
	s_and_saveexec_b64 s[0:1], vcc
	s_xor_b64 s[0:1], exec, s[0:1]
	s_cbranch_execz .LBB82_297
; %bb.292:
	v_cmp_eq_u32_e32 vcc, 17, v93
	s_and_saveexec_b64 s[2:3], vcc
	s_cbranch_execz .LBB82_296
; %bb.293:
	v_cmp_ne_u32_e32 vcc, 17, v90
	s_xor_b64 s[14:15], s[6:7], -1
	s_and_b64 s[16:17], s[14:15], vcc
	s_and_saveexec_b64 s[14:15], s[16:17]
	s_cbranch_execz .LBB82_295
; %bb.294:
	v_ashrrev_i32_e32 v91, 31, v90
	v_lshlrev_b64 v[98:99], 2, v[90:91]
	v_add_co_u32_e32 v98, vcc, v4, v98
	v_addc_co_u32_e32 v99, vcc, v5, v99, vcc
	flat_load_dword v91, v[98:99]
	flat_load_dword v93, v[4:5] offset:68
	s_waitcnt vmcnt(0) lgkmcnt(0)
	flat_store_dword v[4:5], v91 offset:68
	flat_store_dword v[98:99], v93
.LBB82_295:
	s_or_b64 exec, exec, s[14:15]
	v_mov_b32_e32 v91, v90
	v_mov_b32_e32 v93, v90
.LBB82_296:
	s_or_b64 exec, exec, s[2:3]
.LBB82_297:
	s_andn2_saveexec_b64 s[0:1], s[0:1]
	s_cbranch_execz .LBB82_299
; %bb.298:
	v_mov_b32_e32 v98, v48
	v_mov_b32_e32 v99, v49
	v_mov_b32_e32 v100, v46
	v_mov_b32_e32 v101, v47
	ds_write2_b64 v92, v[98:99], v[100:101] offset0:18 offset1:19
	v_mov_b32_e32 v98, v44
	v_mov_b32_e32 v99, v45
	v_mov_b32_e32 v100, v42
	v_mov_b32_e32 v101, v43
	ds_write2_b64 v92, v[98:99], v[100:101] offset0:20 offset1:21
	;; [unrolled: 5-line block ×11, first 2 shown]
	v_mov_b32_e32 v98, v0
	v_mov_b32_e32 v99, v1
	;; [unrolled: 1-line block ×3, first 2 shown]
	ds_write2_b64 v92, v[98:99], v[86:87] offset0:40 offset1:41
.LBB82_299:
	s_or_b64 exec, exec, s[0:1]
	v_cmp_lt_i32_e32 vcc, 17, v93
	s_waitcnt lgkmcnt(0)
	s_barrier
	s_and_saveexec_b64 s[0:1], vcc
	s_cbranch_execz .LBB82_301
; %bb.300:
	ds_read2_b64 v[98:101], v92 offset0:18 offset1:19
	ds_read2_b64 v[102:105], v92 offset0:20 offset1:21
	;; [unrolled: 1-line block ×3, first 2 shown]
	v_mul_f64 v[50:51], v[88:89], v[50:51]
	s_waitcnt lgkmcnt(0)
	v_fma_f64 v[48:49], -v[50:51], v[98:99], v[48:49]
	v_fma_f64 v[46:47], -v[50:51], v[100:101], v[46:47]
	ds_read2_b64 v[98:101], v92 offset0:24 offset1:25
	v_fma_f64 v[44:45], -v[50:51], v[102:103], v[44:45]
	v_fma_f64 v[42:43], -v[50:51], v[104:105], v[42:43]
	;; [unrolled: 1-line block ×3, first 2 shown]
	ds_read2_b64 v[102:105], v92 offset0:26 offset1:27
	v_fma_f64 v[38:39], -v[50:51], v[108:109], v[38:39]
	ds_read2_b64 v[106:109], v92 offset0:28 offset1:29
	s_waitcnt lgkmcnt(0)
	v_fma_f64 v[36:37], -v[50:51], v[98:99], v[36:37]
	v_fma_f64 v[34:35], -v[50:51], v[100:101], v[34:35]
	;; [unrolled: 1-line block ×3, first 2 shown]
	ds_read2_b64 v[98:101], v92 offset0:30 offset1:31
	v_fma_f64 v[30:31], -v[50:51], v[104:105], v[30:31]
	ds_read2_b64 v[102:105], v92 offset0:32 offset1:33
	v_fma_f64 v[28:29], -v[50:51], v[106:107], v[28:29]
	v_fma_f64 v[24:25], -v[50:51], v[108:109], v[24:25]
	ds_read2_b64 v[106:109], v92 offset0:34 offset1:35
	s_waitcnt lgkmcnt(0)
	v_fma_f64 v[26:27], -v[50:51], v[98:99], v[26:27]
	v_fma_f64 v[22:23], -v[50:51], v[100:101], v[22:23]
	ds_read2_b64 v[98:101], v92 offset0:36 offset1:37
	v_fma_f64 v[20:21], -v[50:51], v[102:103], v[20:21]
	v_fma_f64 v[18:19], -v[50:51], v[104:105], v[18:19]
	;; [unrolled: 1-line block ×3, first 2 shown]
	ds_read2_b64 v[102:105], v92 offset0:38 offset1:39
	v_fma_f64 v[14:15], -v[50:51], v[108:109], v[14:15]
	ds_read2_b64 v[106:109], v92 offset0:40 offset1:41
	s_waitcnt lgkmcnt(0)
	v_fma_f64 v[12:13], -v[50:51], v[98:99], v[12:13]
	v_fma_f64 v[10:11], -v[50:51], v[100:101], v[10:11]
	;; [unrolled: 1-line block ×6, first 2 shown]
.LBB82_301:
	s_or_b64 exec, exec, s[0:1]
	v_lshl_add_u32 v88, v93, 3, v92
	s_barrier
	ds_write_b64 v88, v[48:49]
	s_waitcnt lgkmcnt(0)
	s_barrier
	ds_read_b64 v[88:89], v92 offset:144
	s_cmp_lt_i32 s18, 20
	v_mov_b32_e32 v90, 18
	s_cbranch_scc1 .LBB82_304
; %bb.302:
	v_add_u32_e32 v97, 0x98, v92
	s_mov_b32 s0, 19
	v_mov_b32_e32 v90, 18
.LBB82_303:                             ; =>This Inner Loop Header: Depth=1
	ds_read_b64 v[98:99], v97
	v_mov_b32_e32 v100, s0
	s_add_i32 s0, s0, 1
	v_add_u32_e32 v97, 8, v97
	s_cmp_lg_u32 s18, s0
	s_waitcnt lgkmcnt(0)
	v_cmp_lt_f64_e64 vcc, |v[88:89]|, |v[98:99]|
	v_cndmask_b32_e32 v89, v89, v99, vcc
	v_cndmask_b32_e32 v88, v88, v98, vcc
	;; [unrolled: 1-line block ×3, first 2 shown]
	s_cbranch_scc1 .LBB82_303
.LBB82_304:
	s_waitcnt lgkmcnt(0)
	v_cmp_eq_f64_e32 vcc, 0, v[88:89]
	s_and_saveexec_b64 s[0:1], vcc
	s_xor_b64 s[0:1], exec, s[0:1]
; %bb.305:
	v_cmp_ne_u32_e32 vcc, 0, v96
	v_cndmask_b32_e32 v96, 19, v96, vcc
; %bb.306:
	s_andn2_saveexec_b64 s[0:1], s[0:1]
; %bb.307:
	v_div_scale_f64 v[98:99], s[2:3], v[88:89], v[88:89], 1.0
	v_rcp_f64_e32 v[100:101], v[98:99]
	v_div_scale_f64 v[102:103], vcc, 1.0, v[88:89], 1.0
	v_fma_f64 v[104:105], -v[98:99], v[100:101], 1.0
	v_fmac_f64_e32 v[100:101], v[100:101], v[104:105]
	v_fma_f64 v[104:105], -v[98:99], v[100:101], 1.0
	v_fmac_f64_e32 v[100:101], v[100:101], v[104:105]
	v_mul_f64 v[104:105], v[102:103], v[100:101]
	v_fma_f64 v[98:99], -v[98:99], v[104:105], v[102:103]
	v_div_fmas_f64 v[98:99], v[98:99], v[100:101], v[104:105]
	v_div_fixup_f64 v[88:89], v[98:99], v[88:89], 1.0
; %bb.308:
	s_or_b64 exec, exec, s[0:1]
	v_cmp_ne_u32_e32 vcc, v93, v90
	s_and_saveexec_b64 s[0:1], vcc
	s_xor_b64 s[0:1], exec, s[0:1]
	s_cbranch_execz .LBB82_314
; %bb.309:
	v_cmp_eq_u32_e32 vcc, 18, v93
	s_and_saveexec_b64 s[2:3], vcc
	s_cbranch_execz .LBB82_313
; %bb.310:
	v_cmp_ne_u32_e32 vcc, 18, v90
	s_xor_b64 s[14:15], s[6:7], -1
	s_and_b64 s[16:17], s[14:15], vcc
	s_and_saveexec_b64 s[14:15], s[16:17]
	s_cbranch_execz .LBB82_312
; %bb.311:
	v_ashrrev_i32_e32 v91, 31, v90
	v_lshlrev_b64 v[98:99], 2, v[90:91]
	v_add_co_u32_e32 v98, vcc, v4, v98
	v_addc_co_u32_e32 v99, vcc, v5, v99, vcc
	flat_load_dword v91, v[98:99]
	flat_load_dword v93, v[4:5] offset:72
	s_waitcnt vmcnt(0) lgkmcnt(0)
	flat_store_dword v[4:5], v91 offset:72
	flat_store_dword v[98:99], v93
.LBB82_312:
	s_or_b64 exec, exec, s[14:15]
	v_mov_b32_e32 v91, v90
	v_mov_b32_e32 v93, v90
.LBB82_313:
	s_or_b64 exec, exec, s[2:3]
.LBB82_314:
	s_andn2_saveexec_b64 s[0:1], s[0:1]
	s_cbranch_execz .LBB82_316
; %bb.315:
	v_mov_b32_e32 v93, 18
	ds_write2_b64 v92, v[46:47], v[44:45] offset0:19 offset1:20
	ds_write2_b64 v92, v[42:43], v[40:41] offset0:21 offset1:22
	;; [unrolled: 1-line block ×11, first 2 shown]
	ds_write_b64 v92, v[86:87] offset:328
.LBB82_316:
	s_or_b64 exec, exec, s[0:1]
	v_cmp_lt_i32_e32 vcc, 18, v93
	s_waitcnt lgkmcnt(0)
	s_barrier
	s_and_saveexec_b64 s[0:1], vcc
	s_cbranch_execz .LBB82_318
; %bb.317:
	ds_read2_b64 v[98:101], v92 offset0:19 offset1:20
	ds_read2_b64 v[102:105], v92 offset0:21 offset1:22
	v_mul_f64 v[48:49], v[88:89], v[48:49]
	ds_read2_b64 v[106:109], v92 offset0:23 offset1:24
	ds_read_b64 v[88:89], v92 offset:328
	s_waitcnt lgkmcnt(0)
	v_fma_f64 v[46:47], -v[48:49], v[98:99], v[46:47]
	v_fma_f64 v[44:45], -v[48:49], v[100:101], v[44:45]
	ds_read2_b64 v[98:101], v92 offset0:25 offset1:26
	v_fma_f64 v[42:43], -v[48:49], v[102:103], v[42:43]
	v_fma_f64 v[40:41], -v[48:49], v[104:105], v[40:41]
	ds_read2_b64 v[102:105], v92 offset0:27 offset1:28
	;; [unrolled: 3-line block ×3, first 2 shown]
	s_waitcnt lgkmcnt(0)
	v_fma_f64 v[34:35], -v[48:49], v[98:99], v[34:35]
	v_fma_f64 v[32:33], -v[48:49], v[100:101], v[32:33]
	;; [unrolled: 1-line block ×3, first 2 shown]
	ds_read2_b64 v[98:101], v92 offset0:31 offset1:32
	v_fma_f64 v[28:29], -v[48:49], v[104:105], v[28:29]
	ds_read2_b64 v[102:105], v92 offset0:33 offset1:34
	v_fma_f64 v[24:25], -v[48:49], v[106:107], v[24:25]
	v_fma_f64 v[26:27], -v[48:49], v[108:109], v[26:27]
	s_waitcnt lgkmcnt(0)
	v_fma_f64 v[22:23], -v[48:49], v[98:99], v[22:23]
	ds_read2_b64 v[106:109], v92 offset0:35 offset1:36
	v_fma_f64 v[20:21], -v[48:49], v[100:101], v[20:21]
	ds_read2_b64 v[98:101], v92 offset0:37 offset1:38
	v_fma_f64 v[18:19], -v[48:49], v[102:103], v[18:19]
	v_fma_f64 v[16:17], -v[48:49], v[104:105], v[16:17]
	ds_read2_b64 v[102:105], v92 offset0:39 offset1:40
	s_waitcnt lgkmcnt(0)
	v_fma_f64 v[14:15], -v[48:49], v[106:107], v[14:15]
	v_fma_f64 v[12:13], -v[48:49], v[108:109], v[12:13]
	;; [unrolled: 1-line block ×7, first 2 shown]
.LBB82_318:
	s_or_b64 exec, exec, s[0:1]
	v_lshl_add_u32 v88, v93, 3, v92
	s_barrier
	ds_write_b64 v88, v[46:47]
	s_waitcnt lgkmcnt(0)
	s_barrier
	ds_read_b64 v[88:89], v92 offset:152
	s_cmp_lt_i32 s18, 21
	v_mov_b32_e32 v90, 19
	s_cbranch_scc1 .LBB82_321
; %bb.319:
	v_add_u32_e32 v97, 0xa0, v92
	s_mov_b32 s0, 20
	v_mov_b32_e32 v90, 19
.LBB82_320:                             ; =>This Inner Loop Header: Depth=1
	ds_read_b64 v[98:99], v97
	v_mov_b32_e32 v100, s0
	s_add_i32 s0, s0, 1
	v_add_u32_e32 v97, 8, v97
	s_cmp_lg_u32 s18, s0
	s_waitcnt lgkmcnt(0)
	v_cmp_lt_f64_e64 vcc, |v[88:89]|, |v[98:99]|
	v_cndmask_b32_e32 v89, v89, v99, vcc
	v_cndmask_b32_e32 v88, v88, v98, vcc
	;; [unrolled: 1-line block ×3, first 2 shown]
	s_cbranch_scc1 .LBB82_320
.LBB82_321:
	s_waitcnt lgkmcnt(0)
	v_cmp_eq_f64_e32 vcc, 0, v[88:89]
	s_and_saveexec_b64 s[0:1], vcc
	s_xor_b64 s[0:1], exec, s[0:1]
; %bb.322:
	v_cmp_ne_u32_e32 vcc, 0, v96
	v_cndmask_b32_e32 v96, 20, v96, vcc
; %bb.323:
	s_andn2_saveexec_b64 s[0:1], s[0:1]
; %bb.324:
	v_div_scale_f64 v[98:99], s[2:3], v[88:89], v[88:89], 1.0
	v_rcp_f64_e32 v[100:101], v[98:99]
	v_div_scale_f64 v[102:103], vcc, 1.0, v[88:89], 1.0
	v_fma_f64 v[104:105], -v[98:99], v[100:101], 1.0
	v_fmac_f64_e32 v[100:101], v[100:101], v[104:105]
	v_fma_f64 v[104:105], -v[98:99], v[100:101], 1.0
	v_fmac_f64_e32 v[100:101], v[100:101], v[104:105]
	v_mul_f64 v[104:105], v[102:103], v[100:101]
	v_fma_f64 v[98:99], -v[98:99], v[104:105], v[102:103]
	v_div_fmas_f64 v[98:99], v[98:99], v[100:101], v[104:105]
	v_div_fixup_f64 v[88:89], v[98:99], v[88:89], 1.0
; %bb.325:
	s_or_b64 exec, exec, s[0:1]
	v_cmp_ne_u32_e32 vcc, v93, v90
	s_and_saveexec_b64 s[0:1], vcc
	s_xor_b64 s[0:1], exec, s[0:1]
	s_cbranch_execz .LBB82_331
; %bb.326:
	v_cmp_eq_u32_e32 vcc, 19, v93
	s_and_saveexec_b64 s[2:3], vcc
	s_cbranch_execz .LBB82_330
; %bb.327:
	v_cmp_ne_u32_e32 vcc, 19, v90
	s_xor_b64 s[14:15], s[6:7], -1
	s_and_b64 s[16:17], s[14:15], vcc
	s_and_saveexec_b64 s[14:15], s[16:17]
	s_cbranch_execz .LBB82_329
; %bb.328:
	v_ashrrev_i32_e32 v91, 31, v90
	v_lshlrev_b64 v[98:99], 2, v[90:91]
	v_add_co_u32_e32 v98, vcc, v4, v98
	v_addc_co_u32_e32 v99, vcc, v5, v99, vcc
	flat_load_dword v91, v[98:99]
	flat_load_dword v93, v[4:5] offset:76
	s_waitcnt vmcnt(0) lgkmcnt(0)
	flat_store_dword v[4:5], v91 offset:76
	flat_store_dword v[98:99], v93
.LBB82_329:
	s_or_b64 exec, exec, s[14:15]
	v_mov_b32_e32 v91, v90
	v_mov_b32_e32 v93, v90
.LBB82_330:
	s_or_b64 exec, exec, s[2:3]
.LBB82_331:
	s_andn2_saveexec_b64 s[0:1], s[0:1]
	s_cbranch_execz .LBB82_333
; %bb.332:
	v_mov_b32_e32 v98, v44
	v_mov_b32_e32 v99, v45
	v_mov_b32_e32 v100, v42
	v_mov_b32_e32 v101, v43
	ds_write2_b64 v92, v[98:99], v[100:101] offset0:20 offset1:21
	v_mov_b32_e32 v98, v40
	v_mov_b32_e32 v99, v41
	v_mov_b32_e32 v100, v38
	v_mov_b32_e32 v101, v39
	ds_write2_b64 v92, v[98:99], v[100:101] offset0:22 offset1:23
	;; [unrolled: 5-line block ×10, first 2 shown]
	v_mov_b32_e32 v98, v0
	v_mov_b32_e32 v99, v1
	;; [unrolled: 1-line block ×3, first 2 shown]
	ds_write2_b64 v92, v[98:99], v[86:87] offset0:40 offset1:41
.LBB82_333:
	s_or_b64 exec, exec, s[0:1]
	v_cmp_lt_i32_e32 vcc, 19, v93
	s_waitcnt lgkmcnt(0)
	s_barrier
	s_and_saveexec_b64 s[0:1], vcc
	s_cbranch_execz .LBB82_335
; %bb.334:
	ds_read2_b64 v[98:101], v92 offset0:20 offset1:21
	ds_read2_b64 v[102:105], v92 offset0:22 offset1:23
	v_mul_f64 v[46:47], v[88:89], v[46:47]
	ds_read2_b64 v[106:109], v92 offset0:24 offset1:25
	s_waitcnt lgkmcnt(0)
	v_fma_f64 v[44:45], -v[46:47], v[98:99], v[44:45]
	v_fma_f64 v[42:43], -v[46:47], v[100:101], v[42:43]
	ds_read2_b64 v[98:101], v92 offset0:26 offset1:27
	v_fma_f64 v[40:41], -v[46:47], v[102:103], v[40:41]
	v_fma_f64 v[38:39], -v[46:47], v[104:105], v[38:39]
	ds_read2_b64 v[102:105], v92 offset0:28 offset1:29
	;; [unrolled: 3-line block ×3, first 2 shown]
	s_waitcnt lgkmcnt(0)
	v_fma_f64 v[32:33], -v[46:47], v[98:99], v[32:33]
	v_fma_f64 v[30:31], -v[46:47], v[100:101], v[30:31]
	;; [unrolled: 1-line block ×3, first 2 shown]
	ds_read2_b64 v[98:101], v92 offset0:32 offset1:33
	v_fma_f64 v[24:25], -v[46:47], v[104:105], v[24:25]
	ds_read2_b64 v[102:105], v92 offset0:34 offset1:35
	v_fma_f64 v[26:27], -v[46:47], v[106:107], v[26:27]
	v_fma_f64 v[22:23], -v[46:47], v[108:109], v[22:23]
	s_waitcnt lgkmcnt(0)
	v_fma_f64 v[20:21], -v[46:47], v[98:99], v[20:21]
	v_fma_f64 v[18:19], -v[46:47], v[100:101], v[18:19]
	ds_read2_b64 v[98:101], v92 offset0:36 offset1:37
	ds_read2_b64 v[106:109], v92 offset0:38 offset1:39
	v_fma_f64 v[16:17], -v[46:47], v[102:103], v[16:17]
	v_fma_f64 v[14:15], -v[46:47], v[104:105], v[14:15]
	ds_read2_b64 v[102:105], v92 offset0:40 offset1:41
	s_waitcnt lgkmcnt(0)
	v_fma_f64 v[12:13], -v[46:47], v[98:99], v[12:13]
	v_fma_f64 v[10:11], -v[46:47], v[100:101], v[10:11]
	;; [unrolled: 1-line block ×6, first 2 shown]
.LBB82_335:
	s_or_b64 exec, exec, s[0:1]
	v_lshl_add_u32 v88, v93, 3, v92
	s_barrier
	ds_write_b64 v88, v[44:45]
	s_waitcnt lgkmcnt(0)
	s_barrier
	ds_read_b64 v[88:89], v92 offset:160
	s_cmp_lt_i32 s18, 22
	v_mov_b32_e32 v90, 20
	s_cbranch_scc1 .LBB82_338
; %bb.336:
	v_add_u32_e32 v97, 0xa8, v92
	s_mov_b32 s0, 21
	v_mov_b32_e32 v90, 20
.LBB82_337:                             ; =>This Inner Loop Header: Depth=1
	ds_read_b64 v[98:99], v97
	v_mov_b32_e32 v100, s0
	s_add_i32 s0, s0, 1
	v_add_u32_e32 v97, 8, v97
	s_cmp_lg_u32 s18, s0
	s_waitcnt lgkmcnt(0)
	v_cmp_lt_f64_e64 vcc, |v[88:89]|, |v[98:99]|
	v_cndmask_b32_e32 v89, v89, v99, vcc
	v_cndmask_b32_e32 v88, v88, v98, vcc
	;; [unrolled: 1-line block ×3, first 2 shown]
	s_cbranch_scc1 .LBB82_337
.LBB82_338:
	s_waitcnt lgkmcnt(0)
	v_cmp_eq_f64_e32 vcc, 0, v[88:89]
	s_and_saveexec_b64 s[0:1], vcc
	s_xor_b64 s[0:1], exec, s[0:1]
; %bb.339:
	v_cmp_ne_u32_e32 vcc, 0, v96
	v_cndmask_b32_e32 v96, 21, v96, vcc
; %bb.340:
	s_andn2_saveexec_b64 s[0:1], s[0:1]
; %bb.341:
	v_div_scale_f64 v[98:99], s[2:3], v[88:89], v[88:89], 1.0
	v_rcp_f64_e32 v[100:101], v[98:99]
	v_div_scale_f64 v[102:103], vcc, 1.0, v[88:89], 1.0
	v_fma_f64 v[104:105], -v[98:99], v[100:101], 1.0
	v_fmac_f64_e32 v[100:101], v[100:101], v[104:105]
	v_fma_f64 v[104:105], -v[98:99], v[100:101], 1.0
	v_fmac_f64_e32 v[100:101], v[100:101], v[104:105]
	v_mul_f64 v[104:105], v[102:103], v[100:101]
	v_fma_f64 v[98:99], -v[98:99], v[104:105], v[102:103]
	v_div_fmas_f64 v[98:99], v[98:99], v[100:101], v[104:105]
	v_div_fixup_f64 v[88:89], v[98:99], v[88:89], 1.0
; %bb.342:
	s_or_b64 exec, exec, s[0:1]
	v_cmp_ne_u32_e32 vcc, v93, v90
	s_and_saveexec_b64 s[0:1], vcc
	s_xor_b64 s[0:1], exec, s[0:1]
	s_cbranch_execz .LBB82_348
; %bb.343:
	v_cmp_eq_u32_e32 vcc, 20, v93
	s_and_saveexec_b64 s[2:3], vcc
	s_cbranch_execz .LBB82_347
; %bb.344:
	v_cmp_ne_u32_e32 vcc, 20, v90
	s_xor_b64 s[14:15], s[6:7], -1
	s_and_b64 s[16:17], s[14:15], vcc
	s_and_saveexec_b64 s[14:15], s[16:17]
	s_cbranch_execz .LBB82_346
; %bb.345:
	v_ashrrev_i32_e32 v91, 31, v90
	v_lshlrev_b64 v[98:99], 2, v[90:91]
	v_add_co_u32_e32 v98, vcc, v4, v98
	v_addc_co_u32_e32 v99, vcc, v5, v99, vcc
	flat_load_dword v91, v[98:99]
	flat_load_dword v93, v[4:5] offset:80
	s_waitcnt vmcnt(0) lgkmcnt(0)
	flat_store_dword v[4:5], v91 offset:80
	flat_store_dword v[98:99], v93
.LBB82_346:
	s_or_b64 exec, exec, s[14:15]
	v_mov_b32_e32 v91, v90
	v_mov_b32_e32 v93, v90
.LBB82_347:
	s_or_b64 exec, exec, s[2:3]
.LBB82_348:
	s_andn2_saveexec_b64 s[0:1], s[0:1]
	s_cbranch_execz .LBB82_350
; %bb.349:
	v_mov_b32_e32 v93, 20
	ds_write2_b64 v92, v[42:43], v[40:41] offset0:21 offset1:22
	ds_write2_b64 v92, v[38:39], v[36:37] offset0:23 offset1:24
	;; [unrolled: 1-line block ×10, first 2 shown]
	ds_write_b64 v92, v[86:87] offset:328
.LBB82_350:
	s_or_b64 exec, exec, s[0:1]
	v_cmp_lt_i32_e32 vcc, 20, v93
	s_waitcnt lgkmcnt(0)
	s_barrier
	s_and_saveexec_b64 s[0:1], vcc
	s_cbranch_execz .LBB82_352
; %bb.351:
	ds_read2_b64 v[98:101], v92 offset0:21 offset1:22
	ds_read2_b64 v[102:105], v92 offset0:23 offset1:24
	v_mul_f64 v[44:45], v[88:89], v[44:45]
	ds_read2_b64 v[106:109], v92 offset0:25 offset1:26
	ds_read_b64 v[88:89], v92 offset:328
	s_waitcnt lgkmcnt(0)
	v_fma_f64 v[42:43], -v[44:45], v[98:99], v[42:43]
	v_fma_f64 v[40:41], -v[44:45], v[100:101], v[40:41]
	ds_read2_b64 v[98:101], v92 offset0:27 offset1:28
	v_fma_f64 v[38:39], -v[44:45], v[102:103], v[38:39]
	v_fma_f64 v[36:37], -v[44:45], v[104:105], v[36:37]
	;; [unrolled: 1-line block ×3, first 2 shown]
	ds_read2_b64 v[102:105], v92 offset0:29 offset1:30
	v_fma_f64 v[32:33], -v[44:45], v[108:109], v[32:33]
	ds_read2_b64 v[106:109], v92 offset0:31 offset1:32
	s_waitcnt lgkmcnt(0)
	v_fma_f64 v[30:31], -v[44:45], v[98:99], v[30:31]
	v_fma_f64 v[28:29], -v[44:45], v[100:101], v[28:29]
	ds_read2_b64 v[98:101], v92 offset0:33 offset1:34
	v_fma_f64 v[24:25], -v[44:45], v[102:103], v[24:25]
	v_fma_f64 v[26:27], -v[44:45], v[104:105], v[26:27]
	ds_read2_b64 v[102:105], v92 offset0:35 offset1:36
	v_fma_f64 v[22:23], -v[44:45], v[106:107], v[22:23]
	v_fma_f64 v[20:21], -v[44:45], v[108:109], v[20:21]
	s_waitcnt lgkmcnt(0)
	v_fma_f64 v[18:19], -v[44:45], v[98:99], v[18:19]
	v_fma_f64 v[16:17], -v[44:45], v[100:101], v[16:17]
	ds_read2_b64 v[98:101], v92 offset0:37 offset1:38
	ds_read2_b64 v[106:109], v92 offset0:39 offset1:40
	v_fma_f64 v[14:15], -v[44:45], v[102:103], v[14:15]
	v_fma_f64 v[12:13], -v[44:45], v[104:105], v[12:13]
	;; [unrolled: 1-line block ×3, first 2 shown]
	s_waitcnt lgkmcnt(0)
	v_fma_f64 v[10:11], -v[44:45], v[98:99], v[10:11]
	v_fma_f64 v[8:9], -v[44:45], v[100:101], v[8:9]
	;; [unrolled: 1-line block ×4, first 2 shown]
.LBB82_352:
	s_or_b64 exec, exec, s[0:1]
	v_lshl_add_u32 v88, v93, 3, v92
	s_barrier
	ds_write_b64 v88, v[42:43]
	s_waitcnt lgkmcnt(0)
	s_barrier
	ds_read_b64 v[88:89], v92 offset:168
	s_cmp_lt_i32 s18, 23
	v_mov_b32_e32 v90, 21
	s_cbranch_scc1 .LBB82_355
; %bb.353:
	v_add_u32_e32 v97, 0xb0, v92
	s_mov_b32 s0, 22
	v_mov_b32_e32 v90, 21
.LBB82_354:                             ; =>This Inner Loop Header: Depth=1
	ds_read_b64 v[98:99], v97
	v_mov_b32_e32 v100, s0
	s_add_i32 s0, s0, 1
	v_add_u32_e32 v97, 8, v97
	s_cmp_lg_u32 s18, s0
	s_waitcnt lgkmcnt(0)
	v_cmp_lt_f64_e64 vcc, |v[88:89]|, |v[98:99]|
	v_cndmask_b32_e32 v89, v89, v99, vcc
	v_cndmask_b32_e32 v88, v88, v98, vcc
	;; [unrolled: 1-line block ×3, first 2 shown]
	s_cbranch_scc1 .LBB82_354
.LBB82_355:
	s_waitcnt lgkmcnt(0)
	v_cmp_eq_f64_e32 vcc, 0, v[88:89]
	s_and_saveexec_b64 s[0:1], vcc
	s_xor_b64 s[0:1], exec, s[0:1]
; %bb.356:
	v_cmp_ne_u32_e32 vcc, 0, v96
	v_cndmask_b32_e32 v96, 22, v96, vcc
; %bb.357:
	s_andn2_saveexec_b64 s[0:1], s[0:1]
; %bb.358:
	v_div_scale_f64 v[98:99], s[2:3], v[88:89], v[88:89], 1.0
	v_rcp_f64_e32 v[100:101], v[98:99]
	v_div_scale_f64 v[102:103], vcc, 1.0, v[88:89], 1.0
	v_fma_f64 v[104:105], -v[98:99], v[100:101], 1.0
	v_fmac_f64_e32 v[100:101], v[100:101], v[104:105]
	v_fma_f64 v[104:105], -v[98:99], v[100:101], 1.0
	v_fmac_f64_e32 v[100:101], v[100:101], v[104:105]
	v_mul_f64 v[104:105], v[102:103], v[100:101]
	v_fma_f64 v[98:99], -v[98:99], v[104:105], v[102:103]
	v_div_fmas_f64 v[98:99], v[98:99], v[100:101], v[104:105]
	v_div_fixup_f64 v[88:89], v[98:99], v[88:89], 1.0
; %bb.359:
	s_or_b64 exec, exec, s[0:1]
	v_cmp_ne_u32_e32 vcc, v93, v90
	s_and_saveexec_b64 s[0:1], vcc
	s_xor_b64 s[0:1], exec, s[0:1]
	s_cbranch_execz .LBB82_365
; %bb.360:
	v_cmp_eq_u32_e32 vcc, 21, v93
	s_and_saveexec_b64 s[2:3], vcc
	s_cbranch_execz .LBB82_364
; %bb.361:
	v_cmp_ne_u32_e32 vcc, 21, v90
	s_xor_b64 s[14:15], s[6:7], -1
	s_and_b64 s[16:17], s[14:15], vcc
	s_and_saveexec_b64 s[14:15], s[16:17]
	s_cbranch_execz .LBB82_363
; %bb.362:
	v_ashrrev_i32_e32 v91, 31, v90
	v_lshlrev_b64 v[98:99], 2, v[90:91]
	v_add_co_u32_e32 v98, vcc, v4, v98
	v_addc_co_u32_e32 v99, vcc, v5, v99, vcc
	flat_load_dword v91, v[98:99]
	flat_load_dword v93, v[4:5] offset:84
	s_waitcnt vmcnt(0) lgkmcnt(0)
	flat_store_dword v[4:5], v91 offset:84
	flat_store_dword v[98:99], v93
.LBB82_363:
	s_or_b64 exec, exec, s[14:15]
	v_mov_b32_e32 v91, v90
	v_mov_b32_e32 v93, v90
.LBB82_364:
	s_or_b64 exec, exec, s[2:3]
.LBB82_365:
	s_andn2_saveexec_b64 s[0:1], s[0:1]
	s_cbranch_execz .LBB82_367
; %bb.366:
	v_mov_b32_e32 v98, v40
	v_mov_b32_e32 v99, v41
	v_mov_b32_e32 v100, v38
	v_mov_b32_e32 v101, v39
	ds_write2_b64 v92, v[98:99], v[100:101] offset0:22 offset1:23
	v_mov_b32_e32 v98, v36
	v_mov_b32_e32 v99, v37
	v_mov_b32_e32 v100, v34
	v_mov_b32_e32 v101, v35
	ds_write2_b64 v92, v[98:99], v[100:101] offset0:24 offset1:25
	;; [unrolled: 5-line block ×9, first 2 shown]
	v_mov_b32_e32 v98, v0
	v_mov_b32_e32 v99, v1
	;; [unrolled: 1-line block ×3, first 2 shown]
	ds_write2_b64 v92, v[98:99], v[86:87] offset0:40 offset1:41
.LBB82_367:
	s_or_b64 exec, exec, s[0:1]
	v_cmp_lt_i32_e32 vcc, 21, v93
	s_waitcnt lgkmcnt(0)
	s_barrier
	s_and_saveexec_b64 s[0:1], vcc
	s_cbranch_execz .LBB82_369
; %bb.368:
	ds_read2_b64 v[98:101], v92 offset0:22 offset1:23
	ds_read2_b64 v[102:105], v92 offset0:24 offset1:25
	v_mul_f64 v[42:43], v[88:89], v[42:43]
	ds_read2_b64 v[106:109], v92 offset0:26 offset1:27
	s_waitcnt lgkmcnt(0)
	v_fma_f64 v[40:41], -v[42:43], v[98:99], v[40:41]
	v_fma_f64 v[38:39], -v[42:43], v[100:101], v[38:39]
	ds_read2_b64 v[98:101], v92 offset0:28 offset1:29
	v_fma_f64 v[36:37], -v[42:43], v[102:103], v[36:37]
	v_fma_f64 v[34:35], -v[42:43], v[104:105], v[34:35]
	v_fma_f64 v[32:33], -v[42:43], v[106:107], v[32:33]
	ds_read2_b64 v[102:105], v92 offset0:30 offset1:31
	v_fma_f64 v[30:31], -v[42:43], v[108:109], v[30:31]
	ds_read2_b64 v[106:109], v92 offset0:32 offset1:33
	s_waitcnt lgkmcnt(0)
	v_fma_f64 v[28:29], -v[42:43], v[98:99], v[28:29]
	v_fma_f64 v[24:25], -v[42:43], v[100:101], v[24:25]
	ds_read2_b64 v[98:101], v92 offset0:34 offset1:35
	v_fma_f64 v[26:27], -v[42:43], v[102:103], v[26:27]
	v_fma_f64 v[22:23], -v[42:43], v[104:105], v[22:23]
	ds_read2_b64 v[102:105], v92 offset0:36 offset1:37
	v_fma_f64 v[20:21], -v[42:43], v[106:107], v[20:21]
	v_fma_f64 v[18:19], -v[42:43], v[108:109], v[18:19]
	s_waitcnt lgkmcnt(0)
	v_fma_f64 v[16:17], -v[42:43], v[98:99], v[16:17]
	ds_read2_b64 v[106:109], v92 offset0:38 offset1:39
	v_fma_f64 v[14:15], -v[42:43], v[100:101], v[14:15]
	ds_read2_b64 v[98:101], v92 offset0:40 offset1:41
	v_fma_f64 v[12:13], -v[42:43], v[102:103], v[12:13]
	v_fma_f64 v[10:11], -v[42:43], v[104:105], v[10:11]
	s_waitcnt lgkmcnt(0)
	v_fma_f64 v[8:9], -v[42:43], v[106:107], v[8:9]
	v_fma_f64 v[6:7], -v[42:43], v[108:109], v[6:7]
	;; [unrolled: 1-line block ×4, first 2 shown]
.LBB82_369:
	s_or_b64 exec, exec, s[0:1]
	v_lshl_add_u32 v88, v93, 3, v92
	s_barrier
	ds_write_b64 v88, v[40:41]
	s_waitcnt lgkmcnt(0)
	s_barrier
	ds_read_b64 v[88:89], v92 offset:176
	s_cmp_lt_i32 s18, 24
	v_mov_b32_e32 v90, 22
	s_cbranch_scc1 .LBB82_372
; %bb.370:
	v_add_u32_e32 v97, 0xb8, v92
	s_mov_b32 s0, 23
	v_mov_b32_e32 v90, 22
.LBB82_371:                             ; =>This Inner Loop Header: Depth=1
	ds_read_b64 v[98:99], v97
	v_mov_b32_e32 v100, s0
	s_add_i32 s0, s0, 1
	v_add_u32_e32 v97, 8, v97
	s_cmp_lg_u32 s18, s0
	s_waitcnt lgkmcnt(0)
	v_cmp_lt_f64_e64 vcc, |v[88:89]|, |v[98:99]|
	v_cndmask_b32_e32 v89, v89, v99, vcc
	v_cndmask_b32_e32 v88, v88, v98, vcc
	;; [unrolled: 1-line block ×3, first 2 shown]
	s_cbranch_scc1 .LBB82_371
.LBB82_372:
	s_waitcnt lgkmcnt(0)
	v_cmp_eq_f64_e32 vcc, 0, v[88:89]
	s_and_saveexec_b64 s[0:1], vcc
	s_xor_b64 s[0:1], exec, s[0:1]
; %bb.373:
	v_cmp_ne_u32_e32 vcc, 0, v96
	v_cndmask_b32_e32 v96, 23, v96, vcc
; %bb.374:
	s_andn2_saveexec_b64 s[0:1], s[0:1]
; %bb.375:
	v_div_scale_f64 v[98:99], s[2:3], v[88:89], v[88:89], 1.0
	v_rcp_f64_e32 v[100:101], v[98:99]
	v_div_scale_f64 v[102:103], vcc, 1.0, v[88:89], 1.0
	v_fma_f64 v[104:105], -v[98:99], v[100:101], 1.0
	v_fmac_f64_e32 v[100:101], v[100:101], v[104:105]
	v_fma_f64 v[104:105], -v[98:99], v[100:101], 1.0
	v_fmac_f64_e32 v[100:101], v[100:101], v[104:105]
	v_mul_f64 v[104:105], v[102:103], v[100:101]
	v_fma_f64 v[98:99], -v[98:99], v[104:105], v[102:103]
	v_div_fmas_f64 v[98:99], v[98:99], v[100:101], v[104:105]
	v_div_fixup_f64 v[88:89], v[98:99], v[88:89], 1.0
; %bb.376:
	s_or_b64 exec, exec, s[0:1]
	v_cmp_ne_u32_e32 vcc, v93, v90
	s_and_saveexec_b64 s[0:1], vcc
	s_xor_b64 s[0:1], exec, s[0:1]
	s_cbranch_execz .LBB82_382
; %bb.377:
	v_cmp_eq_u32_e32 vcc, 22, v93
	s_and_saveexec_b64 s[2:3], vcc
	s_cbranch_execz .LBB82_381
; %bb.378:
	v_cmp_ne_u32_e32 vcc, 22, v90
	s_xor_b64 s[14:15], s[6:7], -1
	s_and_b64 s[16:17], s[14:15], vcc
	s_and_saveexec_b64 s[14:15], s[16:17]
	s_cbranch_execz .LBB82_380
; %bb.379:
	v_ashrrev_i32_e32 v91, 31, v90
	v_lshlrev_b64 v[98:99], 2, v[90:91]
	v_add_co_u32_e32 v98, vcc, v4, v98
	v_addc_co_u32_e32 v99, vcc, v5, v99, vcc
	flat_load_dword v91, v[98:99]
	flat_load_dword v93, v[4:5] offset:88
	s_waitcnt vmcnt(0) lgkmcnt(0)
	flat_store_dword v[4:5], v91 offset:88
	flat_store_dword v[98:99], v93
.LBB82_380:
	s_or_b64 exec, exec, s[14:15]
	v_mov_b32_e32 v91, v90
	v_mov_b32_e32 v93, v90
.LBB82_381:
	s_or_b64 exec, exec, s[2:3]
.LBB82_382:
	s_andn2_saveexec_b64 s[0:1], s[0:1]
	s_cbranch_execz .LBB82_384
; %bb.383:
	v_mov_b32_e32 v93, 22
	ds_write2_b64 v92, v[38:39], v[36:37] offset0:23 offset1:24
	ds_write2_b64 v92, v[34:35], v[32:33] offset0:25 offset1:26
	;; [unrolled: 1-line block ×9, first 2 shown]
	ds_write_b64 v92, v[86:87] offset:328
.LBB82_384:
	s_or_b64 exec, exec, s[0:1]
	v_cmp_lt_i32_e32 vcc, 22, v93
	s_waitcnt lgkmcnt(0)
	s_barrier
	s_and_saveexec_b64 s[0:1], vcc
	s_cbranch_execz .LBB82_386
; %bb.385:
	ds_read2_b64 v[98:101], v92 offset0:23 offset1:24
	ds_read2_b64 v[102:105], v92 offset0:25 offset1:26
	;; [unrolled: 1-line block ×3, first 2 shown]
	v_mul_f64 v[40:41], v[88:89], v[40:41]
	ds_read_b64 v[88:89], v92 offset:328
	s_waitcnt lgkmcnt(0)
	v_fma_f64 v[38:39], -v[40:41], v[98:99], v[38:39]
	v_fma_f64 v[36:37], -v[40:41], v[100:101], v[36:37]
	ds_read2_b64 v[98:101], v92 offset0:29 offset1:30
	v_fma_f64 v[34:35], -v[40:41], v[102:103], v[34:35]
	v_fma_f64 v[32:33], -v[40:41], v[104:105], v[32:33]
	;; [unrolled: 1-line block ×3, first 2 shown]
	ds_read2_b64 v[102:105], v92 offset0:31 offset1:32
	v_fma_f64 v[28:29], -v[40:41], v[108:109], v[28:29]
	ds_read2_b64 v[106:109], v92 offset0:33 offset1:34
	s_waitcnt lgkmcnt(0)
	v_fma_f64 v[24:25], -v[40:41], v[98:99], v[24:25]
	v_fma_f64 v[26:27], -v[40:41], v[100:101], v[26:27]
	;; [unrolled: 1-line block ×3, first 2 shown]
	ds_read2_b64 v[98:101], v92 offset0:35 offset1:36
	v_fma_f64 v[20:21], -v[40:41], v[104:105], v[20:21]
	ds_read2_b64 v[102:105], v92 offset0:37 offset1:38
	v_fma_f64 v[18:19], -v[40:41], v[106:107], v[18:19]
	v_fma_f64 v[16:17], -v[40:41], v[108:109], v[16:17]
	ds_read2_b64 v[106:109], v92 offset0:39 offset1:40
	s_waitcnt lgkmcnt(0)
	v_fma_f64 v[14:15], -v[40:41], v[98:99], v[14:15]
	v_fma_f64 v[12:13], -v[40:41], v[100:101], v[12:13]
	;; [unrolled: 1-line block ×7, first 2 shown]
.LBB82_386:
	s_or_b64 exec, exec, s[0:1]
	v_lshl_add_u32 v88, v93, 3, v92
	s_barrier
	ds_write_b64 v88, v[38:39]
	s_waitcnt lgkmcnt(0)
	s_barrier
	ds_read_b64 v[88:89], v92 offset:184
	s_cmp_lt_i32 s18, 25
	v_mov_b32_e32 v90, 23
	s_cbranch_scc1 .LBB82_389
; %bb.387:
	v_add_u32_e32 v97, 0xc0, v92
	s_mov_b32 s0, 24
	v_mov_b32_e32 v90, 23
.LBB82_388:                             ; =>This Inner Loop Header: Depth=1
	ds_read_b64 v[98:99], v97
	v_mov_b32_e32 v100, s0
	s_add_i32 s0, s0, 1
	v_add_u32_e32 v97, 8, v97
	s_cmp_lg_u32 s18, s0
	s_waitcnt lgkmcnt(0)
	v_cmp_lt_f64_e64 vcc, |v[88:89]|, |v[98:99]|
	v_cndmask_b32_e32 v89, v89, v99, vcc
	v_cndmask_b32_e32 v88, v88, v98, vcc
	v_cndmask_b32_e32 v90, v90, v100, vcc
	s_cbranch_scc1 .LBB82_388
.LBB82_389:
	s_waitcnt lgkmcnt(0)
	v_cmp_eq_f64_e32 vcc, 0, v[88:89]
	s_and_saveexec_b64 s[0:1], vcc
	s_xor_b64 s[0:1], exec, s[0:1]
; %bb.390:
	v_cmp_ne_u32_e32 vcc, 0, v96
	v_cndmask_b32_e32 v96, 24, v96, vcc
; %bb.391:
	s_andn2_saveexec_b64 s[0:1], s[0:1]
; %bb.392:
	v_div_scale_f64 v[98:99], s[2:3], v[88:89], v[88:89], 1.0
	v_rcp_f64_e32 v[100:101], v[98:99]
	v_div_scale_f64 v[102:103], vcc, 1.0, v[88:89], 1.0
	v_fma_f64 v[104:105], -v[98:99], v[100:101], 1.0
	v_fmac_f64_e32 v[100:101], v[100:101], v[104:105]
	v_fma_f64 v[104:105], -v[98:99], v[100:101], 1.0
	v_fmac_f64_e32 v[100:101], v[100:101], v[104:105]
	v_mul_f64 v[104:105], v[102:103], v[100:101]
	v_fma_f64 v[98:99], -v[98:99], v[104:105], v[102:103]
	v_div_fmas_f64 v[98:99], v[98:99], v[100:101], v[104:105]
	v_div_fixup_f64 v[88:89], v[98:99], v[88:89], 1.0
; %bb.393:
	s_or_b64 exec, exec, s[0:1]
	v_cmp_ne_u32_e32 vcc, v93, v90
	s_and_saveexec_b64 s[0:1], vcc
	s_xor_b64 s[0:1], exec, s[0:1]
	s_cbranch_execz .LBB82_399
; %bb.394:
	v_cmp_eq_u32_e32 vcc, 23, v93
	s_and_saveexec_b64 s[2:3], vcc
	s_cbranch_execz .LBB82_398
; %bb.395:
	v_cmp_ne_u32_e32 vcc, 23, v90
	s_xor_b64 s[14:15], s[6:7], -1
	s_and_b64 s[16:17], s[14:15], vcc
	s_and_saveexec_b64 s[14:15], s[16:17]
	s_cbranch_execz .LBB82_397
; %bb.396:
	v_ashrrev_i32_e32 v91, 31, v90
	v_lshlrev_b64 v[98:99], 2, v[90:91]
	v_add_co_u32_e32 v98, vcc, v4, v98
	v_addc_co_u32_e32 v99, vcc, v5, v99, vcc
	flat_load_dword v91, v[98:99]
	flat_load_dword v93, v[4:5] offset:92
	s_waitcnt vmcnt(0) lgkmcnt(0)
	flat_store_dword v[4:5], v91 offset:92
	flat_store_dword v[98:99], v93
.LBB82_397:
	s_or_b64 exec, exec, s[14:15]
	v_mov_b32_e32 v91, v90
	v_mov_b32_e32 v93, v90
.LBB82_398:
	s_or_b64 exec, exec, s[2:3]
.LBB82_399:
	s_andn2_saveexec_b64 s[0:1], s[0:1]
	s_cbranch_execz .LBB82_401
; %bb.400:
	v_mov_b32_e32 v98, v36
	v_mov_b32_e32 v99, v37
	v_mov_b32_e32 v100, v34
	v_mov_b32_e32 v101, v35
	ds_write2_b64 v92, v[98:99], v[100:101] offset0:24 offset1:25
	v_mov_b32_e32 v98, v32
	v_mov_b32_e32 v99, v33
	v_mov_b32_e32 v100, v30
	v_mov_b32_e32 v101, v31
	ds_write2_b64 v92, v[98:99], v[100:101] offset0:26 offset1:27
	;; [unrolled: 5-line block ×8, first 2 shown]
	v_mov_b32_e32 v98, v0
	v_mov_b32_e32 v99, v1
	;; [unrolled: 1-line block ×3, first 2 shown]
	ds_write2_b64 v92, v[98:99], v[86:87] offset0:40 offset1:41
.LBB82_401:
	s_or_b64 exec, exec, s[0:1]
	v_cmp_lt_i32_e32 vcc, 23, v93
	s_waitcnt lgkmcnt(0)
	s_barrier
	s_and_saveexec_b64 s[0:1], vcc
	s_cbranch_execz .LBB82_403
; %bb.402:
	ds_read2_b64 v[98:101], v92 offset0:24 offset1:25
	ds_read2_b64 v[102:105], v92 offset0:26 offset1:27
	;; [unrolled: 1-line block ×3, first 2 shown]
	v_mul_f64 v[38:39], v[88:89], v[38:39]
	s_waitcnt lgkmcnt(0)
	v_fma_f64 v[36:37], -v[38:39], v[98:99], v[36:37]
	v_fma_f64 v[34:35], -v[38:39], v[100:101], v[34:35]
	ds_read2_b64 v[98:101], v92 offset0:30 offset1:31
	v_fma_f64 v[32:33], -v[38:39], v[102:103], v[32:33]
	v_fma_f64 v[30:31], -v[38:39], v[104:105], v[30:31]
	;; [unrolled: 1-line block ×3, first 2 shown]
	ds_read2_b64 v[102:105], v92 offset0:32 offset1:33
	v_fma_f64 v[24:25], -v[38:39], v[108:109], v[24:25]
	ds_read2_b64 v[106:109], v92 offset0:34 offset1:35
	s_waitcnt lgkmcnt(0)
	v_fma_f64 v[26:27], -v[38:39], v[98:99], v[26:27]
	v_fma_f64 v[22:23], -v[38:39], v[100:101], v[22:23]
	;; [unrolled: 1-line block ×4, first 2 shown]
	ds_read2_b64 v[98:101], v92 offset0:36 offset1:37
	ds_read2_b64 v[102:105], v92 offset0:38 offset1:39
	v_fma_f64 v[16:17], -v[38:39], v[106:107], v[16:17]
	v_fma_f64 v[14:15], -v[38:39], v[108:109], v[14:15]
	ds_read2_b64 v[106:109], v92 offset0:40 offset1:41
	s_waitcnt lgkmcnt(0)
	v_fma_f64 v[12:13], -v[38:39], v[98:99], v[12:13]
	v_fma_f64 v[10:11], -v[38:39], v[100:101], v[10:11]
	;; [unrolled: 1-line block ×6, first 2 shown]
.LBB82_403:
	s_or_b64 exec, exec, s[0:1]
	v_lshl_add_u32 v88, v93, 3, v92
	s_barrier
	ds_write_b64 v88, v[36:37]
	s_waitcnt lgkmcnt(0)
	s_barrier
	ds_read_b64 v[88:89], v92 offset:192
	s_cmp_lt_i32 s18, 26
	v_mov_b32_e32 v90, 24
	s_cbranch_scc1 .LBB82_406
; %bb.404:
	v_add_u32_e32 v97, 0xc8, v92
	s_mov_b32 s0, 25
	v_mov_b32_e32 v90, 24
.LBB82_405:                             ; =>This Inner Loop Header: Depth=1
	ds_read_b64 v[98:99], v97
	v_mov_b32_e32 v100, s0
	s_add_i32 s0, s0, 1
	v_add_u32_e32 v97, 8, v97
	s_cmp_lg_u32 s18, s0
	s_waitcnt lgkmcnt(0)
	v_cmp_lt_f64_e64 vcc, |v[88:89]|, |v[98:99]|
	v_cndmask_b32_e32 v89, v89, v99, vcc
	v_cndmask_b32_e32 v88, v88, v98, vcc
	;; [unrolled: 1-line block ×3, first 2 shown]
	s_cbranch_scc1 .LBB82_405
.LBB82_406:
	s_waitcnt lgkmcnt(0)
	v_cmp_eq_f64_e32 vcc, 0, v[88:89]
	s_and_saveexec_b64 s[0:1], vcc
	s_xor_b64 s[0:1], exec, s[0:1]
; %bb.407:
	v_cmp_ne_u32_e32 vcc, 0, v96
	v_cndmask_b32_e32 v96, 25, v96, vcc
; %bb.408:
	s_andn2_saveexec_b64 s[0:1], s[0:1]
; %bb.409:
	v_div_scale_f64 v[98:99], s[2:3], v[88:89], v[88:89], 1.0
	v_rcp_f64_e32 v[100:101], v[98:99]
	v_div_scale_f64 v[102:103], vcc, 1.0, v[88:89], 1.0
	v_fma_f64 v[104:105], -v[98:99], v[100:101], 1.0
	v_fmac_f64_e32 v[100:101], v[100:101], v[104:105]
	v_fma_f64 v[104:105], -v[98:99], v[100:101], 1.0
	v_fmac_f64_e32 v[100:101], v[100:101], v[104:105]
	v_mul_f64 v[104:105], v[102:103], v[100:101]
	v_fma_f64 v[98:99], -v[98:99], v[104:105], v[102:103]
	v_div_fmas_f64 v[98:99], v[98:99], v[100:101], v[104:105]
	v_div_fixup_f64 v[88:89], v[98:99], v[88:89], 1.0
; %bb.410:
	s_or_b64 exec, exec, s[0:1]
	v_cmp_ne_u32_e32 vcc, v93, v90
	s_and_saveexec_b64 s[0:1], vcc
	s_xor_b64 s[0:1], exec, s[0:1]
	s_cbranch_execz .LBB82_416
; %bb.411:
	v_cmp_eq_u32_e32 vcc, 24, v93
	s_and_saveexec_b64 s[2:3], vcc
	s_cbranch_execz .LBB82_415
; %bb.412:
	v_cmp_ne_u32_e32 vcc, 24, v90
	s_xor_b64 s[14:15], s[6:7], -1
	s_and_b64 s[16:17], s[14:15], vcc
	s_and_saveexec_b64 s[14:15], s[16:17]
	s_cbranch_execz .LBB82_414
; %bb.413:
	v_ashrrev_i32_e32 v91, 31, v90
	v_lshlrev_b64 v[98:99], 2, v[90:91]
	v_add_co_u32_e32 v98, vcc, v4, v98
	v_addc_co_u32_e32 v99, vcc, v5, v99, vcc
	flat_load_dword v91, v[98:99]
	flat_load_dword v93, v[4:5] offset:96
	s_waitcnt vmcnt(0) lgkmcnt(0)
	flat_store_dword v[4:5], v91 offset:96
	flat_store_dword v[98:99], v93
.LBB82_414:
	s_or_b64 exec, exec, s[14:15]
	v_mov_b32_e32 v91, v90
	v_mov_b32_e32 v93, v90
.LBB82_415:
	s_or_b64 exec, exec, s[2:3]
.LBB82_416:
	s_andn2_saveexec_b64 s[0:1], s[0:1]
	s_cbranch_execz .LBB82_418
; %bb.417:
	v_mov_b32_e32 v93, 24
	ds_write2_b64 v92, v[34:35], v[32:33] offset0:25 offset1:26
	ds_write2_b64 v92, v[30:31], v[28:29] offset0:27 offset1:28
	;; [unrolled: 1-line block ×8, first 2 shown]
	ds_write_b64 v92, v[86:87] offset:328
.LBB82_418:
	s_or_b64 exec, exec, s[0:1]
	v_cmp_lt_i32_e32 vcc, 24, v93
	s_waitcnt lgkmcnt(0)
	s_barrier
	s_and_saveexec_b64 s[0:1], vcc
	s_cbranch_execz .LBB82_420
; %bb.419:
	ds_read2_b64 v[98:101], v92 offset0:25 offset1:26
	ds_read2_b64 v[102:105], v92 offset0:27 offset1:28
	v_mul_f64 v[36:37], v[88:89], v[36:37]
	ds_read2_b64 v[106:109], v92 offset0:29 offset1:30
	ds_read_b64 v[88:89], v92 offset:328
	s_waitcnt lgkmcnt(0)
	v_fma_f64 v[34:35], -v[36:37], v[98:99], v[34:35]
	v_fma_f64 v[32:33], -v[36:37], v[100:101], v[32:33]
	ds_read2_b64 v[98:101], v92 offset0:31 offset1:32
	v_fma_f64 v[30:31], -v[36:37], v[102:103], v[30:31]
	v_fma_f64 v[28:29], -v[36:37], v[104:105], v[28:29]
	ds_read2_b64 v[102:105], v92 offset0:33 offset1:34
	;; [unrolled: 3-line block ×3, first 2 shown]
	s_waitcnt lgkmcnt(0)
	v_fma_f64 v[22:23], -v[36:37], v[98:99], v[22:23]
	v_fma_f64 v[20:21], -v[36:37], v[100:101], v[20:21]
	;; [unrolled: 1-line block ×4, first 2 shown]
	ds_read2_b64 v[98:101], v92 offset0:37 offset1:38
	ds_read2_b64 v[102:105], v92 offset0:39 offset1:40
	v_fma_f64 v[14:15], -v[36:37], v[106:107], v[14:15]
	v_fma_f64 v[12:13], -v[36:37], v[108:109], v[12:13]
	;; [unrolled: 1-line block ×3, first 2 shown]
	s_waitcnt lgkmcnt(0)
	v_fma_f64 v[10:11], -v[36:37], v[98:99], v[10:11]
	v_fma_f64 v[8:9], -v[36:37], v[100:101], v[8:9]
	;; [unrolled: 1-line block ×4, first 2 shown]
.LBB82_420:
	s_or_b64 exec, exec, s[0:1]
	v_lshl_add_u32 v88, v93, 3, v92
	s_barrier
	ds_write_b64 v88, v[34:35]
	s_waitcnt lgkmcnt(0)
	s_barrier
	ds_read_b64 v[88:89], v92 offset:200
	s_cmp_lt_i32 s18, 27
	v_mov_b32_e32 v90, 25
	s_cbranch_scc1 .LBB82_423
; %bb.421:
	v_add_u32_e32 v97, 0xd0, v92
	s_mov_b32 s0, 26
	v_mov_b32_e32 v90, 25
.LBB82_422:                             ; =>This Inner Loop Header: Depth=1
	ds_read_b64 v[98:99], v97
	v_mov_b32_e32 v100, s0
	s_add_i32 s0, s0, 1
	v_add_u32_e32 v97, 8, v97
	s_cmp_lg_u32 s18, s0
	s_waitcnt lgkmcnt(0)
	v_cmp_lt_f64_e64 vcc, |v[88:89]|, |v[98:99]|
	v_cndmask_b32_e32 v89, v89, v99, vcc
	v_cndmask_b32_e32 v88, v88, v98, vcc
	;; [unrolled: 1-line block ×3, first 2 shown]
	s_cbranch_scc1 .LBB82_422
.LBB82_423:
	s_waitcnt lgkmcnt(0)
	v_cmp_eq_f64_e32 vcc, 0, v[88:89]
	s_and_saveexec_b64 s[0:1], vcc
	s_xor_b64 s[0:1], exec, s[0:1]
; %bb.424:
	v_cmp_ne_u32_e32 vcc, 0, v96
	v_cndmask_b32_e32 v96, 26, v96, vcc
; %bb.425:
	s_andn2_saveexec_b64 s[0:1], s[0:1]
; %bb.426:
	v_div_scale_f64 v[98:99], s[2:3], v[88:89], v[88:89], 1.0
	v_rcp_f64_e32 v[100:101], v[98:99]
	v_div_scale_f64 v[102:103], vcc, 1.0, v[88:89], 1.0
	v_fma_f64 v[104:105], -v[98:99], v[100:101], 1.0
	v_fmac_f64_e32 v[100:101], v[100:101], v[104:105]
	v_fma_f64 v[104:105], -v[98:99], v[100:101], 1.0
	v_fmac_f64_e32 v[100:101], v[100:101], v[104:105]
	v_mul_f64 v[104:105], v[102:103], v[100:101]
	v_fma_f64 v[98:99], -v[98:99], v[104:105], v[102:103]
	v_div_fmas_f64 v[98:99], v[98:99], v[100:101], v[104:105]
	v_div_fixup_f64 v[88:89], v[98:99], v[88:89], 1.0
; %bb.427:
	s_or_b64 exec, exec, s[0:1]
	v_cmp_ne_u32_e32 vcc, v93, v90
	s_and_saveexec_b64 s[0:1], vcc
	s_xor_b64 s[0:1], exec, s[0:1]
	s_cbranch_execz .LBB82_433
; %bb.428:
	v_cmp_eq_u32_e32 vcc, 25, v93
	s_and_saveexec_b64 s[2:3], vcc
	s_cbranch_execz .LBB82_432
; %bb.429:
	v_cmp_ne_u32_e32 vcc, 25, v90
	s_xor_b64 s[14:15], s[6:7], -1
	s_and_b64 s[16:17], s[14:15], vcc
	s_and_saveexec_b64 s[14:15], s[16:17]
	s_cbranch_execz .LBB82_431
; %bb.430:
	v_ashrrev_i32_e32 v91, 31, v90
	v_lshlrev_b64 v[98:99], 2, v[90:91]
	v_add_co_u32_e32 v98, vcc, v4, v98
	v_addc_co_u32_e32 v99, vcc, v5, v99, vcc
	flat_load_dword v91, v[98:99]
	flat_load_dword v93, v[4:5] offset:100
	s_waitcnt vmcnt(0) lgkmcnt(0)
	flat_store_dword v[4:5], v91 offset:100
	flat_store_dword v[98:99], v93
.LBB82_431:
	s_or_b64 exec, exec, s[14:15]
	v_mov_b32_e32 v91, v90
	v_mov_b32_e32 v93, v90
.LBB82_432:
	s_or_b64 exec, exec, s[2:3]
.LBB82_433:
	s_andn2_saveexec_b64 s[0:1], s[0:1]
	s_cbranch_execz .LBB82_435
; %bb.434:
	v_mov_b32_e32 v98, v32
	v_mov_b32_e32 v99, v33
	v_mov_b32_e32 v100, v30
	v_mov_b32_e32 v101, v31
	ds_write2_b64 v92, v[98:99], v[100:101] offset0:26 offset1:27
	v_mov_b32_e32 v98, v28
	v_mov_b32_e32 v99, v29
	v_mov_b32_e32 v100, v24
	v_mov_b32_e32 v101, v25
	ds_write2_b64 v92, v[98:99], v[100:101] offset0:28 offset1:29
	;; [unrolled: 5-line block ×7, first 2 shown]
	v_mov_b32_e32 v98, v0
	v_mov_b32_e32 v99, v1
	;; [unrolled: 1-line block ×3, first 2 shown]
	ds_write2_b64 v92, v[98:99], v[86:87] offset0:40 offset1:41
.LBB82_435:
	s_or_b64 exec, exec, s[0:1]
	v_cmp_lt_i32_e32 vcc, 25, v93
	s_waitcnt lgkmcnt(0)
	s_barrier
	s_and_saveexec_b64 s[0:1], vcc
	s_cbranch_execz .LBB82_437
; %bb.436:
	ds_read2_b64 v[98:101], v92 offset0:26 offset1:27
	ds_read2_b64 v[102:105], v92 offset0:28 offset1:29
	v_mul_f64 v[34:35], v[88:89], v[34:35]
	ds_read2_b64 v[106:109], v92 offset0:30 offset1:31
	s_waitcnt lgkmcnt(0)
	v_fma_f64 v[32:33], -v[34:35], v[98:99], v[32:33]
	v_fma_f64 v[30:31], -v[34:35], v[100:101], v[30:31]
	ds_read2_b64 v[98:101], v92 offset0:32 offset1:33
	v_fma_f64 v[28:29], -v[34:35], v[102:103], v[28:29]
	v_fma_f64 v[24:25], -v[34:35], v[104:105], v[24:25]
	ds_read2_b64 v[102:105], v92 offset0:34 offset1:35
	v_fma_f64 v[26:27], -v[34:35], v[106:107], v[26:27]
	v_fma_f64 v[22:23], -v[34:35], v[108:109], v[22:23]
	s_waitcnt lgkmcnt(0)
	v_fma_f64 v[20:21], -v[34:35], v[98:99], v[20:21]
	v_fma_f64 v[18:19], -v[34:35], v[100:101], v[18:19]
	ds_read2_b64 v[98:101], v92 offset0:36 offset1:37
	v_fma_f64 v[16:17], -v[34:35], v[102:103], v[16:17]
	ds_read2_b64 v[106:109], v92 offset0:38 offset1:39
	;; [unrolled: 2-line block ×3, first 2 shown]
	s_waitcnt lgkmcnt(0)
	v_fma_f64 v[12:13], -v[34:35], v[98:99], v[12:13]
	v_fma_f64 v[10:11], -v[34:35], v[100:101], v[10:11]
	;; [unrolled: 1-line block ×6, first 2 shown]
.LBB82_437:
	s_or_b64 exec, exec, s[0:1]
	v_lshl_add_u32 v88, v93, 3, v92
	s_barrier
	ds_write_b64 v88, v[32:33]
	s_waitcnt lgkmcnt(0)
	s_barrier
	ds_read_b64 v[88:89], v92 offset:208
	s_cmp_lt_i32 s18, 28
	v_mov_b32_e32 v90, 26
	s_cbranch_scc1 .LBB82_440
; %bb.438:
	v_add_u32_e32 v97, 0xd8, v92
	s_mov_b32 s0, 27
	v_mov_b32_e32 v90, 26
.LBB82_439:                             ; =>This Inner Loop Header: Depth=1
	ds_read_b64 v[98:99], v97
	v_mov_b32_e32 v100, s0
	s_add_i32 s0, s0, 1
	v_add_u32_e32 v97, 8, v97
	s_cmp_lg_u32 s18, s0
	s_waitcnt lgkmcnt(0)
	v_cmp_lt_f64_e64 vcc, |v[88:89]|, |v[98:99]|
	v_cndmask_b32_e32 v89, v89, v99, vcc
	v_cndmask_b32_e32 v88, v88, v98, vcc
	;; [unrolled: 1-line block ×3, first 2 shown]
	s_cbranch_scc1 .LBB82_439
.LBB82_440:
	s_waitcnt lgkmcnt(0)
	v_cmp_eq_f64_e32 vcc, 0, v[88:89]
	s_and_saveexec_b64 s[0:1], vcc
	s_xor_b64 s[0:1], exec, s[0:1]
; %bb.441:
	v_cmp_ne_u32_e32 vcc, 0, v96
	v_cndmask_b32_e32 v96, 27, v96, vcc
; %bb.442:
	s_andn2_saveexec_b64 s[0:1], s[0:1]
; %bb.443:
	v_div_scale_f64 v[98:99], s[2:3], v[88:89], v[88:89], 1.0
	v_rcp_f64_e32 v[100:101], v[98:99]
	v_div_scale_f64 v[102:103], vcc, 1.0, v[88:89], 1.0
	v_fma_f64 v[104:105], -v[98:99], v[100:101], 1.0
	v_fmac_f64_e32 v[100:101], v[100:101], v[104:105]
	v_fma_f64 v[104:105], -v[98:99], v[100:101], 1.0
	v_fmac_f64_e32 v[100:101], v[100:101], v[104:105]
	v_mul_f64 v[104:105], v[102:103], v[100:101]
	v_fma_f64 v[98:99], -v[98:99], v[104:105], v[102:103]
	v_div_fmas_f64 v[98:99], v[98:99], v[100:101], v[104:105]
	v_div_fixup_f64 v[88:89], v[98:99], v[88:89], 1.0
; %bb.444:
	s_or_b64 exec, exec, s[0:1]
	v_cmp_ne_u32_e32 vcc, v93, v90
	s_and_saveexec_b64 s[0:1], vcc
	s_xor_b64 s[0:1], exec, s[0:1]
	s_cbranch_execz .LBB82_450
; %bb.445:
	v_cmp_eq_u32_e32 vcc, 26, v93
	s_and_saveexec_b64 s[2:3], vcc
	s_cbranch_execz .LBB82_449
; %bb.446:
	v_cmp_ne_u32_e32 vcc, 26, v90
	s_xor_b64 s[14:15], s[6:7], -1
	s_and_b64 s[16:17], s[14:15], vcc
	s_and_saveexec_b64 s[14:15], s[16:17]
	s_cbranch_execz .LBB82_448
; %bb.447:
	v_ashrrev_i32_e32 v91, 31, v90
	v_lshlrev_b64 v[98:99], 2, v[90:91]
	v_add_co_u32_e32 v98, vcc, v4, v98
	v_addc_co_u32_e32 v99, vcc, v5, v99, vcc
	flat_load_dword v91, v[98:99]
	flat_load_dword v93, v[4:5] offset:104
	s_waitcnt vmcnt(0) lgkmcnt(0)
	flat_store_dword v[4:5], v91 offset:104
	flat_store_dword v[98:99], v93
.LBB82_448:
	s_or_b64 exec, exec, s[14:15]
	v_mov_b32_e32 v91, v90
	v_mov_b32_e32 v93, v90
.LBB82_449:
	s_or_b64 exec, exec, s[2:3]
.LBB82_450:
	s_andn2_saveexec_b64 s[0:1], s[0:1]
	s_cbranch_execz .LBB82_452
; %bb.451:
	v_mov_b32_e32 v93, 26
	ds_write2_b64 v92, v[30:31], v[28:29] offset0:27 offset1:28
	ds_write2_b64 v92, v[24:25], v[26:27] offset0:29 offset1:30
	ds_write2_b64 v92, v[22:23], v[20:21] offset0:31 offset1:32
	ds_write2_b64 v92, v[18:19], v[16:17] offset0:33 offset1:34
	ds_write2_b64 v92, v[14:15], v[12:13] offset0:35 offset1:36
	ds_write2_b64 v92, v[10:11], v[8:9] offset0:37 offset1:38
	ds_write2_b64 v92, v[6:7], v[0:1] offset0:39 offset1:40
	ds_write_b64 v92, v[86:87] offset:328
.LBB82_452:
	s_or_b64 exec, exec, s[0:1]
	v_cmp_lt_i32_e32 vcc, 26, v93
	s_waitcnt lgkmcnt(0)
	s_barrier
	s_and_saveexec_b64 s[0:1], vcc
	s_cbranch_execz .LBB82_454
; %bb.453:
	ds_read2_b64 v[98:101], v92 offset0:27 offset1:28
	ds_read2_b64 v[102:105], v92 offset0:29 offset1:30
	v_mul_f64 v[32:33], v[88:89], v[32:33]
	ds_read2_b64 v[106:109], v92 offset0:31 offset1:32
	ds_read_b64 v[88:89], v92 offset:328
	s_waitcnt lgkmcnt(0)
	v_fma_f64 v[30:31], -v[32:33], v[98:99], v[30:31]
	v_fma_f64 v[28:29], -v[32:33], v[100:101], v[28:29]
	ds_read2_b64 v[98:101], v92 offset0:33 offset1:34
	v_fma_f64 v[24:25], -v[32:33], v[102:103], v[24:25]
	v_fma_f64 v[26:27], -v[32:33], v[104:105], v[26:27]
	;; [unrolled: 1-line block ×3, first 2 shown]
	ds_read2_b64 v[102:105], v92 offset0:35 offset1:36
	v_fma_f64 v[20:21], -v[32:33], v[108:109], v[20:21]
	s_waitcnt lgkmcnt(0)
	v_fma_f64 v[18:19], -v[32:33], v[98:99], v[18:19]
	v_fma_f64 v[16:17], -v[32:33], v[100:101], v[16:17]
	ds_read2_b64 v[98:101], v92 offset0:37 offset1:38
	ds_read2_b64 v[106:109], v92 offset0:39 offset1:40
	v_fma_f64 v[14:15], -v[32:33], v[102:103], v[14:15]
	v_fma_f64 v[12:13], -v[32:33], v[104:105], v[12:13]
	;; [unrolled: 1-line block ×3, first 2 shown]
	s_waitcnt lgkmcnt(0)
	v_fma_f64 v[10:11], -v[32:33], v[98:99], v[10:11]
	v_fma_f64 v[8:9], -v[32:33], v[100:101], v[8:9]
	;; [unrolled: 1-line block ×4, first 2 shown]
.LBB82_454:
	s_or_b64 exec, exec, s[0:1]
	v_lshl_add_u32 v88, v93, 3, v92
	s_barrier
	ds_write_b64 v88, v[30:31]
	s_waitcnt lgkmcnt(0)
	s_barrier
	ds_read_b64 v[88:89], v92 offset:216
	s_cmp_lt_i32 s18, 29
	v_mov_b32_e32 v90, 27
	s_cbranch_scc1 .LBB82_457
; %bb.455:
	v_add_u32_e32 v97, 0xe0, v92
	s_mov_b32 s0, 28
	v_mov_b32_e32 v90, 27
.LBB82_456:                             ; =>This Inner Loop Header: Depth=1
	ds_read_b64 v[98:99], v97
	v_mov_b32_e32 v100, s0
	s_add_i32 s0, s0, 1
	v_add_u32_e32 v97, 8, v97
	s_cmp_lg_u32 s18, s0
	s_waitcnt lgkmcnt(0)
	v_cmp_lt_f64_e64 vcc, |v[88:89]|, |v[98:99]|
	v_cndmask_b32_e32 v89, v89, v99, vcc
	v_cndmask_b32_e32 v88, v88, v98, vcc
	v_cndmask_b32_e32 v90, v90, v100, vcc
	s_cbranch_scc1 .LBB82_456
.LBB82_457:
	s_waitcnt lgkmcnt(0)
	v_cmp_eq_f64_e32 vcc, 0, v[88:89]
	s_and_saveexec_b64 s[0:1], vcc
	s_xor_b64 s[0:1], exec, s[0:1]
; %bb.458:
	v_cmp_ne_u32_e32 vcc, 0, v96
	v_cndmask_b32_e32 v96, 28, v96, vcc
; %bb.459:
	s_andn2_saveexec_b64 s[0:1], s[0:1]
; %bb.460:
	v_div_scale_f64 v[98:99], s[2:3], v[88:89], v[88:89], 1.0
	v_rcp_f64_e32 v[100:101], v[98:99]
	v_div_scale_f64 v[102:103], vcc, 1.0, v[88:89], 1.0
	v_fma_f64 v[104:105], -v[98:99], v[100:101], 1.0
	v_fmac_f64_e32 v[100:101], v[100:101], v[104:105]
	v_fma_f64 v[104:105], -v[98:99], v[100:101], 1.0
	v_fmac_f64_e32 v[100:101], v[100:101], v[104:105]
	v_mul_f64 v[104:105], v[102:103], v[100:101]
	v_fma_f64 v[98:99], -v[98:99], v[104:105], v[102:103]
	v_div_fmas_f64 v[98:99], v[98:99], v[100:101], v[104:105]
	v_div_fixup_f64 v[88:89], v[98:99], v[88:89], 1.0
; %bb.461:
	s_or_b64 exec, exec, s[0:1]
	v_cmp_ne_u32_e32 vcc, v93, v90
	s_and_saveexec_b64 s[0:1], vcc
	s_xor_b64 s[0:1], exec, s[0:1]
	s_cbranch_execz .LBB82_467
; %bb.462:
	v_cmp_eq_u32_e32 vcc, 27, v93
	s_and_saveexec_b64 s[2:3], vcc
	s_cbranch_execz .LBB82_466
; %bb.463:
	v_cmp_ne_u32_e32 vcc, 27, v90
	s_xor_b64 s[14:15], s[6:7], -1
	s_and_b64 s[16:17], s[14:15], vcc
	s_and_saveexec_b64 s[14:15], s[16:17]
	s_cbranch_execz .LBB82_465
; %bb.464:
	v_ashrrev_i32_e32 v91, 31, v90
	v_lshlrev_b64 v[98:99], 2, v[90:91]
	v_add_co_u32_e32 v98, vcc, v4, v98
	v_addc_co_u32_e32 v99, vcc, v5, v99, vcc
	flat_load_dword v91, v[98:99]
	flat_load_dword v93, v[4:5] offset:108
	s_waitcnt vmcnt(0) lgkmcnt(0)
	flat_store_dword v[4:5], v91 offset:108
	flat_store_dword v[98:99], v93
.LBB82_465:
	s_or_b64 exec, exec, s[14:15]
	v_mov_b32_e32 v91, v90
	v_mov_b32_e32 v93, v90
.LBB82_466:
	s_or_b64 exec, exec, s[2:3]
.LBB82_467:
	s_andn2_saveexec_b64 s[0:1], s[0:1]
	s_cbranch_execz .LBB82_469
; %bb.468:
	v_mov_b32_e32 v98, v28
	v_mov_b32_e32 v99, v29
	v_mov_b32_e32 v100, v24
	v_mov_b32_e32 v101, v25
	ds_write2_b64 v92, v[98:99], v[100:101] offset0:28 offset1:29
	v_mov_b32_e32 v98, v26
	v_mov_b32_e32 v99, v27
	v_mov_b32_e32 v100, v22
	v_mov_b32_e32 v101, v23
	ds_write2_b64 v92, v[98:99], v[100:101] offset0:30 offset1:31
	;; [unrolled: 5-line block ×6, first 2 shown]
	v_mov_b32_e32 v98, v0
	v_mov_b32_e32 v99, v1
	;; [unrolled: 1-line block ×3, first 2 shown]
	ds_write2_b64 v92, v[98:99], v[86:87] offset0:40 offset1:41
.LBB82_469:
	s_or_b64 exec, exec, s[0:1]
	v_cmp_lt_i32_e32 vcc, 27, v93
	s_waitcnt lgkmcnt(0)
	s_barrier
	s_and_saveexec_b64 s[0:1], vcc
	s_cbranch_execz .LBB82_471
; %bb.470:
	ds_read2_b64 v[98:101], v92 offset0:28 offset1:29
	ds_read2_b64 v[102:105], v92 offset0:30 offset1:31
	v_mul_f64 v[30:31], v[88:89], v[30:31]
	ds_read2_b64 v[106:109], v92 offset0:32 offset1:33
	s_waitcnt lgkmcnt(0)
	v_fma_f64 v[28:29], -v[30:31], v[98:99], v[28:29]
	v_fma_f64 v[24:25], -v[30:31], v[100:101], v[24:25]
	ds_read2_b64 v[98:101], v92 offset0:34 offset1:35
	v_fma_f64 v[26:27], -v[30:31], v[102:103], v[26:27]
	v_fma_f64 v[22:23], -v[30:31], v[104:105], v[22:23]
	;; [unrolled: 1-line block ×4, first 2 shown]
	ds_read2_b64 v[102:105], v92 offset0:36 offset1:37
	ds_read2_b64 v[106:109], v92 offset0:38 offset1:39
	s_waitcnt lgkmcnt(0)
	v_fma_f64 v[16:17], -v[30:31], v[98:99], v[16:17]
	v_fma_f64 v[14:15], -v[30:31], v[100:101], v[14:15]
	ds_read2_b64 v[98:101], v92 offset0:40 offset1:41
	v_fma_f64 v[12:13], -v[30:31], v[102:103], v[12:13]
	v_fma_f64 v[10:11], -v[30:31], v[104:105], v[10:11]
	;; [unrolled: 1-line block ×4, first 2 shown]
	s_waitcnt lgkmcnt(0)
	v_fma_f64 v[0:1], -v[30:31], v[98:99], v[0:1]
	v_fma_f64 v[86:87], -v[30:31], v[100:101], v[86:87]
.LBB82_471:
	s_or_b64 exec, exec, s[0:1]
	v_lshl_add_u32 v88, v93, 3, v92
	s_barrier
	ds_write_b64 v88, v[28:29]
	s_waitcnt lgkmcnt(0)
	s_barrier
	ds_read_b64 v[88:89], v92 offset:224
	s_cmp_lt_i32 s18, 30
	v_mov_b32_e32 v90, 28
	s_cbranch_scc1 .LBB82_474
; %bb.472:
	v_add_u32_e32 v97, 0xe8, v92
	s_mov_b32 s0, 29
	v_mov_b32_e32 v90, 28
.LBB82_473:                             ; =>This Inner Loop Header: Depth=1
	ds_read_b64 v[98:99], v97
	v_mov_b32_e32 v100, s0
	s_add_i32 s0, s0, 1
	v_add_u32_e32 v97, 8, v97
	s_cmp_lg_u32 s18, s0
	s_waitcnt lgkmcnt(0)
	v_cmp_lt_f64_e64 vcc, |v[88:89]|, |v[98:99]|
	v_cndmask_b32_e32 v89, v89, v99, vcc
	v_cndmask_b32_e32 v88, v88, v98, vcc
	;; [unrolled: 1-line block ×3, first 2 shown]
	s_cbranch_scc1 .LBB82_473
.LBB82_474:
	s_waitcnt lgkmcnt(0)
	v_cmp_eq_f64_e32 vcc, 0, v[88:89]
	s_and_saveexec_b64 s[0:1], vcc
	s_xor_b64 s[0:1], exec, s[0:1]
; %bb.475:
	v_cmp_ne_u32_e32 vcc, 0, v96
	v_cndmask_b32_e32 v96, 29, v96, vcc
; %bb.476:
	s_andn2_saveexec_b64 s[0:1], s[0:1]
; %bb.477:
	v_div_scale_f64 v[98:99], s[2:3], v[88:89], v[88:89], 1.0
	v_rcp_f64_e32 v[100:101], v[98:99]
	v_div_scale_f64 v[102:103], vcc, 1.0, v[88:89], 1.0
	v_fma_f64 v[104:105], -v[98:99], v[100:101], 1.0
	v_fmac_f64_e32 v[100:101], v[100:101], v[104:105]
	v_fma_f64 v[104:105], -v[98:99], v[100:101], 1.0
	v_fmac_f64_e32 v[100:101], v[100:101], v[104:105]
	v_mul_f64 v[104:105], v[102:103], v[100:101]
	v_fma_f64 v[98:99], -v[98:99], v[104:105], v[102:103]
	v_div_fmas_f64 v[98:99], v[98:99], v[100:101], v[104:105]
	v_div_fixup_f64 v[88:89], v[98:99], v[88:89], 1.0
; %bb.478:
	s_or_b64 exec, exec, s[0:1]
	v_cmp_ne_u32_e32 vcc, v93, v90
	s_and_saveexec_b64 s[0:1], vcc
	s_xor_b64 s[0:1], exec, s[0:1]
	s_cbranch_execz .LBB82_484
; %bb.479:
	v_cmp_eq_u32_e32 vcc, 28, v93
	s_and_saveexec_b64 s[2:3], vcc
	s_cbranch_execz .LBB82_483
; %bb.480:
	v_cmp_ne_u32_e32 vcc, 28, v90
	s_xor_b64 s[14:15], s[6:7], -1
	s_and_b64 s[16:17], s[14:15], vcc
	s_and_saveexec_b64 s[14:15], s[16:17]
	s_cbranch_execz .LBB82_482
; %bb.481:
	v_ashrrev_i32_e32 v91, 31, v90
	v_lshlrev_b64 v[98:99], 2, v[90:91]
	v_add_co_u32_e32 v98, vcc, v4, v98
	v_addc_co_u32_e32 v99, vcc, v5, v99, vcc
	flat_load_dword v91, v[98:99]
	flat_load_dword v93, v[4:5] offset:112
	s_waitcnt vmcnt(0) lgkmcnt(0)
	flat_store_dword v[4:5], v91 offset:112
	flat_store_dword v[98:99], v93
.LBB82_482:
	s_or_b64 exec, exec, s[14:15]
	v_mov_b32_e32 v91, v90
	v_mov_b32_e32 v93, v90
.LBB82_483:
	s_or_b64 exec, exec, s[2:3]
.LBB82_484:
	s_andn2_saveexec_b64 s[0:1], s[0:1]
	s_cbranch_execz .LBB82_486
; %bb.485:
	v_mov_b32_e32 v93, 28
	ds_write2_b64 v92, v[24:25], v[26:27] offset0:29 offset1:30
	ds_write2_b64 v92, v[22:23], v[20:21] offset0:31 offset1:32
	;; [unrolled: 1-line block ×6, first 2 shown]
	ds_write_b64 v92, v[86:87] offset:328
.LBB82_486:
	s_or_b64 exec, exec, s[0:1]
	v_cmp_lt_i32_e32 vcc, 28, v93
	s_waitcnt lgkmcnt(0)
	s_barrier
	s_and_saveexec_b64 s[0:1], vcc
	s_cbranch_execz .LBB82_488
; %bb.487:
	ds_read2_b64 v[98:101], v92 offset0:29 offset1:30
	ds_read2_b64 v[102:105], v92 offset0:31 offset1:32
	;; [unrolled: 1-line block ×3, first 2 shown]
	v_mul_f64 v[28:29], v[88:89], v[28:29]
	ds_read_b64 v[88:89], v92 offset:328
	s_waitcnt lgkmcnt(0)
	v_fma_f64 v[24:25], -v[28:29], v[98:99], v[24:25]
	v_fma_f64 v[26:27], -v[28:29], v[100:101], v[26:27]
	ds_read2_b64 v[98:101], v92 offset0:35 offset1:36
	v_fma_f64 v[22:23], -v[28:29], v[102:103], v[22:23]
	v_fma_f64 v[20:21], -v[28:29], v[104:105], v[20:21]
	;; [unrolled: 1-line block ×4, first 2 shown]
	ds_read2_b64 v[102:105], v92 offset0:37 offset1:38
	ds_read2_b64 v[106:109], v92 offset0:39 offset1:40
	s_waitcnt lgkmcnt(0)
	v_fma_f64 v[14:15], -v[28:29], v[98:99], v[14:15]
	v_fma_f64 v[12:13], -v[28:29], v[100:101], v[12:13]
	;; [unrolled: 1-line block ×7, first 2 shown]
.LBB82_488:
	s_or_b64 exec, exec, s[0:1]
	v_lshl_add_u32 v88, v93, 3, v92
	s_barrier
	ds_write_b64 v88, v[24:25]
	s_waitcnt lgkmcnt(0)
	s_barrier
	ds_read_b64 v[88:89], v92 offset:232
	s_cmp_lt_i32 s18, 31
	v_mov_b32_e32 v90, 29
	s_cbranch_scc1 .LBB82_491
; %bb.489:
	v_add_u32_e32 v97, 0xf0, v92
	s_mov_b32 s0, 30
	v_mov_b32_e32 v90, 29
.LBB82_490:                             ; =>This Inner Loop Header: Depth=1
	ds_read_b64 v[98:99], v97
	v_mov_b32_e32 v100, s0
	s_add_i32 s0, s0, 1
	v_add_u32_e32 v97, 8, v97
	s_cmp_lg_u32 s18, s0
	s_waitcnt lgkmcnt(0)
	v_cmp_lt_f64_e64 vcc, |v[88:89]|, |v[98:99]|
	v_cndmask_b32_e32 v89, v89, v99, vcc
	v_cndmask_b32_e32 v88, v88, v98, vcc
	;; [unrolled: 1-line block ×3, first 2 shown]
	s_cbranch_scc1 .LBB82_490
.LBB82_491:
	s_waitcnt lgkmcnt(0)
	v_cmp_eq_f64_e32 vcc, 0, v[88:89]
	s_and_saveexec_b64 s[0:1], vcc
	s_xor_b64 s[0:1], exec, s[0:1]
; %bb.492:
	v_cmp_ne_u32_e32 vcc, 0, v96
	v_cndmask_b32_e32 v96, 30, v96, vcc
; %bb.493:
	s_andn2_saveexec_b64 s[0:1], s[0:1]
; %bb.494:
	v_div_scale_f64 v[98:99], s[2:3], v[88:89], v[88:89], 1.0
	v_rcp_f64_e32 v[100:101], v[98:99]
	v_div_scale_f64 v[102:103], vcc, 1.0, v[88:89], 1.0
	v_fma_f64 v[104:105], -v[98:99], v[100:101], 1.0
	v_fmac_f64_e32 v[100:101], v[100:101], v[104:105]
	v_fma_f64 v[104:105], -v[98:99], v[100:101], 1.0
	v_fmac_f64_e32 v[100:101], v[100:101], v[104:105]
	v_mul_f64 v[104:105], v[102:103], v[100:101]
	v_fma_f64 v[98:99], -v[98:99], v[104:105], v[102:103]
	v_div_fmas_f64 v[98:99], v[98:99], v[100:101], v[104:105]
	v_div_fixup_f64 v[88:89], v[98:99], v[88:89], 1.0
; %bb.495:
	s_or_b64 exec, exec, s[0:1]
	v_cmp_ne_u32_e32 vcc, v93, v90
	s_and_saveexec_b64 s[0:1], vcc
	s_xor_b64 s[0:1], exec, s[0:1]
	s_cbranch_execz .LBB82_501
; %bb.496:
	v_cmp_eq_u32_e32 vcc, 29, v93
	s_and_saveexec_b64 s[2:3], vcc
	s_cbranch_execz .LBB82_500
; %bb.497:
	v_cmp_ne_u32_e32 vcc, 29, v90
	s_xor_b64 s[14:15], s[6:7], -1
	s_and_b64 s[16:17], s[14:15], vcc
	s_and_saveexec_b64 s[14:15], s[16:17]
	s_cbranch_execz .LBB82_499
; %bb.498:
	v_ashrrev_i32_e32 v91, 31, v90
	v_lshlrev_b64 v[98:99], 2, v[90:91]
	v_add_co_u32_e32 v98, vcc, v4, v98
	v_addc_co_u32_e32 v99, vcc, v5, v99, vcc
	flat_load_dword v91, v[98:99]
	flat_load_dword v93, v[4:5] offset:116
	s_waitcnt vmcnt(0) lgkmcnt(0)
	flat_store_dword v[4:5], v91 offset:116
	flat_store_dword v[98:99], v93
.LBB82_499:
	s_or_b64 exec, exec, s[14:15]
	v_mov_b32_e32 v91, v90
	v_mov_b32_e32 v93, v90
.LBB82_500:
	s_or_b64 exec, exec, s[2:3]
.LBB82_501:
	s_andn2_saveexec_b64 s[0:1], s[0:1]
	s_cbranch_execz .LBB82_503
; %bb.502:
	v_mov_b32_e32 v98, v26
	v_mov_b32_e32 v99, v27
	v_mov_b32_e32 v100, v22
	v_mov_b32_e32 v101, v23
	ds_write2_b64 v92, v[98:99], v[100:101] offset0:30 offset1:31
	v_mov_b32_e32 v98, v20
	v_mov_b32_e32 v99, v21
	v_mov_b32_e32 v100, v18
	v_mov_b32_e32 v101, v19
	ds_write2_b64 v92, v[98:99], v[100:101] offset0:32 offset1:33
	v_mov_b32_e32 v98, v16
	v_mov_b32_e32 v99, v17
	v_mov_b32_e32 v100, v14
	v_mov_b32_e32 v101, v15
	ds_write2_b64 v92, v[98:99], v[100:101] offset0:34 offset1:35
	v_mov_b32_e32 v98, v12
	v_mov_b32_e32 v99, v13
	v_mov_b32_e32 v100, v10
	v_mov_b32_e32 v101, v11
	ds_write2_b64 v92, v[98:99], v[100:101] offset0:36 offset1:37
	v_mov_b32_e32 v98, v8
	v_mov_b32_e32 v99, v9
	v_mov_b32_e32 v100, v6
	v_mov_b32_e32 v101, v7
	ds_write2_b64 v92, v[98:99], v[100:101] offset0:38 offset1:39
	v_mov_b32_e32 v98, v0
	v_mov_b32_e32 v99, v1
	;; [unrolled: 1-line block ×3, first 2 shown]
	ds_write2_b64 v92, v[98:99], v[86:87] offset0:40 offset1:41
.LBB82_503:
	s_or_b64 exec, exec, s[0:1]
	v_cmp_lt_i32_e32 vcc, 29, v93
	s_waitcnt lgkmcnt(0)
	s_barrier
	s_and_saveexec_b64 s[0:1], vcc
	s_cbranch_execz .LBB82_505
; %bb.504:
	ds_read2_b64 v[98:101], v92 offset0:30 offset1:31
	ds_read2_b64 v[102:105], v92 offset0:32 offset1:33
	;; [unrolled: 1-line block ×3, first 2 shown]
	v_mul_f64 v[24:25], v[88:89], v[24:25]
	s_waitcnt lgkmcnt(0)
	v_fma_f64 v[26:27], -v[24:25], v[98:99], v[26:27]
	v_fma_f64 v[22:23], -v[24:25], v[100:101], v[22:23]
	ds_read2_b64 v[98:101], v92 offset0:36 offset1:37
	v_fma_f64 v[20:21], -v[24:25], v[102:103], v[20:21]
	v_fma_f64 v[18:19], -v[24:25], v[104:105], v[18:19]
	;; [unrolled: 1-line block ×3, first 2 shown]
	ds_read2_b64 v[102:105], v92 offset0:38 offset1:39
	v_fma_f64 v[14:15], -v[24:25], v[108:109], v[14:15]
	ds_read2_b64 v[106:109], v92 offset0:40 offset1:41
	s_waitcnt lgkmcnt(0)
	v_fma_f64 v[12:13], -v[24:25], v[98:99], v[12:13]
	v_fma_f64 v[10:11], -v[24:25], v[100:101], v[10:11]
	;; [unrolled: 1-line block ×6, first 2 shown]
.LBB82_505:
	s_or_b64 exec, exec, s[0:1]
	v_lshl_add_u32 v88, v93, 3, v92
	s_barrier
	ds_write_b64 v88, v[26:27]
	s_waitcnt lgkmcnt(0)
	s_barrier
	ds_read_b64 v[88:89], v92 offset:240
	s_cmp_lt_i32 s18, 32
	v_mov_b32_e32 v90, 30
	s_cbranch_scc1 .LBB82_508
; %bb.506:
	v_add_u32_e32 v97, 0xf8, v92
	s_mov_b32 s0, 31
	v_mov_b32_e32 v90, 30
.LBB82_507:                             ; =>This Inner Loop Header: Depth=1
	ds_read_b64 v[98:99], v97
	v_mov_b32_e32 v100, s0
	s_add_i32 s0, s0, 1
	v_add_u32_e32 v97, 8, v97
	s_cmp_lg_u32 s18, s0
	s_waitcnt lgkmcnt(0)
	v_cmp_lt_f64_e64 vcc, |v[88:89]|, |v[98:99]|
	v_cndmask_b32_e32 v89, v89, v99, vcc
	v_cndmask_b32_e32 v88, v88, v98, vcc
	;; [unrolled: 1-line block ×3, first 2 shown]
	s_cbranch_scc1 .LBB82_507
.LBB82_508:
	s_waitcnt lgkmcnt(0)
	v_cmp_eq_f64_e32 vcc, 0, v[88:89]
	s_and_saveexec_b64 s[0:1], vcc
	s_xor_b64 s[0:1], exec, s[0:1]
; %bb.509:
	v_cmp_ne_u32_e32 vcc, 0, v96
	v_cndmask_b32_e32 v96, 31, v96, vcc
; %bb.510:
	s_andn2_saveexec_b64 s[0:1], s[0:1]
; %bb.511:
	v_div_scale_f64 v[98:99], s[2:3], v[88:89], v[88:89], 1.0
	v_rcp_f64_e32 v[100:101], v[98:99]
	v_div_scale_f64 v[102:103], vcc, 1.0, v[88:89], 1.0
	v_fma_f64 v[104:105], -v[98:99], v[100:101], 1.0
	v_fmac_f64_e32 v[100:101], v[100:101], v[104:105]
	v_fma_f64 v[104:105], -v[98:99], v[100:101], 1.0
	v_fmac_f64_e32 v[100:101], v[100:101], v[104:105]
	v_mul_f64 v[104:105], v[102:103], v[100:101]
	v_fma_f64 v[98:99], -v[98:99], v[104:105], v[102:103]
	v_div_fmas_f64 v[98:99], v[98:99], v[100:101], v[104:105]
	v_div_fixup_f64 v[88:89], v[98:99], v[88:89], 1.0
; %bb.512:
	s_or_b64 exec, exec, s[0:1]
	v_cmp_ne_u32_e32 vcc, v93, v90
	s_and_saveexec_b64 s[0:1], vcc
	s_xor_b64 s[0:1], exec, s[0:1]
	s_cbranch_execz .LBB82_518
; %bb.513:
	v_cmp_eq_u32_e32 vcc, 30, v93
	s_and_saveexec_b64 s[2:3], vcc
	s_cbranch_execz .LBB82_517
; %bb.514:
	v_cmp_ne_u32_e32 vcc, 30, v90
	s_xor_b64 s[14:15], s[6:7], -1
	s_and_b64 s[16:17], s[14:15], vcc
	s_and_saveexec_b64 s[14:15], s[16:17]
	s_cbranch_execz .LBB82_516
; %bb.515:
	v_ashrrev_i32_e32 v91, 31, v90
	v_lshlrev_b64 v[98:99], 2, v[90:91]
	v_add_co_u32_e32 v98, vcc, v4, v98
	v_addc_co_u32_e32 v99, vcc, v5, v99, vcc
	flat_load_dword v91, v[98:99]
	flat_load_dword v93, v[4:5] offset:120
	s_waitcnt vmcnt(0) lgkmcnt(0)
	flat_store_dword v[4:5], v91 offset:120
	flat_store_dword v[98:99], v93
.LBB82_516:
	s_or_b64 exec, exec, s[14:15]
	v_mov_b32_e32 v91, v90
	v_mov_b32_e32 v93, v90
.LBB82_517:
	s_or_b64 exec, exec, s[2:3]
.LBB82_518:
	s_andn2_saveexec_b64 s[0:1], s[0:1]
	s_cbranch_execz .LBB82_520
; %bb.519:
	v_mov_b32_e32 v93, 30
	ds_write2_b64 v92, v[22:23], v[20:21] offset0:31 offset1:32
	ds_write2_b64 v92, v[18:19], v[16:17] offset0:33 offset1:34
	;; [unrolled: 1-line block ×5, first 2 shown]
	ds_write_b64 v92, v[86:87] offset:328
.LBB82_520:
	s_or_b64 exec, exec, s[0:1]
	v_cmp_lt_i32_e32 vcc, 30, v93
	s_waitcnt lgkmcnt(0)
	s_barrier
	s_and_saveexec_b64 s[0:1], vcc
	s_cbranch_execz .LBB82_522
; %bb.521:
	ds_read2_b64 v[98:101], v92 offset0:31 offset1:32
	ds_read2_b64 v[102:105], v92 offset0:33 offset1:34
	v_mul_f64 v[26:27], v[88:89], v[26:27]
	ds_read2_b64 v[106:109], v92 offset0:35 offset1:36
	ds_read_b64 v[88:89], v92 offset:328
	s_waitcnt lgkmcnt(0)
	v_fma_f64 v[22:23], -v[26:27], v[98:99], v[22:23]
	v_fma_f64 v[20:21], -v[26:27], v[100:101], v[20:21]
	ds_read2_b64 v[98:101], v92 offset0:37 offset1:38
	v_fma_f64 v[18:19], -v[26:27], v[102:103], v[18:19]
	v_fma_f64 v[16:17], -v[26:27], v[104:105], v[16:17]
	ds_read2_b64 v[102:105], v92 offset0:39 offset1:40
	v_fma_f64 v[14:15], -v[26:27], v[106:107], v[14:15]
	v_fma_f64 v[12:13], -v[26:27], v[108:109], v[12:13]
	s_waitcnt lgkmcnt(0)
	v_fma_f64 v[10:11], -v[26:27], v[98:99], v[10:11]
	v_fma_f64 v[8:9], -v[26:27], v[100:101], v[8:9]
	;; [unrolled: 1-line block ×5, first 2 shown]
.LBB82_522:
	s_or_b64 exec, exec, s[0:1]
	v_lshl_add_u32 v88, v93, 3, v92
	s_barrier
	ds_write_b64 v88, v[22:23]
	s_waitcnt lgkmcnt(0)
	s_barrier
	ds_read_b64 v[88:89], v92 offset:248
	s_cmp_lt_i32 s18, 33
	v_mov_b32_e32 v90, 31
	s_cbranch_scc1 .LBB82_525
; %bb.523:
	v_add_u32_e32 v97, 0x100, v92
	s_mov_b32 s0, 32
	v_mov_b32_e32 v90, 31
.LBB82_524:                             ; =>This Inner Loop Header: Depth=1
	ds_read_b64 v[98:99], v97
	v_mov_b32_e32 v100, s0
	s_add_i32 s0, s0, 1
	v_add_u32_e32 v97, 8, v97
	s_cmp_lg_u32 s18, s0
	s_waitcnt lgkmcnt(0)
	v_cmp_lt_f64_e64 vcc, |v[88:89]|, |v[98:99]|
	v_cndmask_b32_e32 v89, v89, v99, vcc
	v_cndmask_b32_e32 v88, v88, v98, vcc
	;; [unrolled: 1-line block ×3, first 2 shown]
	s_cbranch_scc1 .LBB82_524
.LBB82_525:
	s_waitcnt lgkmcnt(0)
	v_cmp_eq_f64_e32 vcc, 0, v[88:89]
	s_and_saveexec_b64 s[0:1], vcc
	s_xor_b64 s[0:1], exec, s[0:1]
; %bb.526:
	v_cmp_ne_u32_e32 vcc, 0, v96
	v_cndmask_b32_e32 v96, 32, v96, vcc
; %bb.527:
	s_andn2_saveexec_b64 s[0:1], s[0:1]
; %bb.528:
	v_div_scale_f64 v[98:99], s[2:3], v[88:89], v[88:89], 1.0
	v_rcp_f64_e32 v[100:101], v[98:99]
	v_div_scale_f64 v[102:103], vcc, 1.0, v[88:89], 1.0
	v_fma_f64 v[104:105], -v[98:99], v[100:101], 1.0
	v_fmac_f64_e32 v[100:101], v[100:101], v[104:105]
	v_fma_f64 v[104:105], -v[98:99], v[100:101], 1.0
	v_fmac_f64_e32 v[100:101], v[100:101], v[104:105]
	v_mul_f64 v[104:105], v[102:103], v[100:101]
	v_fma_f64 v[98:99], -v[98:99], v[104:105], v[102:103]
	v_div_fmas_f64 v[98:99], v[98:99], v[100:101], v[104:105]
	v_div_fixup_f64 v[88:89], v[98:99], v[88:89], 1.0
; %bb.529:
	s_or_b64 exec, exec, s[0:1]
	v_cmp_ne_u32_e32 vcc, v93, v90
	s_and_saveexec_b64 s[0:1], vcc
	s_xor_b64 s[0:1], exec, s[0:1]
	s_cbranch_execz .LBB82_535
; %bb.530:
	v_cmp_eq_u32_e32 vcc, 31, v93
	s_and_saveexec_b64 s[2:3], vcc
	s_cbranch_execz .LBB82_534
; %bb.531:
	v_cmp_ne_u32_e32 vcc, 31, v90
	s_xor_b64 s[14:15], s[6:7], -1
	s_and_b64 s[16:17], s[14:15], vcc
	s_and_saveexec_b64 s[14:15], s[16:17]
	s_cbranch_execz .LBB82_533
; %bb.532:
	v_ashrrev_i32_e32 v91, 31, v90
	v_lshlrev_b64 v[98:99], 2, v[90:91]
	v_add_co_u32_e32 v98, vcc, v4, v98
	v_addc_co_u32_e32 v99, vcc, v5, v99, vcc
	flat_load_dword v91, v[98:99]
	flat_load_dword v93, v[4:5] offset:124
	s_waitcnt vmcnt(0) lgkmcnt(0)
	flat_store_dword v[4:5], v91 offset:124
	flat_store_dword v[98:99], v93
.LBB82_533:
	s_or_b64 exec, exec, s[14:15]
	v_mov_b32_e32 v91, v90
	v_mov_b32_e32 v93, v90
.LBB82_534:
	s_or_b64 exec, exec, s[2:3]
.LBB82_535:
	s_andn2_saveexec_b64 s[0:1], s[0:1]
	s_cbranch_execz .LBB82_537
; %bb.536:
	v_mov_b32_e32 v98, v20
	v_mov_b32_e32 v99, v21
	v_mov_b32_e32 v100, v18
	v_mov_b32_e32 v101, v19
	ds_write2_b64 v92, v[98:99], v[100:101] offset0:32 offset1:33
	v_mov_b32_e32 v98, v16
	v_mov_b32_e32 v99, v17
	v_mov_b32_e32 v100, v14
	v_mov_b32_e32 v101, v15
	ds_write2_b64 v92, v[98:99], v[100:101] offset0:34 offset1:35
	;; [unrolled: 5-line block ×4, first 2 shown]
	v_mov_b32_e32 v98, v0
	v_mov_b32_e32 v99, v1
	;; [unrolled: 1-line block ×3, first 2 shown]
	ds_write2_b64 v92, v[98:99], v[86:87] offset0:40 offset1:41
.LBB82_537:
	s_or_b64 exec, exec, s[0:1]
	v_cmp_lt_i32_e32 vcc, 31, v93
	s_waitcnt lgkmcnt(0)
	s_barrier
	s_and_saveexec_b64 s[0:1], vcc
	s_cbranch_execz .LBB82_539
; %bb.538:
	ds_read2_b64 v[98:101], v92 offset0:32 offset1:33
	ds_read2_b64 v[102:105], v92 offset0:34 offset1:35
	v_mul_f64 v[22:23], v[88:89], v[22:23]
	ds_read2_b64 v[106:109], v92 offset0:38 offset1:39
	s_waitcnt lgkmcnt(0)
	v_fma_f64 v[20:21], -v[22:23], v[98:99], v[20:21]
	v_fma_f64 v[18:19], -v[22:23], v[100:101], v[18:19]
	ds_read2_b64 v[98:101], v92 offset0:36 offset1:37
	v_fma_f64 v[16:17], -v[22:23], v[102:103], v[16:17]
	v_fma_f64 v[14:15], -v[22:23], v[104:105], v[14:15]
	ds_read2_b64 v[102:105], v92 offset0:40 offset1:41
	v_fma_f64 v[8:9], -v[22:23], v[106:107], v[8:9]
	s_waitcnt lgkmcnt(0)
	v_fma_f64 v[12:13], -v[22:23], v[98:99], v[12:13]
	v_fma_f64 v[10:11], -v[22:23], v[100:101], v[10:11]
	;; [unrolled: 1-line block ×5, first 2 shown]
.LBB82_539:
	s_or_b64 exec, exec, s[0:1]
	v_lshl_add_u32 v88, v93, 3, v92
	s_barrier
	ds_write_b64 v88, v[20:21]
	s_waitcnt lgkmcnt(0)
	s_barrier
	ds_read_b64 v[88:89], v92 offset:256
	s_cmp_lt_i32 s18, 34
	v_mov_b32_e32 v90, 32
	s_cbranch_scc1 .LBB82_542
; %bb.540:
	v_add_u32_e32 v97, 0x108, v92
	s_mov_b32 s0, 33
	v_mov_b32_e32 v90, 32
.LBB82_541:                             ; =>This Inner Loop Header: Depth=1
	ds_read_b64 v[98:99], v97
	v_mov_b32_e32 v100, s0
	s_add_i32 s0, s0, 1
	v_add_u32_e32 v97, 8, v97
	s_cmp_lg_u32 s18, s0
	s_waitcnt lgkmcnt(0)
	v_cmp_lt_f64_e64 vcc, |v[88:89]|, |v[98:99]|
	v_cndmask_b32_e32 v89, v89, v99, vcc
	v_cndmask_b32_e32 v88, v88, v98, vcc
	;; [unrolled: 1-line block ×3, first 2 shown]
	s_cbranch_scc1 .LBB82_541
.LBB82_542:
	s_waitcnt lgkmcnt(0)
	v_cmp_eq_f64_e32 vcc, 0, v[88:89]
	s_and_saveexec_b64 s[0:1], vcc
	s_xor_b64 s[0:1], exec, s[0:1]
; %bb.543:
	v_cmp_ne_u32_e32 vcc, 0, v96
	v_cndmask_b32_e32 v96, 33, v96, vcc
; %bb.544:
	s_andn2_saveexec_b64 s[0:1], s[0:1]
; %bb.545:
	v_div_scale_f64 v[98:99], s[2:3], v[88:89], v[88:89], 1.0
	v_rcp_f64_e32 v[100:101], v[98:99]
	v_div_scale_f64 v[102:103], vcc, 1.0, v[88:89], 1.0
	v_fma_f64 v[104:105], -v[98:99], v[100:101], 1.0
	v_fmac_f64_e32 v[100:101], v[100:101], v[104:105]
	v_fma_f64 v[104:105], -v[98:99], v[100:101], 1.0
	v_fmac_f64_e32 v[100:101], v[100:101], v[104:105]
	v_mul_f64 v[104:105], v[102:103], v[100:101]
	v_fma_f64 v[98:99], -v[98:99], v[104:105], v[102:103]
	v_div_fmas_f64 v[98:99], v[98:99], v[100:101], v[104:105]
	v_div_fixup_f64 v[88:89], v[98:99], v[88:89], 1.0
; %bb.546:
	s_or_b64 exec, exec, s[0:1]
	v_cmp_ne_u32_e32 vcc, v93, v90
	s_and_saveexec_b64 s[0:1], vcc
	s_xor_b64 s[0:1], exec, s[0:1]
	s_cbranch_execz .LBB82_552
; %bb.547:
	v_cmp_eq_u32_e32 vcc, 32, v93
	s_and_saveexec_b64 s[2:3], vcc
	s_cbranch_execz .LBB82_551
; %bb.548:
	v_cmp_ne_u32_e32 vcc, 32, v90
	s_xor_b64 s[14:15], s[6:7], -1
	s_and_b64 s[16:17], s[14:15], vcc
	s_and_saveexec_b64 s[14:15], s[16:17]
	s_cbranch_execz .LBB82_550
; %bb.549:
	v_ashrrev_i32_e32 v91, 31, v90
	v_lshlrev_b64 v[98:99], 2, v[90:91]
	v_add_co_u32_e32 v98, vcc, v4, v98
	v_addc_co_u32_e32 v99, vcc, v5, v99, vcc
	flat_load_dword v91, v[98:99]
	flat_load_dword v93, v[4:5] offset:128
	s_waitcnt vmcnt(0) lgkmcnt(0)
	flat_store_dword v[4:5], v91 offset:128
	flat_store_dword v[98:99], v93
.LBB82_550:
	s_or_b64 exec, exec, s[14:15]
	v_mov_b32_e32 v91, v90
	v_mov_b32_e32 v93, v90
.LBB82_551:
	s_or_b64 exec, exec, s[2:3]
.LBB82_552:
	s_andn2_saveexec_b64 s[0:1], s[0:1]
	s_cbranch_execz .LBB82_554
; %bb.553:
	v_mov_b32_e32 v93, 32
	ds_write2_b64 v92, v[18:19], v[16:17] offset0:33 offset1:34
	ds_write2_b64 v92, v[14:15], v[12:13] offset0:35 offset1:36
	;; [unrolled: 1-line block ×4, first 2 shown]
	ds_write_b64 v92, v[86:87] offset:328
.LBB82_554:
	s_or_b64 exec, exec, s[0:1]
	v_cmp_lt_i32_e32 vcc, 32, v93
	s_waitcnt lgkmcnt(0)
	s_barrier
	s_and_saveexec_b64 s[0:1], vcc
	s_cbranch_execz .LBB82_556
; %bb.555:
	ds_read2_b64 v[98:101], v92 offset0:33 offset1:34
	ds_read2_b64 v[102:105], v92 offset0:35 offset1:36
	v_mul_f64 v[20:21], v[88:89], v[20:21]
	ds_read_b64 v[88:89], v92 offset:328
	ds_read2_b64 v[106:109], v92 offset0:39 offset1:40
	s_waitcnt lgkmcnt(0)
	v_fma_f64 v[18:19], -v[20:21], v[98:99], v[18:19]
	v_fma_f64 v[16:17], -v[20:21], v[100:101], v[16:17]
	ds_read2_b64 v[98:101], v92 offset0:37 offset1:38
	v_fma_f64 v[14:15], -v[20:21], v[102:103], v[14:15]
	v_fma_f64 v[12:13], -v[20:21], v[104:105], v[12:13]
	;; [unrolled: 1-line block ×4, first 2 shown]
	s_waitcnt lgkmcnt(0)
	v_fma_f64 v[10:11], -v[20:21], v[98:99], v[10:11]
	v_fma_f64 v[8:9], -v[20:21], v[100:101], v[8:9]
	;; [unrolled: 1-line block ×3, first 2 shown]
.LBB82_556:
	s_or_b64 exec, exec, s[0:1]
	v_lshl_add_u32 v88, v93, 3, v92
	s_barrier
	ds_write_b64 v88, v[18:19]
	s_waitcnt lgkmcnt(0)
	s_barrier
	ds_read_b64 v[88:89], v92 offset:264
	s_cmp_lt_i32 s18, 35
	v_mov_b32_e32 v90, 33
	s_cbranch_scc1 .LBB82_559
; %bb.557:
	v_add_u32_e32 v97, 0x110, v92
	s_mov_b32 s0, 34
	v_mov_b32_e32 v90, 33
.LBB82_558:                             ; =>This Inner Loop Header: Depth=1
	ds_read_b64 v[98:99], v97
	v_mov_b32_e32 v100, s0
	s_add_i32 s0, s0, 1
	v_add_u32_e32 v97, 8, v97
	s_cmp_lg_u32 s18, s0
	s_waitcnt lgkmcnt(0)
	v_cmp_lt_f64_e64 vcc, |v[88:89]|, |v[98:99]|
	v_cndmask_b32_e32 v89, v89, v99, vcc
	v_cndmask_b32_e32 v88, v88, v98, vcc
	;; [unrolled: 1-line block ×3, first 2 shown]
	s_cbranch_scc1 .LBB82_558
.LBB82_559:
	s_waitcnt lgkmcnt(0)
	v_cmp_eq_f64_e32 vcc, 0, v[88:89]
	s_and_saveexec_b64 s[0:1], vcc
	s_xor_b64 s[0:1], exec, s[0:1]
; %bb.560:
	v_cmp_ne_u32_e32 vcc, 0, v96
	v_cndmask_b32_e32 v96, 34, v96, vcc
; %bb.561:
	s_andn2_saveexec_b64 s[0:1], s[0:1]
; %bb.562:
	v_div_scale_f64 v[98:99], s[2:3], v[88:89], v[88:89], 1.0
	v_rcp_f64_e32 v[100:101], v[98:99]
	v_div_scale_f64 v[102:103], vcc, 1.0, v[88:89], 1.0
	v_fma_f64 v[104:105], -v[98:99], v[100:101], 1.0
	v_fmac_f64_e32 v[100:101], v[100:101], v[104:105]
	v_fma_f64 v[104:105], -v[98:99], v[100:101], 1.0
	v_fmac_f64_e32 v[100:101], v[100:101], v[104:105]
	v_mul_f64 v[104:105], v[102:103], v[100:101]
	v_fma_f64 v[98:99], -v[98:99], v[104:105], v[102:103]
	v_div_fmas_f64 v[98:99], v[98:99], v[100:101], v[104:105]
	v_div_fixup_f64 v[88:89], v[98:99], v[88:89], 1.0
; %bb.563:
	s_or_b64 exec, exec, s[0:1]
	v_cmp_ne_u32_e32 vcc, v93, v90
	s_and_saveexec_b64 s[0:1], vcc
	s_xor_b64 s[0:1], exec, s[0:1]
	s_cbranch_execz .LBB82_569
; %bb.564:
	v_cmp_eq_u32_e32 vcc, 33, v93
	s_and_saveexec_b64 s[2:3], vcc
	s_cbranch_execz .LBB82_568
; %bb.565:
	v_cmp_ne_u32_e32 vcc, 33, v90
	s_xor_b64 s[14:15], s[6:7], -1
	s_and_b64 s[16:17], s[14:15], vcc
	s_and_saveexec_b64 s[14:15], s[16:17]
	s_cbranch_execz .LBB82_567
; %bb.566:
	v_ashrrev_i32_e32 v91, 31, v90
	v_lshlrev_b64 v[98:99], 2, v[90:91]
	v_add_co_u32_e32 v98, vcc, v4, v98
	v_addc_co_u32_e32 v99, vcc, v5, v99, vcc
	flat_load_dword v91, v[98:99]
	flat_load_dword v93, v[4:5] offset:132
	s_waitcnt vmcnt(0) lgkmcnt(0)
	flat_store_dword v[4:5], v91 offset:132
	flat_store_dword v[98:99], v93
.LBB82_567:
	s_or_b64 exec, exec, s[14:15]
	v_mov_b32_e32 v91, v90
	v_mov_b32_e32 v93, v90
.LBB82_568:
	s_or_b64 exec, exec, s[2:3]
.LBB82_569:
	s_andn2_saveexec_b64 s[0:1], s[0:1]
	s_cbranch_execz .LBB82_571
; %bb.570:
	v_mov_b32_e32 v98, v16
	v_mov_b32_e32 v99, v17
	v_mov_b32_e32 v100, v14
	v_mov_b32_e32 v101, v15
	ds_write2_b64 v92, v[98:99], v[100:101] offset0:34 offset1:35
	v_mov_b32_e32 v98, v12
	v_mov_b32_e32 v99, v13
	v_mov_b32_e32 v100, v10
	v_mov_b32_e32 v101, v11
	ds_write2_b64 v92, v[98:99], v[100:101] offset0:36 offset1:37
	;; [unrolled: 5-line block ×3, first 2 shown]
	v_mov_b32_e32 v98, v0
	v_mov_b32_e32 v99, v1
	;; [unrolled: 1-line block ×3, first 2 shown]
	ds_write2_b64 v92, v[98:99], v[86:87] offset0:40 offset1:41
.LBB82_571:
	s_or_b64 exec, exec, s[0:1]
	v_cmp_lt_i32_e32 vcc, 33, v93
	s_waitcnt lgkmcnt(0)
	s_barrier
	s_and_saveexec_b64 s[0:1], vcc
	s_cbranch_execz .LBB82_573
; %bb.572:
	ds_read2_b64 v[98:101], v92 offset0:34 offset1:35
	ds_read2_b64 v[102:105], v92 offset0:36 offset1:37
	v_mul_f64 v[18:19], v[88:89], v[18:19]
	ds_read2_b64 v[106:109], v92 offset0:38 offset1:39
	s_waitcnt lgkmcnt(0)
	v_fma_f64 v[16:17], -v[18:19], v[98:99], v[16:17]
	v_fma_f64 v[14:15], -v[18:19], v[100:101], v[14:15]
	ds_read2_b64 v[98:101], v92 offset0:40 offset1:41
	v_fma_f64 v[12:13], -v[18:19], v[102:103], v[12:13]
	v_fma_f64 v[10:11], -v[18:19], v[104:105], v[10:11]
	;; [unrolled: 1-line block ×4, first 2 shown]
	s_waitcnt lgkmcnt(0)
	v_fma_f64 v[0:1], -v[18:19], v[98:99], v[0:1]
	v_fma_f64 v[86:87], -v[18:19], v[100:101], v[86:87]
.LBB82_573:
	s_or_b64 exec, exec, s[0:1]
	v_lshl_add_u32 v88, v93, 3, v92
	s_barrier
	ds_write_b64 v88, v[16:17]
	s_waitcnt lgkmcnt(0)
	s_barrier
	ds_read_b64 v[88:89], v92 offset:272
	s_cmp_lt_i32 s18, 36
	v_mov_b32_e32 v90, 34
	s_cbranch_scc1 .LBB82_576
; %bb.574:
	v_add_u32_e32 v97, 0x118, v92
	s_mov_b32 s0, 35
	v_mov_b32_e32 v90, 34
.LBB82_575:                             ; =>This Inner Loop Header: Depth=1
	ds_read_b64 v[98:99], v97
	v_mov_b32_e32 v100, s0
	s_add_i32 s0, s0, 1
	v_add_u32_e32 v97, 8, v97
	s_cmp_lg_u32 s18, s0
	s_waitcnt lgkmcnt(0)
	v_cmp_lt_f64_e64 vcc, |v[88:89]|, |v[98:99]|
	v_cndmask_b32_e32 v89, v89, v99, vcc
	v_cndmask_b32_e32 v88, v88, v98, vcc
	;; [unrolled: 1-line block ×3, first 2 shown]
	s_cbranch_scc1 .LBB82_575
.LBB82_576:
	s_waitcnt lgkmcnt(0)
	v_cmp_eq_f64_e32 vcc, 0, v[88:89]
	s_and_saveexec_b64 s[0:1], vcc
	s_xor_b64 s[0:1], exec, s[0:1]
; %bb.577:
	v_cmp_ne_u32_e32 vcc, 0, v96
	v_cndmask_b32_e32 v96, 35, v96, vcc
; %bb.578:
	s_andn2_saveexec_b64 s[0:1], s[0:1]
; %bb.579:
	v_div_scale_f64 v[98:99], s[2:3], v[88:89], v[88:89], 1.0
	v_rcp_f64_e32 v[100:101], v[98:99]
	v_div_scale_f64 v[102:103], vcc, 1.0, v[88:89], 1.0
	v_fma_f64 v[104:105], -v[98:99], v[100:101], 1.0
	v_fmac_f64_e32 v[100:101], v[100:101], v[104:105]
	v_fma_f64 v[104:105], -v[98:99], v[100:101], 1.0
	v_fmac_f64_e32 v[100:101], v[100:101], v[104:105]
	v_mul_f64 v[104:105], v[102:103], v[100:101]
	v_fma_f64 v[98:99], -v[98:99], v[104:105], v[102:103]
	v_div_fmas_f64 v[98:99], v[98:99], v[100:101], v[104:105]
	v_div_fixup_f64 v[88:89], v[98:99], v[88:89], 1.0
; %bb.580:
	s_or_b64 exec, exec, s[0:1]
	v_cmp_ne_u32_e32 vcc, v93, v90
	s_and_saveexec_b64 s[0:1], vcc
	s_xor_b64 s[0:1], exec, s[0:1]
	s_cbranch_execz .LBB82_586
; %bb.581:
	v_cmp_eq_u32_e32 vcc, 34, v93
	s_and_saveexec_b64 s[2:3], vcc
	s_cbranch_execz .LBB82_585
; %bb.582:
	v_cmp_ne_u32_e32 vcc, 34, v90
	s_xor_b64 s[14:15], s[6:7], -1
	s_and_b64 s[16:17], s[14:15], vcc
	s_and_saveexec_b64 s[14:15], s[16:17]
	s_cbranch_execz .LBB82_584
; %bb.583:
	v_ashrrev_i32_e32 v91, 31, v90
	v_lshlrev_b64 v[98:99], 2, v[90:91]
	v_add_co_u32_e32 v98, vcc, v4, v98
	v_addc_co_u32_e32 v99, vcc, v5, v99, vcc
	flat_load_dword v91, v[98:99]
	flat_load_dword v93, v[4:5] offset:136
	s_waitcnt vmcnt(0) lgkmcnt(0)
	flat_store_dword v[4:5], v91 offset:136
	flat_store_dword v[98:99], v93
.LBB82_584:
	s_or_b64 exec, exec, s[14:15]
	v_mov_b32_e32 v91, v90
	v_mov_b32_e32 v93, v90
.LBB82_585:
	s_or_b64 exec, exec, s[2:3]
.LBB82_586:
	s_andn2_saveexec_b64 s[0:1], s[0:1]
	s_cbranch_execz .LBB82_588
; %bb.587:
	v_mov_b32_e32 v93, 34
	ds_write2_b64 v92, v[14:15], v[12:13] offset0:35 offset1:36
	ds_write2_b64 v92, v[10:11], v[8:9] offset0:37 offset1:38
	;; [unrolled: 1-line block ×3, first 2 shown]
	ds_write_b64 v92, v[86:87] offset:328
.LBB82_588:
	s_or_b64 exec, exec, s[0:1]
	v_cmp_lt_i32_e32 vcc, 34, v93
	s_waitcnt lgkmcnt(0)
	s_barrier
	s_and_saveexec_b64 s[0:1], vcc
	s_cbranch_execz .LBB82_590
; %bb.589:
	ds_read2_b64 v[98:101], v92 offset0:35 offset1:36
	ds_read2_b64 v[102:105], v92 offset0:37 offset1:38
	v_mul_f64 v[16:17], v[88:89], v[16:17]
	ds_read2_b64 v[106:109], v92 offset0:39 offset1:40
	ds_read_b64 v[88:89], v92 offset:328
	s_waitcnt lgkmcnt(0)
	v_fma_f64 v[14:15], -v[16:17], v[98:99], v[14:15]
	v_fma_f64 v[12:13], -v[16:17], v[100:101], v[12:13]
	;; [unrolled: 1-line block ×7, first 2 shown]
.LBB82_590:
	s_or_b64 exec, exec, s[0:1]
	v_lshl_add_u32 v88, v93, 3, v92
	s_barrier
	ds_write_b64 v88, v[14:15]
	s_waitcnt lgkmcnt(0)
	s_barrier
	ds_read_b64 v[88:89], v92 offset:280
	s_cmp_lt_i32 s18, 37
	v_mov_b32_e32 v90, 35
	s_cbranch_scc1 .LBB82_593
; %bb.591:
	v_add_u32_e32 v97, 0x120, v92
	s_mov_b32 s0, 36
	v_mov_b32_e32 v90, 35
.LBB82_592:                             ; =>This Inner Loop Header: Depth=1
	ds_read_b64 v[98:99], v97
	v_mov_b32_e32 v100, s0
	s_add_i32 s0, s0, 1
	v_add_u32_e32 v97, 8, v97
	s_cmp_lg_u32 s18, s0
	s_waitcnt lgkmcnt(0)
	v_cmp_lt_f64_e64 vcc, |v[88:89]|, |v[98:99]|
	v_cndmask_b32_e32 v89, v89, v99, vcc
	v_cndmask_b32_e32 v88, v88, v98, vcc
	v_cndmask_b32_e32 v90, v90, v100, vcc
	s_cbranch_scc1 .LBB82_592
.LBB82_593:
	s_waitcnt lgkmcnt(0)
	v_cmp_eq_f64_e32 vcc, 0, v[88:89]
	s_and_saveexec_b64 s[0:1], vcc
	s_xor_b64 s[0:1], exec, s[0:1]
; %bb.594:
	v_cmp_ne_u32_e32 vcc, 0, v96
	v_cndmask_b32_e32 v96, 36, v96, vcc
; %bb.595:
	s_andn2_saveexec_b64 s[0:1], s[0:1]
; %bb.596:
	v_div_scale_f64 v[98:99], s[2:3], v[88:89], v[88:89], 1.0
	v_rcp_f64_e32 v[100:101], v[98:99]
	v_div_scale_f64 v[102:103], vcc, 1.0, v[88:89], 1.0
	v_fma_f64 v[104:105], -v[98:99], v[100:101], 1.0
	v_fmac_f64_e32 v[100:101], v[100:101], v[104:105]
	v_fma_f64 v[104:105], -v[98:99], v[100:101], 1.0
	v_fmac_f64_e32 v[100:101], v[100:101], v[104:105]
	v_mul_f64 v[104:105], v[102:103], v[100:101]
	v_fma_f64 v[98:99], -v[98:99], v[104:105], v[102:103]
	v_div_fmas_f64 v[98:99], v[98:99], v[100:101], v[104:105]
	v_div_fixup_f64 v[88:89], v[98:99], v[88:89], 1.0
; %bb.597:
	s_or_b64 exec, exec, s[0:1]
	v_cmp_ne_u32_e32 vcc, v93, v90
	s_and_saveexec_b64 s[0:1], vcc
	s_xor_b64 s[0:1], exec, s[0:1]
	s_cbranch_execz .LBB82_603
; %bb.598:
	v_cmp_eq_u32_e32 vcc, 35, v93
	s_and_saveexec_b64 s[2:3], vcc
	s_cbranch_execz .LBB82_602
; %bb.599:
	v_cmp_ne_u32_e32 vcc, 35, v90
	s_xor_b64 s[14:15], s[6:7], -1
	s_and_b64 s[16:17], s[14:15], vcc
	s_and_saveexec_b64 s[14:15], s[16:17]
	s_cbranch_execz .LBB82_601
; %bb.600:
	v_ashrrev_i32_e32 v91, 31, v90
	v_lshlrev_b64 v[98:99], 2, v[90:91]
	v_add_co_u32_e32 v98, vcc, v4, v98
	v_addc_co_u32_e32 v99, vcc, v5, v99, vcc
	flat_load_dword v91, v[98:99]
	flat_load_dword v93, v[4:5] offset:140
	s_waitcnt vmcnt(0) lgkmcnt(0)
	flat_store_dword v[4:5], v91 offset:140
	flat_store_dword v[98:99], v93
.LBB82_601:
	s_or_b64 exec, exec, s[14:15]
	v_mov_b32_e32 v91, v90
	v_mov_b32_e32 v93, v90
.LBB82_602:
	s_or_b64 exec, exec, s[2:3]
.LBB82_603:
	s_andn2_saveexec_b64 s[0:1], s[0:1]
	s_cbranch_execz .LBB82_605
; %bb.604:
	v_mov_b32_e32 v98, v12
	v_mov_b32_e32 v99, v13
	;; [unrolled: 1-line block ×4, first 2 shown]
	ds_write2_b64 v92, v[98:99], v[100:101] offset0:36 offset1:37
	v_mov_b32_e32 v98, v8
	v_mov_b32_e32 v99, v9
	;; [unrolled: 1-line block ×4, first 2 shown]
	ds_write2_b64 v92, v[98:99], v[100:101] offset0:38 offset1:39
	v_mov_b32_e32 v98, v0
	v_mov_b32_e32 v99, v1
	;; [unrolled: 1-line block ×3, first 2 shown]
	ds_write2_b64 v92, v[98:99], v[86:87] offset0:40 offset1:41
.LBB82_605:
	s_or_b64 exec, exec, s[0:1]
	v_cmp_lt_i32_e32 vcc, 35, v93
	s_waitcnt lgkmcnt(0)
	s_barrier
	s_and_saveexec_b64 s[0:1], vcc
	s_cbranch_execz .LBB82_607
; %bb.606:
	ds_read2_b64 v[98:101], v92 offset0:36 offset1:37
	ds_read2_b64 v[102:105], v92 offset0:38 offset1:39
	;; [unrolled: 1-line block ×3, first 2 shown]
	v_mul_f64 v[14:15], v[88:89], v[14:15]
	s_waitcnt lgkmcnt(0)
	v_fma_f64 v[12:13], -v[14:15], v[98:99], v[12:13]
	v_fma_f64 v[10:11], -v[14:15], v[100:101], v[10:11]
	v_fma_f64 v[8:9], -v[14:15], v[102:103], v[8:9]
	v_fma_f64 v[6:7], -v[14:15], v[104:105], v[6:7]
	v_fma_f64 v[0:1], -v[14:15], v[106:107], v[0:1]
	v_fma_f64 v[86:87], -v[14:15], v[108:109], v[86:87]
.LBB82_607:
	s_or_b64 exec, exec, s[0:1]
	v_lshl_add_u32 v88, v93, 3, v92
	s_barrier
	ds_write_b64 v88, v[12:13]
	s_waitcnt lgkmcnt(0)
	s_barrier
	ds_read_b64 v[88:89], v92 offset:288
	s_cmp_lt_i32 s18, 38
	v_mov_b32_e32 v90, 36
	s_cbranch_scc1 .LBB82_610
; %bb.608:
	v_add_u32_e32 v97, 0x128, v92
	s_mov_b32 s0, 37
	v_mov_b32_e32 v90, 36
.LBB82_609:                             ; =>This Inner Loop Header: Depth=1
	ds_read_b64 v[98:99], v97
	v_mov_b32_e32 v100, s0
	s_add_i32 s0, s0, 1
	v_add_u32_e32 v97, 8, v97
	s_cmp_lg_u32 s18, s0
	s_waitcnt lgkmcnt(0)
	v_cmp_lt_f64_e64 vcc, |v[88:89]|, |v[98:99]|
	v_cndmask_b32_e32 v89, v89, v99, vcc
	v_cndmask_b32_e32 v88, v88, v98, vcc
	;; [unrolled: 1-line block ×3, first 2 shown]
	s_cbranch_scc1 .LBB82_609
.LBB82_610:
	s_waitcnt lgkmcnt(0)
	v_cmp_eq_f64_e32 vcc, 0, v[88:89]
	s_and_saveexec_b64 s[0:1], vcc
	s_xor_b64 s[0:1], exec, s[0:1]
; %bb.611:
	v_cmp_ne_u32_e32 vcc, 0, v96
	v_cndmask_b32_e32 v96, 37, v96, vcc
; %bb.612:
	s_andn2_saveexec_b64 s[0:1], s[0:1]
; %bb.613:
	v_div_scale_f64 v[98:99], s[2:3], v[88:89], v[88:89], 1.0
	v_rcp_f64_e32 v[100:101], v[98:99]
	v_div_scale_f64 v[102:103], vcc, 1.0, v[88:89], 1.0
	v_fma_f64 v[104:105], -v[98:99], v[100:101], 1.0
	v_fmac_f64_e32 v[100:101], v[100:101], v[104:105]
	v_fma_f64 v[104:105], -v[98:99], v[100:101], 1.0
	v_fmac_f64_e32 v[100:101], v[100:101], v[104:105]
	v_mul_f64 v[104:105], v[102:103], v[100:101]
	v_fma_f64 v[98:99], -v[98:99], v[104:105], v[102:103]
	v_div_fmas_f64 v[98:99], v[98:99], v[100:101], v[104:105]
	v_div_fixup_f64 v[88:89], v[98:99], v[88:89], 1.0
; %bb.614:
	s_or_b64 exec, exec, s[0:1]
	v_cmp_ne_u32_e32 vcc, v93, v90
	s_and_saveexec_b64 s[0:1], vcc
	s_xor_b64 s[0:1], exec, s[0:1]
	s_cbranch_execz .LBB82_620
; %bb.615:
	v_cmp_eq_u32_e32 vcc, 36, v93
	s_and_saveexec_b64 s[2:3], vcc
	s_cbranch_execz .LBB82_619
; %bb.616:
	v_cmp_ne_u32_e32 vcc, 36, v90
	s_xor_b64 s[14:15], s[6:7], -1
	s_and_b64 s[16:17], s[14:15], vcc
	s_and_saveexec_b64 s[14:15], s[16:17]
	s_cbranch_execz .LBB82_618
; %bb.617:
	v_ashrrev_i32_e32 v91, 31, v90
	v_lshlrev_b64 v[98:99], 2, v[90:91]
	v_add_co_u32_e32 v98, vcc, v4, v98
	v_addc_co_u32_e32 v99, vcc, v5, v99, vcc
	flat_load_dword v91, v[98:99]
	flat_load_dword v93, v[4:5] offset:144
	s_waitcnt vmcnt(0) lgkmcnt(0)
	flat_store_dword v[4:5], v91 offset:144
	flat_store_dword v[98:99], v93
.LBB82_618:
	s_or_b64 exec, exec, s[14:15]
	v_mov_b32_e32 v91, v90
	v_mov_b32_e32 v93, v90
.LBB82_619:
	s_or_b64 exec, exec, s[2:3]
.LBB82_620:
	s_andn2_saveexec_b64 s[0:1], s[0:1]
	s_cbranch_execz .LBB82_622
; %bb.621:
	v_mov_b32_e32 v93, 36
	ds_write2_b64 v92, v[10:11], v[8:9] offset0:37 offset1:38
	ds_write2_b64 v92, v[6:7], v[0:1] offset0:39 offset1:40
	ds_write_b64 v92, v[86:87] offset:328
.LBB82_622:
	s_or_b64 exec, exec, s[0:1]
	v_cmp_lt_i32_e32 vcc, 36, v93
	s_waitcnt lgkmcnt(0)
	s_barrier
	s_and_saveexec_b64 s[0:1], vcc
	s_cbranch_execz .LBB82_624
; %bb.623:
	ds_read2_b64 v[98:101], v92 offset0:37 offset1:38
	ds_read2_b64 v[102:105], v92 offset0:39 offset1:40
	v_mul_f64 v[12:13], v[88:89], v[12:13]
	ds_read_b64 v[88:89], v92 offset:328
	s_waitcnt lgkmcnt(0)
	v_fma_f64 v[10:11], -v[12:13], v[98:99], v[10:11]
	v_fma_f64 v[8:9], -v[12:13], v[100:101], v[8:9]
	v_fma_f64 v[6:7], -v[12:13], v[102:103], v[6:7]
	v_fma_f64 v[0:1], -v[12:13], v[104:105], v[0:1]
	v_fma_f64 v[86:87], -v[12:13], v[88:89], v[86:87]
.LBB82_624:
	s_or_b64 exec, exec, s[0:1]
	v_lshl_add_u32 v88, v93, 3, v92
	s_barrier
	ds_write_b64 v88, v[10:11]
	s_waitcnt lgkmcnt(0)
	s_barrier
	ds_read_b64 v[88:89], v92 offset:296
	s_cmp_lt_i32 s18, 39
	v_mov_b32_e32 v90, 37
	s_cbranch_scc1 .LBB82_627
; %bb.625:
	v_add_u32_e32 v97, 0x130, v92
	s_mov_b32 s0, 38
	v_mov_b32_e32 v90, 37
.LBB82_626:                             ; =>This Inner Loop Header: Depth=1
	ds_read_b64 v[98:99], v97
	v_mov_b32_e32 v100, s0
	s_add_i32 s0, s0, 1
	v_add_u32_e32 v97, 8, v97
	s_cmp_lg_u32 s18, s0
	s_waitcnt lgkmcnt(0)
	v_cmp_lt_f64_e64 vcc, |v[88:89]|, |v[98:99]|
	v_cndmask_b32_e32 v89, v89, v99, vcc
	v_cndmask_b32_e32 v88, v88, v98, vcc
	;; [unrolled: 1-line block ×3, first 2 shown]
	s_cbranch_scc1 .LBB82_626
.LBB82_627:
	s_waitcnt lgkmcnt(0)
	v_cmp_eq_f64_e32 vcc, 0, v[88:89]
	s_and_saveexec_b64 s[0:1], vcc
	s_xor_b64 s[0:1], exec, s[0:1]
; %bb.628:
	v_cmp_ne_u32_e32 vcc, 0, v96
	v_cndmask_b32_e32 v96, 38, v96, vcc
; %bb.629:
	s_andn2_saveexec_b64 s[0:1], s[0:1]
; %bb.630:
	v_div_scale_f64 v[98:99], s[2:3], v[88:89], v[88:89], 1.0
	v_rcp_f64_e32 v[100:101], v[98:99]
	v_div_scale_f64 v[102:103], vcc, 1.0, v[88:89], 1.0
	v_fma_f64 v[104:105], -v[98:99], v[100:101], 1.0
	v_fmac_f64_e32 v[100:101], v[100:101], v[104:105]
	v_fma_f64 v[104:105], -v[98:99], v[100:101], 1.0
	v_fmac_f64_e32 v[100:101], v[100:101], v[104:105]
	v_mul_f64 v[104:105], v[102:103], v[100:101]
	v_fma_f64 v[98:99], -v[98:99], v[104:105], v[102:103]
	v_div_fmas_f64 v[98:99], v[98:99], v[100:101], v[104:105]
	v_div_fixup_f64 v[88:89], v[98:99], v[88:89], 1.0
; %bb.631:
	s_or_b64 exec, exec, s[0:1]
	v_cmp_ne_u32_e32 vcc, v93, v90
	s_and_saveexec_b64 s[0:1], vcc
	s_xor_b64 s[0:1], exec, s[0:1]
	s_cbranch_execz .LBB82_637
; %bb.632:
	v_cmp_eq_u32_e32 vcc, 37, v93
	s_and_saveexec_b64 s[2:3], vcc
	s_cbranch_execz .LBB82_636
; %bb.633:
	v_cmp_ne_u32_e32 vcc, 37, v90
	s_xor_b64 s[14:15], s[6:7], -1
	s_and_b64 s[16:17], s[14:15], vcc
	s_and_saveexec_b64 s[14:15], s[16:17]
	s_cbranch_execz .LBB82_635
; %bb.634:
	v_ashrrev_i32_e32 v91, 31, v90
	v_lshlrev_b64 v[98:99], 2, v[90:91]
	v_add_co_u32_e32 v98, vcc, v4, v98
	v_addc_co_u32_e32 v99, vcc, v5, v99, vcc
	flat_load_dword v91, v[98:99]
	flat_load_dword v93, v[4:5] offset:148
	s_waitcnt vmcnt(0) lgkmcnt(0)
	flat_store_dword v[4:5], v91 offset:148
	flat_store_dword v[98:99], v93
.LBB82_635:
	s_or_b64 exec, exec, s[14:15]
	v_mov_b32_e32 v91, v90
	v_mov_b32_e32 v93, v90
.LBB82_636:
	s_or_b64 exec, exec, s[2:3]
.LBB82_637:
	s_andn2_saveexec_b64 s[0:1], s[0:1]
	s_cbranch_execz .LBB82_639
; %bb.638:
	v_mov_b32_e32 v98, v8
	v_mov_b32_e32 v99, v9
	v_mov_b32_e32 v100, v6
	v_mov_b32_e32 v101, v7
	ds_write2_b64 v92, v[98:99], v[100:101] offset0:38 offset1:39
	v_mov_b32_e32 v98, v0
	v_mov_b32_e32 v99, v1
	;; [unrolled: 1-line block ×3, first 2 shown]
	ds_write2_b64 v92, v[98:99], v[86:87] offset0:40 offset1:41
.LBB82_639:
	s_or_b64 exec, exec, s[0:1]
	v_cmp_lt_i32_e32 vcc, 37, v93
	s_waitcnt lgkmcnt(0)
	s_barrier
	s_and_saveexec_b64 s[0:1], vcc
	s_cbranch_execz .LBB82_641
; %bb.640:
	ds_read2_b64 v[98:101], v92 offset0:38 offset1:39
	ds_read2_b64 v[102:105], v92 offset0:40 offset1:41
	v_mul_f64 v[10:11], v[88:89], v[10:11]
	s_waitcnt lgkmcnt(0)
	v_fma_f64 v[8:9], -v[10:11], v[98:99], v[8:9]
	v_fma_f64 v[6:7], -v[10:11], v[100:101], v[6:7]
	;; [unrolled: 1-line block ×4, first 2 shown]
.LBB82_641:
	s_or_b64 exec, exec, s[0:1]
	v_lshl_add_u32 v88, v93, 3, v92
	s_barrier
	ds_write_b64 v88, v[8:9]
	s_waitcnt lgkmcnt(0)
	s_barrier
	ds_read_b64 v[88:89], v92 offset:304
	s_cmp_lt_i32 s18, 40
	v_mov_b32_e32 v90, 38
	s_cbranch_scc1 .LBB82_644
; %bb.642:
	v_add_u32_e32 v97, 0x138, v92
	s_mov_b32 s0, 39
	v_mov_b32_e32 v90, 38
.LBB82_643:                             ; =>This Inner Loop Header: Depth=1
	ds_read_b64 v[98:99], v97
	v_mov_b32_e32 v100, s0
	s_add_i32 s0, s0, 1
	v_add_u32_e32 v97, 8, v97
	s_cmp_lg_u32 s18, s0
	s_waitcnt lgkmcnt(0)
	v_cmp_lt_f64_e64 vcc, |v[88:89]|, |v[98:99]|
	v_cndmask_b32_e32 v89, v89, v99, vcc
	v_cndmask_b32_e32 v88, v88, v98, vcc
	;; [unrolled: 1-line block ×3, first 2 shown]
	s_cbranch_scc1 .LBB82_643
.LBB82_644:
	s_waitcnt lgkmcnt(0)
	v_cmp_eq_f64_e32 vcc, 0, v[88:89]
	s_and_saveexec_b64 s[0:1], vcc
	s_xor_b64 s[0:1], exec, s[0:1]
; %bb.645:
	v_cmp_ne_u32_e32 vcc, 0, v96
	v_cndmask_b32_e32 v96, 39, v96, vcc
; %bb.646:
	s_andn2_saveexec_b64 s[0:1], s[0:1]
; %bb.647:
	v_div_scale_f64 v[98:99], s[2:3], v[88:89], v[88:89], 1.0
	v_rcp_f64_e32 v[100:101], v[98:99]
	v_div_scale_f64 v[102:103], vcc, 1.0, v[88:89], 1.0
	v_fma_f64 v[104:105], -v[98:99], v[100:101], 1.0
	v_fmac_f64_e32 v[100:101], v[100:101], v[104:105]
	v_fma_f64 v[104:105], -v[98:99], v[100:101], 1.0
	v_fmac_f64_e32 v[100:101], v[100:101], v[104:105]
	v_mul_f64 v[104:105], v[102:103], v[100:101]
	v_fma_f64 v[98:99], -v[98:99], v[104:105], v[102:103]
	v_div_fmas_f64 v[98:99], v[98:99], v[100:101], v[104:105]
	v_div_fixup_f64 v[88:89], v[98:99], v[88:89], 1.0
; %bb.648:
	s_or_b64 exec, exec, s[0:1]
	v_cmp_ne_u32_e32 vcc, v93, v90
	s_and_saveexec_b64 s[0:1], vcc
	s_xor_b64 s[0:1], exec, s[0:1]
	s_cbranch_execz .LBB82_654
; %bb.649:
	v_cmp_eq_u32_e32 vcc, 38, v93
	s_and_saveexec_b64 s[2:3], vcc
	s_cbranch_execz .LBB82_653
; %bb.650:
	v_cmp_ne_u32_e32 vcc, 38, v90
	s_xor_b64 s[14:15], s[6:7], -1
	s_and_b64 s[16:17], s[14:15], vcc
	s_and_saveexec_b64 s[14:15], s[16:17]
	s_cbranch_execz .LBB82_652
; %bb.651:
	v_ashrrev_i32_e32 v91, 31, v90
	v_lshlrev_b64 v[98:99], 2, v[90:91]
	v_add_co_u32_e32 v98, vcc, v4, v98
	v_addc_co_u32_e32 v99, vcc, v5, v99, vcc
	flat_load_dword v91, v[98:99]
	flat_load_dword v93, v[4:5] offset:152
	s_waitcnt vmcnt(0) lgkmcnt(0)
	flat_store_dword v[4:5], v91 offset:152
	flat_store_dword v[98:99], v93
.LBB82_652:
	s_or_b64 exec, exec, s[14:15]
	v_mov_b32_e32 v91, v90
	v_mov_b32_e32 v93, v90
.LBB82_653:
	s_or_b64 exec, exec, s[2:3]
.LBB82_654:
	s_andn2_saveexec_b64 s[0:1], s[0:1]
	s_cbranch_execz .LBB82_656
; %bb.655:
	v_mov_b32_e32 v93, 38
	ds_write2_b64 v92, v[6:7], v[0:1] offset0:39 offset1:40
	ds_write_b64 v92, v[86:87] offset:328
.LBB82_656:
	s_or_b64 exec, exec, s[0:1]
	v_cmp_lt_i32_e32 vcc, 38, v93
	s_waitcnt lgkmcnt(0)
	s_barrier
	s_and_saveexec_b64 s[0:1], vcc
	s_cbranch_execz .LBB82_658
; %bb.657:
	ds_read2_b64 v[98:101], v92 offset0:39 offset1:40
	ds_read_b64 v[102:103], v92 offset:328
	v_mul_f64 v[8:9], v[88:89], v[8:9]
	s_waitcnt lgkmcnt(0)
	v_fma_f64 v[6:7], -v[8:9], v[98:99], v[6:7]
	v_fma_f64 v[0:1], -v[8:9], v[100:101], v[0:1]
	;; [unrolled: 1-line block ×3, first 2 shown]
.LBB82_658:
	s_or_b64 exec, exec, s[0:1]
	v_lshl_add_u32 v88, v93, 3, v92
	s_barrier
	ds_write_b64 v88, v[6:7]
	s_waitcnt lgkmcnt(0)
	s_barrier
	ds_read_b64 v[88:89], v92 offset:312
	s_cmp_lt_i32 s18, 41
	v_mov_b32_e32 v90, 39
	s_cbranch_scc1 .LBB82_661
; %bb.659:
	v_add_u32_e32 v97, 0x140, v92
	s_mov_b32 s0, 40
	v_mov_b32_e32 v90, 39
.LBB82_660:                             ; =>This Inner Loop Header: Depth=1
	ds_read_b64 v[98:99], v97
	v_mov_b32_e32 v100, s0
	s_add_i32 s0, s0, 1
	v_add_u32_e32 v97, 8, v97
	s_cmp_lg_u32 s18, s0
	s_waitcnt lgkmcnt(0)
	v_cmp_lt_f64_e64 vcc, |v[88:89]|, |v[98:99]|
	v_cndmask_b32_e32 v89, v89, v99, vcc
	v_cndmask_b32_e32 v88, v88, v98, vcc
	;; [unrolled: 1-line block ×3, first 2 shown]
	s_cbranch_scc1 .LBB82_660
.LBB82_661:
	s_waitcnt lgkmcnt(0)
	v_cmp_eq_f64_e32 vcc, 0, v[88:89]
	s_and_saveexec_b64 s[0:1], vcc
	s_xor_b64 s[0:1], exec, s[0:1]
; %bb.662:
	v_cmp_ne_u32_e32 vcc, 0, v96
	v_cndmask_b32_e32 v96, 40, v96, vcc
; %bb.663:
	s_andn2_saveexec_b64 s[0:1], s[0:1]
; %bb.664:
	v_div_scale_f64 v[98:99], s[2:3], v[88:89], v[88:89], 1.0
	v_rcp_f64_e32 v[100:101], v[98:99]
	v_div_scale_f64 v[102:103], vcc, 1.0, v[88:89], 1.0
	v_fma_f64 v[104:105], -v[98:99], v[100:101], 1.0
	v_fmac_f64_e32 v[100:101], v[100:101], v[104:105]
	v_fma_f64 v[104:105], -v[98:99], v[100:101], 1.0
	v_fmac_f64_e32 v[100:101], v[100:101], v[104:105]
	v_mul_f64 v[104:105], v[102:103], v[100:101]
	v_fma_f64 v[98:99], -v[98:99], v[104:105], v[102:103]
	v_div_fmas_f64 v[98:99], v[98:99], v[100:101], v[104:105]
	v_div_fixup_f64 v[88:89], v[98:99], v[88:89], 1.0
; %bb.665:
	s_or_b64 exec, exec, s[0:1]
	v_cmp_ne_u32_e32 vcc, v93, v90
	s_and_saveexec_b64 s[0:1], vcc
	s_xor_b64 s[0:1], exec, s[0:1]
	s_cbranch_execz .LBB82_671
; %bb.666:
	v_cmp_eq_u32_e32 vcc, 39, v93
	s_and_saveexec_b64 s[2:3], vcc
	s_cbranch_execz .LBB82_670
; %bb.667:
	v_cmp_ne_u32_e32 vcc, 39, v90
	s_xor_b64 s[14:15], s[6:7], -1
	s_and_b64 s[16:17], s[14:15], vcc
	s_and_saveexec_b64 s[14:15], s[16:17]
	s_cbranch_execz .LBB82_669
; %bb.668:
	v_ashrrev_i32_e32 v91, 31, v90
	v_lshlrev_b64 v[98:99], 2, v[90:91]
	v_add_co_u32_e32 v98, vcc, v4, v98
	v_addc_co_u32_e32 v99, vcc, v5, v99, vcc
	flat_load_dword v91, v[98:99]
	flat_load_dword v93, v[4:5] offset:156
	s_waitcnt vmcnt(0) lgkmcnt(0)
	flat_store_dword v[4:5], v91 offset:156
	flat_store_dword v[98:99], v93
.LBB82_669:
	s_or_b64 exec, exec, s[14:15]
	v_mov_b32_e32 v91, v90
	v_mov_b32_e32 v93, v90
.LBB82_670:
	s_or_b64 exec, exec, s[2:3]
.LBB82_671:
	s_andn2_saveexec_b64 s[0:1], s[0:1]
	s_cbranch_execz .LBB82_673
; %bb.672:
	v_mov_b32_e32 v98, v0
	v_mov_b32_e32 v99, v1
	;; [unrolled: 1-line block ×3, first 2 shown]
	ds_write2_b64 v92, v[98:99], v[86:87] offset0:40 offset1:41
.LBB82_673:
	s_or_b64 exec, exec, s[0:1]
	v_cmp_lt_i32_e32 vcc, 39, v93
	s_waitcnt lgkmcnt(0)
	s_barrier
	s_and_saveexec_b64 s[0:1], vcc
	s_cbranch_execz .LBB82_675
; %bb.674:
	ds_read2_b64 v[98:101], v92 offset0:40 offset1:41
	v_mul_f64 v[6:7], v[88:89], v[6:7]
	s_waitcnt lgkmcnt(0)
	v_fma_f64 v[0:1], -v[6:7], v[98:99], v[0:1]
	v_fma_f64 v[86:87], -v[6:7], v[100:101], v[86:87]
.LBB82_675:
	s_or_b64 exec, exec, s[0:1]
	v_lshl_add_u32 v88, v93, 3, v92
	s_barrier
	ds_write_b64 v88, v[0:1]
	s_waitcnt lgkmcnt(0)
	s_barrier
	ds_read_b64 v[88:89], v92 offset:320
	s_cmp_lt_i32 s18, 42
	v_mov_b32_e32 v90, 40
	s_cbranch_scc1 .LBB82_678
; %bb.676:
	v_add_u32_e32 v97, 0x148, v92
	s_mov_b32 s0, 41
	v_mov_b32_e32 v90, 40
.LBB82_677:                             ; =>This Inner Loop Header: Depth=1
	ds_read_b64 v[98:99], v97
	v_mov_b32_e32 v100, s0
	s_add_i32 s0, s0, 1
	v_add_u32_e32 v97, 8, v97
	s_cmp_lg_u32 s18, s0
	s_waitcnt lgkmcnt(0)
	v_cmp_lt_f64_e64 vcc, |v[88:89]|, |v[98:99]|
	v_cndmask_b32_e32 v89, v89, v99, vcc
	v_cndmask_b32_e32 v88, v88, v98, vcc
	;; [unrolled: 1-line block ×3, first 2 shown]
	s_cbranch_scc1 .LBB82_677
.LBB82_678:
	s_waitcnt lgkmcnt(0)
	v_cmp_eq_f64_e32 vcc, 0, v[88:89]
	s_and_saveexec_b64 s[0:1], vcc
	s_xor_b64 s[0:1], exec, s[0:1]
; %bb.679:
	v_cmp_ne_u32_e32 vcc, 0, v96
	v_cndmask_b32_e32 v96, 41, v96, vcc
; %bb.680:
	s_andn2_saveexec_b64 s[0:1], s[0:1]
; %bb.681:
	v_div_scale_f64 v[98:99], s[2:3], v[88:89], v[88:89], 1.0
	v_rcp_f64_e32 v[100:101], v[98:99]
	v_div_scale_f64 v[102:103], vcc, 1.0, v[88:89], 1.0
	v_fma_f64 v[104:105], -v[98:99], v[100:101], 1.0
	v_fmac_f64_e32 v[100:101], v[100:101], v[104:105]
	v_fma_f64 v[104:105], -v[98:99], v[100:101], 1.0
	v_fmac_f64_e32 v[100:101], v[100:101], v[104:105]
	v_mul_f64 v[104:105], v[102:103], v[100:101]
	v_fma_f64 v[98:99], -v[98:99], v[104:105], v[102:103]
	v_div_fmas_f64 v[98:99], v[98:99], v[100:101], v[104:105]
	v_div_fixup_f64 v[88:89], v[98:99], v[88:89], 1.0
; %bb.682:
	s_or_b64 exec, exec, s[0:1]
	v_cmp_ne_u32_e32 vcc, v93, v90
	s_and_saveexec_b64 s[0:1], vcc
	s_xor_b64 s[0:1], exec, s[0:1]
	s_cbranch_execz .LBB82_688
; %bb.683:
	v_cmp_eq_u32_e32 vcc, 40, v93
	s_and_saveexec_b64 s[2:3], vcc
	s_cbranch_execz .LBB82_687
; %bb.684:
	v_cmp_ne_u32_e32 vcc, 40, v90
	s_xor_b64 s[14:15], s[6:7], -1
	s_and_b64 s[16:17], s[14:15], vcc
	s_and_saveexec_b64 s[14:15], s[16:17]
	s_cbranch_execz .LBB82_686
; %bb.685:
	v_ashrrev_i32_e32 v91, 31, v90
	v_lshlrev_b64 v[98:99], 2, v[90:91]
	v_add_co_u32_e32 v98, vcc, v4, v98
	v_addc_co_u32_e32 v99, vcc, v5, v99, vcc
	flat_load_dword v91, v[98:99]
	flat_load_dword v93, v[4:5] offset:160
	s_waitcnt vmcnt(0) lgkmcnt(0)
	flat_store_dword v[4:5], v91 offset:160
	flat_store_dword v[98:99], v93
.LBB82_686:
	s_or_b64 exec, exec, s[14:15]
	v_mov_b32_e32 v91, v90
	v_mov_b32_e32 v93, v90
.LBB82_687:
	s_or_b64 exec, exec, s[2:3]
.LBB82_688:
	s_andn2_saveexec_b64 s[0:1], s[0:1]
	s_cbranch_execz .LBB82_690
; %bb.689:
	v_mov_b32_e32 v93, 40
	ds_write_b64 v92, v[86:87] offset:328
.LBB82_690:
	s_or_b64 exec, exec, s[0:1]
	v_cmp_lt_i32_e32 vcc, 40, v93
	s_waitcnt lgkmcnt(0)
	s_barrier
	s_and_saveexec_b64 s[0:1], vcc
	s_cbranch_execz .LBB82_692
; %bb.691:
	ds_read_b64 v[98:99], v92 offset:328
	v_mul_f64 v[0:1], v[88:89], v[0:1]
	s_waitcnt lgkmcnt(0)
	v_fma_f64 v[86:87], -v[0:1], v[98:99], v[86:87]
.LBB82_692:
	s_or_b64 exec, exec, s[0:1]
	v_lshl_add_u32 v88, v93, 3, v92
	s_barrier
	ds_write_b64 v88, v[86:87]
	s_waitcnt lgkmcnt(0)
	s_barrier
	ds_read_b64 v[88:89], v92 offset:328
	s_cmp_lt_i32 s18, 43
	v_mov_b32_e32 v90, 41
	s_cbranch_scc1 .LBB82_695
; %bb.693:
	v_add_u32_e32 v92, 0x150, v92
	s_mov_b32 s0, 42
	v_mov_b32_e32 v90, 41
.LBB82_694:                             ; =>This Inner Loop Header: Depth=1
	ds_read_b64 v[98:99], v92
	v_mov_b32_e32 v97, s0
	s_add_i32 s0, s0, 1
	v_add_u32_e32 v92, 8, v92
	s_cmp_lg_u32 s18, s0
	s_waitcnt lgkmcnt(0)
	v_cmp_lt_f64_e64 vcc, |v[88:89]|, |v[98:99]|
	v_cndmask_b32_e32 v89, v89, v99, vcc
	v_cndmask_b32_e32 v88, v88, v98, vcc
	;; [unrolled: 1-line block ×3, first 2 shown]
	s_cbranch_scc1 .LBB82_694
.LBB82_695:
	s_waitcnt lgkmcnt(0)
	v_cmp_eq_f64_e32 vcc, 0, v[88:89]
	s_and_saveexec_b64 s[0:1], vcc
	s_xor_b64 s[0:1], exec, s[0:1]
; %bb.696:
	v_cmp_ne_u32_e32 vcc, 0, v96
	v_cndmask_b32_e32 v96, 42, v96, vcc
; %bb.697:
	s_andn2_saveexec_b64 s[0:1], s[0:1]
; %bb.698:
	v_div_scale_f64 v[98:99], s[2:3], v[88:89], v[88:89], 1.0
	v_rcp_f64_e32 v[100:101], v[98:99]
	v_div_scale_f64 v[102:103], vcc, 1.0, v[88:89], 1.0
	v_fma_f64 v[104:105], -v[98:99], v[100:101], 1.0
	v_fmac_f64_e32 v[100:101], v[100:101], v[104:105]
	v_fma_f64 v[104:105], -v[98:99], v[100:101], 1.0
	v_fmac_f64_e32 v[100:101], v[100:101], v[104:105]
	v_mul_f64 v[104:105], v[102:103], v[100:101]
	v_fma_f64 v[98:99], -v[98:99], v[104:105], v[102:103]
	v_div_fmas_f64 v[98:99], v[98:99], v[100:101], v[104:105]
	v_div_fixup_f64 v[88:89], v[98:99], v[88:89], 1.0
; %bb.699:
	s_or_b64 exec, exec, s[0:1]
	v_cmp_ne_u32_e32 vcc, v93, v90
	v_mov_b32_e32 v92, 41
	s_and_saveexec_b64 s[0:1], vcc
	s_cbranch_execz .LBB82_705
; %bb.700:
	v_cmp_eq_u32_e32 vcc, 41, v93
	s_and_saveexec_b64 s[2:3], vcc
	s_cbranch_execz .LBB82_704
; %bb.701:
	v_cmp_ne_u32_e32 vcc, 41, v90
	s_xor_b64 s[6:7], s[6:7], -1
	s_and_b64 s[14:15], s[6:7], vcc
	s_and_saveexec_b64 s[6:7], s[14:15]
	s_cbranch_execz .LBB82_703
; %bb.702:
	v_ashrrev_i32_e32 v91, 31, v90
	v_lshlrev_b64 v[92:93], 2, v[90:91]
	v_add_co_u32_e32 v92, vcc, v4, v92
	v_addc_co_u32_e32 v93, vcc, v5, v93, vcc
	flat_load_dword v91, v[92:93]
	flat_load_dword v97, v[4:5] offset:164
	s_waitcnt vmcnt(0) lgkmcnt(0)
	flat_store_dword v[4:5], v91 offset:164
	flat_store_dword v[92:93], v97
.LBB82_703:
	s_or_b64 exec, exec, s[6:7]
	v_mov_b32_e32 v91, v90
	v_mov_b32_e32 v93, v90
.LBB82_704:
	s_or_b64 exec, exec, s[2:3]
	v_mov_b32_e32 v92, v93
.LBB82_705:
	s_or_b64 exec, exec, s[0:1]
	s_load_dwordx8 s[0:7], s[4:5], 0x28
	v_cmp_gt_i32_e32 vcc, 42, v92
	v_ashrrev_i32_e32 v93, 31, v92
	s_waitcnt lgkmcnt(0)
	s_barrier
	s_barrier
	s_and_saveexec_b64 s[14:15], vcc
	s_cbranch_execz .LBB82_707
; %bb.706:
	v_mul_lo_u32 v90, v3, s4
	v_mul_lo_u32 v97, v2, s5
	v_mad_u64_u32 v[4:5], s[4:5], v2, s4, 0
	s_lshl_b64 s[2:3], s[2:3], 2
	v_add3_u32 v5, v5, v97, v90
	s_add_u32 s0, s2, s0
	v_lshlrev_b64 v[4:5], 2, v[4:5]
	s_addc_u32 s1, s3, s1
	v_mov_b32_e32 v90, s1
	v_add_co_u32_e32 v97, vcc, s0, v4
	v_addc_co_u32_e32 v90, vcc, v90, v5, vcc
	v_lshlrev_b64 v[4:5], 2, v[92:93]
	v_add_co_u32_e32 v4, vcc, v97, v4
	v_addc_co_u32_e32 v5, vcc, v90, v5, vcc
	v_add3_u32 v90, v91, s13, 1
	global_store_dword v[4:5], v90, off
.LBB82_707:
	s_or_b64 exec, exec, s[14:15]
	v_cmp_eq_u32_e32 vcc, 0, v92
	s_and_saveexec_b64 s[2:3], vcc
	s_cbranch_execz .LBB82_710
; %bb.708:
	v_lshlrev_b64 v[2:3], 2, v[2:3]
	v_mov_b32_e32 v4, s7
	v_add_co_u32_e32 v2, vcc, s6, v2
	v_addc_co_u32_e32 v3, vcc, v4, v3, vcc
	global_load_dword v4, v[2:3], off
	v_cmp_lt_i32_e64 s[0:1], 0, v96
	s_waitcnt vmcnt(0)
	v_cmp_eq_u32_e32 vcc, 0, v4
	s_and_b64 s[0:1], vcc, s[0:1]
	s_and_b64 exec, exec, s[0:1]
	s_cbranch_execz .LBB82_710
; %bb.709:
	v_add_u32_e32 v4, s13, v96
	global_store_dword v[2:3], v4, off
.LBB82_710:
	s_or_b64 exec, exec, s[2:3]
	v_mul_f64 v[2:3], v[88:89], v[86:87]
	v_cmp_lt_i32_e32 vcc, 41, v92
	v_lshlrev_b64 v[4:5], 3, v[92:93]
	v_cndmask_b32_e32 v3, v87, v3, vcc
	v_cndmask_b32_e32 v2, v86, v2, vcc
	v_add_co_u32_e32 v4, vcc, v94, v4
	v_addc_co_u32_e32 v5, vcc, v95, v5, vcc
	global_store_dwordx2 v[4:5], v[84:85], off
	v_mov_b32_e32 v84, s11
	v_add_co_u32_e32 v4, vcc, s10, v4
	v_addc_co_u32_e32 v5, vcc, v5, v84, vcc
	global_store_dwordx2 v[4:5], v[82:83], off
	v_add_u32_e32 v4, s12, v92
	v_ashrrev_i32_e32 v5, 31, v4
	v_lshlrev_b64 v[82:83], 3, v[4:5]
	v_add_co_u32_e32 v82, vcc, v94, v82
	v_add_u32_e32 v4, s8, v4
	v_addc_co_u32_e32 v83, vcc, v95, v83, vcc
	v_ashrrev_i32_e32 v5, 31, v4
	global_store_dwordx2 v[82:83], v[80:81], off
	v_lshlrev_b64 v[80:81], 3, v[4:5]
	v_add_co_u32_e32 v80, vcc, v94, v80
	v_add_u32_e32 v4, s8, v4
	v_addc_co_u32_e32 v81, vcc, v95, v81, vcc
	v_ashrrev_i32_e32 v5, 31, v4
	global_store_dwordx2 v[80:81], v[78:79], off
	;; [unrolled: 6-line block ×38, first 2 shown]
	v_lshlrev_b64 v[6:7], 3, v[4:5]
	v_add_co_u32_e32 v6, vcc, v94, v6
	v_addc_co_u32_e32 v7, vcc, v95, v7, vcc
	global_store_dwordx2 v[6:7], v[0:1], off
	v_add_u32_e32 v0, s8, v4
	v_ashrrev_i32_e32 v1, 31, v0
	v_lshlrev_b64 v[0:1], 3, v[0:1]
	v_add_co_u32_e32 v0, vcc, v94, v0
	v_addc_co_u32_e32 v1, vcc, v95, v1, vcc
	global_store_dwordx2 v[0:1], v[2:3], off
.LBB82_711:
	s_endpgm
	.section	.rodata,"a",@progbits
	.p2align	6, 0x0
	.amdhsa_kernel _ZN9rocsolver6v33100L18getf2_small_kernelILi42EdiiPKPdEEvT1_T3_lS5_lPS5_llPT2_S5_S5_S7_l
		.amdhsa_group_segment_fixed_size 0
		.amdhsa_private_segment_fixed_size 0
		.amdhsa_kernarg_size 352
		.amdhsa_user_sgpr_count 6
		.amdhsa_user_sgpr_private_segment_buffer 1
		.amdhsa_user_sgpr_dispatch_ptr 0
		.amdhsa_user_sgpr_queue_ptr 0
		.amdhsa_user_sgpr_kernarg_segment_ptr 1
		.amdhsa_user_sgpr_dispatch_id 0
		.amdhsa_user_sgpr_flat_scratch_init 0
		.amdhsa_user_sgpr_kernarg_preload_length 0
		.amdhsa_user_sgpr_kernarg_preload_offset 0
		.amdhsa_user_sgpr_private_segment_size 0
		.amdhsa_uses_dynamic_stack 0
		.amdhsa_system_sgpr_private_segment_wavefront_offset 0
		.amdhsa_system_sgpr_workgroup_id_x 1
		.amdhsa_system_sgpr_workgroup_id_y 1
		.amdhsa_system_sgpr_workgroup_id_z 0
		.amdhsa_system_sgpr_workgroup_info 0
		.amdhsa_system_vgpr_workitem_id 1
		.amdhsa_next_free_vgpr 146
		.amdhsa_next_free_sgpr 22
		.amdhsa_accum_offset 148
		.amdhsa_reserve_vcc 1
		.amdhsa_reserve_flat_scratch 0
		.amdhsa_float_round_mode_32 0
		.amdhsa_float_round_mode_16_64 0
		.amdhsa_float_denorm_mode_32 3
		.amdhsa_float_denorm_mode_16_64 3
		.amdhsa_dx10_clamp 1
		.amdhsa_ieee_mode 1
		.amdhsa_fp16_overflow 0
		.amdhsa_tg_split 0
		.amdhsa_exception_fp_ieee_invalid_op 0
		.amdhsa_exception_fp_denorm_src 0
		.amdhsa_exception_fp_ieee_div_zero 0
		.amdhsa_exception_fp_ieee_overflow 0
		.amdhsa_exception_fp_ieee_underflow 0
		.amdhsa_exception_fp_ieee_inexact 0
		.amdhsa_exception_int_div_zero 0
	.end_amdhsa_kernel
	.section	.text._ZN9rocsolver6v33100L18getf2_small_kernelILi42EdiiPKPdEEvT1_T3_lS5_lPS5_llPT2_S5_S5_S7_l,"axG",@progbits,_ZN9rocsolver6v33100L18getf2_small_kernelILi42EdiiPKPdEEvT1_T3_lS5_lPS5_llPT2_S5_S5_S7_l,comdat
.Lfunc_end82:
	.size	_ZN9rocsolver6v33100L18getf2_small_kernelILi42EdiiPKPdEEvT1_T3_lS5_lPS5_llPT2_S5_S5_S7_l, .Lfunc_end82-_ZN9rocsolver6v33100L18getf2_small_kernelILi42EdiiPKPdEEvT1_T3_lS5_lPS5_llPT2_S5_S5_S7_l
                                        ; -- End function
	.section	.AMDGPU.csdata,"",@progbits
; Kernel info:
; codeLenInByte = 37412
; NumSgprs: 26
; NumVgprs: 146
; NumAgprs: 0
; TotalNumVgprs: 146
; ScratchSize: 0
; MemoryBound: 0
; FloatMode: 240
; IeeeMode: 1
; LDSByteSize: 0 bytes/workgroup (compile time only)
; SGPRBlocks: 3
; VGPRBlocks: 18
; NumSGPRsForWavesPerEU: 26
; NumVGPRsForWavesPerEU: 146
; AccumOffset: 148
; Occupancy: 3
; WaveLimiterHint : 1
; COMPUTE_PGM_RSRC2:SCRATCH_EN: 0
; COMPUTE_PGM_RSRC2:USER_SGPR: 6
; COMPUTE_PGM_RSRC2:TRAP_HANDLER: 0
; COMPUTE_PGM_RSRC2:TGID_X_EN: 1
; COMPUTE_PGM_RSRC2:TGID_Y_EN: 1
; COMPUTE_PGM_RSRC2:TGID_Z_EN: 0
; COMPUTE_PGM_RSRC2:TIDIG_COMP_CNT: 1
; COMPUTE_PGM_RSRC3_GFX90A:ACCUM_OFFSET: 36
; COMPUTE_PGM_RSRC3_GFX90A:TG_SPLIT: 0
	.section	.text._ZN9rocsolver6v33100L23getf2_npvt_small_kernelILi42EdiiPKPdEEvT1_T3_lS5_lPT2_S5_S5_,"axG",@progbits,_ZN9rocsolver6v33100L23getf2_npvt_small_kernelILi42EdiiPKPdEEvT1_T3_lS5_lPT2_S5_S5_,comdat
	.globl	_ZN9rocsolver6v33100L23getf2_npvt_small_kernelILi42EdiiPKPdEEvT1_T3_lS5_lPT2_S5_S5_ ; -- Begin function _ZN9rocsolver6v33100L23getf2_npvt_small_kernelILi42EdiiPKPdEEvT1_T3_lS5_lPT2_S5_S5_
	.p2align	8
	.type	_ZN9rocsolver6v33100L23getf2_npvt_small_kernelILi42EdiiPKPdEEvT1_T3_lS5_lPT2_S5_S5_,@function
_ZN9rocsolver6v33100L23getf2_npvt_small_kernelILi42EdiiPKPdEEvT1_T3_lS5_lPT2_S5_S5_: ; @_ZN9rocsolver6v33100L23getf2_npvt_small_kernelILi42EdiiPKPdEEvT1_T3_lS5_lPT2_S5_S5_
; %bb.0:
	s_mov_b64 s[18:19], s[2:3]
	s_mov_b64 s[16:17], s[0:1]
	s_add_u32 s16, s16, s8
	s_load_dword s0, s[4:5], 0x44
	s_load_dwordx2 s[8:9], s[4:5], 0x30
	s_addc_u32 s17, s17, 0
	v_bfe_u32 v170, v0, 10, 10
	s_waitcnt lgkmcnt(0)
	s_lshr_b32 s6, s0, 16
	s_mul_i32 s7, s7, s6
	v_add_u32_e32 v2, s7, v170
	v_cmp_gt_i32_e32 vcc, s8, v2
	s_and_saveexec_b64 s[0:1], vcc
	s_cbranch_execz .LBB83_213
; %bb.1:
	s_load_dwordx4 s[12:15], s[4:5], 0x8
	s_load_dword s0, s[4:5], 0x18
	v_ashrrev_i32_e32 v3, 31, v2
	v_lshlrev_b64 v[4:5], 3, v[2:3]
	v_and_b32_e32 v254, 0x3ff, v0
	s_waitcnt lgkmcnt(0)
	v_mov_b32_e32 v1, s13
	v_add_co_u32_e32 v4, vcc, s12, v4
	v_addc_co_u32_e32 v5, vcc, v1, v5, vcc
	global_load_dwordx2 v[4:5], v[4:5], off
	s_add_i32 s1, s0, s0
	s_lshl_b64 s[2:3], s[14:15], 3
	v_add_u32_e32 v0, s1, v254
	v_mov_b32_e32 v25, s3
	v_ashrrev_i32_e32 v1, 31, v0
	v_add_u32_e32 v6, s0, v0
	v_lshlrev_b64 v[0:1], 3, v[0:1]
	v_ashrrev_i32_e32 v7, 31, v6
	v_add_u32_e32 v8, s0, v6
	v_lshlrev_b64 v[6:7], 3, v[6:7]
	;; [unrolled: 3-line block ×10, first 2 shown]
	v_add_u32_e32 v26, s0, v24
	v_ashrrev_i32_e32 v27, 31, v26
	v_add_u32_e32 v28, s0, v26
	v_ashrrev_i32_e32 v29, 31, v28
	;; [unrolled: 2-line block ×22, first 2 shown]
	v_add_u32_e32 v70, s0, v68
	s_waitcnt vmcnt(0)
	v_add_co_u32_e32 v82, vcc, s2, v4
	v_addc_co_u32_e32 v83, vcc, v5, v25, vcc
	v_add_co_u32_e32 v0, vcc, v82, v0
	v_addc_co_u32_e32 v1, vcc, v83, v1, vcc
	;; [unrolled: 2-line block ×10, first 2 shown]
	v_add_co_u32_e32 v20, vcc, v82, v22
	v_ashrrev_i32_e32 v25, 31, v24
	v_addc_co_u32_e32 v21, vcc, v83, v23, vcc
	v_lshlrev_b64 v[22:23], 3, v[24:25]
	v_add_co_u32_e32 v22, vcc, v82, v22
	v_addc_co_u32_e32 v23, vcc, v83, v23, vcc
	v_lshlrev_b64 v[24:25], 3, v[26:27]
	v_add_co_u32_e32 v24, vcc, v82, v24
	;; [unrolled: 3-line block ×23, first 2 shown]
	v_ashrrev_i32_e32 v71, 31, v70
	v_addc_co_u32_e32 v67, vcc, v83, v67, vcc
	v_lshlrev_b64 v[68:69], 3, v[70:71]
	v_add_u32_e32 v72, s0, v70
	v_add_co_u32_e32 v68, vcc, v82, v68
	v_ashrrev_i32_e32 v73, 31, v72
	v_addc_co_u32_e32 v69, vcc, v83, v69, vcc
	v_lshlrev_b64 v[70:71], 3, v[72:73]
	v_add_u32_e32 v74, s0, v72
	v_add_co_u32_e32 v70, vcc, v82, v70
	v_ashrrev_i32_e32 v75, 31, v74
	v_addc_co_u32_e32 v71, vcc, v83, v71, vcc
	v_lshlrev_b64 v[72:73], 3, v[74:75]
	v_add_u32_e32 v76, s0, v74
	v_add_co_u32_e32 v72, vcc, v82, v72
	v_ashrrev_i32_e32 v77, 31, v76
	v_addc_co_u32_e32 v73, vcc, v83, v73, vcc
	v_lshlrev_b64 v[74:75], 3, v[76:77]
	v_add_u32_e32 v78, s0, v76
	v_add_co_u32_e32 v74, vcc, v82, v74
	v_ashrrev_i32_e32 v79, 31, v78
	v_addc_co_u32_e32 v75, vcc, v83, v75, vcc
	v_lshlrev_b64 v[76:77], 3, v[78:79]
	v_add_u32_e32 v80, s0, v78
	v_add_co_u32_e32 v76, vcc, v82, v76
	v_ashrrev_i32_e32 v81, 31, v80
	v_addc_co_u32_e32 v77, vcc, v83, v77, vcc
	v_lshlrev_b64 v[78:79], 3, v[80:81]
	v_add_u32_e32 v80, s0, v80
	v_add_co_u32_e32 v78, vcc, v82, v78
	v_ashrrev_i32_e32 v81, 31, v80
	v_addc_co_u32_e32 v79, vcc, v83, v79, vcc
	v_lshlrev_b64 v[80:81], 3, v[80:81]
	v_add_co_u32_e32 v80, vcc, v82, v80
	v_addc_co_u32_e32 v81, vcc, v83, v81, vcc
	v_lshlrev_b32_e32 v84, 3, v254
	v_add_co_u32_e32 v82, vcc, v82, v84
	s_ashr_i32 s1, s0, 31
	v_addc_co_u32_e32 v83, vcc, 0, v83, vcc
	s_lshl_b64 s[0:1], s[0:1], 3
	v_mov_b32_e32 v85, s1
	v_add_co_u32_e32 v84, vcc, s0, v82
	v_addc_co_u32_e32 v85, vcc, v83, v85, vcc
	global_load_dwordx2 v[86:87], v[82:83], off
	global_load_dwordx2 v[126:127], v[84:85], off
	s_nop 0
	buffer_store_dword v0, off, s[16:19], 0 offset:16 ; 4-byte Folded Spill
	s_nop 0
	buffer_store_dword v1, off, s[16:19], 0 offset:20 ; 4-byte Folded Spill
	global_load_dwordx2 v[166:167], v[0:1], off
	global_load_dwordx2 v[124:125], v[4:5], off
	;; [unrolled: 1-line block ×10, first 2 shown]
	s_nop 0
	buffer_store_dword v22, off, s[16:19], 0 offset:24 ; 4-byte Folded Spill
	s_nop 0
	buffer_store_dword v23, off, s[16:19], 0 offset:28 ; 4-byte Folded Spill
	global_load_dwordx2 v[156:157], v[22:23], off
	global_load_dwordx2 v[114:115], v[24:25], off
	;; [unrolled: 1-line block ×30, first 2 shown]
	s_mulk_i32 s6, 0x150
	s_movk_i32 s0, 0x150
	s_add_i32 s1, s6, 0
	v_mad_u32_u24 v253, v170, s0, 0
	v_lshl_add_u32 v252, v170, 3, s1
	v_cmp_ne_u32_e64 s[2:3], 0, v254
	v_cmp_eq_u32_e64 s[0:1], 0, v254
	s_and_saveexec_b64 s[6:7], s[0:1]
	s_cbranch_execz .LBB83_4
; %bb.2:
	s_waitcnt vmcnt(45)
	ds_write_b64 v252, v[86:87]
	s_waitcnt vmcnt(41)
	ds_write2_b64 v253, v[126:127], v[166:167] offset0:1 offset1:2
	s_waitcnt vmcnt(39)
	ds_write2_b64 v253, v[124:125], v[164:165] offset0:3 offset1:4
	;; [unrolled: 2-line block ×20, first 2 shown]
	s_waitcnt vmcnt(0)
	ds_write_b64 v253, v[168:169] offset:328
	ds_read_b64 v[170:171], v252
	s_waitcnt lgkmcnt(0)
	v_cmp_neq_f64_e32 vcc, 0, v[170:171]
	s_and_b64 exec, exec, vcc
	s_cbranch_execz .LBB83_4
; %bb.3:
	v_div_scale_f64 v[172:173], s[10:11], v[170:171], v[170:171], 1.0
	v_rcp_f64_e32 v[174:175], v[172:173]
	v_div_scale_f64 v[176:177], vcc, 1.0, v[170:171], 1.0
	v_fma_f64 v[178:179], -v[172:173], v[174:175], 1.0
	v_fmac_f64_e32 v[174:175], v[174:175], v[178:179]
	v_fma_f64 v[178:179], -v[172:173], v[174:175], 1.0
	v_fmac_f64_e32 v[174:175], v[174:175], v[178:179]
	v_mul_f64 v[178:179], v[176:177], v[174:175]
	v_fma_f64 v[172:173], -v[172:173], v[178:179], v[176:177]
	v_div_fmas_f64 v[172:173], v[172:173], v[174:175], v[178:179]
	v_div_fixup_f64 v[170:171], v[172:173], v[170:171], 1.0
	ds_write_b64 v252, v[170:171]
.LBB83_4:
	s_or_b64 exec, exec, s[6:7]
	s_waitcnt lgkmcnt(0)
	s_barrier
	ds_read_b64 v[170:171], v252
	s_waitcnt lgkmcnt(0)
	buffer_store_dword v170, off, s[16:19], 0 ; 4-byte Folded Spill
	s_nop 0
	buffer_store_dword v171, off, s[16:19], 0 offset:4 ; 4-byte Folded Spill
	s_and_saveexec_b64 s[6:7], s[2:3]
	s_cbranch_execz .LBB83_6
; %bb.5:
	ds_read2_b64 v[172:175], v253 offset0:1 offset1:2
	ds_read2_b64 v[176:179], v253 offset0:3 offset1:4
	buffer_load_dword v170, off, s[16:19], 0 ; 4-byte Folded Reload
	buffer_load_dword v171, off, s[16:19], 0 offset:4 ; 4-byte Folded Reload
	ds_read2_b64 v[180:183], v253 offset0:5 offset1:6
	s_waitcnt vmcnt(0)
	v_mul_f64 v[86:87], v[170:171], v[86:87]
	s_waitcnt lgkmcnt(2)
	v_fma_f64 v[126:127], -v[86:87], v[172:173], v[126:127]
	v_fma_f64 v[166:167], -v[86:87], v[174:175], v[166:167]
	ds_read2_b64 v[172:175], v253 offset0:7 offset1:8
	s_waitcnt lgkmcnt(2)
	v_fma_f64 v[124:125], -v[86:87], v[176:177], v[124:125]
	v_fma_f64 v[164:165], -v[86:87], v[178:179], v[164:165]
	ds_read2_b64 v[176:179], v253 offset0:9 offset1:10
	;; [unrolled: 4-line block ×3, first 2 shown]
	s_waitcnt lgkmcnt(2)
	v_fma_f64 v[120:121], -v[86:87], v[172:173], v[120:121]
	v_fma_f64 v[160:161], -v[86:87], v[174:175], v[160:161]
	s_waitcnt lgkmcnt(1)
	v_fma_f64 v[118:119], -v[86:87], v[176:177], v[118:119]
	ds_read2_b64 v[172:175], v253 offset0:13 offset1:14
	v_fma_f64 v[158:159], -v[86:87], v[178:179], v[158:159]
	ds_read2_b64 v[176:179], v253 offset0:15 offset1:16
	s_waitcnt lgkmcnt(2)
	v_fma_f64 v[116:117], -v[86:87], v[180:181], v[116:117]
	v_fma_f64 v[156:157], -v[86:87], v[182:183], v[156:157]
	s_waitcnt lgkmcnt(1)
	v_fma_f64 v[114:115], -v[86:87], v[172:173], v[114:115]
	ds_read2_b64 v[180:183], v253 offset0:17 offset1:18
	v_fma_f64 v[154:155], -v[86:87], v[174:175], v[154:155]
	ds_read2_b64 v[172:175], v253 offset0:19 offset1:20
	s_waitcnt lgkmcnt(2)
	v_fma_f64 v[112:113], -v[86:87], v[176:177], v[112:113]
	v_fma_f64 v[152:153], -v[86:87], v[178:179], v[152:153]
	ds_read2_b64 v[176:179], v253 offset0:21 offset1:22
	s_waitcnt lgkmcnt(2)
	v_fma_f64 v[110:111], -v[86:87], v[180:181], v[110:111]
	;; [unrolled: 4-line block ×3, first 2 shown]
	v_fma_f64 v[148:149], -v[86:87], v[174:175], v[148:149]
	s_waitcnt lgkmcnt(1)
	v_fma_f64 v[106:107], -v[86:87], v[176:177], v[106:107]
	ds_read2_b64 v[172:175], v253 offset0:25 offset1:26
	v_fma_f64 v[146:147], -v[86:87], v[178:179], v[146:147]
	ds_read2_b64 v[176:179], v253 offset0:27 offset1:28
	s_waitcnt lgkmcnt(2)
	v_fma_f64 v[104:105], -v[86:87], v[180:181], v[104:105]
	v_fma_f64 v[144:145], -v[86:87], v[182:183], v[144:145]
	s_waitcnt lgkmcnt(1)
	v_fma_f64 v[102:103], -v[86:87], v[172:173], v[102:103]
	ds_read2_b64 v[180:183], v253 offset0:29 offset1:30
	v_fma_f64 v[142:143], -v[86:87], v[174:175], v[142:143]
	ds_read2_b64 v[172:175], v253 offset0:31 offset1:32
	s_waitcnt lgkmcnt(2)
	v_fma_f64 v[100:101], -v[86:87], v[176:177], v[100:101]
	v_fma_f64 v[140:141], -v[86:87], v[178:179], v[140:141]
	ds_read2_b64 v[176:179], v253 offset0:33 offset1:34
	s_waitcnt lgkmcnt(2)
	v_fma_f64 v[98:99], -v[86:87], v[180:181], v[98:99]
	v_fma_f64 v[138:139], -v[86:87], v[182:183], v[138:139]
	ds_read2_b64 v[180:183], v253 offset0:35 offset1:36
	s_waitcnt lgkmcnt(2)
	v_fma_f64 v[96:97], -v[86:87], v[172:173], v[96:97]
	v_fma_f64 v[136:137], -v[86:87], v[174:175], v[136:137]
	s_waitcnt lgkmcnt(1)
	v_fma_f64 v[94:95], -v[86:87], v[176:177], v[94:95]
	v_fma_f64 v[134:135], -v[86:87], v[178:179], v[134:135]
	ds_read2_b64 v[172:175], v253 offset0:37 offset1:38
	ds_read2_b64 v[176:179], v253 offset0:39 offset1:40
	ds_read_b64 v[170:171], v253 offset:328
	s_waitcnt lgkmcnt(3)
	v_fma_f64 v[92:93], -v[86:87], v[180:181], v[92:93]
	v_fma_f64 v[132:133], -v[86:87], v[182:183], v[132:133]
	s_waitcnt lgkmcnt(2)
	v_fma_f64 v[90:91], -v[86:87], v[172:173], v[90:91]
	v_fma_f64 v[130:131], -v[86:87], v[174:175], v[130:131]
	;; [unrolled: 3-line block ×3, first 2 shown]
	s_waitcnt lgkmcnt(0)
	v_fma_f64 v[168:169], -v[86:87], v[170:171], v[168:169]
.LBB83_6:
	s_or_b64 exec, exec, s[6:7]
	v_cmp_eq_u32_e32 vcc, 1, v254
	s_barrier
	s_and_saveexec_b64 s[2:3], vcc
	s_cbranch_execz .LBB83_9
; %bb.7:
	s_waitcnt vmcnt(43)
	v_mov_b32_e32 v170, v166
	v_mov_b32_e32 v171, v167
	s_waitcnt vmcnt(42)
	v_mov_b32_e32 v172, v124
	v_mov_b32_e32 v173, v125
	ds_write_b64 v252, v[126:127]
	ds_write2_b64 v253, v[170:171], v[172:173] offset0:2 offset1:3
	s_waitcnt vmcnt(41)
	v_mov_b32_e32 v170, v164
	v_mov_b32_e32 v171, v165
	s_waitcnt vmcnt(40)
	v_mov_b32_e32 v172, v122
	v_mov_b32_e32 v173, v123
	ds_write2_b64 v253, v[170:171], v[172:173] offset0:4 offset1:5
	s_waitcnt vmcnt(39)
	v_mov_b32_e32 v170, v162
	v_mov_b32_e32 v171, v163
	s_waitcnt vmcnt(38)
	v_mov_b32_e32 v172, v120
	v_mov_b32_e32 v173, v121
	;; [unrolled: 7-line block ×18, first 2 shown]
	ds_write2_b64 v253, v[170:171], v[172:173] offset0:38 offset1:39
	s_waitcnt vmcnt(3)
	v_mov_b32_e32 v170, v128
	v_mov_b32_e32 v171, v129
	s_waitcnt vmcnt(2)
	ds_write2_b64 v253, v[170:171], v[168:169] offset0:40 offset1:41
	ds_read_b64 v[172:173], v252
	s_waitcnt lgkmcnt(0)
	v_cmp_neq_f64_e32 vcc, 0, v[172:173]
	s_and_b64 exec, exec, vcc
	s_cbranch_execz .LBB83_9
; %bb.8:
	v_div_scale_f64 v[170:171], s[6:7], v[172:173], v[172:173], 1.0
	v_rcp_f64_e32 v[174:175], v[170:171]
	v_div_scale_f64 v[176:177], vcc, 1.0, v[172:173], 1.0
	v_fma_f64 v[178:179], -v[170:171], v[174:175], 1.0
	v_fmac_f64_e32 v[174:175], v[174:175], v[178:179]
	v_fma_f64 v[178:179], -v[170:171], v[174:175], 1.0
	v_fmac_f64_e32 v[174:175], v[174:175], v[178:179]
	v_mul_f64 v[178:179], v[176:177], v[174:175]
	v_fma_f64 v[170:171], -v[170:171], v[178:179], v[176:177]
	v_div_fmas_f64 v[170:171], v[170:171], v[174:175], v[178:179]
	v_div_fixup_f64 v[170:171], v[170:171], v[172:173], 1.0
	ds_write_b64 v252, v[170:171]
.LBB83_9:
	s_or_b64 exec, exec, s[2:3]
	s_waitcnt lgkmcnt(0)
	s_barrier
	ds_read_b64 v[170:171], v252
	v_cmp_lt_u32_e32 vcc, 1, v254
	s_waitcnt lgkmcnt(0)
	buffer_store_dword v170, off, s[16:19], 0 offset:8 ; 4-byte Folded Spill
	s_nop 0
	buffer_store_dword v171, off, s[16:19], 0 offset:12 ; 4-byte Folded Spill
	s_and_saveexec_b64 s[2:3], vcc
	s_cbranch_execz .LBB83_11
; %bb.10:
	ds_read2_b64 v[174:177], v253 offset0:2 offset1:3
	ds_read2_b64 v[178:181], v253 offset0:4 offset1:5
	buffer_load_dword v170, off, s[16:19], 0 offset:8 ; 4-byte Folded Reload
	buffer_load_dword v171, off, s[16:19], 0 offset:12 ; 4-byte Folded Reload
	ds_read2_b64 v[182:185], v253 offset0:6 offset1:7
	s_waitcnt vmcnt(0)
	v_mul_f64 v[126:127], v[170:171], v[126:127]
	s_waitcnt lgkmcnt(2)
	v_fma_f64 v[166:167], -v[126:127], v[174:175], v[166:167]
	v_fma_f64 v[124:125], -v[126:127], v[176:177], v[124:125]
	ds_read2_b64 v[174:177], v253 offset0:8 offset1:9
	s_waitcnt lgkmcnt(2)
	v_fma_f64 v[164:165], -v[126:127], v[178:179], v[164:165]
	v_fma_f64 v[122:123], -v[126:127], v[180:181], v[122:123]
	ds_read2_b64 v[178:181], v253 offset0:10 offset1:11
	;; [unrolled: 4-line block ×3, first 2 shown]
	s_waitcnt lgkmcnt(2)
	v_fma_f64 v[160:161], -v[126:127], v[174:175], v[160:161]
	v_fma_f64 v[118:119], -v[126:127], v[176:177], v[118:119]
	s_waitcnt lgkmcnt(1)
	v_fma_f64 v[158:159], -v[126:127], v[178:179], v[158:159]
	ds_read2_b64 v[174:177], v253 offset0:14 offset1:15
	v_fma_f64 v[116:117], -v[126:127], v[180:181], v[116:117]
	ds_read2_b64 v[178:181], v253 offset0:16 offset1:17
	s_waitcnt lgkmcnt(2)
	v_fma_f64 v[156:157], -v[126:127], v[182:183], v[156:157]
	v_fma_f64 v[114:115], -v[126:127], v[184:185], v[114:115]
	s_waitcnt lgkmcnt(1)
	v_fma_f64 v[154:155], -v[126:127], v[174:175], v[154:155]
	ds_read2_b64 v[182:185], v253 offset0:18 offset1:19
	v_fma_f64 v[112:113], -v[126:127], v[176:177], v[112:113]
	ds_read2_b64 v[174:177], v253 offset0:20 offset1:21
	s_waitcnt lgkmcnt(2)
	v_fma_f64 v[152:153], -v[126:127], v[178:179], v[152:153]
	v_fma_f64 v[110:111], -v[126:127], v[180:181], v[110:111]
	ds_read2_b64 v[178:181], v253 offset0:22 offset1:23
	s_waitcnt lgkmcnt(2)
	v_fma_f64 v[150:151], -v[126:127], v[182:183], v[150:151]
	;; [unrolled: 4-line block ×3, first 2 shown]
	v_fma_f64 v[106:107], -v[126:127], v[176:177], v[106:107]
	s_waitcnt lgkmcnt(1)
	v_fma_f64 v[146:147], -v[126:127], v[178:179], v[146:147]
	ds_read2_b64 v[174:177], v253 offset0:26 offset1:27
	v_fma_f64 v[104:105], -v[126:127], v[180:181], v[104:105]
	ds_read2_b64 v[178:181], v253 offset0:28 offset1:29
	s_waitcnt lgkmcnt(2)
	v_fma_f64 v[144:145], -v[126:127], v[182:183], v[144:145]
	v_fma_f64 v[102:103], -v[126:127], v[184:185], v[102:103]
	s_waitcnt lgkmcnt(1)
	v_fma_f64 v[142:143], -v[126:127], v[174:175], v[142:143]
	ds_read2_b64 v[182:185], v253 offset0:30 offset1:31
	v_fma_f64 v[100:101], -v[126:127], v[176:177], v[100:101]
	ds_read2_b64 v[174:177], v253 offset0:32 offset1:33
	s_waitcnt lgkmcnt(2)
	v_fma_f64 v[140:141], -v[126:127], v[178:179], v[140:141]
	v_fma_f64 v[98:99], -v[126:127], v[180:181], v[98:99]
	ds_read2_b64 v[178:181], v253 offset0:34 offset1:35
	s_waitcnt lgkmcnt(2)
	v_fma_f64 v[138:139], -v[126:127], v[182:183], v[138:139]
	v_fma_f64 v[96:97], -v[126:127], v[184:185], v[96:97]
	s_waitcnt lgkmcnt(1)
	v_fma_f64 v[136:137], -v[126:127], v[174:175], v[136:137]
	v_fma_f64 v[94:95], -v[126:127], v[176:177], v[94:95]
	ds_read2_b64 v[174:177], v253 offset0:36 offset1:37
	s_waitcnt lgkmcnt(1)
	v_fma_f64 v[134:135], -v[126:127], v[178:179], v[134:135]
	ds_read2_b64 v[182:185], v253 offset0:38 offset1:39
	v_fma_f64 v[92:93], -v[126:127], v[180:181], v[92:93]
	ds_read2_b64 v[178:181], v253 offset0:40 offset1:41
	s_waitcnt lgkmcnt(2)
	v_fma_f64 v[132:133], -v[126:127], v[174:175], v[132:133]
	v_fma_f64 v[90:91], -v[126:127], v[176:177], v[90:91]
	s_waitcnt lgkmcnt(1)
	v_fma_f64 v[130:131], -v[126:127], v[182:183], v[130:131]
	v_fma_f64 v[88:89], -v[126:127], v[184:185], v[88:89]
	;; [unrolled: 3-line block ×3, first 2 shown]
.LBB83_11:
	s_or_b64 exec, exec, s[2:3]
	v_cmp_eq_u32_e32 vcc, 2, v254
	s_barrier
	s_and_saveexec_b64 s[2:3], vcc
	s_cbranch_execz .LBB83_14
; %bb.12:
	s_waitcnt vmcnt(45)
	ds_write_b64 v252, v[166:167]
	s_waitcnt vmcnt(43)
	ds_write2_b64 v253, v[124:125], v[164:165] offset0:3 offset1:4
	s_waitcnt vmcnt(41)
	ds_write2_b64 v253, v[122:123], v[162:163] offset0:5 offset1:6
	;; [unrolled: 2-line block ×19, first 2 shown]
	s_waitcnt vmcnt(4)
	ds_write_b64 v253, v[168:169] offset:328
	ds_read_b64 v[174:175], v252
	s_waitcnt lgkmcnt(0)
	v_cmp_neq_f64_e32 vcc, 0, v[174:175]
	s_and_b64 exec, exec, vcc
	s_cbranch_execz .LBB83_14
; %bb.13:
	v_div_scale_f64 v[170:171], s[6:7], v[174:175], v[174:175], 1.0
	v_rcp_f64_e32 v[172:173], v[170:171]
	v_div_scale_f64 v[176:177], vcc, 1.0, v[174:175], 1.0
	v_fma_f64 v[178:179], -v[170:171], v[172:173], 1.0
	v_fmac_f64_e32 v[172:173], v[172:173], v[178:179]
	v_fma_f64 v[178:179], -v[170:171], v[172:173], 1.0
	v_fmac_f64_e32 v[172:173], v[172:173], v[178:179]
	v_mul_f64 v[178:179], v[176:177], v[172:173]
	v_fma_f64 v[170:171], -v[170:171], v[178:179], v[176:177]
	v_div_fmas_f64 v[170:171], v[170:171], v[172:173], v[178:179]
	v_div_fixup_f64 v[170:171], v[170:171], v[174:175], 1.0
	ds_write_b64 v252, v[170:171]
.LBB83_14:
	s_or_b64 exec, exec, s[2:3]
	s_waitcnt lgkmcnt(0)
	s_barrier
	ds_read_b64 v[174:175], v252
	v_cmp_lt_u32_e32 vcc, 2, v254
	s_and_saveexec_b64 s[2:3], vcc
	s_cbranch_execz .LBB83_16
; %bb.15:
	ds_read2_b64 v[176:179], v253 offset0:3 offset1:4
	ds_read2_b64 v[180:183], v253 offset0:5 offset1:6
	s_waitcnt vmcnt(45) lgkmcnt(2)
	v_mul_f64 v[166:167], v[174:175], v[166:167]
	ds_read2_b64 v[184:187], v253 offset0:7 offset1:8
	ds_read_b64 v[170:171], v253 offset:328
	s_waitcnt vmcnt(44) lgkmcnt(3)
	v_fma_f64 v[124:125], -v[166:167], v[176:177], v[124:125]
	s_waitcnt vmcnt(43)
	v_fma_f64 v[164:165], -v[166:167], v[178:179], v[164:165]
	ds_read2_b64 v[176:179], v253 offset0:9 offset1:10
	s_waitcnt vmcnt(42) lgkmcnt(3)
	v_fma_f64 v[122:123], -v[166:167], v[180:181], v[122:123]
	s_waitcnt vmcnt(41)
	v_fma_f64 v[162:163], -v[166:167], v[182:183], v[162:163]
	s_waitcnt vmcnt(40) lgkmcnt(2)
	v_fma_f64 v[120:121], -v[166:167], v[184:185], v[120:121]
	ds_read2_b64 v[180:183], v253 offset0:11 offset1:12
	s_waitcnt vmcnt(39)
	v_fma_f64 v[160:161], -v[166:167], v[186:187], v[160:161]
	ds_read2_b64 v[184:187], v253 offset0:13 offset1:14
	s_waitcnt vmcnt(38) lgkmcnt(2)
	v_fma_f64 v[118:119], -v[166:167], v[176:177], v[118:119]
	s_waitcnt vmcnt(37)
	v_fma_f64 v[158:159], -v[166:167], v[178:179], v[158:159]
	ds_read2_b64 v[176:179], v253 offset0:15 offset1:16
	s_waitcnt vmcnt(36) lgkmcnt(2)
	v_fma_f64 v[116:117], -v[166:167], v[180:181], v[116:117]
	s_waitcnt vmcnt(33)
	v_fma_f64 v[156:157], -v[166:167], v[182:183], v[156:157]
	ds_read2_b64 v[180:183], v253 offset0:17 offset1:18
	s_waitcnt vmcnt(32) lgkmcnt(2)
	v_fma_f64 v[114:115], -v[166:167], v[184:185], v[114:115]
	s_waitcnt vmcnt(31)
	v_fma_f64 v[154:155], -v[166:167], v[186:187], v[154:155]
	s_waitcnt vmcnt(30) lgkmcnt(1)
	v_fma_f64 v[112:113], -v[166:167], v[176:177], v[112:113]
	ds_read2_b64 v[184:187], v253 offset0:19 offset1:20
	s_waitcnt vmcnt(29)
	v_fma_f64 v[152:153], -v[166:167], v[178:179], v[152:153]
	ds_read2_b64 v[176:179], v253 offset0:21 offset1:22
	s_waitcnt vmcnt(28) lgkmcnt(2)
	v_fma_f64 v[110:111], -v[166:167], v[180:181], v[110:111]
	s_waitcnt vmcnt(27)
	v_fma_f64 v[150:151], -v[166:167], v[182:183], v[150:151]
	s_waitcnt vmcnt(26) lgkmcnt(1)
	v_fma_f64 v[108:109], -v[166:167], v[184:185], v[108:109]
	ds_read2_b64 v[180:183], v253 offset0:23 offset1:24
	s_waitcnt vmcnt(25)
	v_fma_f64 v[148:149], -v[166:167], v[186:187], v[148:149]
	ds_read2_b64 v[184:187], v253 offset0:25 offset1:26
	s_waitcnt vmcnt(24) lgkmcnt(2)
	v_fma_f64 v[106:107], -v[166:167], v[176:177], v[106:107]
	s_waitcnt vmcnt(23)
	v_fma_f64 v[146:147], -v[166:167], v[178:179], v[146:147]
	ds_read2_b64 v[176:179], v253 offset0:27 offset1:28
	s_waitcnt vmcnt(22) lgkmcnt(2)
	v_fma_f64 v[104:105], -v[166:167], v[180:181], v[104:105]
	s_waitcnt vmcnt(21)
	v_fma_f64 v[144:145], -v[166:167], v[182:183], v[144:145]
	ds_read2_b64 v[180:183], v253 offset0:29 offset1:30
	s_waitcnt vmcnt(20) lgkmcnt(2)
	v_fma_f64 v[102:103], -v[166:167], v[184:185], v[102:103]
	s_waitcnt vmcnt(19)
	v_fma_f64 v[142:143], -v[166:167], v[186:187], v[142:143]
	s_waitcnt vmcnt(18) lgkmcnt(1)
	v_fma_f64 v[100:101], -v[166:167], v[176:177], v[100:101]
	ds_read2_b64 v[184:187], v253 offset0:31 offset1:32
	s_waitcnt vmcnt(17)
	v_fma_f64 v[140:141], -v[166:167], v[178:179], v[140:141]
	ds_read2_b64 v[176:179], v253 offset0:33 offset1:34
	s_waitcnt vmcnt(16) lgkmcnt(2)
	v_fma_f64 v[98:99], -v[166:167], v[180:181], v[98:99]
	s_waitcnt vmcnt(15)
	v_fma_f64 v[138:139], -v[166:167], v[182:183], v[138:139]
	s_waitcnt vmcnt(14) lgkmcnt(1)
	v_fma_f64 v[96:97], -v[166:167], v[184:185], v[96:97]
	ds_read2_b64 v[180:183], v253 offset0:35 offset1:36
	s_waitcnt vmcnt(13)
	v_fma_f64 v[136:137], -v[166:167], v[186:187], v[136:137]
	s_waitcnt vmcnt(12) lgkmcnt(1)
	v_fma_f64 v[94:95], -v[166:167], v[176:177], v[94:95]
	s_waitcnt vmcnt(11)
	v_fma_f64 v[134:135], -v[166:167], v[178:179], v[134:135]
	ds_read2_b64 v[176:179], v253 offset0:37 offset1:38
	ds_read2_b64 v[184:187], v253 offset0:39 offset1:40
	s_waitcnt vmcnt(10) lgkmcnt(2)
	v_fma_f64 v[92:93], -v[166:167], v[180:181], v[92:93]
	s_waitcnt vmcnt(9)
	v_fma_f64 v[132:133], -v[166:167], v[182:183], v[132:133]
	s_waitcnt vmcnt(4)
	v_fma_f64 v[168:169], -v[166:167], v[170:171], v[168:169]
	s_waitcnt lgkmcnt(1)
	v_fma_f64 v[90:91], -v[166:167], v[176:177], v[90:91]
	v_fma_f64 v[130:131], -v[166:167], v[178:179], v[130:131]
	s_waitcnt lgkmcnt(0)
	v_fma_f64 v[88:89], -v[166:167], v[184:185], v[88:89]
	v_fma_f64 v[128:129], -v[166:167], v[186:187], v[128:129]
.LBB83_16:
	s_or_b64 exec, exec, s[2:3]
	v_cmp_eq_u32_e32 vcc, 3, v254
	s_waitcnt lgkmcnt(0)
	s_barrier
	s_and_saveexec_b64 s[2:3], vcc
	s_cbranch_execz .LBB83_19
; %bb.17:
	s_waitcnt vmcnt(43)
	v_mov_b32_e32 v170, v164
	v_mov_b32_e32 v171, v165
	s_waitcnt vmcnt(42)
	v_mov_b32_e32 v172, v122
	v_mov_b32_e32 v173, v123
	ds_write_b64 v252, v[124:125]
	ds_write2_b64 v253, v[170:171], v[172:173] offset0:4 offset1:5
	s_waitcnt vmcnt(41)
	v_mov_b32_e32 v170, v162
	v_mov_b32_e32 v171, v163
	s_waitcnt vmcnt(40)
	v_mov_b32_e32 v172, v120
	v_mov_b32_e32 v173, v121
	ds_write2_b64 v253, v[170:171], v[172:173] offset0:6 offset1:7
	s_waitcnt vmcnt(39)
	v_mov_b32_e32 v170, v160
	v_mov_b32_e32 v171, v161
	s_waitcnt vmcnt(38)
	v_mov_b32_e32 v172, v118
	v_mov_b32_e32 v173, v119
	;; [unrolled: 7-line block ×17, first 2 shown]
	ds_write2_b64 v253, v[170:171], v[172:173] offset0:38 offset1:39
	s_waitcnt vmcnt(5)
	v_mov_b32_e32 v170, v128
	v_mov_b32_e32 v171, v129
	s_waitcnt vmcnt(4)
	ds_write2_b64 v253, v[170:171], v[168:169] offset0:40 offset1:41
	ds_read_b64 v[176:177], v252
	s_waitcnt lgkmcnt(0)
	v_cmp_neq_f64_e32 vcc, 0, v[176:177]
	s_and_b64 exec, exec, vcc
	s_cbranch_execz .LBB83_19
; %bb.18:
	v_div_scale_f64 v[170:171], s[6:7], v[176:177], v[176:177], 1.0
	v_rcp_f64_e32 v[172:173], v[170:171]
	v_div_scale_f64 v[178:179], vcc, 1.0, v[176:177], 1.0
	v_fma_f64 v[180:181], -v[170:171], v[172:173], 1.0
	v_fmac_f64_e32 v[172:173], v[172:173], v[180:181]
	v_fma_f64 v[180:181], -v[170:171], v[172:173], 1.0
	v_fmac_f64_e32 v[172:173], v[172:173], v[180:181]
	v_mul_f64 v[180:181], v[178:179], v[172:173]
	v_fma_f64 v[170:171], -v[170:171], v[180:181], v[178:179]
	v_div_fmas_f64 v[170:171], v[170:171], v[172:173], v[180:181]
	v_div_fixup_f64 v[170:171], v[170:171], v[176:177], 1.0
	ds_write_b64 v252, v[170:171]
.LBB83_19:
	s_or_b64 exec, exec, s[2:3]
	s_waitcnt lgkmcnt(0)
	s_barrier
	ds_read_b64 v[176:177], v252
	v_cmp_lt_u32_e32 vcc, 3, v254
	s_and_saveexec_b64 s[2:3], vcc
	s_cbranch_execz .LBB83_21
; %bb.20:
	ds_read2_b64 v[178:181], v253 offset0:4 offset1:5
	ds_read2_b64 v[182:185], v253 offset0:6 offset1:7
	s_waitcnt vmcnt(44) lgkmcnt(2)
	v_mul_f64 v[124:125], v[176:177], v[124:125]
	ds_read2_b64 v[186:189], v253 offset0:8 offset1:9
	s_waitcnt vmcnt(43) lgkmcnt(2)
	v_fma_f64 v[164:165], -v[124:125], v[178:179], v[164:165]
	s_waitcnt vmcnt(42)
	v_fma_f64 v[122:123], -v[124:125], v[180:181], v[122:123]
	ds_read2_b64 v[178:181], v253 offset0:10 offset1:11
	s_waitcnt vmcnt(41) lgkmcnt(2)
	v_fma_f64 v[162:163], -v[124:125], v[182:183], v[162:163]
	s_waitcnt vmcnt(40)
	v_fma_f64 v[120:121], -v[124:125], v[184:185], v[120:121]
	s_waitcnt vmcnt(39) lgkmcnt(1)
	v_fma_f64 v[160:161], -v[124:125], v[186:187], v[160:161]
	ds_read2_b64 v[182:185], v253 offset0:12 offset1:13
	s_waitcnt vmcnt(38)
	v_fma_f64 v[118:119], -v[124:125], v[188:189], v[118:119]
	ds_read2_b64 v[186:189], v253 offset0:14 offset1:15
	s_waitcnt vmcnt(37) lgkmcnt(2)
	v_fma_f64 v[158:159], -v[124:125], v[178:179], v[158:159]
	s_waitcnt vmcnt(36)
	v_fma_f64 v[116:117], -v[124:125], v[180:181], v[116:117]
	ds_read2_b64 v[178:181], v253 offset0:16 offset1:17
	s_waitcnt vmcnt(33) lgkmcnt(2)
	v_fma_f64 v[156:157], -v[124:125], v[182:183], v[156:157]
	;; [unrolled: 5-line block ×3, first 2 shown]
	s_waitcnt vmcnt(30)
	v_fma_f64 v[112:113], -v[124:125], v[188:189], v[112:113]
	s_waitcnt vmcnt(29) lgkmcnt(1)
	v_fma_f64 v[152:153], -v[124:125], v[178:179], v[152:153]
	ds_read2_b64 v[186:189], v253 offset0:20 offset1:21
	s_waitcnt vmcnt(28)
	v_fma_f64 v[110:111], -v[124:125], v[180:181], v[110:111]
	ds_read2_b64 v[178:181], v253 offset0:22 offset1:23
	s_waitcnt vmcnt(27) lgkmcnt(2)
	v_fma_f64 v[150:151], -v[124:125], v[182:183], v[150:151]
	s_waitcnt vmcnt(26)
	v_fma_f64 v[108:109], -v[124:125], v[184:185], v[108:109]
	s_waitcnt vmcnt(25) lgkmcnt(1)
	v_fma_f64 v[148:149], -v[124:125], v[186:187], v[148:149]
	ds_read2_b64 v[182:185], v253 offset0:24 offset1:25
	s_waitcnt vmcnt(24)
	v_fma_f64 v[106:107], -v[124:125], v[188:189], v[106:107]
	ds_read2_b64 v[186:189], v253 offset0:26 offset1:27
	s_waitcnt vmcnt(23) lgkmcnt(2)
	v_fma_f64 v[146:147], -v[124:125], v[178:179], v[146:147]
	s_waitcnt vmcnt(22)
	v_fma_f64 v[104:105], -v[124:125], v[180:181], v[104:105]
	ds_read2_b64 v[178:181], v253 offset0:28 offset1:29
	s_waitcnt vmcnt(21) lgkmcnt(2)
	v_fma_f64 v[144:145], -v[124:125], v[182:183], v[144:145]
	;; [unrolled: 5-line block ×3, first 2 shown]
	s_waitcnt vmcnt(18)
	v_fma_f64 v[100:101], -v[124:125], v[188:189], v[100:101]
	s_waitcnt vmcnt(17) lgkmcnt(1)
	v_fma_f64 v[140:141], -v[124:125], v[178:179], v[140:141]
	ds_read2_b64 v[186:189], v253 offset0:32 offset1:33
	s_waitcnt vmcnt(16)
	v_fma_f64 v[98:99], -v[124:125], v[180:181], v[98:99]
	ds_read2_b64 v[178:181], v253 offset0:34 offset1:35
	s_waitcnt vmcnt(15) lgkmcnt(2)
	v_fma_f64 v[138:139], -v[124:125], v[182:183], v[138:139]
	s_waitcnt vmcnt(14)
	v_fma_f64 v[96:97], -v[124:125], v[184:185], v[96:97]
	s_waitcnt vmcnt(13) lgkmcnt(1)
	v_fma_f64 v[136:137], -v[124:125], v[186:187], v[136:137]
	s_waitcnt vmcnt(12)
	v_fma_f64 v[94:95], -v[124:125], v[188:189], v[94:95]
	ds_read2_b64 v[182:185], v253 offset0:36 offset1:37
	ds_read2_b64 v[186:189], v253 offset0:38 offset1:39
	s_waitcnt vmcnt(11) lgkmcnt(2)
	v_fma_f64 v[134:135], -v[124:125], v[178:179], v[134:135]
	s_waitcnt vmcnt(10)
	v_fma_f64 v[92:93], -v[124:125], v[180:181], v[92:93]
	ds_read2_b64 v[178:181], v253 offset0:40 offset1:41
	s_waitcnt vmcnt(9) lgkmcnt(2)
	v_fma_f64 v[132:133], -v[124:125], v[182:183], v[132:133]
	s_waitcnt vmcnt(8)
	v_fma_f64 v[90:91], -v[124:125], v[184:185], v[90:91]
	s_waitcnt vmcnt(7) lgkmcnt(1)
	v_fma_f64 v[130:131], -v[124:125], v[186:187], v[130:131]
	s_waitcnt vmcnt(6)
	v_fma_f64 v[88:89], -v[124:125], v[188:189], v[88:89]
	;; [unrolled: 4-line block ×3, first 2 shown]
.LBB83_21:
	s_or_b64 exec, exec, s[2:3]
	v_cmp_eq_u32_e32 vcc, 4, v254
	s_waitcnt lgkmcnt(0)
	s_barrier
	s_and_saveexec_b64 s[2:3], vcc
	s_cbranch_execz .LBB83_24
; %bb.22:
	s_waitcnt vmcnt(43)
	ds_write_b64 v252, v[164:165]
	s_waitcnt vmcnt(41)
	ds_write2_b64 v253, v[122:123], v[162:163] offset0:5 offset1:6
	s_waitcnt vmcnt(39)
	ds_write2_b64 v253, v[120:121], v[160:161] offset0:7 offset1:8
	;; [unrolled: 2-line block ×18, first 2 shown]
	s_waitcnt vmcnt(4)
	ds_write_b64 v253, v[168:169] offset:328
	ds_read_b64 v[178:179], v252
	s_waitcnt lgkmcnt(0)
	v_cmp_neq_f64_e32 vcc, 0, v[178:179]
	s_and_b64 exec, exec, vcc
	s_cbranch_execz .LBB83_24
; %bb.23:
	v_div_scale_f64 v[170:171], s[6:7], v[178:179], v[178:179], 1.0
	v_rcp_f64_e32 v[172:173], v[170:171]
	v_div_scale_f64 v[180:181], vcc, 1.0, v[178:179], 1.0
	v_fma_f64 v[182:183], -v[170:171], v[172:173], 1.0
	v_fmac_f64_e32 v[172:173], v[172:173], v[182:183]
	v_fma_f64 v[182:183], -v[170:171], v[172:173], 1.0
	v_fmac_f64_e32 v[172:173], v[172:173], v[182:183]
	v_mul_f64 v[182:183], v[180:181], v[172:173]
	v_fma_f64 v[170:171], -v[170:171], v[182:183], v[180:181]
	v_div_fmas_f64 v[170:171], v[170:171], v[172:173], v[182:183]
	v_div_fixup_f64 v[170:171], v[170:171], v[178:179], 1.0
	ds_write_b64 v252, v[170:171]
.LBB83_24:
	s_or_b64 exec, exec, s[2:3]
	s_waitcnt lgkmcnt(0)
	s_barrier
	ds_read_b64 v[178:179], v252
	v_cmp_lt_u32_e32 vcc, 4, v254
	s_and_saveexec_b64 s[2:3], vcc
	s_cbranch_execz .LBB83_26
; %bb.25:
	ds_read2_b64 v[180:183], v253 offset0:5 offset1:6
	ds_read2_b64 v[184:187], v253 offset0:7 offset1:8
	;; [unrolled: 1-line block ×3, first 2 shown]
	s_waitcnt vmcnt(43) lgkmcnt(3)
	v_mul_f64 v[164:165], v[178:179], v[164:165]
	ds_read_b64 v[170:171], v253 offset:328
	s_waitcnt vmcnt(42) lgkmcnt(3)
	v_fma_f64 v[122:123], -v[164:165], v[180:181], v[122:123]
	s_waitcnt vmcnt(41)
	v_fma_f64 v[162:163], -v[164:165], v[182:183], v[162:163]
	ds_read2_b64 v[180:183], v253 offset0:11 offset1:12
	s_waitcnt vmcnt(40) lgkmcnt(3)
	v_fma_f64 v[120:121], -v[164:165], v[184:185], v[120:121]
	s_waitcnt vmcnt(39)
	v_fma_f64 v[160:161], -v[164:165], v[186:187], v[160:161]
	s_waitcnt vmcnt(38) lgkmcnt(2)
	v_fma_f64 v[118:119], -v[164:165], v[188:189], v[118:119]
	ds_read2_b64 v[184:187], v253 offset0:13 offset1:14
	s_waitcnt vmcnt(37)
	v_fma_f64 v[158:159], -v[164:165], v[190:191], v[158:159]
	ds_read2_b64 v[188:191], v253 offset0:15 offset1:16
	s_waitcnt vmcnt(36) lgkmcnt(2)
	v_fma_f64 v[116:117], -v[164:165], v[180:181], v[116:117]
	s_waitcnt vmcnt(33)
	v_fma_f64 v[156:157], -v[164:165], v[182:183], v[156:157]
	s_waitcnt vmcnt(32) lgkmcnt(1)
	v_fma_f64 v[114:115], -v[164:165], v[184:185], v[114:115]
	ds_read2_b64 v[180:183], v253 offset0:17 offset1:18
	s_waitcnt vmcnt(31)
	v_fma_f64 v[154:155], -v[164:165], v[186:187], v[154:155]
	ds_read2_b64 v[184:187], v253 offset0:19 offset1:20
	s_waitcnt vmcnt(30) lgkmcnt(2)
	v_fma_f64 v[112:113], -v[164:165], v[188:189], v[112:113]
	s_waitcnt vmcnt(29)
	v_fma_f64 v[152:153], -v[164:165], v[190:191], v[152:153]
	ds_read2_b64 v[188:191], v253 offset0:21 offset1:22
	s_waitcnt vmcnt(28) lgkmcnt(2)
	v_fma_f64 v[110:111], -v[164:165], v[180:181], v[110:111]
	s_waitcnt vmcnt(27)
	v_fma_f64 v[150:151], -v[164:165], v[182:183], v[150:151]
	ds_read2_b64 v[180:183], v253 offset0:23 offset1:24
	s_waitcnt vmcnt(26) lgkmcnt(2)
	v_fma_f64 v[108:109], -v[164:165], v[184:185], v[108:109]
	s_waitcnt vmcnt(25)
	v_fma_f64 v[148:149], -v[164:165], v[186:187], v[148:149]
	s_waitcnt vmcnt(24) lgkmcnt(1)
	v_fma_f64 v[106:107], -v[164:165], v[188:189], v[106:107]
	ds_read2_b64 v[184:187], v253 offset0:25 offset1:26
	s_waitcnt vmcnt(23)
	v_fma_f64 v[146:147], -v[164:165], v[190:191], v[146:147]
	ds_read2_b64 v[188:191], v253 offset0:27 offset1:28
	s_waitcnt vmcnt(22) lgkmcnt(2)
	v_fma_f64 v[104:105], -v[164:165], v[180:181], v[104:105]
	s_waitcnt vmcnt(21)
	v_fma_f64 v[144:145], -v[164:165], v[182:183], v[144:145]
	s_waitcnt vmcnt(20) lgkmcnt(1)
	v_fma_f64 v[102:103], -v[164:165], v[184:185], v[102:103]
	ds_read2_b64 v[180:183], v253 offset0:29 offset1:30
	s_waitcnt vmcnt(19)
	v_fma_f64 v[142:143], -v[164:165], v[186:187], v[142:143]
	ds_read2_b64 v[184:187], v253 offset0:31 offset1:32
	s_waitcnt vmcnt(18) lgkmcnt(2)
	v_fma_f64 v[100:101], -v[164:165], v[188:189], v[100:101]
	s_waitcnt vmcnt(17)
	v_fma_f64 v[140:141], -v[164:165], v[190:191], v[140:141]
	ds_read2_b64 v[188:191], v253 offset0:33 offset1:34
	s_waitcnt vmcnt(16) lgkmcnt(2)
	v_fma_f64 v[98:99], -v[164:165], v[180:181], v[98:99]
	;; [unrolled: 5-line block ×3, first 2 shown]
	s_waitcnt vmcnt(13)
	v_fma_f64 v[136:137], -v[164:165], v[186:187], v[136:137]
	s_waitcnt vmcnt(12) lgkmcnt(1)
	v_fma_f64 v[94:95], -v[164:165], v[188:189], v[94:95]
	s_waitcnt vmcnt(11)
	v_fma_f64 v[134:135], -v[164:165], v[190:191], v[134:135]
	ds_read2_b64 v[184:187], v253 offset0:37 offset1:38
	ds_read2_b64 v[188:191], v253 offset0:39 offset1:40
	s_waitcnt vmcnt(10) lgkmcnt(2)
	v_fma_f64 v[92:93], -v[164:165], v[180:181], v[92:93]
	s_waitcnt vmcnt(9)
	v_fma_f64 v[132:133], -v[164:165], v[182:183], v[132:133]
	s_waitcnt vmcnt(4)
	v_fma_f64 v[168:169], -v[164:165], v[170:171], v[168:169]
	s_waitcnt lgkmcnt(1)
	v_fma_f64 v[90:91], -v[164:165], v[184:185], v[90:91]
	v_fma_f64 v[130:131], -v[164:165], v[186:187], v[130:131]
	s_waitcnt lgkmcnt(0)
	v_fma_f64 v[88:89], -v[164:165], v[188:189], v[88:89]
	v_fma_f64 v[128:129], -v[164:165], v[190:191], v[128:129]
.LBB83_26:
	s_or_b64 exec, exec, s[2:3]
	v_cmp_eq_u32_e32 vcc, 5, v254
	s_waitcnt lgkmcnt(0)
	s_barrier
	s_and_saveexec_b64 s[2:3], vcc
	s_cbranch_execz .LBB83_29
; %bb.27:
	s_waitcnt vmcnt(41)
	v_mov_b32_e32 v170, v162
	v_mov_b32_e32 v171, v163
	s_waitcnt vmcnt(40)
	v_mov_b32_e32 v172, v120
	v_mov_b32_e32 v173, v121
	ds_write_b64 v252, v[122:123]
	ds_write2_b64 v253, v[170:171], v[172:173] offset0:6 offset1:7
	s_waitcnt vmcnt(39)
	v_mov_b32_e32 v170, v160
	v_mov_b32_e32 v171, v161
	s_waitcnt vmcnt(38)
	v_mov_b32_e32 v172, v118
	v_mov_b32_e32 v173, v119
	ds_write2_b64 v253, v[170:171], v[172:173] offset0:8 offset1:9
	s_waitcnt vmcnt(37)
	v_mov_b32_e32 v170, v158
	v_mov_b32_e32 v171, v159
	s_waitcnt vmcnt(36)
	v_mov_b32_e32 v172, v116
	v_mov_b32_e32 v173, v117
	;; [unrolled: 7-line block ×16, first 2 shown]
	ds_write2_b64 v253, v[170:171], v[172:173] offset0:38 offset1:39
	s_waitcnt vmcnt(5)
	v_mov_b32_e32 v170, v128
	v_mov_b32_e32 v171, v129
	s_waitcnt vmcnt(4)
	ds_write2_b64 v253, v[170:171], v[168:169] offset0:40 offset1:41
	ds_read_b64 v[180:181], v252
	s_waitcnt lgkmcnt(0)
	v_cmp_neq_f64_e32 vcc, 0, v[180:181]
	s_and_b64 exec, exec, vcc
	s_cbranch_execz .LBB83_29
; %bb.28:
	v_div_scale_f64 v[170:171], s[6:7], v[180:181], v[180:181], 1.0
	v_rcp_f64_e32 v[172:173], v[170:171]
	v_div_scale_f64 v[182:183], vcc, 1.0, v[180:181], 1.0
	v_fma_f64 v[184:185], -v[170:171], v[172:173], 1.0
	v_fmac_f64_e32 v[172:173], v[172:173], v[184:185]
	v_fma_f64 v[184:185], -v[170:171], v[172:173], 1.0
	v_fmac_f64_e32 v[172:173], v[172:173], v[184:185]
	v_mul_f64 v[184:185], v[182:183], v[172:173]
	v_fma_f64 v[170:171], -v[170:171], v[184:185], v[182:183]
	v_div_fmas_f64 v[170:171], v[170:171], v[172:173], v[184:185]
	v_div_fixup_f64 v[170:171], v[170:171], v[180:181], 1.0
	ds_write_b64 v252, v[170:171]
.LBB83_29:
	s_or_b64 exec, exec, s[2:3]
	s_waitcnt lgkmcnt(0)
	s_barrier
	ds_read_b64 v[180:181], v252
	v_cmp_lt_u32_e32 vcc, 5, v254
	s_and_saveexec_b64 s[2:3], vcc
	s_cbranch_execz .LBB83_31
; %bb.30:
	ds_read2_b64 v[182:185], v253 offset0:6 offset1:7
	ds_read2_b64 v[186:189], v253 offset0:8 offset1:9
	;; [unrolled: 1-line block ×3, first 2 shown]
	s_waitcnt vmcnt(42) lgkmcnt(3)
	v_mul_f64 v[122:123], v[180:181], v[122:123]
	s_waitcnt vmcnt(41) lgkmcnt(2)
	v_fma_f64 v[162:163], -v[122:123], v[182:183], v[162:163]
	s_waitcnt vmcnt(40)
	v_fma_f64 v[120:121], -v[122:123], v[184:185], v[120:121]
	ds_read2_b64 v[182:185], v253 offset0:12 offset1:13
	s_waitcnt vmcnt(39) lgkmcnt(2)
	v_fma_f64 v[160:161], -v[122:123], v[186:187], v[160:161]
	s_waitcnt vmcnt(38)
	v_fma_f64 v[118:119], -v[122:123], v[188:189], v[118:119]
	s_waitcnt vmcnt(37) lgkmcnt(1)
	v_fma_f64 v[158:159], -v[122:123], v[190:191], v[158:159]
	ds_read2_b64 v[186:189], v253 offset0:14 offset1:15
	s_waitcnt vmcnt(36)
	v_fma_f64 v[116:117], -v[122:123], v[192:193], v[116:117]
	ds_read2_b64 v[190:193], v253 offset0:16 offset1:17
	s_waitcnt vmcnt(33) lgkmcnt(2)
	v_fma_f64 v[156:157], -v[122:123], v[182:183], v[156:157]
	s_waitcnt vmcnt(32)
	v_fma_f64 v[114:115], -v[122:123], v[184:185], v[114:115]
	s_waitcnt vmcnt(31) lgkmcnt(1)
	v_fma_f64 v[154:155], -v[122:123], v[186:187], v[154:155]
	ds_read2_b64 v[182:185], v253 offset0:18 offset1:19
	s_waitcnt vmcnt(30)
	v_fma_f64 v[112:113], -v[122:123], v[188:189], v[112:113]
	ds_read2_b64 v[186:189], v253 offset0:20 offset1:21
	s_waitcnt vmcnt(29) lgkmcnt(2)
	v_fma_f64 v[152:153], -v[122:123], v[190:191], v[152:153]
	s_waitcnt vmcnt(28)
	v_fma_f64 v[110:111], -v[122:123], v[192:193], v[110:111]
	ds_read2_b64 v[190:193], v253 offset0:22 offset1:23
	s_waitcnt vmcnt(27) lgkmcnt(2)
	v_fma_f64 v[150:151], -v[122:123], v[182:183], v[150:151]
	;; [unrolled: 5-line block ×3, first 2 shown]
	s_waitcnt vmcnt(24)
	v_fma_f64 v[106:107], -v[122:123], v[188:189], v[106:107]
	s_waitcnt vmcnt(23) lgkmcnt(1)
	v_fma_f64 v[146:147], -v[122:123], v[190:191], v[146:147]
	ds_read2_b64 v[186:189], v253 offset0:26 offset1:27
	s_waitcnt vmcnt(22)
	v_fma_f64 v[104:105], -v[122:123], v[192:193], v[104:105]
	ds_read2_b64 v[190:193], v253 offset0:28 offset1:29
	s_waitcnt vmcnt(21) lgkmcnt(2)
	v_fma_f64 v[144:145], -v[122:123], v[182:183], v[144:145]
	s_waitcnt vmcnt(20)
	v_fma_f64 v[102:103], -v[122:123], v[184:185], v[102:103]
	s_waitcnt vmcnt(19) lgkmcnt(1)
	v_fma_f64 v[142:143], -v[122:123], v[186:187], v[142:143]
	ds_read2_b64 v[182:185], v253 offset0:30 offset1:31
	s_waitcnt vmcnt(18)
	v_fma_f64 v[100:101], -v[122:123], v[188:189], v[100:101]
	ds_read2_b64 v[186:189], v253 offset0:32 offset1:33
	s_waitcnt vmcnt(17) lgkmcnt(2)
	v_fma_f64 v[140:141], -v[122:123], v[190:191], v[140:141]
	s_waitcnt vmcnt(16)
	v_fma_f64 v[98:99], -v[122:123], v[192:193], v[98:99]
	ds_read2_b64 v[190:193], v253 offset0:34 offset1:35
	s_waitcnt vmcnt(15) lgkmcnt(2)
	v_fma_f64 v[138:139], -v[122:123], v[182:183], v[138:139]
	;; [unrolled: 5-line block ×3, first 2 shown]
	s_waitcnt vmcnt(12)
	v_fma_f64 v[94:95], -v[122:123], v[188:189], v[94:95]
	s_waitcnt vmcnt(11) lgkmcnt(1)
	v_fma_f64 v[134:135], -v[122:123], v[190:191], v[134:135]
	ds_read2_b64 v[186:189], v253 offset0:38 offset1:39
	s_waitcnt vmcnt(10)
	v_fma_f64 v[92:93], -v[122:123], v[192:193], v[92:93]
	ds_read2_b64 v[190:193], v253 offset0:40 offset1:41
	s_waitcnt vmcnt(9) lgkmcnt(2)
	v_fma_f64 v[132:133], -v[122:123], v[182:183], v[132:133]
	s_waitcnt vmcnt(8)
	v_fma_f64 v[90:91], -v[122:123], v[184:185], v[90:91]
	s_waitcnt vmcnt(7) lgkmcnt(1)
	v_fma_f64 v[130:131], -v[122:123], v[186:187], v[130:131]
	s_waitcnt vmcnt(6)
	v_fma_f64 v[88:89], -v[122:123], v[188:189], v[88:89]
	;; [unrolled: 4-line block ×3, first 2 shown]
.LBB83_31:
	s_or_b64 exec, exec, s[2:3]
	v_cmp_eq_u32_e32 vcc, 6, v254
	s_waitcnt lgkmcnt(0)
	s_barrier
	s_and_saveexec_b64 s[2:3], vcc
	s_cbranch_execz .LBB83_34
; %bb.32:
	s_waitcnt vmcnt(41)
	ds_write_b64 v252, v[162:163]
	s_waitcnt vmcnt(39)
	ds_write2_b64 v253, v[120:121], v[160:161] offset0:7 offset1:8
	s_waitcnt vmcnt(37)
	ds_write2_b64 v253, v[118:119], v[158:159] offset0:9 offset1:10
	;; [unrolled: 2-line block ×17, first 2 shown]
	s_waitcnt vmcnt(4)
	ds_write_b64 v253, v[168:169] offset:328
	ds_read_b64 v[182:183], v252
	s_waitcnt lgkmcnt(0)
	v_cmp_neq_f64_e32 vcc, 0, v[182:183]
	s_and_b64 exec, exec, vcc
	s_cbranch_execz .LBB83_34
; %bb.33:
	v_div_scale_f64 v[170:171], s[6:7], v[182:183], v[182:183], 1.0
	v_rcp_f64_e32 v[172:173], v[170:171]
	v_div_scale_f64 v[184:185], vcc, 1.0, v[182:183], 1.0
	v_fma_f64 v[186:187], -v[170:171], v[172:173], 1.0
	v_fmac_f64_e32 v[172:173], v[172:173], v[186:187]
	v_fma_f64 v[186:187], -v[170:171], v[172:173], 1.0
	v_fmac_f64_e32 v[172:173], v[172:173], v[186:187]
	v_mul_f64 v[186:187], v[184:185], v[172:173]
	v_fma_f64 v[170:171], -v[170:171], v[186:187], v[184:185]
	v_div_fmas_f64 v[170:171], v[170:171], v[172:173], v[186:187]
	v_div_fixup_f64 v[170:171], v[170:171], v[182:183], 1.0
	ds_write_b64 v252, v[170:171]
.LBB83_34:
	s_or_b64 exec, exec, s[2:3]
	s_waitcnt lgkmcnt(0)
	s_barrier
	ds_read_b64 v[182:183], v252
	v_cmp_lt_u32_e32 vcc, 6, v254
	s_and_saveexec_b64 s[2:3], vcc
	s_cbranch_execz .LBB83_36
; %bb.35:
	ds_read2_b64 v[184:187], v253 offset0:7 offset1:8
	ds_read2_b64 v[188:191], v253 offset0:9 offset1:10
	s_waitcnt vmcnt(41) lgkmcnt(2)
	v_mul_f64 v[162:163], v[182:183], v[162:163]
	ds_read2_b64 v[192:195], v253 offset0:11 offset1:12
	ds_read_b64 v[170:171], v253 offset:328
	s_waitcnt vmcnt(40) lgkmcnt(3)
	v_fma_f64 v[120:121], -v[162:163], v[184:185], v[120:121]
	s_waitcnt vmcnt(39)
	v_fma_f64 v[160:161], -v[162:163], v[186:187], v[160:161]
	ds_read2_b64 v[184:187], v253 offset0:13 offset1:14
	s_waitcnt vmcnt(38) lgkmcnt(3)
	v_fma_f64 v[118:119], -v[162:163], v[188:189], v[118:119]
	s_waitcnt vmcnt(37)
	v_fma_f64 v[158:159], -v[162:163], v[190:191], v[158:159]
	ds_read2_b64 v[188:191], v253 offset0:15 offset1:16
	;; [unrolled: 5-line block ×3, first 2 shown]
	s_waitcnt vmcnt(32) lgkmcnt(2)
	v_fma_f64 v[114:115], -v[162:163], v[184:185], v[114:115]
	s_waitcnt vmcnt(31)
	v_fma_f64 v[154:155], -v[162:163], v[186:187], v[154:155]
	s_waitcnt vmcnt(30) lgkmcnt(1)
	v_fma_f64 v[112:113], -v[162:163], v[188:189], v[112:113]
	ds_read2_b64 v[184:187], v253 offset0:19 offset1:20
	s_waitcnt vmcnt(29)
	v_fma_f64 v[152:153], -v[162:163], v[190:191], v[152:153]
	ds_read2_b64 v[188:191], v253 offset0:21 offset1:22
	s_waitcnt vmcnt(28) lgkmcnt(2)
	v_fma_f64 v[110:111], -v[162:163], v[192:193], v[110:111]
	s_waitcnt vmcnt(27)
	v_fma_f64 v[150:151], -v[162:163], v[194:195], v[150:151]
	s_waitcnt vmcnt(26) lgkmcnt(1)
	v_fma_f64 v[108:109], -v[162:163], v[184:185], v[108:109]
	ds_read2_b64 v[192:195], v253 offset0:23 offset1:24
	s_waitcnt vmcnt(25)
	v_fma_f64 v[148:149], -v[162:163], v[186:187], v[148:149]
	ds_read2_b64 v[184:187], v253 offset0:25 offset1:26
	s_waitcnt vmcnt(24) lgkmcnt(2)
	v_fma_f64 v[106:107], -v[162:163], v[188:189], v[106:107]
	s_waitcnt vmcnt(23)
	v_fma_f64 v[146:147], -v[162:163], v[190:191], v[146:147]
	ds_read2_b64 v[188:191], v253 offset0:27 offset1:28
	s_waitcnt vmcnt(22) lgkmcnt(2)
	v_fma_f64 v[104:105], -v[162:163], v[192:193], v[104:105]
	;; [unrolled: 5-line block ×3, first 2 shown]
	s_waitcnt vmcnt(19)
	v_fma_f64 v[142:143], -v[162:163], v[186:187], v[142:143]
	s_waitcnt vmcnt(18) lgkmcnt(1)
	v_fma_f64 v[100:101], -v[162:163], v[188:189], v[100:101]
	ds_read2_b64 v[184:187], v253 offset0:31 offset1:32
	s_waitcnt vmcnt(17)
	v_fma_f64 v[140:141], -v[162:163], v[190:191], v[140:141]
	ds_read2_b64 v[188:191], v253 offset0:33 offset1:34
	s_waitcnt vmcnt(16) lgkmcnt(2)
	v_fma_f64 v[98:99], -v[162:163], v[192:193], v[98:99]
	s_waitcnt vmcnt(15)
	v_fma_f64 v[138:139], -v[162:163], v[194:195], v[138:139]
	s_waitcnt vmcnt(14) lgkmcnt(1)
	v_fma_f64 v[96:97], -v[162:163], v[184:185], v[96:97]
	ds_read2_b64 v[192:195], v253 offset0:35 offset1:36
	s_waitcnt vmcnt(13)
	v_fma_f64 v[136:137], -v[162:163], v[186:187], v[136:137]
	ds_read2_b64 v[184:187], v253 offset0:37 offset1:38
	s_waitcnt vmcnt(12) lgkmcnt(2)
	v_fma_f64 v[94:95], -v[162:163], v[188:189], v[94:95]
	s_waitcnt vmcnt(11)
	v_fma_f64 v[134:135], -v[162:163], v[190:191], v[134:135]
	ds_read2_b64 v[188:191], v253 offset0:39 offset1:40
	s_waitcnt vmcnt(10) lgkmcnt(2)
	v_fma_f64 v[92:93], -v[162:163], v[192:193], v[92:93]
	s_waitcnt vmcnt(9)
	v_fma_f64 v[132:133], -v[162:163], v[194:195], v[132:133]
	s_waitcnt vmcnt(8) lgkmcnt(1)
	v_fma_f64 v[90:91], -v[162:163], v[184:185], v[90:91]
	s_waitcnt vmcnt(7)
	v_fma_f64 v[130:131], -v[162:163], v[186:187], v[130:131]
	;; [unrolled: 4-line block ×3, first 2 shown]
	s_waitcnt vmcnt(4)
	v_fma_f64 v[168:169], -v[162:163], v[170:171], v[168:169]
.LBB83_36:
	s_or_b64 exec, exec, s[2:3]
	v_cmp_eq_u32_e32 vcc, 7, v254
	s_waitcnt lgkmcnt(0)
	s_barrier
	s_and_saveexec_b64 s[2:3], vcc
	s_cbranch_execz .LBB83_39
; %bb.37:
	s_waitcnt vmcnt(39)
	v_mov_b32_e32 v170, v160
	v_mov_b32_e32 v171, v161
	s_waitcnt vmcnt(38)
	v_mov_b32_e32 v172, v118
	v_mov_b32_e32 v173, v119
	ds_write_b64 v252, v[120:121]
	ds_write2_b64 v253, v[170:171], v[172:173] offset0:8 offset1:9
	s_waitcnt vmcnt(37)
	v_mov_b32_e32 v170, v158
	v_mov_b32_e32 v171, v159
	s_waitcnt vmcnt(36)
	v_mov_b32_e32 v172, v116
	v_mov_b32_e32 v173, v117
	ds_write2_b64 v253, v[170:171], v[172:173] offset0:10 offset1:11
	s_waitcnt vmcnt(33)
	v_mov_b32_e32 v170, v156
	v_mov_b32_e32 v171, v157
	s_waitcnt vmcnt(32)
	v_mov_b32_e32 v172, v114
	v_mov_b32_e32 v173, v115
	;; [unrolled: 7-line block ×15, first 2 shown]
	ds_write2_b64 v253, v[170:171], v[172:173] offset0:38 offset1:39
	s_waitcnt vmcnt(5)
	v_mov_b32_e32 v170, v128
	v_mov_b32_e32 v171, v129
	s_waitcnt vmcnt(4)
	ds_write2_b64 v253, v[170:171], v[168:169] offset0:40 offset1:41
	ds_read_b64 v[184:185], v252
	s_waitcnt lgkmcnt(0)
	v_cmp_neq_f64_e32 vcc, 0, v[184:185]
	s_and_b64 exec, exec, vcc
	s_cbranch_execz .LBB83_39
; %bb.38:
	v_div_scale_f64 v[170:171], s[6:7], v[184:185], v[184:185], 1.0
	v_rcp_f64_e32 v[172:173], v[170:171]
	v_div_scale_f64 v[186:187], vcc, 1.0, v[184:185], 1.0
	v_fma_f64 v[188:189], -v[170:171], v[172:173], 1.0
	v_fmac_f64_e32 v[172:173], v[172:173], v[188:189]
	v_fma_f64 v[188:189], -v[170:171], v[172:173], 1.0
	v_fmac_f64_e32 v[172:173], v[172:173], v[188:189]
	v_mul_f64 v[188:189], v[186:187], v[172:173]
	v_fma_f64 v[170:171], -v[170:171], v[188:189], v[186:187]
	v_div_fmas_f64 v[170:171], v[170:171], v[172:173], v[188:189]
	v_div_fixup_f64 v[170:171], v[170:171], v[184:185], 1.0
	ds_write_b64 v252, v[170:171]
.LBB83_39:
	s_or_b64 exec, exec, s[2:3]
	s_waitcnt lgkmcnt(0)
	s_barrier
	ds_read_b64 v[184:185], v252
	v_cmp_lt_u32_e32 vcc, 7, v254
	s_and_saveexec_b64 s[2:3], vcc
	s_cbranch_execz .LBB83_41
; %bb.40:
	ds_read2_b64 v[186:189], v253 offset0:8 offset1:9
	ds_read2_b64 v[190:193], v253 offset0:10 offset1:11
	s_waitcnt vmcnt(40) lgkmcnt(2)
	v_mul_f64 v[120:121], v[184:185], v[120:121]
	ds_read2_b64 v[194:197], v253 offset0:12 offset1:13
	s_waitcnt vmcnt(39) lgkmcnt(2)
	v_fma_f64 v[160:161], -v[120:121], v[186:187], v[160:161]
	s_waitcnt vmcnt(38)
	v_fma_f64 v[118:119], -v[120:121], v[188:189], v[118:119]
	ds_read2_b64 v[186:189], v253 offset0:14 offset1:15
	s_waitcnt vmcnt(37) lgkmcnt(2)
	v_fma_f64 v[158:159], -v[120:121], v[190:191], v[158:159]
	s_waitcnt vmcnt(36)
	v_fma_f64 v[116:117], -v[120:121], v[192:193], v[116:117]
	;; [unrolled: 5-line block ×4, first 2 shown]
	s_waitcnt vmcnt(29) lgkmcnt(1)
	v_fma_f64 v[152:153], -v[120:121], v[190:191], v[152:153]
	ds_read2_b64 v[186:189], v253 offset0:20 offset1:21
	s_waitcnt vmcnt(28)
	v_fma_f64 v[110:111], -v[120:121], v[192:193], v[110:111]
	ds_read2_b64 v[190:193], v253 offset0:22 offset1:23
	s_waitcnt vmcnt(27) lgkmcnt(2)
	v_fma_f64 v[150:151], -v[120:121], v[194:195], v[150:151]
	s_waitcnt vmcnt(26)
	v_fma_f64 v[108:109], -v[120:121], v[196:197], v[108:109]
	s_waitcnt vmcnt(25) lgkmcnt(1)
	v_fma_f64 v[148:149], -v[120:121], v[186:187], v[148:149]
	ds_read2_b64 v[194:197], v253 offset0:24 offset1:25
	s_waitcnt vmcnt(24)
	v_fma_f64 v[106:107], -v[120:121], v[188:189], v[106:107]
	ds_read2_b64 v[186:189], v253 offset0:26 offset1:27
	s_waitcnt vmcnt(23) lgkmcnt(2)
	v_fma_f64 v[146:147], -v[120:121], v[190:191], v[146:147]
	s_waitcnt vmcnt(22)
	v_fma_f64 v[104:105], -v[120:121], v[192:193], v[104:105]
	ds_read2_b64 v[190:193], v253 offset0:28 offset1:29
	s_waitcnt vmcnt(21) lgkmcnt(2)
	v_fma_f64 v[144:145], -v[120:121], v[194:195], v[144:145]
	;; [unrolled: 5-line block ×3, first 2 shown]
	s_waitcnt vmcnt(18)
	v_fma_f64 v[100:101], -v[120:121], v[188:189], v[100:101]
	s_waitcnt vmcnt(17) lgkmcnt(1)
	v_fma_f64 v[140:141], -v[120:121], v[190:191], v[140:141]
	ds_read2_b64 v[186:189], v253 offset0:32 offset1:33
	s_waitcnt vmcnt(16)
	v_fma_f64 v[98:99], -v[120:121], v[192:193], v[98:99]
	ds_read2_b64 v[190:193], v253 offset0:34 offset1:35
	s_waitcnt vmcnt(15) lgkmcnt(2)
	v_fma_f64 v[138:139], -v[120:121], v[194:195], v[138:139]
	s_waitcnt vmcnt(14)
	v_fma_f64 v[96:97], -v[120:121], v[196:197], v[96:97]
	s_waitcnt vmcnt(13) lgkmcnt(1)
	v_fma_f64 v[136:137], -v[120:121], v[186:187], v[136:137]
	s_waitcnt vmcnt(12)
	v_fma_f64 v[94:95], -v[120:121], v[188:189], v[94:95]
	ds_read2_b64 v[186:189], v253 offset0:36 offset1:37
	ds_read2_b64 v[194:197], v253 offset0:38 offset1:39
	s_waitcnt vmcnt(11) lgkmcnt(2)
	v_fma_f64 v[134:135], -v[120:121], v[190:191], v[134:135]
	s_waitcnt vmcnt(10)
	v_fma_f64 v[92:93], -v[120:121], v[192:193], v[92:93]
	ds_read2_b64 v[190:193], v253 offset0:40 offset1:41
	s_waitcnt vmcnt(9) lgkmcnt(2)
	v_fma_f64 v[132:133], -v[120:121], v[186:187], v[132:133]
	s_waitcnt vmcnt(8)
	v_fma_f64 v[90:91], -v[120:121], v[188:189], v[90:91]
	s_waitcnt vmcnt(7) lgkmcnt(1)
	v_fma_f64 v[130:131], -v[120:121], v[194:195], v[130:131]
	s_waitcnt vmcnt(6)
	v_fma_f64 v[88:89], -v[120:121], v[196:197], v[88:89]
	;; [unrolled: 4-line block ×3, first 2 shown]
.LBB83_41:
	s_or_b64 exec, exec, s[2:3]
	v_cmp_eq_u32_e32 vcc, 8, v254
	s_waitcnt lgkmcnt(0)
	s_barrier
	s_and_saveexec_b64 s[2:3], vcc
	s_cbranch_execz .LBB83_44
; %bb.42:
	s_waitcnt vmcnt(39)
	ds_write_b64 v252, v[160:161]
	s_waitcnt vmcnt(37)
	ds_write2_b64 v253, v[118:119], v[158:159] offset0:9 offset1:10
	s_waitcnt vmcnt(33)
	ds_write2_b64 v253, v[116:117], v[156:157] offset0:11 offset1:12
	;; [unrolled: 2-line block ×16, first 2 shown]
	s_waitcnt vmcnt(4)
	ds_write_b64 v253, v[168:169] offset:328
	ds_read_b64 v[186:187], v252
	s_waitcnt lgkmcnt(0)
	v_cmp_neq_f64_e32 vcc, 0, v[186:187]
	s_and_b64 exec, exec, vcc
	s_cbranch_execz .LBB83_44
; %bb.43:
	v_div_scale_f64 v[170:171], s[6:7], v[186:187], v[186:187], 1.0
	v_rcp_f64_e32 v[172:173], v[170:171]
	v_div_scale_f64 v[188:189], vcc, 1.0, v[186:187], 1.0
	v_fma_f64 v[190:191], -v[170:171], v[172:173], 1.0
	v_fmac_f64_e32 v[172:173], v[172:173], v[190:191]
	v_fma_f64 v[190:191], -v[170:171], v[172:173], 1.0
	v_fmac_f64_e32 v[172:173], v[172:173], v[190:191]
	v_mul_f64 v[190:191], v[188:189], v[172:173]
	v_fma_f64 v[170:171], -v[170:171], v[190:191], v[188:189]
	v_div_fmas_f64 v[170:171], v[170:171], v[172:173], v[190:191]
	v_div_fixup_f64 v[170:171], v[170:171], v[186:187], 1.0
	ds_write_b64 v252, v[170:171]
.LBB83_44:
	s_or_b64 exec, exec, s[2:3]
	s_waitcnt lgkmcnt(0)
	s_barrier
	ds_read_b64 v[186:187], v252
	v_cmp_lt_u32_e32 vcc, 8, v254
	s_and_saveexec_b64 s[2:3], vcc
	s_cbranch_execz .LBB83_46
; %bb.45:
	ds_read2_b64 v[188:191], v253 offset0:9 offset1:10
	ds_read2_b64 v[192:195], v253 offset0:11 offset1:12
	s_waitcnt vmcnt(39) lgkmcnt(2)
	v_mul_f64 v[160:161], v[186:187], v[160:161]
	ds_read2_b64 v[196:199], v253 offset0:13 offset1:14
	ds_read_b64 v[170:171], v253 offset:328
	s_waitcnt vmcnt(38) lgkmcnt(3)
	v_fma_f64 v[118:119], -v[160:161], v[188:189], v[118:119]
	s_waitcnt vmcnt(37)
	v_fma_f64 v[158:159], -v[160:161], v[190:191], v[158:159]
	ds_read2_b64 v[188:191], v253 offset0:15 offset1:16
	s_waitcnt vmcnt(36) lgkmcnt(3)
	v_fma_f64 v[116:117], -v[160:161], v[192:193], v[116:117]
	s_waitcnt vmcnt(33)
	v_fma_f64 v[156:157], -v[160:161], v[194:195], v[156:157]
	s_waitcnt vmcnt(32) lgkmcnt(2)
	v_fma_f64 v[114:115], -v[160:161], v[196:197], v[114:115]
	ds_read2_b64 v[192:195], v253 offset0:17 offset1:18
	s_waitcnt vmcnt(31)
	v_fma_f64 v[154:155], -v[160:161], v[198:199], v[154:155]
	ds_read2_b64 v[196:199], v253 offset0:19 offset1:20
	s_waitcnt vmcnt(30) lgkmcnt(2)
	v_fma_f64 v[112:113], -v[160:161], v[188:189], v[112:113]
	s_waitcnt vmcnt(29)
	v_fma_f64 v[152:153], -v[160:161], v[190:191], v[152:153]
	ds_read2_b64 v[188:191], v253 offset0:21 offset1:22
	s_waitcnt vmcnt(28) lgkmcnt(2)
	v_fma_f64 v[110:111], -v[160:161], v[192:193], v[110:111]
	;; [unrolled: 5-line block ×3, first 2 shown]
	s_waitcnt vmcnt(25)
	v_fma_f64 v[148:149], -v[160:161], v[198:199], v[148:149]
	s_waitcnt vmcnt(24) lgkmcnt(1)
	v_fma_f64 v[106:107], -v[160:161], v[188:189], v[106:107]
	ds_read2_b64 v[196:199], v253 offset0:25 offset1:26
	s_waitcnt vmcnt(23)
	v_fma_f64 v[146:147], -v[160:161], v[190:191], v[146:147]
	ds_read2_b64 v[188:191], v253 offset0:27 offset1:28
	s_waitcnt vmcnt(22) lgkmcnt(2)
	v_fma_f64 v[104:105], -v[160:161], v[192:193], v[104:105]
	s_waitcnt vmcnt(21)
	v_fma_f64 v[144:145], -v[160:161], v[194:195], v[144:145]
	s_waitcnt vmcnt(20) lgkmcnt(1)
	v_fma_f64 v[102:103], -v[160:161], v[196:197], v[102:103]
	ds_read2_b64 v[192:195], v253 offset0:29 offset1:30
	s_waitcnt vmcnt(19)
	v_fma_f64 v[142:143], -v[160:161], v[198:199], v[142:143]
	ds_read2_b64 v[196:199], v253 offset0:31 offset1:32
	s_waitcnt vmcnt(18) lgkmcnt(2)
	v_fma_f64 v[100:101], -v[160:161], v[188:189], v[100:101]
	s_waitcnt vmcnt(17)
	v_fma_f64 v[140:141], -v[160:161], v[190:191], v[140:141]
	ds_read2_b64 v[188:191], v253 offset0:33 offset1:34
	s_waitcnt vmcnt(16) lgkmcnt(2)
	v_fma_f64 v[98:99], -v[160:161], v[192:193], v[98:99]
	;; [unrolled: 5-line block ×3, first 2 shown]
	s_waitcnt vmcnt(13)
	v_fma_f64 v[136:137], -v[160:161], v[198:199], v[136:137]
	s_waitcnt vmcnt(12) lgkmcnt(1)
	v_fma_f64 v[94:95], -v[160:161], v[188:189], v[94:95]
	s_waitcnt vmcnt(11)
	v_fma_f64 v[134:135], -v[160:161], v[190:191], v[134:135]
	ds_read2_b64 v[188:191], v253 offset0:37 offset1:38
	ds_read2_b64 v[196:199], v253 offset0:39 offset1:40
	s_waitcnt vmcnt(10) lgkmcnt(2)
	v_fma_f64 v[92:93], -v[160:161], v[192:193], v[92:93]
	s_waitcnt vmcnt(9)
	v_fma_f64 v[132:133], -v[160:161], v[194:195], v[132:133]
	s_waitcnt vmcnt(4)
	v_fma_f64 v[168:169], -v[160:161], v[170:171], v[168:169]
	s_waitcnt lgkmcnt(1)
	v_fma_f64 v[90:91], -v[160:161], v[188:189], v[90:91]
	v_fma_f64 v[130:131], -v[160:161], v[190:191], v[130:131]
	s_waitcnt lgkmcnt(0)
	v_fma_f64 v[88:89], -v[160:161], v[196:197], v[88:89]
	v_fma_f64 v[128:129], -v[160:161], v[198:199], v[128:129]
.LBB83_46:
	s_or_b64 exec, exec, s[2:3]
	v_cmp_eq_u32_e32 vcc, 9, v254
	s_waitcnt lgkmcnt(0)
	s_barrier
	s_and_saveexec_b64 s[2:3], vcc
	s_cbranch_execz .LBB83_49
; %bb.47:
	s_waitcnt vmcnt(37)
	v_mov_b32_e32 v170, v158
	v_mov_b32_e32 v171, v159
	s_waitcnt vmcnt(36)
	v_mov_b32_e32 v172, v116
	v_mov_b32_e32 v173, v117
	ds_write_b64 v252, v[118:119]
	ds_write2_b64 v253, v[170:171], v[172:173] offset0:10 offset1:11
	s_waitcnt vmcnt(33)
	v_mov_b32_e32 v170, v156
	v_mov_b32_e32 v171, v157
	s_waitcnt vmcnt(32)
	v_mov_b32_e32 v172, v114
	v_mov_b32_e32 v173, v115
	ds_write2_b64 v253, v[170:171], v[172:173] offset0:12 offset1:13
	s_waitcnt vmcnt(31)
	v_mov_b32_e32 v170, v154
	v_mov_b32_e32 v171, v155
	s_waitcnt vmcnt(30)
	v_mov_b32_e32 v172, v112
	v_mov_b32_e32 v173, v113
	;; [unrolled: 7-line block ×14, first 2 shown]
	ds_write2_b64 v253, v[170:171], v[172:173] offset0:38 offset1:39
	s_waitcnt vmcnt(5)
	v_mov_b32_e32 v170, v128
	v_mov_b32_e32 v171, v129
	s_waitcnt vmcnt(4)
	ds_write2_b64 v253, v[170:171], v[168:169] offset0:40 offset1:41
	ds_read_b64 v[188:189], v252
	s_waitcnt lgkmcnt(0)
	v_cmp_neq_f64_e32 vcc, 0, v[188:189]
	s_and_b64 exec, exec, vcc
	s_cbranch_execz .LBB83_49
; %bb.48:
	v_div_scale_f64 v[170:171], s[6:7], v[188:189], v[188:189], 1.0
	v_rcp_f64_e32 v[172:173], v[170:171]
	v_div_scale_f64 v[190:191], vcc, 1.0, v[188:189], 1.0
	v_fma_f64 v[192:193], -v[170:171], v[172:173], 1.0
	v_fmac_f64_e32 v[172:173], v[172:173], v[192:193]
	v_fma_f64 v[192:193], -v[170:171], v[172:173], 1.0
	v_fmac_f64_e32 v[172:173], v[172:173], v[192:193]
	v_mul_f64 v[192:193], v[190:191], v[172:173]
	v_fma_f64 v[170:171], -v[170:171], v[192:193], v[190:191]
	v_div_fmas_f64 v[170:171], v[170:171], v[172:173], v[192:193]
	v_div_fixup_f64 v[170:171], v[170:171], v[188:189], 1.0
	ds_write_b64 v252, v[170:171]
.LBB83_49:
	s_or_b64 exec, exec, s[2:3]
	s_waitcnt lgkmcnt(0)
	s_barrier
	ds_read_b64 v[188:189], v252
	v_cmp_lt_u32_e32 vcc, 9, v254
	s_and_saveexec_b64 s[2:3], vcc
	s_cbranch_execz .LBB83_51
; %bb.50:
	ds_read2_b64 v[190:193], v253 offset0:10 offset1:11
	ds_read2_b64 v[194:197], v253 offset0:12 offset1:13
	s_waitcnt vmcnt(38) lgkmcnt(2)
	v_mul_f64 v[118:119], v[188:189], v[118:119]
	ds_read2_b64 v[198:201], v253 offset0:14 offset1:15
	s_waitcnt vmcnt(37) lgkmcnt(2)
	v_fma_f64 v[158:159], -v[118:119], v[190:191], v[158:159]
	s_waitcnt vmcnt(36)
	v_fma_f64 v[116:117], -v[118:119], v[192:193], v[116:117]
	ds_read2_b64 v[190:193], v253 offset0:16 offset1:17
	s_waitcnt vmcnt(33) lgkmcnt(2)
	v_fma_f64 v[156:157], -v[118:119], v[194:195], v[156:157]
	s_waitcnt vmcnt(32)
	v_fma_f64 v[114:115], -v[118:119], v[196:197], v[114:115]
	s_waitcnt vmcnt(31) lgkmcnt(1)
	v_fma_f64 v[154:155], -v[118:119], v[198:199], v[154:155]
	ds_read2_b64 v[194:197], v253 offset0:18 offset1:19
	s_waitcnt vmcnt(30)
	v_fma_f64 v[112:113], -v[118:119], v[200:201], v[112:113]
	ds_read2_b64 v[198:201], v253 offset0:20 offset1:21
	s_waitcnt vmcnt(29) lgkmcnt(2)
	v_fma_f64 v[152:153], -v[118:119], v[190:191], v[152:153]
	s_waitcnt vmcnt(28)
	v_fma_f64 v[110:111], -v[118:119], v[192:193], v[110:111]
	ds_read2_b64 v[190:193], v253 offset0:22 offset1:23
	s_waitcnt vmcnt(27) lgkmcnt(2)
	v_fma_f64 v[150:151], -v[118:119], v[194:195], v[150:151]
	s_waitcnt vmcnt(26)
	v_fma_f64 v[108:109], -v[118:119], v[196:197], v[108:109]
	ds_read2_b64 v[194:197], v253 offset0:24 offset1:25
	s_waitcnt vmcnt(25) lgkmcnt(2)
	v_fma_f64 v[148:149], -v[118:119], v[198:199], v[148:149]
	s_waitcnt vmcnt(24)
	v_fma_f64 v[106:107], -v[118:119], v[200:201], v[106:107]
	s_waitcnt vmcnt(23) lgkmcnt(1)
	v_fma_f64 v[146:147], -v[118:119], v[190:191], v[146:147]
	ds_read2_b64 v[198:201], v253 offset0:26 offset1:27
	s_waitcnt vmcnt(22)
	v_fma_f64 v[104:105], -v[118:119], v[192:193], v[104:105]
	ds_read2_b64 v[190:193], v253 offset0:28 offset1:29
	s_waitcnt vmcnt(21) lgkmcnt(2)
	v_fma_f64 v[144:145], -v[118:119], v[194:195], v[144:145]
	s_waitcnt vmcnt(20)
	v_fma_f64 v[102:103], -v[118:119], v[196:197], v[102:103]
	s_waitcnt vmcnt(19) lgkmcnt(1)
	v_fma_f64 v[142:143], -v[118:119], v[198:199], v[142:143]
	ds_read2_b64 v[194:197], v253 offset0:30 offset1:31
	s_waitcnt vmcnt(18)
	v_fma_f64 v[100:101], -v[118:119], v[200:201], v[100:101]
	ds_read2_b64 v[198:201], v253 offset0:32 offset1:33
	s_waitcnt vmcnt(17) lgkmcnt(2)
	v_fma_f64 v[140:141], -v[118:119], v[190:191], v[140:141]
	s_waitcnt vmcnt(16)
	v_fma_f64 v[98:99], -v[118:119], v[192:193], v[98:99]
	ds_read2_b64 v[190:193], v253 offset0:34 offset1:35
	s_waitcnt vmcnt(15) lgkmcnt(2)
	v_fma_f64 v[138:139], -v[118:119], v[194:195], v[138:139]
	;; [unrolled: 5-line block ×3, first 2 shown]
	s_waitcnt vmcnt(12)
	v_fma_f64 v[94:95], -v[118:119], v[200:201], v[94:95]
	s_waitcnt vmcnt(11) lgkmcnt(1)
	v_fma_f64 v[134:135], -v[118:119], v[190:191], v[134:135]
	ds_read2_b64 v[198:201], v253 offset0:38 offset1:39
	s_waitcnt vmcnt(10)
	v_fma_f64 v[92:93], -v[118:119], v[192:193], v[92:93]
	ds_read2_b64 v[190:193], v253 offset0:40 offset1:41
	s_waitcnt vmcnt(9) lgkmcnt(2)
	v_fma_f64 v[132:133], -v[118:119], v[194:195], v[132:133]
	s_waitcnt vmcnt(8)
	v_fma_f64 v[90:91], -v[118:119], v[196:197], v[90:91]
	s_waitcnt vmcnt(7) lgkmcnt(1)
	v_fma_f64 v[130:131], -v[118:119], v[198:199], v[130:131]
	s_waitcnt vmcnt(6)
	v_fma_f64 v[88:89], -v[118:119], v[200:201], v[88:89]
	s_waitcnt vmcnt(5) lgkmcnt(0)
	v_fma_f64 v[128:129], -v[118:119], v[190:191], v[128:129]
	s_waitcnt vmcnt(4)
	v_fma_f64 v[168:169], -v[118:119], v[192:193], v[168:169]
.LBB83_51:
	s_or_b64 exec, exec, s[2:3]
	v_cmp_eq_u32_e32 vcc, 10, v254
	s_waitcnt lgkmcnt(0)
	s_barrier
	s_and_saveexec_b64 s[2:3], vcc
	s_cbranch_execz .LBB83_54
; %bb.52:
	s_waitcnt vmcnt(37)
	ds_write_b64 v252, v[158:159]
	s_waitcnt vmcnt(33)
	ds_write2_b64 v253, v[116:117], v[156:157] offset0:11 offset1:12
	s_waitcnt vmcnt(31)
	ds_write2_b64 v253, v[114:115], v[154:155] offset0:13 offset1:14
	;; [unrolled: 2-line block ×15, first 2 shown]
	s_waitcnt vmcnt(4)
	ds_write_b64 v253, v[168:169] offset:328
	ds_read_b64 v[190:191], v252
	s_waitcnt lgkmcnt(0)
	v_cmp_neq_f64_e32 vcc, 0, v[190:191]
	s_and_b64 exec, exec, vcc
	s_cbranch_execz .LBB83_54
; %bb.53:
	v_div_scale_f64 v[170:171], s[6:7], v[190:191], v[190:191], 1.0
	v_rcp_f64_e32 v[172:173], v[170:171]
	v_div_scale_f64 v[192:193], vcc, 1.0, v[190:191], 1.0
	v_fma_f64 v[194:195], -v[170:171], v[172:173], 1.0
	v_fmac_f64_e32 v[172:173], v[172:173], v[194:195]
	v_fma_f64 v[194:195], -v[170:171], v[172:173], 1.0
	v_fmac_f64_e32 v[172:173], v[172:173], v[194:195]
	v_mul_f64 v[194:195], v[192:193], v[172:173]
	v_fma_f64 v[170:171], -v[170:171], v[194:195], v[192:193]
	v_div_fmas_f64 v[170:171], v[170:171], v[172:173], v[194:195]
	v_div_fixup_f64 v[170:171], v[170:171], v[190:191], 1.0
	ds_write_b64 v252, v[170:171]
.LBB83_54:
	s_or_b64 exec, exec, s[2:3]
	s_waitcnt lgkmcnt(0)
	s_barrier
	ds_read_b64 v[190:191], v252
	v_cmp_lt_u32_e32 vcc, 10, v254
	s_and_saveexec_b64 s[2:3], vcc
	s_cbranch_execz .LBB83_56
; %bb.55:
	ds_read2_b64 v[192:195], v253 offset0:11 offset1:12
	ds_read2_b64 v[196:199], v253 offset0:13 offset1:14
	;; [unrolled: 1-line block ×3, first 2 shown]
	s_waitcnt vmcnt(37) lgkmcnt(3)
	v_mul_f64 v[158:159], v[190:191], v[158:159]
	ds_read_b64 v[170:171], v253 offset:328
	s_waitcnt vmcnt(36) lgkmcnt(3)
	v_fma_f64 v[116:117], -v[158:159], v[192:193], v[116:117]
	s_waitcnt vmcnt(33)
	v_fma_f64 v[156:157], -v[158:159], v[194:195], v[156:157]
	ds_read2_b64 v[192:195], v253 offset0:17 offset1:18
	s_waitcnt vmcnt(32) lgkmcnt(3)
	v_fma_f64 v[114:115], -v[158:159], v[196:197], v[114:115]
	s_waitcnt vmcnt(31)
	v_fma_f64 v[154:155], -v[158:159], v[198:199], v[154:155]
	s_waitcnt vmcnt(30) lgkmcnt(2)
	v_fma_f64 v[112:113], -v[158:159], v[200:201], v[112:113]
	ds_read2_b64 v[196:199], v253 offset0:19 offset1:20
	s_waitcnt vmcnt(29)
	v_fma_f64 v[152:153], -v[158:159], v[202:203], v[152:153]
	ds_read2_b64 v[200:203], v253 offset0:21 offset1:22
	s_waitcnt vmcnt(28) lgkmcnt(2)
	v_fma_f64 v[110:111], -v[158:159], v[192:193], v[110:111]
	s_waitcnt vmcnt(27)
	v_fma_f64 v[150:151], -v[158:159], v[194:195], v[150:151]
	s_waitcnt vmcnt(26) lgkmcnt(1)
	v_fma_f64 v[108:109], -v[158:159], v[196:197], v[108:109]
	ds_read2_b64 v[192:195], v253 offset0:23 offset1:24
	s_waitcnt vmcnt(25)
	v_fma_f64 v[148:149], -v[158:159], v[198:199], v[148:149]
	ds_read2_b64 v[196:199], v253 offset0:25 offset1:26
	s_waitcnt vmcnt(24) lgkmcnt(2)
	v_fma_f64 v[106:107], -v[158:159], v[200:201], v[106:107]
	s_waitcnt vmcnt(23)
	v_fma_f64 v[146:147], -v[158:159], v[202:203], v[146:147]
	ds_read2_b64 v[200:203], v253 offset0:27 offset1:28
	s_waitcnt vmcnt(22) lgkmcnt(2)
	v_fma_f64 v[104:105], -v[158:159], v[192:193], v[104:105]
	;; [unrolled: 5-line block ×3, first 2 shown]
	s_waitcnt vmcnt(19)
	v_fma_f64 v[142:143], -v[158:159], v[198:199], v[142:143]
	s_waitcnt vmcnt(18) lgkmcnt(1)
	v_fma_f64 v[100:101], -v[158:159], v[200:201], v[100:101]
	ds_read2_b64 v[196:199], v253 offset0:31 offset1:32
	s_waitcnt vmcnt(17)
	v_fma_f64 v[140:141], -v[158:159], v[202:203], v[140:141]
	ds_read2_b64 v[200:203], v253 offset0:33 offset1:34
	s_waitcnt vmcnt(16) lgkmcnt(2)
	v_fma_f64 v[98:99], -v[158:159], v[192:193], v[98:99]
	s_waitcnt vmcnt(15)
	v_fma_f64 v[138:139], -v[158:159], v[194:195], v[138:139]
	s_waitcnt vmcnt(14) lgkmcnt(1)
	v_fma_f64 v[96:97], -v[158:159], v[196:197], v[96:97]
	ds_read2_b64 v[192:195], v253 offset0:35 offset1:36
	s_waitcnt vmcnt(13)
	v_fma_f64 v[136:137], -v[158:159], v[198:199], v[136:137]
	ds_read2_b64 v[196:199], v253 offset0:37 offset1:38
	s_waitcnt vmcnt(12) lgkmcnt(2)
	v_fma_f64 v[94:95], -v[158:159], v[200:201], v[94:95]
	s_waitcnt vmcnt(11)
	v_fma_f64 v[134:135], -v[158:159], v[202:203], v[134:135]
	ds_read2_b64 v[200:203], v253 offset0:39 offset1:40
	s_waitcnt vmcnt(10) lgkmcnt(2)
	v_fma_f64 v[92:93], -v[158:159], v[192:193], v[92:93]
	s_waitcnt vmcnt(9)
	v_fma_f64 v[132:133], -v[158:159], v[194:195], v[132:133]
	s_waitcnt vmcnt(8) lgkmcnt(1)
	v_fma_f64 v[90:91], -v[158:159], v[196:197], v[90:91]
	s_waitcnt vmcnt(7)
	v_fma_f64 v[130:131], -v[158:159], v[198:199], v[130:131]
	;; [unrolled: 4-line block ×3, first 2 shown]
	s_waitcnt vmcnt(4)
	v_fma_f64 v[168:169], -v[158:159], v[170:171], v[168:169]
.LBB83_56:
	s_or_b64 exec, exec, s[2:3]
	v_cmp_eq_u32_e32 vcc, 11, v254
	s_waitcnt lgkmcnt(0)
	s_barrier
	s_and_saveexec_b64 s[2:3], vcc
	s_cbranch_execz .LBB83_59
; %bb.57:
	s_waitcnt vmcnt(33)
	v_mov_b32_e32 v170, v156
	v_mov_b32_e32 v171, v157
	s_waitcnt vmcnt(32)
	v_mov_b32_e32 v172, v114
	v_mov_b32_e32 v173, v115
	ds_write_b64 v252, v[116:117]
	ds_write2_b64 v253, v[170:171], v[172:173] offset0:12 offset1:13
	s_waitcnt vmcnt(31)
	v_mov_b32_e32 v170, v154
	v_mov_b32_e32 v171, v155
	s_waitcnt vmcnt(30)
	v_mov_b32_e32 v172, v112
	v_mov_b32_e32 v173, v113
	ds_write2_b64 v253, v[170:171], v[172:173] offset0:14 offset1:15
	s_waitcnt vmcnt(29)
	v_mov_b32_e32 v170, v152
	v_mov_b32_e32 v171, v153
	s_waitcnt vmcnt(28)
	v_mov_b32_e32 v172, v110
	v_mov_b32_e32 v173, v111
	;; [unrolled: 7-line block ×13, first 2 shown]
	ds_write2_b64 v253, v[170:171], v[172:173] offset0:38 offset1:39
	s_waitcnt vmcnt(5)
	v_mov_b32_e32 v170, v128
	v_mov_b32_e32 v171, v129
	s_waitcnt vmcnt(4)
	ds_write2_b64 v253, v[170:171], v[168:169] offset0:40 offset1:41
	ds_read_b64 v[192:193], v252
	s_waitcnt lgkmcnt(0)
	v_cmp_neq_f64_e32 vcc, 0, v[192:193]
	s_and_b64 exec, exec, vcc
	s_cbranch_execz .LBB83_59
; %bb.58:
	v_div_scale_f64 v[170:171], s[6:7], v[192:193], v[192:193], 1.0
	v_rcp_f64_e32 v[172:173], v[170:171]
	v_div_scale_f64 v[194:195], vcc, 1.0, v[192:193], 1.0
	v_fma_f64 v[196:197], -v[170:171], v[172:173], 1.0
	v_fmac_f64_e32 v[172:173], v[172:173], v[196:197]
	v_fma_f64 v[196:197], -v[170:171], v[172:173], 1.0
	v_fmac_f64_e32 v[172:173], v[172:173], v[196:197]
	v_mul_f64 v[196:197], v[194:195], v[172:173]
	v_fma_f64 v[170:171], -v[170:171], v[196:197], v[194:195]
	v_div_fmas_f64 v[170:171], v[170:171], v[172:173], v[196:197]
	v_div_fixup_f64 v[170:171], v[170:171], v[192:193], 1.0
	ds_write_b64 v252, v[170:171]
.LBB83_59:
	s_or_b64 exec, exec, s[2:3]
	s_waitcnt lgkmcnt(0)
	s_barrier
	ds_read_b64 v[192:193], v252
	v_cmp_lt_u32_e32 vcc, 11, v254
	s_and_saveexec_b64 s[2:3], vcc
	s_cbranch_execz .LBB83_61
; %bb.60:
	ds_read2_b64 v[194:197], v253 offset0:12 offset1:13
	ds_read2_b64 v[198:201], v253 offset0:14 offset1:15
	;; [unrolled: 1-line block ×3, first 2 shown]
	s_waitcnt vmcnt(36) lgkmcnt(3)
	v_mul_f64 v[116:117], v[192:193], v[116:117]
	s_waitcnt vmcnt(33) lgkmcnt(2)
	v_fma_f64 v[156:157], -v[116:117], v[194:195], v[156:157]
	s_waitcnt vmcnt(32)
	v_fma_f64 v[114:115], -v[116:117], v[196:197], v[114:115]
	ds_read2_b64 v[194:197], v253 offset0:18 offset1:19
	s_waitcnt vmcnt(31) lgkmcnt(2)
	v_fma_f64 v[154:155], -v[116:117], v[198:199], v[154:155]
	s_waitcnt vmcnt(30)
	v_fma_f64 v[112:113], -v[116:117], v[200:201], v[112:113]
	s_waitcnt vmcnt(29) lgkmcnt(1)
	v_fma_f64 v[152:153], -v[116:117], v[202:203], v[152:153]
	ds_read2_b64 v[198:201], v253 offset0:20 offset1:21
	s_waitcnt vmcnt(28)
	v_fma_f64 v[110:111], -v[116:117], v[204:205], v[110:111]
	ds_read2_b64 v[202:205], v253 offset0:22 offset1:23
	s_waitcnt vmcnt(27) lgkmcnt(2)
	v_fma_f64 v[150:151], -v[116:117], v[194:195], v[150:151]
	s_waitcnt vmcnt(26)
	v_fma_f64 v[108:109], -v[116:117], v[196:197], v[108:109]
	s_waitcnt vmcnt(25) lgkmcnt(1)
	v_fma_f64 v[148:149], -v[116:117], v[198:199], v[148:149]
	ds_read2_b64 v[194:197], v253 offset0:24 offset1:25
	s_waitcnt vmcnt(24)
	v_fma_f64 v[106:107], -v[116:117], v[200:201], v[106:107]
	ds_read2_b64 v[198:201], v253 offset0:26 offset1:27
	s_waitcnt vmcnt(23) lgkmcnt(2)
	v_fma_f64 v[146:147], -v[116:117], v[202:203], v[146:147]
	s_waitcnt vmcnt(22)
	v_fma_f64 v[104:105], -v[116:117], v[204:205], v[104:105]
	ds_read2_b64 v[202:205], v253 offset0:28 offset1:29
	s_waitcnt vmcnt(21) lgkmcnt(2)
	v_fma_f64 v[144:145], -v[116:117], v[194:195], v[144:145]
	;; [unrolled: 5-line block ×3, first 2 shown]
	s_waitcnt vmcnt(18)
	v_fma_f64 v[100:101], -v[116:117], v[200:201], v[100:101]
	s_waitcnt vmcnt(17) lgkmcnt(1)
	v_fma_f64 v[140:141], -v[116:117], v[202:203], v[140:141]
	ds_read2_b64 v[198:201], v253 offset0:32 offset1:33
	s_waitcnt vmcnt(16)
	v_fma_f64 v[98:99], -v[116:117], v[204:205], v[98:99]
	ds_read2_b64 v[202:205], v253 offset0:34 offset1:35
	s_waitcnt vmcnt(15) lgkmcnt(2)
	v_fma_f64 v[138:139], -v[116:117], v[194:195], v[138:139]
	s_waitcnt vmcnt(14)
	v_fma_f64 v[96:97], -v[116:117], v[196:197], v[96:97]
	s_waitcnt vmcnt(13) lgkmcnt(1)
	v_fma_f64 v[136:137], -v[116:117], v[198:199], v[136:137]
	s_waitcnt vmcnt(12)
	v_fma_f64 v[94:95], -v[116:117], v[200:201], v[94:95]
	ds_read2_b64 v[194:197], v253 offset0:36 offset1:37
	ds_read2_b64 v[198:201], v253 offset0:38 offset1:39
	s_waitcnt vmcnt(11) lgkmcnt(2)
	v_fma_f64 v[134:135], -v[116:117], v[202:203], v[134:135]
	s_waitcnt vmcnt(10)
	v_fma_f64 v[92:93], -v[116:117], v[204:205], v[92:93]
	ds_read2_b64 v[202:205], v253 offset0:40 offset1:41
	s_waitcnt vmcnt(9) lgkmcnt(2)
	v_fma_f64 v[132:133], -v[116:117], v[194:195], v[132:133]
	s_waitcnt vmcnt(8)
	v_fma_f64 v[90:91], -v[116:117], v[196:197], v[90:91]
	s_waitcnt vmcnt(7) lgkmcnt(1)
	v_fma_f64 v[130:131], -v[116:117], v[198:199], v[130:131]
	s_waitcnt vmcnt(6)
	v_fma_f64 v[88:89], -v[116:117], v[200:201], v[88:89]
	;; [unrolled: 4-line block ×3, first 2 shown]
.LBB83_61:
	s_or_b64 exec, exec, s[2:3]
	v_cmp_eq_u32_e32 vcc, 12, v254
	s_waitcnt lgkmcnt(0)
	s_barrier
	s_and_saveexec_b64 s[2:3], vcc
	s_cbranch_execz .LBB83_64
; %bb.62:
	s_waitcnt vmcnt(33)
	ds_write_b64 v252, v[156:157]
	s_waitcnt vmcnt(31)
	ds_write2_b64 v253, v[114:115], v[154:155] offset0:13 offset1:14
	s_waitcnt vmcnt(29)
	ds_write2_b64 v253, v[112:113], v[152:153] offset0:15 offset1:16
	;; [unrolled: 2-line block ×14, first 2 shown]
	s_waitcnt vmcnt(4)
	ds_write_b64 v253, v[168:169] offset:328
	ds_read_b64 v[194:195], v252
	s_waitcnt lgkmcnt(0)
	v_cmp_neq_f64_e32 vcc, 0, v[194:195]
	s_and_b64 exec, exec, vcc
	s_cbranch_execz .LBB83_64
; %bb.63:
	v_div_scale_f64 v[170:171], s[6:7], v[194:195], v[194:195], 1.0
	v_rcp_f64_e32 v[172:173], v[170:171]
	v_div_scale_f64 v[196:197], vcc, 1.0, v[194:195], 1.0
	v_fma_f64 v[198:199], -v[170:171], v[172:173], 1.0
	v_fmac_f64_e32 v[172:173], v[172:173], v[198:199]
	v_fma_f64 v[198:199], -v[170:171], v[172:173], 1.0
	v_fmac_f64_e32 v[172:173], v[172:173], v[198:199]
	v_mul_f64 v[198:199], v[196:197], v[172:173]
	v_fma_f64 v[170:171], -v[170:171], v[198:199], v[196:197]
	v_div_fmas_f64 v[170:171], v[170:171], v[172:173], v[198:199]
	v_div_fixup_f64 v[170:171], v[170:171], v[194:195], 1.0
	ds_write_b64 v252, v[170:171]
.LBB83_64:
	s_or_b64 exec, exec, s[2:3]
	s_waitcnt lgkmcnt(0)
	s_barrier
	ds_read_b64 v[194:195], v252
	v_cmp_lt_u32_e32 vcc, 12, v254
	s_and_saveexec_b64 s[2:3], vcc
	s_cbranch_execz .LBB83_66
; %bb.65:
	ds_read2_b64 v[196:199], v253 offset0:13 offset1:14
	ds_read2_b64 v[200:203], v253 offset0:15 offset1:16
	s_waitcnt vmcnt(33) lgkmcnt(2)
	v_mul_f64 v[156:157], v[194:195], v[156:157]
	ds_read2_b64 v[204:207], v253 offset0:17 offset1:18
	ds_read_b64 v[170:171], v253 offset:328
	s_waitcnt vmcnt(32) lgkmcnt(3)
	v_fma_f64 v[114:115], -v[156:157], v[196:197], v[114:115]
	s_waitcnt vmcnt(31)
	v_fma_f64 v[154:155], -v[156:157], v[198:199], v[154:155]
	ds_read2_b64 v[196:199], v253 offset0:19 offset1:20
	s_waitcnt vmcnt(30) lgkmcnt(3)
	v_fma_f64 v[112:113], -v[156:157], v[200:201], v[112:113]
	s_waitcnt vmcnt(29)
	v_fma_f64 v[152:153], -v[156:157], v[202:203], v[152:153]
	ds_read2_b64 v[200:203], v253 offset0:21 offset1:22
	;; [unrolled: 5-line block ×3, first 2 shown]
	s_waitcnt vmcnt(26) lgkmcnt(2)
	v_fma_f64 v[108:109], -v[156:157], v[196:197], v[108:109]
	s_waitcnt vmcnt(25)
	v_fma_f64 v[148:149], -v[156:157], v[198:199], v[148:149]
	s_waitcnt vmcnt(24) lgkmcnt(1)
	v_fma_f64 v[106:107], -v[156:157], v[200:201], v[106:107]
	ds_read2_b64 v[196:199], v253 offset0:25 offset1:26
	s_waitcnt vmcnt(23)
	v_fma_f64 v[146:147], -v[156:157], v[202:203], v[146:147]
	ds_read2_b64 v[200:203], v253 offset0:27 offset1:28
	s_waitcnt vmcnt(22) lgkmcnt(2)
	v_fma_f64 v[104:105], -v[156:157], v[204:205], v[104:105]
	s_waitcnt vmcnt(21)
	v_fma_f64 v[144:145], -v[156:157], v[206:207], v[144:145]
	s_waitcnt vmcnt(20) lgkmcnt(1)
	v_fma_f64 v[102:103], -v[156:157], v[196:197], v[102:103]
	ds_read2_b64 v[204:207], v253 offset0:29 offset1:30
	s_waitcnt vmcnt(19)
	v_fma_f64 v[142:143], -v[156:157], v[198:199], v[142:143]
	ds_read2_b64 v[196:199], v253 offset0:31 offset1:32
	s_waitcnt vmcnt(18) lgkmcnt(2)
	v_fma_f64 v[100:101], -v[156:157], v[200:201], v[100:101]
	s_waitcnt vmcnt(17)
	v_fma_f64 v[140:141], -v[156:157], v[202:203], v[140:141]
	ds_read2_b64 v[200:203], v253 offset0:33 offset1:34
	s_waitcnt vmcnt(16) lgkmcnt(2)
	v_fma_f64 v[98:99], -v[156:157], v[204:205], v[98:99]
	s_waitcnt vmcnt(15)
	v_fma_f64 v[138:139], -v[156:157], v[206:207], v[138:139]
	ds_read2_b64 v[204:207], v253 offset0:35 offset1:36
	s_waitcnt vmcnt(14) lgkmcnt(2)
	v_fma_f64 v[96:97], -v[156:157], v[196:197], v[96:97]
	s_waitcnt vmcnt(13)
	v_fma_f64 v[136:137], -v[156:157], v[198:199], v[136:137]
	s_waitcnt vmcnt(12) lgkmcnt(1)
	v_fma_f64 v[94:95], -v[156:157], v[200:201], v[94:95]
	s_waitcnt vmcnt(11)
	v_fma_f64 v[134:135], -v[156:157], v[202:203], v[134:135]
	ds_read2_b64 v[196:199], v253 offset0:37 offset1:38
	ds_read2_b64 v[200:203], v253 offset0:39 offset1:40
	s_waitcnt vmcnt(10) lgkmcnt(2)
	v_fma_f64 v[92:93], -v[156:157], v[204:205], v[92:93]
	s_waitcnt vmcnt(9)
	v_fma_f64 v[132:133], -v[156:157], v[206:207], v[132:133]
	s_waitcnt vmcnt(4)
	v_fma_f64 v[168:169], -v[156:157], v[170:171], v[168:169]
	s_waitcnt lgkmcnt(1)
	v_fma_f64 v[90:91], -v[156:157], v[196:197], v[90:91]
	v_fma_f64 v[130:131], -v[156:157], v[198:199], v[130:131]
	s_waitcnt lgkmcnt(0)
	v_fma_f64 v[88:89], -v[156:157], v[200:201], v[88:89]
	v_fma_f64 v[128:129], -v[156:157], v[202:203], v[128:129]
.LBB83_66:
	s_or_b64 exec, exec, s[2:3]
	v_cmp_eq_u32_e32 vcc, 13, v254
	s_waitcnt lgkmcnt(0)
	s_barrier
	s_and_saveexec_b64 s[2:3], vcc
	s_cbranch_execz .LBB83_69
; %bb.67:
	s_waitcnt vmcnt(31)
	v_mov_b32_e32 v170, v154
	v_mov_b32_e32 v171, v155
	s_waitcnt vmcnt(30)
	v_mov_b32_e32 v172, v112
	v_mov_b32_e32 v173, v113
	ds_write_b64 v252, v[114:115]
	ds_write2_b64 v253, v[170:171], v[172:173] offset0:14 offset1:15
	s_waitcnt vmcnt(29)
	v_mov_b32_e32 v170, v152
	v_mov_b32_e32 v171, v153
	s_waitcnt vmcnt(28)
	v_mov_b32_e32 v172, v110
	v_mov_b32_e32 v173, v111
	ds_write2_b64 v253, v[170:171], v[172:173] offset0:16 offset1:17
	s_waitcnt vmcnt(27)
	v_mov_b32_e32 v170, v150
	v_mov_b32_e32 v171, v151
	s_waitcnt vmcnt(26)
	v_mov_b32_e32 v172, v108
	v_mov_b32_e32 v173, v109
	;; [unrolled: 7-line block ×12, first 2 shown]
	ds_write2_b64 v253, v[170:171], v[172:173] offset0:38 offset1:39
	s_waitcnt vmcnt(5)
	v_mov_b32_e32 v170, v128
	v_mov_b32_e32 v171, v129
	s_waitcnt vmcnt(4)
	ds_write2_b64 v253, v[170:171], v[168:169] offset0:40 offset1:41
	ds_read_b64 v[196:197], v252
	s_waitcnt lgkmcnt(0)
	v_cmp_neq_f64_e32 vcc, 0, v[196:197]
	s_and_b64 exec, exec, vcc
	s_cbranch_execz .LBB83_69
; %bb.68:
	v_div_scale_f64 v[170:171], s[6:7], v[196:197], v[196:197], 1.0
	v_rcp_f64_e32 v[172:173], v[170:171]
	v_div_scale_f64 v[198:199], vcc, 1.0, v[196:197], 1.0
	v_fma_f64 v[200:201], -v[170:171], v[172:173], 1.0
	v_fmac_f64_e32 v[172:173], v[172:173], v[200:201]
	v_fma_f64 v[200:201], -v[170:171], v[172:173], 1.0
	v_fmac_f64_e32 v[172:173], v[172:173], v[200:201]
	v_mul_f64 v[200:201], v[198:199], v[172:173]
	v_fma_f64 v[170:171], -v[170:171], v[200:201], v[198:199]
	v_div_fmas_f64 v[170:171], v[170:171], v[172:173], v[200:201]
	v_div_fixup_f64 v[170:171], v[170:171], v[196:197], 1.0
	ds_write_b64 v252, v[170:171]
.LBB83_69:
	s_or_b64 exec, exec, s[2:3]
	s_waitcnt lgkmcnt(0)
	s_barrier
	ds_read_b64 v[196:197], v252
	v_cmp_lt_u32_e32 vcc, 13, v254
	s_and_saveexec_b64 s[2:3], vcc
	s_cbranch_execz .LBB83_71
; %bb.70:
	ds_read2_b64 v[198:201], v253 offset0:14 offset1:15
	ds_read2_b64 v[202:205], v253 offset0:16 offset1:17
	s_waitcnt vmcnt(32) lgkmcnt(2)
	v_mul_f64 v[114:115], v[196:197], v[114:115]
	ds_read2_b64 v[206:209], v253 offset0:18 offset1:19
	s_waitcnt vmcnt(31) lgkmcnt(2)
	v_fma_f64 v[154:155], -v[114:115], v[198:199], v[154:155]
	s_waitcnt vmcnt(30)
	v_fma_f64 v[112:113], -v[114:115], v[200:201], v[112:113]
	ds_read2_b64 v[198:201], v253 offset0:20 offset1:21
	s_waitcnt vmcnt(29) lgkmcnt(2)
	v_fma_f64 v[152:153], -v[114:115], v[202:203], v[152:153]
	s_waitcnt vmcnt(28)
	v_fma_f64 v[110:111], -v[114:115], v[204:205], v[110:111]
	ds_read2_b64 v[202:205], v253 offset0:22 offset1:23
	s_waitcnt vmcnt(27) lgkmcnt(2)
	v_fma_f64 v[150:151], -v[114:115], v[206:207], v[150:151]
	s_waitcnt vmcnt(26)
	v_fma_f64 v[108:109], -v[114:115], v[208:209], v[108:109]
	ds_read2_b64 v[206:209], v253 offset0:24 offset1:25
	s_waitcnt vmcnt(25) lgkmcnt(2)
	v_fma_f64 v[148:149], -v[114:115], v[198:199], v[148:149]
	s_waitcnt vmcnt(24)
	v_fma_f64 v[106:107], -v[114:115], v[200:201], v[106:107]
	s_waitcnt vmcnt(23) lgkmcnt(1)
	v_fma_f64 v[146:147], -v[114:115], v[202:203], v[146:147]
	ds_read2_b64 v[198:201], v253 offset0:26 offset1:27
	s_waitcnt vmcnt(22)
	v_fma_f64 v[104:105], -v[114:115], v[204:205], v[104:105]
	ds_read2_b64 v[202:205], v253 offset0:28 offset1:29
	s_waitcnt vmcnt(21) lgkmcnt(2)
	v_fma_f64 v[144:145], -v[114:115], v[206:207], v[144:145]
	s_waitcnt vmcnt(20)
	v_fma_f64 v[102:103], -v[114:115], v[208:209], v[102:103]
	s_waitcnt vmcnt(19) lgkmcnt(1)
	v_fma_f64 v[142:143], -v[114:115], v[198:199], v[142:143]
	ds_read2_b64 v[206:209], v253 offset0:30 offset1:31
	s_waitcnt vmcnt(18)
	v_fma_f64 v[100:101], -v[114:115], v[200:201], v[100:101]
	ds_read2_b64 v[198:201], v253 offset0:32 offset1:33
	s_waitcnt vmcnt(17) lgkmcnt(2)
	v_fma_f64 v[140:141], -v[114:115], v[202:203], v[140:141]
	s_waitcnt vmcnt(16)
	v_fma_f64 v[98:99], -v[114:115], v[204:205], v[98:99]
	ds_read2_b64 v[202:205], v253 offset0:34 offset1:35
	s_waitcnt vmcnt(15) lgkmcnt(2)
	v_fma_f64 v[138:139], -v[114:115], v[206:207], v[138:139]
	s_waitcnt vmcnt(14)
	v_fma_f64 v[96:97], -v[114:115], v[208:209], v[96:97]
	s_waitcnt vmcnt(13) lgkmcnt(1)
	v_fma_f64 v[136:137], -v[114:115], v[198:199], v[136:137]
	s_waitcnt vmcnt(12)
	v_fma_f64 v[94:95], -v[114:115], v[200:201], v[94:95]
	ds_read2_b64 v[198:201], v253 offset0:36 offset1:37
	s_waitcnt vmcnt(11) lgkmcnt(1)
	v_fma_f64 v[134:135], -v[114:115], v[202:203], v[134:135]
	ds_read2_b64 v[206:209], v253 offset0:38 offset1:39
	s_waitcnt vmcnt(10)
	v_fma_f64 v[92:93], -v[114:115], v[204:205], v[92:93]
	ds_read2_b64 v[202:205], v253 offset0:40 offset1:41
	s_waitcnt vmcnt(9) lgkmcnt(2)
	v_fma_f64 v[132:133], -v[114:115], v[198:199], v[132:133]
	s_waitcnt vmcnt(8)
	v_fma_f64 v[90:91], -v[114:115], v[200:201], v[90:91]
	s_waitcnt vmcnt(7) lgkmcnt(1)
	v_fma_f64 v[130:131], -v[114:115], v[206:207], v[130:131]
	s_waitcnt vmcnt(6)
	v_fma_f64 v[88:89], -v[114:115], v[208:209], v[88:89]
	;; [unrolled: 4-line block ×3, first 2 shown]
.LBB83_71:
	s_or_b64 exec, exec, s[2:3]
	v_cmp_eq_u32_e32 vcc, 14, v254
	s_waitcnt lgkmcnt(0)
	s_barrier
	s_and_saveexec_b64 s[2:3], vcc
	s_cbranch_execz .LBB83_74
; %bb.72:
	s_waitcnt vmcnt(31)
	ds_write_b64 v252, v[154:155]
	s_waitcnt vmcnt(29)
	ds_write2_b64 v253, v[112:113], v[152:153] offset0:15 offset1:16
	s_waitcnt vmcnt(27)
	ds_write2_b64 v253, v[110:111], v[150:151] offset0:17 offset1:18
	s_waitcnt vmcnt(25)
	ds_write2_b64 v253, v[108:109], v[148:149] offset0:19 offset1:20
	s_waitcnt vmcnt(23)
	ds_write2_b64 v253, v[106:107], v[146:147] offset0:21 offset1:22
	s_waitcnt vmcnt(21)
	ds_write2_b64 v253, v[104:105], v[144:145] offset0:23 offset1:24
	s_waitcnt vmcnt(19)
	ds_write2_b64 v253, v[102:103], v[142:143] offset0:25 offset1:26
	s_waitcnt vmcnt(17)
	ds_write2_b64 v253, v[100:101], v[140:141] offset0:27 offset1:28
	s_waitcnt vmcnt(15)
	ds_write2_b64 v253, v[98:99], v[138:139] offset0:29 offset1:30
	s_waitcnt vmcnt(13)
	ds_write2_b64 v253, v[96:97], v[136:137] offset0:31 offset1:32
	s_waitcnt vmcnt(11)
	ds_write2_b64 v253, v[94:95], v[134:135] offset0:33 offset1:34
	s_waitcnt vmcnt(9)
	ds_write2_b64 v253, v[92:93], v[132:133] offset0:35 offset1:36
	s_waitcnt vmcnt(7)
	ds_write2_b64 v253, v[90:91], v[130:131] offset0:37 offset1:38
	s_waitcnt vmcnt(5)
	ds_write2_b64 v253, v[88:89], v[128:129] offset0:39 offset1:40
	s_waitcnt vmcnt(4)
	ds_write_b64 v253, v[168:169] offset:328
	ds_read_b64 v[198:199], v252
	s_waitcnt lgkmcnt(0)
	v_cmp_neq_f64_e32 vcc, 0, v[198:199]
	s_and_b64 exec, exec, vcc
	s_cbranch_execz .LBB83_74
; %bb.73:
	v_div_scale_f64 v[170:171], s[6:7], v[198:199], v[198:199], 1.0
	v_rcp_f64_e32 v[172:173], v[170:171]
	v_div_scale_f64 v[200:201], vcc, 1.0, v[198:199], 1.0
	v_fma_f64 v[202:203], -v[170:171], v[172:173], 1.0
	v_fmac_f64_e32 v[172:173], v[172:173], v[202:203]
	v_fma_f64 v[202:203], -v[170:171], v[172:173], 1.0
	v_fmac_f64_e32 v[172:173], v[172:173], v[202:203]
	v_mul_f64 v[202:203], v[200:201], v[172:173]
	v_fma_f64 v[170:171], -v[170:171], v[202:203], v[200:201]
	v_div_fmas_f64 v[170:171], v[170:171], v[172:173], v[202:203]
	v_div_fixup_f64 v[170:171], v[170:171], v[198:199], 1.0
	ds_write_b64 v252, v[170:171]
.LBB83_74:
	s_or_b64 exec, exec, s[2:3]
	s_waitcnt lgkmcnt(0)
	s_barrier
	ds_read_b64 v[198:199], v252
	v_cmp_lt_u32_e32 vcc, 14, v254
	s_and_saveexec_b64 s[2:3], vcc
	s_cbranch_execz .LBB83_76
; %bb.75:
	ds_read2_b64 v[200:203], v253 offset0:15 offset1:16
	ds_read2_b64 v[204:207], v253 offset0:17 offset1:18
	s_waitcnt vmcnt(31) lgkmcnt(2)
	v_mul_f64 v[154:155], v[198:199], v[154:155]
	ds_read2_b64 v[208:211], v253 offset0:19 offset1:20
	ds_read_b64 v[170:171], v253 offset:328
	s_waitcnt vmcnt(30) lgkmcnt(3)
	v_fma_f64 v[112:113], -v[154:155], v[200:201], v[112:113]
	s_waitcnt vmcnt(29)
	v_fma_f64 v[152:153], -v[154:155], v[202:203], v[152:153]
	ds_read2_b64 v[200:203], v253 offset0:21 offset1:22
	s_waitcnt vmcnt(28) lgkmcnt(3)
	v_fma_f64 v[110:111], -v[154:155], v[204:205], v[110:111]
	s_waitcnt vmcnt(27)
	v_fma_f64 v[150:151], -v[154:155], v[206:207], v[150:151]
	s_waitcnt vmcnt(26) lgkmcnt(2)
	v_fma_f64 v[108:109], -v[154:155], v[208:209], v[108:109]
	ds_read2_b64 v[204:207], v253 offset0:23 offset1:24
	s_waitcnt vmcnt(25)
	v_fma_f64 v[148:149], -v[154:155], v[210:211], v[148:149]
	ds_read2_b64 v[208:211], v253 offset0:25 offset1:26
	s_waitcnt vmcnt(24) lgkmcnt(2)
	v_fma_f64 v[106:107], -v[154:155], v[200:201], v[106:107]
	s_waitcnt vmcnt(23)
	v_fma_f64 v[146:147], -v[154:155], v[202:203], v[146:147]
	ds_read2_b64 v[200:203], v253 offset0:27 offset1:28
	s_waitcnt vmcnt(22) lgkmcnt(2)
	v_fma_f64 v[104:105], -v[154:155], v[204:205], v[104:105]
	;; [unrolled: 5-line block ×3, first 2 shown]
	s_waitcnt vmcnt(19)
	v_fma_f64 v[142:143], -v[154:155], v[210:211], v[142:143]
	s_waitcnt vmcnt(18) lgkmcnt(1)
	v_fma_f64 v[100:101], -v[154:155], v[200:201], v[100:101]
	ds_read2_b64 v[208:211], v253 offset0:31 offset1:32
	s_waitcnt vmcnt(17)
	v_fma_f64 v[140:141], -v[154:155], v[202:203], v[140:141]
	ds_read2_b64 v[200:203], v253 offset0:33 offset1:34
	s_waitcnt vmcnt(16) lgkmcnt(2)
	v_fma_f64 v[98:99], -v[154:155], v[204:205], v[98:99]
	s_waitcnt vmcnt(15)
	v_fma_f64 v[138:139], -v[154:155], v[206:207], v[138:139]
	s_waitcnt vmcnt(14) lgkmcnt(1)
	v_fma_f64 v[96:97], -v[154:155], v[208:209], v[96:97]
	ds_read2_b64 v[204:207], v253 offset0:35 offset1:36
	s_waitcnt vmcnt(13)
	v_fma_f64 v[136:137], -v[154:155], v[210:211], v[136:137]
	s_waitcnt vmcnt(12) lgkmcnt(1)
	v_fma_f64 v[94:95], -v[154:155], v[200:201], v[94:95]
	s_waitcnt vmcnt(11)
	v_fma_f64 v[134:135], -v[154:155], v[202:203], v[134:135]
	ds_read2_b64 v[200:203], v253 offset0:37 offset1:38
	ds_read2_b64 v[208:211], v253 offset0:39 offset1:40
	s_waitcnt vmcnt(10) lgkmcnt(2)
	v_fma_f64 v[92:93], -v[154:155], v[204:205], v[92:93]
	s_waitcnt vmcnt(9)
	v_fma_f64 v[132:133], -v[154:155], v[206:207], v[132:133]
	s_waitcnt vmcnt(4)
	v_fma_f64 v[168:169], -v[154:155], v[170:171], v[168:169]
	s_waitcnt lgkmcnt(1)
	v_fma_f64 v[90:91], -v[154:155], v[200:201], v[90:91]
	v_fma_f64 v[130:131], -v[154:155], v[202:203], v[130:131]
	s_waitcnt lgkmcnt(0)
	v_fma_f64 v[88:89], -v[154:155], v[208:209], v[88:89]
	v_fma_f64 v[128:129], -v[154:155], v[210:211], v[128:129]
.LBB83_76:
	s_or_b64 exec, exec, s[2:3]
	v_cmp_eq_u32_e32 vcc, 15, v254
	s_waitcnt lgkmcnt(0)
	s_barrier
	s_and_saveexec_b64 s[2:3], vcc
	s_cbranch_execz .LBB83_79
; %bb.77:
	s_waitcnt vmcnt(29)
	v_mov_b32_e32 v170, v152
	v_mov_b32_e32 v171, v153
	s_waitcnt vmcnt(28)
	v_mov_b32_e32 v172, v110
	v_mov_b32_e32 v173, v111
	ds_write_b64 v252, v[112:113]
	ds_write2_b64 v253, v[170:171], v[172:173] offset0:16 offset1:17
	s_waitcnt vmcnt(27)
	v_mov_b32_e32 v170, v150
	v_mov_b32_e32 v171, v151
	s_waitcnt vmcnt(26)
	v_mov_b32_e32 v172, v108
	v_mov_b32_e32 v173, v109
	ds_write2_b64 v253, v[170:171], v[172:173] offset0:18 offset1:19
	s_waitcnt vmcnt(25)
	v_mov_b32_e32 v170, v148
	v_mov_b32_e32 v171, v149
	s_waitcnt vmcnt(24)
	v_mov_b32_e32 v172, v106
	v_mov_b32_e32 v173, v107
	;; [unrolled: 7-line block ×11, first 2 shown]
	ds_write2_b64 v253, v[170:171], v[172:173] offset0:38 offset1:39
	s_waitcnt vmcnt(5)
	v_mov_b32_e32 v170, v128
	v_mov_b32_e32 v171, v129
	s_waitcnt vmcnt(4)
	ds_write2_b64 v253, v[170:171], v[168:169] offset0:40 offset1:41
	ds_read_b64 v[200:201], v252
	s_waitcnt lgkmcnt(0)
	v_cmp_neq_f64_e32 vcc, 0, v[200:201]
	s_and_b64 exec, exec, vcc
	s_cbranch_execz .LBB83_79
; %bb.78:
	v_div_scale_f64 v[170:171], s[6:7], v[200:201], v[200:201], 1.0
	v_rcp_f64_e32 v[172:173], v[170:171]
	v_div_scale_f64 v[202:203], vcc, 1.0, v[200:201], 1.0
	v_fma_f64 v[204:205], -v[170:171], v[172:173], 1.0
	v_fmac_f64_e32 v[172:173], v[172:173], v[204:205]
	v_fma_f64 v[204:205], -v[170:171], v[172:173], 1.0
	v_fmac_f64_e32 v[172:173], v[172:173], v[204:205]
	v_mul_f64 v[204:205], v[202:203], v[172:173]
	v_fma_f64 v[170:171], -v[170:171], v[204:205], v[202:203]
	v_div_fmas_f64 v[170:171], v[170:171], v[172:173], v[204:205]
	v_div_fixup_f64 v[170:171], v[170:171], v[200:201], 1.0
	ds_write_b64 v252, v[170:171]
.LBB83_79:
	s_or_b64 exec, exec, s[2:3]
	s_waitcnt lgkmcnt(0)
	s_barrier
	ds_read_b64 v[0:1], v252
	v_cmp_lt_u32_e32 vcc, 15, v254
	s_and_saveexec_b64 s[2:3], vcc
	s_cbranch_execz .LBB83_81
; %bb.80:
	ds_read2_b64 v[202:205], v253 offset0:16 offset1:17
	ds_read2_b64 v[206:209], v253 offset0:18 offset1:19
	s_waitcnt vmcnt(30) lgkmcnt(2)
	v_mul_f64 v[112:113], v[0:1], v[112:113]
	ds_read2_b64 v[210:213], v253 offset0:20 offset1:21
	s_waitcnt vmcnt(29) lgkmcnt(2)
	v_fma_f64 v[152:153], -v[112:113], v[202:203], v[152:153]
	s_waitcnt vmcnt(28)
	v_fma_f64 v[110:111], -v[112:113], v[204:205], v[110:111]
	ds_read2_b64 v[202:205], v253 offset0:22 offset1:23
	s_waitcnt vmcnt(27) lgkmcnt(2)
	v_fma_f64 v[150:151], -v[112:113], v[206:207], v[150:151]
	s_waitcnt vmcnt(26)
	v_fma_f64 v[108:109], -v[112:113], v[208:209], v[108:109]
	s_waitcnt vmcnt(25) lgkmcnt(1)
	v_fma_f64 v[148:149], -v[112:113], v[210:211], v[148:149]
	ds_read2_b64 v[206:209], v253 offset0:24 offset1:25
	s_waitcnt vmcnt(24)
	v_fma_f64 v[106:107], -v[112:113], v[212:213], v[106:107]
	ds_read2_b64 v[210:213], v253 offset0:26 offset1:27
	s_waitcnt vmcnt(23) lgkmcnt(2)
	v_fma_f64 v[146:147], -v[112:113], v[202:203], v[146:147]
	s_waitcnt vmcnt(22)
	v_fma_f64 v[104:105], -v[112:113], v[204:205], v[104:105]
	ds_read2_b64 v[202:205], v253 offset0:28 offset1:29
	s_waitcnt vmcnt(21) lgkmcnt(2)
	v_fma_f64 v[144:145], -v[112:113], v[206:207], v[144:145]
	;; [unrolled: 5-line block ×3, first 2 shown]
	s_waitcnt vmcnt(18)
	v_fma_f64 v[100:101], -v[112:113], v[212:213], v[100:101]
	s_waitcnt vmcnt(17) lgkmcnt(1)
	v_fma_f64 v[140:141], -v[112:113], v[202:203], v[140:141]
	ds_read2_b64 v[210:213], v253 offset0:32 offset1:33
	s_waitcnt vmcnt(16)
	v_fma_f64 v[98:99], -v[112:113], v[204:205], v[98:99]
	ds_read2_b64 v[202:205], v253 offset0:34 offset1:35
	s_waitcnt vmcnt(15) lgkmcnt(2)
	v_fma_f64 v[138:139], -v[112:113], v[206:207], v[138:139]
	s_waitcnt vmcnt(14)
	v_fma_f64 v[96:97], -v[112:113], v[208:209], v[96:97]
	s_waitcnt vmcnt(13) lgkmcnt(1)
	v_fma_f64 v[136:137], -v[112:113], v[210:211], v[136:137]
	s_waitcnt vmcnt(12)
	v_fma_f64 v[94:95], -v[112:113], v[212:213], v[94:95]
	ds_read2_b64 v[206:209], v253 offset0:36 offset1:37
	ds_read2_b64 v[210:213], v253 offset0:38 offset1:39
	s_waitcnt vmcnt(11) lgkmcnt(2)
	v_fma_f64 v[134:135], -v[112:113], v[202:203], v[134:135]
	s_waitcnt vmcnt(10)
	v_fma_f64 v[92:93], -v[112:113], v[204:205], v[92:93]
	ds_read2_b64 v[202:205], v253 offset0:40 offset1:41
	s_waitcnt vmcnt(9) lgkmcnt(2)
	v_fma_f64 v[132:133], -v[112:113], v[206:207], v[132:133]
	s_waitcnt vmcnt(8)
	v_fma_f64 v[90:91], -v[112:113], v[208:209], v[90:91]
	s_waitcnt vmcnt(7) lgkmcnt(1)
	v_fma_f64 v[130:131], -v[112:113], v[210:211], v[130:131]
	s_waitcnt vmcnt(6)
	v_fma_f64 v[88:89], -v[112:113], v[212:213], v[88:89]
	;; [unrolled: 4-line block ×3, first 2 shown]
.LBB83_81:
	s_or_b64 exec, exec, s[2:3]
	v_cmp_eq_u32_e32 vcc, 16, v254
	s_waitcnt lgkmcnt(0)
	s_barrier
	s_and_saveexec_b64 s[2:3], vcc
	s_cbranch_execz .LBB83_84
; %bb.82:
	s_waitcnt vmcnt(29)
	ds_write_b64 v252, v[152:153]
	s_waitcnt vmcnt(27)
	ds_write2_b64 v253, v[110:111], v[150:151] offset0:17 offset1:18
	s_waitcnt vmcnt(25)
	ds_write2_b64 v253, v[108:109], v[148:149] offset0:19 offset1:20
	;; [unrolled: 2-line block ×12, first 2 shown]
	s_waitcnt vmcnt(4)
	ds_write_b64 v253, v[168:169] offset:328
	ds_read_b64 v[202:203], v252
	s_waitcnt lgkmcnt(0)
	v_cmp_neq_f64_e32 vcc, 0, v[202:203]
	s_and_b64 exec, exec, vcc
	s_cbranch_execz .LBB83_84
; %bb.83:
	v_div_scale_f64 v[170:171], s[6:7], v[202:203], v[202:203], 1.0
	v_rcp_f64_e32 v[172:173], v[170:171]
	v_div_scale_f64 v[204:205], vcc, 1.0, v[202:203], 1.0
	v_fma_f64 v[206:207], -v[170:171], v[172:173], 1.0
	v_fmac_f64_e32 v[172:173], v[172:173], v[206:207]
	v_fma_f64 v[206:207], -v[170:171], v[172:173], 1.0
	v_fmac_f64_e32 v[172:173], v[172:173], v[206:207]
	v_mul_f64 v[206:207], v[204:205], v[172:173]
	v_fma_f64 v[170:171], -v[170:171], v[206:207], v[204:205]
	v_div_fmas_f64 v[170:171], v[170:171], v[172:173], v[206:207]
	v_div_fixup_f64 v[170:171], v[170:171], v[202:203], 1.0
	ds_write_b64 v252, v[170:171]
.LBB83_84:
	s_or_b64 exec, exec, s[2:3]
	s_waitcnt lgkmcnt(0)
	s_barrier
	ds_read_b64 v[202:203], v252
	v_cmp_lt_u32_e32 vcc, 16, v254
	s_and_saveexec_b64 s[2:3], vcc
	s_cbranch_execz .LBB83_86
; %bb.85:
	ds_read2_b64 v[204:207], v253 offset0:17 offset1:18
	ds_read2_b64 v[208:211], v253 offset0:19 offset1:20
	;; [unrolled: 1-line block ×3, first 2 shown]
	s_waitcnt vmcnt(29) lgkmcnt(3)
	v_mul_f64 v[152:153], v[202:203], v[152:153]
	ds_read_b64 v[170:171], v253 offset:328
	s_waitcnt vmcnt(28) lgkmcnt(3)
	v_fma_f64 v[110:111], -v[152:153], v[204:205], v[110:111]
	s_waitcnt vmcnt(27)
	v_fma_f64 v[150:151], -v[152:153], v[206:207], v[150:151]
	ds_read2_b64 v[204:207], v253 offset0:23 offset1:24
	s_waitcnt vmcnt(26) lgkmcnt(3)
	v_fma_f64 v[108:109], -v[152:153], v[208:209], v[108:109]
	s_waitcnt vmcnt(25)
	v_fma_f64 v[148:149], -v[152:153], v[210:211], v[148:149]
	s_waitcnt vmcnt(24) lgkmcnt(2)
	v_fma_f64 v[106:107], -v[152:153], v[212:213], v[106:107]
	ds_read2_b64 v[208:211], v253 offset0:25 offset1:26
	s_waitcnt vmcnt(23)
	v_fma_f64 v[146:147], -v[152:153], v[214:215], v[146:147]
	ds_read2_b64 v[212:215], v253 offset0:27 offset1:28
	s_waitcnt vmcnt(22) lgkmcnt(2)
	v_fma_f64 v[104:105], -v[152:153], v[204:205], v[104:105]
	s_waitcnt vmcnt(21)
	v_fma_f64 v[144:145], -v[152:153], v[206:207], v[144:145]
	s_waitcnt vmcnt(20) lgkmcnt(1)
	v_fma_f64 v[102:103], -v[152:153], v[208:209], v[102:103]
	ds_read2_b64 v[204:207], v253 offset0:29 offset1:30
	s_waitcnt vmcnt(19)
	v_fma_f64 v[142:143], -v[152:153], v[210:211], v[142:143]
	ds_read2_b64 v[208:211], v253 offset0:31 offset1:32
	s_waitcnt vmcnt(18) lgkmcnt(2)
	v_fma_f64 v[100:101], -v[152:153], v[212:213], v[100:101]
	s_waitcnt vmcnt(17)
	v_fma_f64 v[140:141], -v[152:153], v[214:215], v[140:141]
	ds_read2_b64 v[212:215], v253 offset0:33 offset1:34
	s_waitcnt vmcnt(16) lgkmcnt(2)
	v_fma_f64 v[98:99], -v[152:153], v[204:205], v[98:99]
	;; [unrolled: 5-line block ×3, first 2 shown]
	s_waitcnt vmcnt(13)
	v_fma_f64 v[136:137], -v[152:153], v[210:211], v[136:137]
	s_waitcnt vmcnt(12) lgkmcnt(1)
	v_fma_f64 v[94:95], -v[152:153], v[212:213], v[94:95]
	s_waitcnt vmcnt(11)
	v_fma_f64 v[134:135], -v[152:153], v[214:215], v[134:135]
	ds_read2_b64 v[208:211], v253 offset0:37 offset1:38
	ds_read2_b64 v[212:215], v253 offset0:39 offset1:40
	s_waitcnt vmcnt(10) lgkmcnt(2)
	v_fma_f64 v[92:93], -v[152:153], v[204:205], v[92:93]
	s_waitcnt vmcnt(9)
	v_fma_f64 v[132:133], -v[152:153], v[206:207], v[132:133]
	s_waitcnt vmcnt(4)
	v_fma_f64 v[168:169], -v[152:153], v[170:171], v[168:169]
	s_waitcnt lgkmcnt(1)
	v_fma_f64 v[90:91], -v[152:153], v[208:209], v[90:91]
	v_fma_f64 v[130:131], -v[152:153], v[210:211], v[130:131]
	s_waitcnt lgkmcnt(0)
	v_fma_f64 v[88:89], -v[152:153], v[212:213], v[88:89]
	v_fma_f64 v[128:129], -v[152:153], v[214:215], v[128:129]
.LBB83_86:
	s_or_b64 exec, exec, s[2:3]
	v_cmp_eq_u32_e32 vcc, 17, v254
	s_waitcnt lgkmcnt(0)
	s_barrier
	s_and_saveexec_b64 s[2:3], vcc
	s_cbranch_execz .LBB83_89
; %bb.87:
	s_waitcnt vmcnt(27)
	v_mov_b32_e32 v170, v150
	v_mov_b32_e32 v171, v151
	s_waitcnt vmcnt(26)
	v_mov_b32_e32 v172, v108
	v_mov_b32_e32 v173, v109
	ds_write_b64 v252, v[110:111]
	ds_write2_b64 v253, v[170:171], v[172:173] offset0:18 offset1:19
	s_waitcnt vmcnt(25)
	v_mov_b32_e32 v170, v148
	v_mov_b32_e32 v171, v149
	s_waitcnt vmcnt(24)
	v_mov_b32_e32 v172, v106
	v_mov_b32_e32 v173, v107
	ds_write2_b64 v253, v[170:171], v[172:173] offset0:20 offset1:21
	s_waitcnt vmcnt(23)
	v_mov_b32_e32 v170, v146
	v_mov_b32_e32 v171, v147
	s_waitcnt vmcnt(22)
	v_mov_b32_e32 v172, v104
	v_mov_b32_e32 v173, v105
	ds_write2_b64 v253, v[170:171], v[172:173] offset0:22 offset1:23
	s_waitcnt vmcnt(21)
	v_mov_b32_e32 v170, v144
	v_mov_b32_e32 v171, v145
	s_waitcnt vmcnt(20)
	v_mov_b32_e32 v172, v102
	v_mov_b32_e32 v173, v103
	ds_write2_b64 v253, v[170:171], v[172:173] offset0:24 offset1:25
	s_waitcnt vmcnt(19)
	v_mov_b32_e32 v170, v142
	v_mov_b32_e32 v171, v143
	s_waitcnt vmcnt(18)
	v_mov_b32_e32 v172, v100
	v_mov_b32_e32 v173, v101
	ds_write2_b64 v253, v[170:171], v[172:173] offset0:26 offset1:27
	s_waitcnt vmcnt(17)
	v_mov_b32_e32 v170, v140
	v_mov_b32_e32 v171, v141
	s_waitcnt vmcnt(16)
	v_mov_b32_e32 v172, v98
	v_mov_b32_e32 v173, v99
	ds_write2_b64 v253, v[170:171], v[172:173] offset0:28 offset1:29
	s_waitcnt vmcnt(15)
	v_mov_b32_e32 v170, v138
	v_mov_b32_e32 v171, v139
	s_waitcnt vmcnt(14)
	v_mov_b32_e32 v172, v96
	v_mov_b32_e32 v173, v97
	ds_write2_b64 v253, v[170:171], v[172:173] offset0:30 offset1:31
	s_waitcnt vmcnt(13)
	v_mov_b32_e32 v170, v136
	v_mov_b32_e32 v171, v137
	s_waitcnt vmcnt(12)
	v_mov_b32_e32 v172, v94
	v_mov_b32_e32 v173, v95
	ds_write2_b64 v253, v[170:171], v[172:173] offset0:32 offset1:33
	s_waitcnt vmcnt(11)
	v_mov_b32_e32 v170, v134
	v_mov_b32_e32 v171, v135
	s_waitcnt vmcnt(10)
	v_mov_b32_e32 v172, v92
	v_mov_b32_e32 v173, v93
	ds_write2_b64 v253, v[170:171], v[172:173] offset0:34 offset1:35
	s_waitcnt vmcnt(9)
	v_mov_b32_e32 v170, v132
	v_mov_b32_e32 v171, v133
	s_waitcnt vmcnt(8)
	v_mov_b32_e32 v172, v90
	v_mov_b32_e32 v173, v91
	ds_write2_b64 v253, v[170:171], v[172:173] offset0:36 offset1:37
	s_waitcnt vmcnt(7)
	v_mov_b32_e32 v170, v130
	v_mov_b32_e32 v171, v131
	s_waitcnt vmcnt(6)
	v_mov_b32_e32 v172, v88
	v_mov_b32_e32 v173, v89
	ds_write2_b64 v253, v[170:171], v[172:173] offset0:38 offset1:39
	s_waitcnt vmcnt(5)
	v_mov_b32_e32 v170, v128
	v_mov_b32_e32 v171, v129
	s_waitcnt vmcnt(4)
	ds_write2_b64 v253, v[170:171], v[168:169] offset0:40 offset1:41
	ds_read_b64 v[204:205], v252
	s_waitcnt lgkmcnt(0)
	v_cmp_neq_f64_e32 vcc, 0, v[204:205]
	s_and_b64 exec, exec, vcc
	s_cbranch_execz .LBB83_89
; %bb.88:
	v_div_scale_f64 v[170:171], s[6:7], v[204:205], v[204:205], 1.0
	v_rcp_f64_e32 v[172:173], v[170:171]
	v_div_scale_f64 v[206:207], vcc, 1.0, v[204:205], 1.0
	v_fma_f64 v[208:209], -v[170:171], v[172:173], 1.0
	v_fmac_f64_e32 v[172:173], v[172:173], v[208:209]
	v_fma_f64 v[208:209], -v[170:171], v[172:173], 1.0
	v_fmac_f64_e32 v[172:173], v[172:173], v[208:209]
	v_mul_f64 v[208:209], v[206:207], v[172:173]
	v_fma_f64 v[170:171], -v[170:171], v[208:209], v[206:207]
	v_div_fmas_f64 v[170:171], v[170:171], v[172:173], v[208:209]
	v_div_fixup_f64 v[170:171], v[170:171], v[204:205], 1.0
	ds_write_b64 v252, v[170:171]
.LBB83_89:
	s_or_b64 exec, exec, s[2:3]
	s_waitcnt lgkmcnt(0)
	s_barrier
	ds_read_b64 v[204:205], v252
	v_cmp_lt_u32_e32 vcc, 17, v254
	s_and_saveexec_b64 s[2:3], vcc
	s_cbranch_execz .LBB83_91
; %bb.90:
	ds_read2_b64 v[206:209], v253 offset0:18 offset1:19
	ds_read2_b64 v[210:213], v253 offset0:20 offset1:21
	;; [unrolled: 1-line block ×3, first 2 shown]
	s_waitcnt vmcnt(28) lgkmcnt(3)
	v_mul_f64 v[110:111], v[204:205], v[110:111]
	s_waitcnt vmcnt(27) lgkmcnt(2)
	v_fma_f64 v[150:151], -v[110:111], v[206:207], v[150:151]
	s_waitcnt vmcnt(26)
	v_fma_f64 v[108:109], -v[110:111], v[208:209], v[108:109]
	ds_read2_b64 v[206:209], v253 offset0:24 offset1:25
	s_waitcnt vmcnt(25) lgkmcnt(2)
	v_fma_f64 v[148:149], -v[110:111], v[210:211], v[148:149]
	s_waitcnt vmcnt(24)
	v_fma_f64 v[106:107], -v[110:111], v[212:213], v[106:107]
	s_waitcnt vmcnt(23) lgkmcnt(1)
	v_fma_f64 v[146:147], -v[110:111], v[214:215], v[146:147]
	ds_read2_b64 v[210:213], v253 offset0:26 offset1:27
	s_waitcnt vmcnt(22)
	v_fma_f64 v[104:105], -v[110:111], v[216:217], v[104:105]
	ds_read2_b64 v[214:217], v253 offset0:28 offset1:29
	s_waitcnt vmcnt(21) lgkmcnt(2)
	v_fma_f64 v[144:145], -v[110:111], v[206:207], v[144:145]
	s_waitcnt vmcnt(20)
	v_fma_f64 v[102:103], -v[110:111], v[208:209], v[102:103]
	s_waitcnt vmcnt(19) lgkmcnt(1)
	v_fma_f64 v[142:143], -v[110:111], v[210:211], v[142:143]
	ds_read2_b64 v[206:209], v253 offset0:30 offset1:31
	s_waitcnt vmcnt(18)
	v_fma_f64 v[100:101], -v[110:111], v[212:213], v[100:101]
	ds_read2_b64 v[210:213], v253 offset0:32 offset1:33
	s_waitcnt vmcnt(17) lgkmcnt(2)
	v_fma_f64 v[140:141], -v[110:111], v[214:215], v[140:141]
	s_waitcnt vmcnt(16)
	v_fma_f64 v[98:99], -v[110:111], v[216:217], v[98:99]
	ds_read2_b64 v[214:217], v253 offset0:34 offset1:35
	s_waitcnt vmcnt(15) lgkmcnt(2)
	v_fma_f64 v[138:139], -v[110:111], v[206:207], v[138:139]
	;; [unrolled: 5-line block ×3, first 2 shown]
	s_waitcnt vmcnt(12)
	v_fma_f64 v[94:95], -v[110:111], v[212:213], v[94:95]
	s_waitcnt vmcnt(11) lgkmcnt(1)
	v_fma_f64 v[134:135], -v[110:111], v[214:215], v[134:135]
	ds_read2_b64 v[210:213], v253 offset0:38 offset1:39
	s_waitcnt vmcnt(10)
	v_fma_f64 v[92:93], -v[110:111], v[216:217], v[92:93]
	ds_read2_b64 v[214:217], v253 offset0:40 offset1:41
	s_waitcnt vmcnt(9) lgkmcnt(2)
	v_fma_f64 v[132:133], -v[110:111], v[206:207], v[132:133]
	s_waitcnt vmcnt(8)
	v_fma_f64 v[90:91], -v[110:111], v[208:209], v[90:91]
	s_waitcnt vmcnt(7) lgkmcnt(1)
	v_fma_f64 v[130:131], -v[110:111], v[210:211], v[130:131]
	s_waitcnt vmcnt(6)
	v_fma_f64 v[88:89], -v[110:111], v[212:213], v[88:89]
	;; [unrolled: 4-line block ×3, first 2 shown]
.LBB83_91:
	s_or_b64 exec, exec, s[2:3]
	v_cmp_eq_u32_e32 vcc, 18, v254
	s_waitcnt lgkmcnt(0)
	s_barrier
	s_and_saveexec_b64 s[2:3], vcc
	s_cbranch_execz .LBB83_94
; %bb.92:
	s_waitcnt vmcnt(27)
	ds_write_b64 v252, v[150:151]
	s_waitcnt vmcnt(25)
	ds_write2_b64 v253, v[108:109], v[148:149] offset0:19 offset1:20
	s_waitcnt vmcnt(23)
	ds_write2_b64 v253, v[106:107], v[146:147] offset0:21 offset1:22
	;; [unrolled: 2-line block ×11, first 2 shown]
	s_waitcnt vmcnt(4)
	ds_write_b64 v253, v[168:169] offset:328
	ds_read_b64 v[206:207], v252
	s_waitcnt lgkmcnt(0)
	v_cmp_neq_f64_e32 vcc, 0, v[206:207]
	s_and_b64 exec, exec, vcc
	s_cbranch_execz .LBB83_94
; %bb.93:
	v_div_scale_f64 v[170:171], s[6:7], v[206:207], v[206:207], 1.0
	v_rcp_f64_e32 v[172:173], v[170:171]
	v_div_scale_f64 v[208:209], vcc, 1.0, v[206:207], 1.0
	v_fma_f64 v[210:211], -v[170:171], v[172:173], 1.0
	v_fmac_f64_e32 v[172:173], v[172:173], v[210:211]
	v_fma_f64 v[210:211], -v[170:171], v[172:173], 1.0
	v_fmac_f64_e32 v[172:173], v[172:173], v[210:211]
	v_mul_f64 v[210:211], v[208:209], v[172:173]
	v_fma_f64 v[170:171], -v[170:171], v[210:211], v[208:209]
	v_div_fmas_f64 v[170:171], v[170:171], v[172:173], v[210:211]
	v_div_fixup_f64 v[170:171], v[170:171], v[206:207], 1.0
	ds_write_b64 v252, v[170:171]
.LBB83_94:
	s_or_b64 exec, exec, s[2:3]
	s_waitcnt lgkmcnt(0)
	s_barrier
	ds_read_b64 v[206:207], v252
	v_cmp_lt_u32_e32 vcc, 18, v254
	s_and_saveexec_b64 s[2:3], vcc
	s_cbranch_execz .LBB83_96
; %bb.95:
	ds_read2_b64 v[208:211], v253 offset0:19 offset1:20
	ds_read2_b64 v[212:215], v253 offset0:21 offset1:22
	s_waitcnt vmcnt(27) lgkmcnt(2)
	v_mul_f64 v[150:151], v[206:207], v[150:151]
	ds_read2_b64 v[216:219], v253 offset0:23 offset1:24
	ds_read_b64 v[170:171], v253 offset:328
	s_waitcnt vmcnt(26) lgkmcnt(3)
	v_fma_f64 v[108:109], -v[150:151], v[208:209], v[108:109]
	s_waitcnt vmcnt(25)
	v_fma_f64 v[148:149], -v[150:151], v[210:211], v[148:149]
	ds_read2_b64 v[208:211], v253 offset0:25 offset1:26
	s_waitcnt vmcnt(24) lgkmcnt(3)
	v_fma_f64 v[106:107], -v[150:151], v[212:213], v[106:107]
	s_waitcnt vmcnt(23)
	v_fma_f64 v[146:147], -v[150:151], v[214:215], v[146:147]
	ds_read2_b64 v[212:215], v253 offset0:27 offset1:28
	s_waitcnt vmcnt(22) lgkmcnt(3)
	v_fma_f64 v[104:105], -v[150:151], v[216:217], v[104:105]
	s_waitcnt vmcnt(21)
	v_fma_f64 v[144:145], -v[150:151], v[218:219], v[144:145]
	ds_read2_b64 v[216:219], v253 offset0:29 offset1:30
	s_waitcnt vmcnt(20) lgkmcnt(2)
	v_fma_f64 v[102:103], -v[150:151], v[208:209], v[102:103]
	s_waitcnt vmcnt(19)
	v_fma_f64 v[142:143], -v[150:151], v[210:211], v[142:143]
	s_waitcnt vmcnt(18) lgkmcnt(1)
	v_fma_f64 v[100:101], -v[150:151], v[212:213], v[100:101]
	ds_read2_b64 v[208:211], v253 offset0:31 offset1:32
	s_waitcnt vmcnt(17)
	v_fma_f64 v[140:141], -v[150:151], v[214:215], v[140:141]
	ds_read2_b64 v[212:215], v253 offset0:33 offset1:34
	s_waitcnt vmcnt(16) lgkmcnt(2)
	v_fma_f64 v[98:99], -v[150:151], v[216:217], v[98:99]
	s_waitcnt vmcnt(15)
	v_fma_f64 v[138:139], -v[150:151], v[218:219], v[138:139]
	s_waitcnt vmcnt(14) lgkmcnt(1)
	v_fma_f64 v[96:97], -v[150:151], v[208:209], v[96:97]
	ds_read2_b64 v[216:219], v253 offset0:35 offset1:36
	s_waitcnt vmcnt(13)
	v_fma_f64 v[136:137], -v[150:151], v[210:211], v[136:137]
	ds_read2_b64 v[208:211], v253 offset0:37 offset1:38
	s_waitcnt vmcnt(12) lgkmcnt(2)
	v_fma_f64 v[94:95], -v[150:151], v[212:213], v[94:95]
	s_waitcnt vmcnt(11)
	v_fma_f64 v[134:135], -v[150:151], v[214:215], v[134:135]
	ds_read2_b64 v[212:215], v253 offset0:39 offset1:40
	s_waitcnt vmcnt(10) lgkmcnt(2)
	v_fma_f64 v[92:93], -v[150:151], v[216:217], v[92:93]
	s_waitcnt vmcnt(9)
	v_fma_f64 v[132:133], -v[150:151], v[218:219], v[132:133]
	s_waitcnt vmcnt(8) lgkmcnt(1)
	v_fma_f64 v[90:91], -v[150:151], v[208:209], v[90:91]
	s_waitcnt vmcnt(7)
	v_fma_f64 v[130:131], -v[150:151], v[210:211], v[130:131]
	;; [unrolled: 4-line block ×3, first 2 shown]
	s_waitcnt vmcnt(4)
	v_fma_f64 v[168:169], -v[150:151], v[170:171], v[168:169]
.LBB83_96:
	s_or_b64 exec, exec, s[2:3]
	v_cmp_eq_u32_e32 vcc, 19, v254
	s_waitcnt lgkmcnt(0)
	s_barrier
	s_and_saveexec_b64 s[2:3], vcc
	s_cbranch_execz .LBB83_99
; %bb.97:
	s_waitcnt vmcnt(25)
	v_mov_b32_e32 v170, v148
	v_mov_b32_e32 v171, v149
	s_waitcnt vmcnt(24)
	v_mov_b32_e32 v172, v106
	v_mov_b32_e32 v173, v107
	ds_write_b64 v252, v[108:109]
	ds_write2_b64 v253, v[170:171], v[172:173] offset0:20 offset1:21
	s_waitcnt vmcnt(23)
	v_mov_b32_e32 v170, v146
	v_mov_b32_e32 v171, v147
	s_waitcnt vmcnt(22)
	v_mov_b32_e32 v172, v104
	v_mov_b32_e32 v173, v105
	ds_write2_b64 v253, v[170:171], v[172:173] offset0:22 offset1:23
	s_waitcnt vmcnt(21)
	v_mov_b32_e32 v170, v144
	v_mov_b32_e32 v171, v145
	s_waitcnt vmcnt(20)
	v_mov_b32_e32 v172, v102
	v_mov_b32_e32 v173, v103
	;; [unrolled: 7-line block ×9, first 2 shown]
	ds_write2_b64 v253, v[170:171], v[172:173] offset0:38 offset1:39
	s_waitcnt vmcnt(5)
	v_mov_b32_e32 v170, v128
	v_mov_b32_e32 v171, v129
	s_waitcnt vmcnt(4)
	ds_write2_b64 v253, v[170:171], v[168:169] offset0:40 offset1:41
	ds_read_b64 v[208:209], v252
	s_waitcnt lgkmcnt(0)
	v_cmp_neq_f64_e32 vcc, 0, v[208:209]
	s_and_b64 exec, exec, vcc
	s_cbranch_execz .LBB83_99
; %bb.98:
	v_div_scale_f64 v[170:171], s[6:7], v[208:209], v[208:209], 1.0
	v_rcp_f64_e32 v[172:173], v[170:171]
	v_div_scale_f64 v[210:211], vcc, 1.0, v[208:209], 1.0
	v_fma_f64 v[212:213], -v[170:171], v[172:173], 1.0
	v_fmac_f64_e32 v[172:173], v[172:173], v[212:213]
	v_fma_f64 v[212:213], -v[170:171], v[172:173], 1.0
	v_fmac_f64_e32 v[172:173], v[172:173], v[212:213]
	v_mul_f64 v[212:213], v[210:211], v[172:173]
	v_fma_f64 v[170:171], -v[170:171], v[212:213], v[210:211]
	v_div_fmas_f64 v[170:171], v[170:171], v[172:173], v[212:213]
	v_div_fixup_f64 v[170:171], v[170:171], v[208:209], 1.0
	ds_write_b64 v252, v[170:171]
.LBB83_99:
	s_or_b64 exec, exec, s[2:3]
	s_waitcnt lgkmcnt(0)
	s_barrier
	ds_read_b64 v[208:209], v252
	v_cmp_lt_u32_e32 vcc, 19, v254
	s_and_saveexec_b64 s[2:3], vcc
	s_cbranch_execz .LBB83_101
; %bb.100:
	ds_read2_b64 v[210:213], v253 offset0:20 offset1:21
	ds_read2_b64 v[214:217], v253 offset0:22 offset1:23
	s_waitcnt vmcnt(26) lgkmcnt(2)
	v_mul_f64 v[108:109], v[208:209], v[108:109]
	ds_read2_b64 v[218:221], v253 offset0:24 offset1:25
	s_waitcnt vmcnt(25) lgkmcnt(2)
	v_fma_f64 v[148:149], -v[108:109], v[210:211], v[148:149]
	s_waitcnt vmcnt(24)
	v_fma_f64 v[106:107], -v[108:109], v[212:213], v[106:107]
	ds_read2_b64 v[210:213], v253 offset0:26 offset1:27
	s_waitcnt vmcnt(23) lgkmcnt(2)
	v_fma_f64 v[146:147], -v[108:109], v[214:215], v[146:147]
	s_waitcnt vmcnt(22)
	v_fma_f64 v[104:105], -v[108:109], v[216:217], v[104:105]
	;; [unrolled: 5-line block ×4, first 2 shown]
	s_waitcnt vmcnt(17) lgkmcnt(1)
	v_fma_f64 v[140:141], -v[108:109], v[214:215], v[140:141]
	ds_read2_b64 v[210:213], v253 offset0:32 offset1:33
	s_waitcnt vmcnt(16)
	v_fma_f64 v[98:99], -v[108:109], v[216:217], v[98:99]
	ds_read2_b64 v[214:217], v253 offset0:34 offset1:35
	s_waitcnt vmcnt(15) lgkmcnt(2)
	v_fma_f64 v[138:139], -v[108:109], v[218:219], v[138:139]
	s_waitcnt vmcnt(14)
	v_fma_f64 v[96:97], -v[108:109], v[220:221], v[96:97]
	s_waitcnt vmcnt(13) lgkmcnt(1)
	v_fma_f64 v[136:137], -v[108:109], v[210:211], v[136:137]
	s_waitcnt vmcnt(12)
	v_fma_f64 v[94:95], -v[108:109], v[212:213], v[94:95]
	ds_read2_b64 v[210:213], v253 offset0:36 offset1:37
	ds_read2_b64 v[218:221], v253 offset0:38 offset1:39
	s_waitcnt vmcnt(11) lgkmcnt(2)
	v_fma_f64 v[134:135], -v[108:109], v[214:215], v[134:135]
	s_waitcnt vmcnt(10)
	v_fma_f64 v[92:93], -v[108:109], v[216:217], v[92:93]
	ds_read2_b64 v[214:217], v253 offset0:40 offset1:41
	s_waitcnt vmcnt(9) lgkmcnt(2)
	v_fma_f64 v[132:133], -v[108:109], v[210:211], v[132:133]
	s_waitcnt vmcnt(8)
	v_fma_f64 v[90:91], -v[108:109], v[212:213], v[90:91]
	s_waitcnt vmcnt(7) lgkmcnt(1)
	v_fma_f64 v[130:131], -v[108:109], v[218:219], v[130:131]
	s_waitcnt vmcnt(6)
	v_fma_f64 v[88:89], -v[108:109], v[220:221], v[88:89]
	;; [unrolled: 4-line block ×3, first 2 shown]
.LBB83_101:
	s_or_b64 exec, exec, s[2:3]
	v_cmp_eq_u32_e32 vcc, 20, v254
	s_waitcnt lgkmcnt(0)
	s_barrier
	s_and_saveexec_b64 s[2:3], vcc
	s_cbranch_execz .LBB83_104
; %bb.102:
	s_waitcnt vmcnt(25)
	ds_write_b64 v252, v[148:149]
	s_waitcnt vmcnt(23)
	ds_write2_b64 v253, v[106:107], v[146:147] offset0:21 offset1:22
	s_waitcnt vmcnt(21)
	ds_write2_b64 v253, v[104:105], v[144:145] offset0:23 offset1:24
	;; [unrolled: 2-line block ×10, first 2 shown]
	s_waitcnt vmcnt(4)
	ds_write_b64 v253, v[168:169] offset:328
	ds_read_b64 v[210:211], v252
	s_waitcnt lgkmcnt(0)
	v_cmp_neq_f64_e32 vcc, 0, v[210:211]
	s_and_b64 exec, exec, vcc
	s_cbranch_execz .LBB83_104
; %bb.103:
	v_div_scale_f64 v[170:171], s[6:7], v[210:211], v[210:211], 1.0
	v_rcp_f64_e32 v[172:173], v[170:171]
	v_div_scale_f64 v[212:213], vcc, 1.0, v[210:211], 1.0
	v_fma_f64 v[214:215], -v[170:171], v[172:173], 1.0
	v_fmac_f64_e32 v[172:173], v[172:173], v[214:215]
	v_fma_f64 v[214:215], -v[170:171], v[172:173], 1.0
	v_fmac_f64_e32 v[172:173], v[172:173], v[214:215]
	v_mul_f64 v[214:215], v[212:213], v[172:173]
	v_fma_f64 v[170:171], -v[170:171], v[214:215], v[212:213]
	v_div_fmas_f64 v[170:171], v[170:171], v[172:173], v[214:215]
	v_div_fixup_f64 v[170:171], v[170:171], v[210:211], 1.0
	ds_write_b64 v252, v[170:171]
.LBB83_104:
	s_or_b64 exec, exec, s[2:3]
	s_waitcnt lgkmcnt(0)
	s_barrier
	ds_read_b64 v[210:211], v252
	v_cmp_lt_u32_e32 vcc, 20, v254
	s_and_saveexec_b64 s[2:3], vcc
	s_cbranch_execz .LBB83_106
; %bb.105:
	ds_read2_b64 v[212:215], v253 offset0:21 offset1:22
	ds_read2_b64 v[216:219], v253 offset0:23 offset1:24
	s_waitcnt vmcnt(25) lgkmcnt(2)
	v_mul_f64 v[148:149], v[210:211], v[148:149]
	ds_read2_b64 v[220:223], v253 offset0:25 offset1:26
	ds_read_b64 v[170:171], v253 offset:328
	s_waitcnt vmcnt(24) lgkmcnt(3)
	v_fma_f64 v[106:107], -v[148:149], v[212:213], v[106:107]
	s_waitcnt vmcnt(23)
	v_fma_f64 v[146:147], -v[148:149], v[214:215], v[146:147]
	ds_read2_b64 v[212:215], v253 offset0:27 offset1:28
	s_waitcnt vmcnt(22) lgkmcnt(3)
	v_fma_f64 v[104:105], -v[148:149], v[216:217], v[104:105]
	s_waitcnt vmcnt(21)
	v_fma_f64 v[144:145], -v[148:149], v[218:219], v[144:145]
	s_waitcnt vmcnt(20) lgkmcnt(2)
	v_fma_f64 v[102:103], -v[148:149], v[220:221], v[102:103]
	ds_read2_b64 v[216:219], v253 offset0:29 offset1:30
	s_waitcnt vmcnt(19)
	v_fma_f64 v[142:143], -v[148:149], v[222:223], v[142:143]
	ds_read2_b64 v[220:223], v253 offset0:31 offset1:32
	s_waitcnt vmcnt(18) lgkmcnt(2)
	v_fma_f64 v[100:101], -v[148:149], v[212:213], v[100:101]
	s_waitcnt vmcnt(17)
	v_fma_f64 v[140:141], -v[148:149], v[214:215], v[140:141]
	ds_read2_b64 v[212:215], v253 offset0:33 offset1:34
	s_waitcnt vmcnt(16) lgkmcnt(2)
	v_fma_f64 v[98:99], -v[148:149], v[216:217], v[98:99]
	;; [unrolled: 5-line block ×3, first 2 shown]
	s_waitcnt vmcnt(13)
	v_fma_f64 v[136:137], -v[148:149], v[222:223], v[136:137]
	s_waitcnt vmcnt(12) lgkmcnt(1)
	v_fma_f64 v[94:95], -v[148:149], v[212:213], v[94:95]
	s_waitcnt vmcnt(11)
	v_fma_f64 v[134:135], -v[148:149], v[214:215], v[134:135]
	ds_read2_b64 v[212:215], v253 offset0:37 offset1:38
	ds_read2_b64 v[220:223], v253 offset0:39 offset1:40
	s_waitcnt vmcnt(10) lgkmcnt(2)
	v_fma_f64 v[92:93], -v[148:149], v[216:217], v[92:93]
	s_waitcnt vmcnt(9)
	v_fma_f64 v[132:133], -v[148:149], v[218:219], v[132:133]
	s_waitcnt vmcnt(4)
	v_fma_f64 v[168:169], -v[148:149], v[170:171], v[168:169]
	s_waitcnt lgkmcnt(1)
	v_fma_f64 v[90:91], -v[148:149], v[212:213], v[90:91]
	v_fma_f64 v[130:131], -v[148:149], v[214:215], v[130:131]
	s_waitcnt lgkmcnt(0)
	v_fma_f64 v[88:89], -v[148:149], v[220:221], v[88:89]
	v_fma_f64 v[128:129], -v[148:149], v[222:223], v[128:129]
.LBB83_106:
	s_or_b64 exec, exec, s[2:3]
	v_cmp_eq_u32_e32 vcc, 21, v254
	s_waitcnt lgkmcnt(0)
	s_barrier
	s_and_saveexec_b64 s[2:3], vcc
	s_cbranch_execz .LBB83_109
; %bb.107:
	s_waitcnt vmcnt(23)
	v_mov_b32_e32 v170, v146
	v_mov_b32_e32 v171, v147
	s_waitcnt vmcnt(22)
	v_mov_b32_e32 v172, v104
	v_mov_b32_e32 v173, v105
	ds_write_b64 v252, v[106:107]
	ds_write2_b64 v253, v[170:171], v[172:173] offset0:22 offset1:23
	s_waitcnt vmcnt(21)
	v_mov_b32_e32 v170, v144
	v_mov_b32_e32 v171, v145
	s_waitcnt vmcnt(20)
	v_mov_b32_e32 v172, v102
	v_mov_b32_e32 v173, v103
	ds_write2_b64 v253, v[170:171], v[172:173] offset0:24 offset1:25
	s_waitcnt vmcnt(19)
	v_mov_b32_e32 v170, v142
	v_mov_b32_e32 v171, v143
	s_waitcnt vmcnt(18)
	v_mov_b32_e32 v172, v100
	v_mov_b32_e32 v173, v101
	;; [unrolled: 7-line block ×8, first 2 shown]
	ds_write2_b64 v253, v[170:171], v[172:173] offset0:38 offset1:39
	s_waitcnt vmcnt(5)
	v_mov_b32_e32 v170, v128
	v_mov_b32_e32 v171, v129
	s_waitcnt vmcnt(4)
	ds_write2_b64 v253, v[170:171], v[168:169] offset0:40 offset1:41
	ds_read_b64 v[212:213], v252
	s_waitcnt lgkmcnt(0)
	v_cmp_neq_f64_e32 vcc, 0, v[212:213]
	s_and_b64 exec, exec, vcc
	s_cbranch_execz .LBB83_109
; %bb.108:
	v_div_scale_f64 v[170:171], s[6:7], v[212:213], v[212:213], 1.0
	v_rcp_f64_e32 v[172:173], v[170:171]
	v_div_scale_f64 v[214:215], vcc, 1.0, v[212:213], 1.0
	v_fma_f64 v[216:217], -v[170:171], v[172:173], 1.0
	v_fmac_f64_e32 v[172:173], v[172:173], v[216:217]
	v_fma_f64 v[216:217], -v[170:171], v[172:173], 1.0
	v_fmac_f64_e32 v[172:173], v[172:173], v[216:217]
	v_mul_f64 v[216:217], v[214:215], v[172:173]
	v_fma_f64 v[170:171], -v[170:171], v[216:217], v[214:215]
	v_div_fmas_f64 v[170:171], v[170:171], v[172:173], v[216:217]
	v_div_fixup_f64 v[170:171], v[170:171], v[212:213], 1.0
	ds_write_b64 v252, v[170:171]
.LBB83_109:
	s_or_b64 exec, exec, s[2:3]
	s_waitcnt lgkmcnt(0)
	s_barrier
	ds_read_b64 v[212:213], v252
	v_cmp_lt_u32_e32 vcc, 21, v254
	s_and_saveexec_b64 s[2:3], vcc
	s_cbranch_execz .LBB83_111
; %bb.110:
	ds_read2_b64 v[214:217], v253 offset0:22 offset1:23
	ds_read2_b64 v[218:221], v253 offset0:24 offset1:25
	s_waitcnt vmcnt(24) lgkmcnt(2)
	v_mul_f64 v[106:107], v[212:213], v[106:107]
	ds_read2_b64 v[222:225], v253 offset0:26 offset1:27
	s_waitcnt vmcnt(23) lgkmcnt(2)
	v_fma_f64 v[146:147], -v[106:107], v[214:215], v[146:147]
	s_waitcnt vmcnt(22)
	v_fma_f64 v[104:105], -v[106:107], v[216:217], v[104:105]
	ds_read2_b64 v[214:217], v253 offset0:28 offset1:29
	s_waitcnt vmcnt(21) lgkmcnt(2)
	v_fma_f64 v[144:145], -v[106:107], v[218:219], v[144:145]
	s_waitcnt vmcnt(20)
	v_fma_f64 v[102:103], -v[106:107], v[220:221], v[102:103]
	s_waitcnt vmcnt(19) lgkmcnt(1)
	v_fma_f64 v[142:143], -v[106:107], v[222:223], v[142:143]
	ds_read2_b64 v[218:221], v253 offset0:30 offset1:31
	s_waitcnt vmcnt(18)
	v_fma_f64 v[100:101], -v[106:107], v[224:225], v[100:101]
	ds_read2_b64 v[222:225], v253 offset0:32 offset1:33
	s_waitcnt vmcnt(17) lgkmcnt(2)
	v_fma_f64 v[140:141], -v[106:107], v[214:215], v[140:141]
	s_waitcnt vmcnt(16)
	v_fma_f64 v[98:99], -v[106:107], v[216:217], v[98:99]
	ds_read2_b64 v[214:217], v253 offset0:34 offset1:35
	s_waitcnt vmcnt(15) lgkmcnt(2)
	v_fma_f64 v[138:139], -v[106:107], v[218:219], v[138:139]
	;; [unrolled: 5-line block ×3, first 2 shown]
	s_waitcnt vmcnt(12)
	v_fma_f64 v[94:95], -v[106:107], v[224:225], v[94:95]
	s_waitcnt vmcnt(11) lgkmcnt(1)
	v_fma_f64 v[134:135], -v[106:107], v[214:215], v[134:135]
	ds_read2_b64 v[222:225], v253 offset0:38 offset1:39
	s_waitcnt vmcnt(10)
	v_fma_f64 v[92:93], -v[106:107], v[216:217], v[92:93]
	ds_read2_b64 v[214:217], v253 offset0:40 offset1:41
	s_waitcnt vmcnt(9) lgkmcnt(2)
	v_fma_f64 v[132:133], -v[106:107], v[218:219], v[132:133]
	s_waitcnt vmcnt(8)
	v_fma_f64 v[90:91], -v[106:107], v[220:221], v[90:91]
	s_waitcnt vmcnt(7) lgkmcnt(1)
	v_fma_f64 v[130:131], -v[106:107], v[222:223], v[130:131]
	s_waitcnt vmcnt(6)
	v_fma_f64 v[88:89], -v[106:107], v[224:225], v[88:89]
	;; [unrolled: 4-line block ×3, first 2 shown]
.LBB83_111:
	s_or_b64 exec, exec, s[2:3]
	v_cmp_eq_u32_e32 vcc, 22, v254
	s_waitcnt lgkmcnt(0)
	s_barrier
	s_and_saveexec_b64 s[2:3], vcc
	s_cbranch_execz .LBB83_114
; %bb.112:
	s_waitcnt vmcnt(23)
	ds_write_b64 v252, v[146:147]
	s_waitcnt vmcnt(21)
	ds_write2_b64 v253, v[104:105], v[144:145] offset0:23 offset1:24
	s_waitcnt vmcnt(19)
	ds_write2_b64 v253, v[102:103], v[142:143] offset0:25 offset1:26
	;; [unrolled: 2-line block ×9, first 2 shown]
	s_waitcnt vmcnt(4)
	ds_write_b64 v253, v[168:169] offset:328
	ds_read_b64 v[214:215], v252
	s_waitcnt lgkmcnt(0)
	v_cmp_neq_f64_e32 vcc, 0, v[214:215]
	s_and_b64 exec, exec, vcc
	s_cbranch_execz .LBB83_114
; %bb.113:
	v_div_scale_f64 v[170:171], s[6:7], v[214:215], v[214:215], 1.0
	v_rcp_f64_e32 v[172:173], v[170:171]
	v_div_scale_f64 v[216:217], vcc, 1.0, v[214:215], 1.0
	v_fma_f64 v[218:219], -v[170:171], v[172:173], 1.0
	v_fmac_f64_e32 v[172:173], v[172:173], v[218:219]
	v_fma_f64 v[218:219], -v[170:171], v[172:173], 1.0
	v_fmac_f64_e32 v[172:173], v[172:173], v[218:219]
	v_mul_f64 v[218:219], v[216:217], v[172:173]
	v_fma_f64 v[170:171], -v[170:171], v[218:219], v[216:217]
	v_div_fmas_f64 v[170:171], v[170:171], v[172:173], v[218:219]
	v_div_fixup_f64 v[170:171], v[170:171], v[214:215], 1.0
	ds_write_b64 v252, v[170:171]
.LBB83_114:
	s_or_b64 exec, exec, s[2:3]
	s_waitcnt lgkmcnt(0)
	s_barrier
	ds_read_b64 v[214:215], v252
	v_cmp_lt_u32_e32 vcc, 22, v254
	s_and_saveexec_b64 s[2:3], vcc
	s_cbranch_execz .LBB83_116
; %bb.115:
	ds_read2_b64 v[216:219], v253 offset0:23 offset1:24
	ds_read2_b64 v[220:223], v253 offset0:25 offset1:26
	;; [unrolled: 1-line block ×3, first 2 shown]
	s_waitcnt vmcnt(23) lgkmcnt(3)
	v_mul_f64 v[146:147], v[214:215], v[146:147]
	ds_read_b64 v[170:171], v253 offset:328
	s_waitcnt vmcnt(22) lgkmcnt(3)
	v_fma_f64 v[104:105], -v[146:147], v[216:217], v[104:105]
	s_waitcnt vmcnt(21)
	v_fma_f64 v[144:145], -v[146:147], v[218:219], v[144:145]
	ds_read2_b64 v[216:219], v253 offset0:29 offset1:30
	s_waitcnt vmcnt(20) lgkmcnt(3)
	v_fma_f64 v[102:103], -v[146:147], v[220:221], v[102:103]
	s_waitcnt vmcnt(19)
	v_fma_f64 v[142:143], -v[146:147], v[222:223], v[142:143]
	s_waitcnt vmcnt(18) lgkmcnt(2)
	v_fma_f64 v[100:101], -v[146:147], v[224:225], v[100:101]
	ds_read2_b64 v[220:223], v253 offset0:31 offset1:32
	s_waitcnt vmcnt(17)
	v_fma_f64 v[140:141], -v[146:147], v[226:227], v[140:141]
	ds_read2_b64 v[224:227], v253 offset0:33 offset1:34
	s_waitcnt vmcnt(16) lgkmcnt(2)
	v_fma_f64 v[98:99], -v[146:147], v[216:217], v[98:99]
	s_waitcnt vmcnt(15)
	v_fma_f64 v[138:139], -v[146:147], v[218:219], v[138:139]
	s_waitcnt vmcnt(14) lgkmcnt(1)
	v_fma_f64 v[96:97], -v[146:147], v[220:221], v[96:97]
	ds_read2_b64 v[216:219], v253 offset0:35 offset1:36
	s_waitcnt vmcnt(13)
	v_fma_f64 v[136:137], -v[146:147], v[222:223], v[136:137]
	ds_read2_b64 v[220:223], v253 offset0:37 offset1:38
	s_waitcnt vmcnt(12) lgkmcnt(2)
	v_fma_f64 v[94:95], -v[146:147], v[224:225], v[94:95]
	s_waitcnt vmcnt(11)
	v_fma_f64 v[134:135], -v[146:147], v[226:227], v[134:135]
	ds_read2_b64 v[224:227], v253 offset0:39 offset1:40
	s_waitcnt vmcnt(10) lgkmcnt(2)
	v_fma_f64 v[92:93], -v[146:147], v[216:217], v[92:93]
	s_waitcnt vmcnt(9)
	v_fma_f64 v[132:133], -v[146:147], v[218:219], v[132:133]
	s_waitcnt vmcnt(8) lgkmcnt(1)
	v_fma_f64 v[90:91], -v[146:147], v[220:221], v[90:91]
	s_waitcnt vmcnt(7)
	v_fma_f64 v[130:131], -v[146:147], v[222:223], v[130:131]
	;; [unrolled: 4-line block ×3, first 2 shown]
	s_waitcnt vmcnt(4)
	v_fma_f64 v[168:169], -v[146:147], v[170:171], v[168:169]
.LBB83_116:
	s_or_b64 exec, exec, s[2:3]
	v_cmp_eq_u32_e32 vcc, 23, v254
	s_waitcnt lgkmcnt(0)
	s_barrier
	s_and_saveexec_b64 s[2:3], vcc
	s_cbranch_execz .LBB83_119
; %bb.117:
	s_waitcnt vmcnt(21)
	v_mov_b32_e32 v170, v144
	v_mov_b32_e32 v171, v145
	s_waitcnt vmcnt(20)
	v_mov_b32_e32 v172, v102
	v_mov_b32_e32 v173, v103
	ds_write_b64 v252, v[104:105]
	ds_write2_b64 v253, v[170:171], v[172:173] offset0:24 offset1:25
	s_waitcnt vmcnt(19)
	v_mov_b32_e32 v170, v142
	v_mov_b32_e32 v171, v143
	s_waitcnt vmcnt(18)
	v_mov_b32_e32 v172, v100
	v_mov_b32_e32 v173, v101
	ds_write2_b64 v253, v[170:171], v[172:173] offset0:26 offset1:27
	s_waitcnt vmcnt(17)
	v_mov_b32_e32 v170, v140
	v_mov_b32_e32 v171, v141
	s_waitcnt vmcnt(16)
	v_mov_b32_e32 v172, v98
	v_mov_b32_e32 v173, v99
	;; [unrolled: 7-line block ×7, first 2 shown]
	ds_write2_b64 v253, v[170:171], v[172:173] offset0:38 offset1:39
	s_waitcnt vmcnt(5)
	v_mov_b32_e32 v170, v128
	v_mov_b32_e32 v171, v129
	s_waitcnt vmcnt(4)
	ds_write2_b64 v253, v[170:171], v[168:169] offset0:40 offset1:41
	ds_read_b64 v[216:217], v252
	s_waitcnt lgkmcnt(0)
	v_cmp_neq_f64_e32 vcc, 0, v[216:217]
	s_and_b64 exec, exec, vcc
	s_cbranch_execz .LBB83_119
; %bb.118:
	v_div_scale_f64 v[170:171], s[6:7], v[216:217], v[216:217], 1.0
	v_rcp_f64_e32 v[172:173], v[170:171]
	v_div_scale_f64 v[218:219], vcc, 1.0, v[216:217], 1.0
	v_fma_f64 v[220:221], -v[170:171], v[172:173], 1.0
	v_fmac_f64_e32 v[172:173], v[172:173], v[220:221]
	v_fma_f64 v[220:221], -v[170:171], v[172:173], 1.0
	v_fmac_f64_e32 v[172:173], v[172:173], v[220:221]
	v_mul_f64 v[220:221], v[218:219], v[172:173]
	v_fma_f64 v[170:171], -v[170:171], v[220:221], v[218:219]
	v_div_fmas_f64 v[170:171], v[170:171], v[172:173], v[220:221]
	v_div_fixup_f64 v[170:171], v[170:171], v[216:217], 1.0
	ds_write_b64 v252, v[170:171]
.LBB83_119:
	s_or_b64 exec, exec, s[2:3]
	s_waitcnt lgkmcnt(0)
	s_barrier
	ds_read_b64 v[216:217], v252
	v_cmp_lt_u32_e32 vcc, 23, v254
	s_and_saveexec_b64 s[2:3], vcc
	s_cbranch_execz .LBB83_121
; %bb.120:
	ds_read2_b64 v[218:221], v253 offset0:24 offset1:25
	ds_read2_b64 v[222:225], v253 offset0:26 offset1:27
	;; [unrolled: 1-line block ×3, first 2 shown]
	s_waitcnt vmcnt(22) lgkmcnt(3)
	v_mul_f64 v[104:105], v[216:217], v[104:105]
	s_waitcnt vmcnt(21) lgkmcnt(2)
	v_fma_f64 v[144:145], -v[104:105], v[218:219], v[144:145]
	s_waitcnt vmcnt(20)
	v_fma_f64 v[102:103], -v[104:105], v[220:221], v[102:103]
	ds_read2_b64 v[218:221], v253 offset0:30 offset1:31
	s_waitcnt vmcnt(19) lgkmcnt(2)
	v_fma_f64 v[142:143], -v[104:105], v[222:223], v[142:143]
	s_waitcnt vmcnt(18)
	v_fma_f64 v[100:101], -v[104:105], v[224:225], v[100:101]
	s_waitcnt vmcnt(17) lgkmcnt(1)
	v_fma_f64 v[140:141], -v[104:105], v[226:227], v[140:141]
	ds_read2_b64 v[222:225], v253 offset0:32 offset1:33
	s_waitcnt vmcnt(16)
	v_fma_f64 v[98:99], -v[104:105], v[228:229], v[98:99]
	ds_read2_b64 v[226:229], v253 offset0:34 offset1:35
	s_waitcnt vmcnt(15) lgkmcnt(2)
	v_fma_f64 v[138:139], -v[104:105], v[218:219], v[138:139]
	s_waitcnt vmcnt(14)
	v_fma_f64 v[96:97], -v[104:105], v[220:221], v[96:97]
	s_waitcnt vmcnt(13) lgkmcnt(1)
	v_fma_f64 v[136:137], -v[104:105], v[222:223], v[136:137]
	s_waitcnt vmcnt(12)
	v_fma_f64 v[94:95], -v[104:105], v[224:225], v[94:95]
	ds_read2_b64 v[218:221], v253 offset0:36 offset1:37
	ds_read2_b64 v[222:225], v253 offset0:38 offset1:39
	s_waitcnt vmcnt(11) lgkmcnt(2)
	v_fma_f64 v[134:135], -v[104:105], v[226:227], v[134:135]
	s_waitcnt vmcnt(10)
	v_fma_f64 v[92:93], -v[104:105], v[228:229], v[92:93]
	ds_read2_b64 v[226:229], v253 offset0:40 offset1:41
	s_waitcnt vmcnt(9) lgkmcnt(2)
	v_fma_f64 v[132:133], -v[104:105], v[218:219], v[132:133]
	s_waitcnt vmcnt(8)
	v_fma_f64 v[90:91], -v[104:105], v[220:221], v[90:91]
	s_waitcnt vmcnt(7) lgkmcnt(1)
	v_fma_f64 v[130:131], -v[104:105], v[222:223], v[130:131]
	s_waitcnt vmcnt(6)
	v_fma_f64 v[88:89], -v[104:105], v[224:225], v[88:89]
	;; [unrolled: 4-line block ×3, first 2 shown]
.LBB83_121:
	s_or_b64 exec, exec, s[2:3]
	v_cmp_eq_u32_e32 vcc, 24, v254
	s_waitcnt lgkmcnt(0)
	s_barrier
	s_and_saveexec_b64 s[2:3], vcc
	s_cbranch_execz .LBB83_124
; %bb.122:
	s_waitcnt vmcnt(21)
	ds_write_b64 v252, v[144:145]
	s_waitcnt vmcnt(19)
	ds_write2_b64 v253, v[102:103], v[142:143] offset0:25 offset1:26
	s_waitcnt vmcnt(17)
	ds_write2_b64 v253, v[100:101], v[140:141] offset0:27 offset1:28
	;; [unrolled: 2-line block ×8, first 2 shown]
	s_waitcnt vmcnt(4)
	ds_write_b64 v253, v[168:169] offset:328
	ds_read_b64 v[218:219], v252
	s_waitcnt lgkmcnt(0)
	v_cmp_neq_f64_e32 vcc, 0, v[218:219]
	s_and_b64 exec, exec, vcc
	s_cbranch_execz .LBB83_124
; %bb.123:
	v_div_scale_f64 v[170:171], s[6:7], v[218:219], v[218:219], 1.0
	v_rcp_f64_e32 v[172:173], v[170:171]
	v_div_scale_f64 v[220:221], vcc, 1.0, v[218:219], 1.0
	v_fma_f64 v[222:223], -v[170:171], v[172:173], 1.0
	v_fmac_f64_e32 v[172:173], v[172:173], v[222:223]
	v_fma_f64 v[222:223], -v[170:171], v[172:173], 1.0
	v_fmac_f64_e32 v[172:173], v[172:173], v[222:223]
	v_mul_f64 v[222:223], v[220:221], v[172:173]
	v_fma_f64 v[170:171], -v[170:171], v[222:223], v[220:221]
	v_div_fmas_f64 v[170:171], v[170:171], v[172:173], v[222:223]
	v_div_fixup_f64 v[170:171], v[170:171], v[218:219], 1.0
	ds_write_b64 v252, v[170:171]
.LBB83_124:
	s_or_b64 exec, exec, s[2:3]
	s_waitcnt lgkmcnt(0)
	s_barrier
	ds_read_b64 v[218:219], v252
	v_cmp_lt_u32_e32 vcc, 24, v254
	s_and_saveexec_b64 s[2:3], vcc
	s_cbranch_execz .LBB83_126
; %bb.125:
	ds_read2_b64 v[220:223], v253 offset0:25 offset1:26
	ds_read2_b64 v[224:227], v253 offset0:27 offset1:28
	s_waitcnt vmcnt(21) lgkmcnt(2)
	v_mul_f64 v[144:145], v[218:219], v[144:145]
	ds_read2_b64 v[228:231], v253 offset0:29 offset1:30
	ds_read_b64 v[170:171], v253 offset:328
	s_waitcnt vmcnt(20) lgkmcnt(3)
	v_fma_f64 v[102:103], -v[144:145], v[220:221], v[102:103]
	s_waitcnt vmcnt(19)
	v_fma_f64 v[142:143], -v[144:145], v[222:223], v[142:143]
	ds_read2_b64 v[220:223], v253 offset0:31 offset1:32
	s_waitcnt vmcnt(18) lgkmcnt(3)
	v_fma_f64 v[100:101], -v[144:145], v[224:225], v[100:101]
	s_waitcnt vmcnt(17)
	v_fma_f64 v[140:141], -v[144:145], v[226:227], v[140:141]
	ds_read2_b64 v[224:227], v253 offset0:33 offset1:34
	;; [unrolled: 5-line block ×3, first 2 shown]
	s_waitcnt vmcnt(14) lgkmcnt(2)
	v_fma_f64 v[96:97], -v[144:145], v[220:221], v[96:97]
	s_waitcnt vmcnt(13)
	v_fma_f64 v[136:137], -v[144:145], v[222:223], v[136:137]
	s_waitcnt vmcnt(12) lgkmcnt(1)
	v_fma_f64 v[94:95], -v[144:145], v[224:225], v[94:95]
	s_waitcnt vmcnt(11)
	v_fma_f64 v[134:135], -v[144:145], v[226:227], v[134:135]
	ds_read2_b64 v[220:223], v253 offset0:37 offset1:38
	ds_read2_b64 v[224:227], v253 offset0:39 offset1:40
	s_waitcnt vmcnt(10) lgkmcnt(2)
	v_fma_f64 v[92:93], -v[144:145], v[228:229], v[92:93]
	s_waitcnt vmcnt(9)
	v_fma_f64 v[132:133], -v[144:145], v[230:231], v[132:133]
	s_waitcnt vmcnt(4)
	v_fma_f64 v[168:169], -v[144:145], v[170:171], v[168:169]
	s_waitcnt lgkmcnt(1)
	v_fma_f64 v[90:91], -v[144:145], v[220:221], v[90:91]
	v_fma_f64 v[130:131], -v[144:145], v[222:223], v[130:131]
	s_waitcnt lgkmcnt(0)
	v_fma_f64 v[88:89], -v[144:145], v[224:225], v[88:89]
	v_fma_f64 v[128:129], -v[144:145], v[226:227], v[128:129]
.LBB83_126:
	s_or_b64 exec, exec, s[2:3]
	v_cmp_eq_u32_e32 vcc, 25, v254
	s_waitcnt lgkmcnt(0)
	s_barrier
	s_and_saveexec_b64 s[2:3], vcc
	s_cbranch_execz .LBB83_129
; %bb.127:
	s_waitcnt vmcnt(19)
	v_mov_b32_e32 v170, v142
	v_mov_b32_e32 v171, v143
	s_waitcnt vmcnt(18)
	v_mov_b32_e32 v172, v100
	v_mov_b32_e32 v173, v101
	ds_write_b64 v252, v[102:103]
	ds_write2_b64 v253, v[170:171], v[172:173] offset0:26 offset1:27
	s_waitcnt vmcnt(17)
	v_mov_b32_e32 v170, v140
	v_mov_b32_e32 v171, v141
	s_waitcnt vmcnt(16)
	v_mov_b32_e32 v172, v98
	v_mov_b32_e32 v173, v99
	ds_write2_b64 v253, v[170:171], v[172:173] offset0:28 offset1:29
	s_waitcnt vmcnt(15)
	v_mov_b32_e32 v170, v138
	v_mov_b32_e32 v171, v139
	s_waitcnt vmcnt(14)
	v_mov_b32_e32 v172, v96
	v_mov_b32_e32 v173, v97
	;; [unrolled: 7-line block ×6, first 2 shown]
	ds_write2_b64 v253, v[170:171], v[172:173] offset0:38 offset1:39
	s_waitcnt vmcnt(5)
	v_mov_b32_e32 v170, v128
	v_mov_b32_e32 v171, v129
	s_waitcnt vmcnt(4)
	ds_write2_b64 v253, v[170:171], v[168:169] offset0:40 offset1:41
	ds_read_b64 v[220:221], v252
	s_waitcnt lgkmcnt(0)
	v_cmp_neq_f64_e32 vcc, 0, v[220:221]
	s_and_b64 exec, exec, vcc
	s_cbranch_execz .LBB83_129
; %bb.128:
	v_div_scale_f64 v[170:171], s[6:7], v[220:221], v[220:221], 1.0
	v_rcp_f64_e32 v[172:173], v[170:171]
	v_div_scale_f64 v[222:223], vcc, 1.0, v[220:221], 1.0
	v_fma_f64 v[224:225], -v[170:171], v[172:173], 1.0
	v_fmac_f64_e32 v[172:173], v[172:173], v[224:225]
	v_fma_f64 v[224:225], -v[170:171], v[172:173], 1.0
	v_fmac_f64_e32 v[172:173], v[172:173], v[224:225]
	v_mul_f64 v[224:225], v[222:223], v[172:173]
	v_fma_f64 v[170:171], -v[170:171], v[224:225], v[222:223]
	v_div_fmas_f64 v[170:171], v[170:171], v[172:173], v[224:225]
	v_div_fixup_f64 v[170:171], v[170:171], v[220:221], 1.0
	ds_write_b64 v252, v[170:171]
.LBB83_129:
	s_or_b64 exec, exec, s[2:3]
	s_waitcnt lgkmcnt(0)
	s_barrier
	ds_read_b64 v[220:221], v252
	v_cmp_lt_u32_e32 vcc, 25, v254
	s_and_saveexec_b64 s[2:3], vcc
	s_cbranch_execz .LBB83_131
; %bb.130:
	ds_read2_b64 v[222:225], v253 offset0:26 offset1:27
	ds_read2_b64 v[226:229], v253 offset0:28 offset1:29
	s_waitcnt vmcnt(20) lgkmcnt(2)
	v_mul_f64 v[102:103], v[220:221], v[102:103]
	ds_read2_b64 v[230:233], v253 offset0:30 offset1:31
	s_waitcnt vmcnt(19) lgkmcnt(2)
	v_fma_f64 v[142:143], -v[102:103], v[222:223], v[142:143]
	s_waitcnt vmcnt(18)
	v_fma_f64 v[100:101], -v[102:103], v[224:225], v[100:101]
	ds_read2_b64 v[222:225], v253 offset0:32 offset1:33
	s_waitcnt vmcnt(17) lgkmcnt(2)
	v_fma_f64 v[140:141], -v[102:103], v[226:227], v[140:141]
	s_waitcnt vmcnt(16)
	v_fma_f64 v[98:99], -v[102:103], v[228:229], v[98:99]
	;; [unrolled: 5-line block ×3, first 2 shown]
	s_waitcnt vmcnt(13) lgkmcnt(1)
	v_fma_f64 v[136:137], -v[102:103], v[222:223], v[136:137]
	s_waitcnt vmcnt(12)
	v_fma_f64 v[94:95], -v[102:103], v[224:225], v[94:95]
	ds_read2_b64 v[222:225], v253 offset0:36 offset1:37
	s_waitcnt vmcnt(11) lgkmcnt(1)
	v_fma_f64 v[134:135], -v[102:103], v[226:227], v[134:135]
	ds_read2_b64 v[230:233], v253 offset0:38 offset1:39
	s_waitcnt vmcnt(10)
	v_fma_f64 v[92:93], -v[102:103], v[228:229], v[92:93]
	ds_read2_b64 v[226:229], v253 offset0:40 offset1:41
	s_waitcnt vmcnt(9) lgkmcnt(2)
	v_fma_f64 v[132:133], -v[102:103], v[222:223], v[132:133]
	s_waitcnt vmcnt(8)
	v_fma_f64 v[90:91], -v[102:103], v[224:225], v[90:91]
	s_waitcnt vmcnt(7) lgkmcnt(1)
	v_fma_f64 v[130:131], -v[102:103], v[230:231], v[130:131]
	s_waitcnt vmcnt(6)
	v_fma_f64 v[88:89], -v[102:103], v[232:233], v[88:89]
	;; [unrolled: 4-line block ×3, first 2 shown]
.LBB83_131:
	s_or_b64 exec, exec, s[2:3]
	v_cmp_eq_u32_e32 vcc, 26, v254
	s_waitcnt lgkmcnt(0)
	s_barrier
	s_and_saveexec_b64 s[2:3], vcc
	s_cbranch_execz .LBB83_134
; %bb.132:
	s_waitcnt vmcnt(19)
	ds_write_b64 v252, v[142:143]
	s_waitcnt vmcnt(17)
	ds_write2_b64 v253, v[100:101], v[140:141] offset0:27 offset1:28
	s_waitcnt vmcnt(15)
	ds_write2_b64 v253, v[98:99], v[138:139] offset0:29 offset1:30
	s_waitcnt vmcnt(13)
	ds_write2_b64 v253, v[96:97], v[136:137] offset0:31 offset1:32
	s_waitcnt vmcnt(11)
	ds_write2_b64 v253, v[94:95], v[134:135] offset0:33 offset1:34
	s_waitcnt vmcnt(9)
	ds_write2_b64 v253, v[92:93], v[132:133] offset0:35 offset1:36
	s_waitcnt vmcnt(7)
	ds_write2_b64 v253, v[90:91], v[130:131] offset0:37 offset1:38
	s_waitcnt vmcnt(5)
	ds_write2_b64 v253, v[88:89], v[128:129] offset0:39 offset1:40
	s_waitcnt vmcnt(4)
	ds_write_b64 v253, v[168:169] offset:328
	ds_read_b64 v[222:223], v252
	s_waitcnt lgkmcnt(0)
	v_cmp_neq_f64_e32 vcc, 0, v[222:223]
	s_and_b64 exec, exec, vcc
	s_cbranch_execz .LBB83_134
; %bb.133:
	v_div_scale_f64 v[170:171], s[6:7], v[222:223], v[222:223], 1.0
	v_rcp_f64_e32 v[172:173], v[170:171]
	v_div_scale_f64 v[224:225], vcc, 1.0, v[222:223], 1.0
	v_fma_f64 v[226:227], -v[170:171], v[172:173], 1.0
	v_fmac_f64_e32 v[172:173], v[172:173], v[226:227]
	v_fma_f64 v[226:227], -v[170:171], v[172:173], 1.0
	v_fmac_f64_e32 v[172:173], v[172:173], v[226:227]
	v_mul_f64 v[226:227], v[224:225], v[172:173]
	v_fma_f64 v[170:171], -v[170:171], v[226:227], v[224:225]
	v_div_fmas_f64 v[170:171], v[170:171], v[172:173], v[226:227]
	v_div_fixup_f64 v[170:171], v[170:171], v[222:223], 1.0
	ds_write_b64 v252, v[170:171]
.LBB83_134:
	s_or_b64 exec, exec, s[2:3]
	s_waitcnt lgkmcnt(0)
	s_barrier
	ds_read_b64 v[222:223], v252
	v_cmp_lt_u32_e32 vcc, 26, v254
	s_and_saveexec_b64 s[2:3], vcc
	s_cbranch_execz .LBB83_136
; %bb.135:
	ds_read2_b64 v[224:227], v253 offset0:27 offset1:28
	ds_read2_b64 v[228:231], v253 offset0:29 offset1:30
	s_waitcnt vmcnt(19) lgkmcnt(2)
	v_mul_f64 v[142:143], v[222:223], v[142:143]
	ds_read2_b64 v[232:235], v253 offset0:31 offset1:32
	ds_read_b64 v[170:171], v253 offset:328
	s_waitcnt vmcnt(18) lgkmcnt(3)
	v_fma_f64 v[100:101], -v[142:143], v[224:225], v[100:101]
	s_waitcnt vmcnt(17)
	v_fma_f64 v[140:141], -v[142:143], v[226:227], v[140:141]
	ds_read2_b64 v[224:227], v253 offset0:33 offset1:34
	s_waitcnt vmcnt(16) lgkmcnt(3)
	v_fma_f64 v[98:99], -v[142:143], v[228:229], v[98:99]
	s_waitcnt vmcnt(15)
	v_fma_f64 v[138:139], -v[142:143], v[230:231], v[138:139]
	s_waitcnt vmcnt(14) lgkmcnt(2)
	v_fma_f64 v[96:97], -v[142:143], v[232:233], v[96:97]
	ds_read2_b64 v[228:231], v253 offset0:35 offset1:36
	s_waitcnt vmcnt(13)
	v_fma_f64 v[136:137], -v[142:143], v[234:235], v[136:137]
	s_waitcnt vmcnt(12) lgkmcnt(1)
	v_fma_f64 v[94:95], -v[142:143], v[224:225], v[94:95]
	s_waitcnt vmcnt(11)
	v_fma_f64 v[134:135], -v[142:143], v[226:227], v[134:135]
	ds_read2_b64 v[224:227], v253 offset0:37 offset1:38
	ds_read2_b64 v[232:235], v253 offset0:39 offset1:40
	s_waitcnt vmcnt(10) lgkmcnt(2)
	v_fma_f64 v[92:93], -v[142:143], v[228:229], v[92:93]
	s_waitcnt vmcnt(9)
	v_fma_f64 v[132:133], -v[142:143], v[230:231], v[132:133]
	s_waitcnt vmcnt(4)
	v_fma_f64 v[168:169], -v[142:143], v[170:171], v[168:169]
	s_waitcnt lgkmcnt(1)
	v_fma_f64 v[90:91], -v[142:143], v[224:225], v[90:91]
	v_fma_f64 v[130:131], -v[142:143], v[226:227], v[130:131]
	s_waitcnt lgkmcnt(0)
	v_fma_f64 v[88:89], -v[142:143], v[232:233], v[88:89]
	v_fma_f64 v[128:129], -v[142:143], v[234:235], v[128:129]
.LBB83_136:
	s_or_b64 exec, exec, s[2:3]
	v_cmp_eq_u32_e32 vcc, 27, v254
	s_waitcnt lgkmcnt(0)
	s_barrier
	s_and_saveexec_b64 s[2:3], vcc
	s_cbranch_execz .LBB83_139
; %bb.137:
	s_waitcnt vmcnt(17)
	v_mov_b32_e32 v170, v140
	v_mov_b32_e32 v171, v141
	s_waitcnt vmcnt(16)
	v_mov_b32_e32 v172, v98
	v_mov_b32_e32 v173, v99
	ds_write_b64 v252, v[100:101]
	ds_write2_b64 v253, v[170:171], v[172:173] offset0:28 offset1:29
	s_waitcnt vmcnt(15)
	v_mov_b32_e32 v170, v138
	v_mov_b32_e32 v171, v139
	s_waitcnt vmcnt(14)
	v_mov_b32_e32 v172, v96
	v_mov_b32_e32 v173, v97
	ds_write2_b64 v253, v[170:171], v[172:173] offset0:30 offset1:31
	s_waitcnt vmcnt(13)
	v_mov_b32_e32 v170, v136
	v_mov_b32_e32 v171, v137
	s_waitcnt vmcnt(12)
	v_mov_b32_e32 v172, v94
	v_mov_b32_e32 v173, v95
	ds_write2_b64 v253, v[170:171], v[172:173] offset0:32 offset1:33
	s_waitcnt vmcnt(11)
	v_mov_b32_e32 v170, v134
	v_mov_b32_e32 v171, v135
	s_waitcnt vmcnt(10)
	v_mov_b32_e32 v172, v92
	v_mov_b32_e32 v173, v93
	ds_write2_b64 v253, v[170:171], v[172:173] offset0:34 offset1:35
	s_waitcnt vmcnt(9)
	v_mov_b32_e32 v170, v132
	v_mov_b32_e32 v171, v133
	s_waitcnt vmcnt(8)
	v_mov_b32_e32 v172, v90
	v_mov_b32_e32 v173, v91
	ds_write2_b64 v253, v[170:171], v[172:173] offset0:36 offset1:37
	s_waitcnt vmcnt(7)
	v_mov_b32_e32 v170, v130
	v_mov_b32_e32 v171, v131
	s_waitcnt vmcnt(6)
	v_mov_b32_e32 v172, v88
	v_mov_b32_e32 v173, v89
	ds_write2_b64 v253, v[170:171], v[172:173] offset0:38 offset1:39
	s_waitcnt vmcnt(5)
	v_mov_b32_e32 v170, v128
	v_mov_b32_e32 v171, v129
	s_waitcnt vmcnt(4)
	ds_write2_b64 v253, v[170:171], v[168:169] offset0:40 offset1:41
	ds_read_b64 v[224:225], v252
	s_waitcnt lgkmcnt(0)
	v_cmp_neq_f64_e32 vcc, 0, v[224:225]
	s_and_b64 exec, exec, vcc
	s_cbranch_execz .LBB83_139
; %bb.138:
	v_div_scale_f64 v[170:171], s[6:7], v[224:225], v[224:225], 1.0
	v_rcp_f64_e32 v[172:173], v[170:171]
	v_div_scale_f64 v[226:227], vcc, 1.0, v[224:225], 1.0
	v_fma_f64 v[228:229], -v[170:171], v[172:173], 1.0
	v_fmac_f64_e32 v[172:173], v[172:173], v[228:229]
	v_fma_f64 v[228:229], -v[170:171], v[172:173], 1.0
	v_fmac_f64_e32 v[172:173], v[172:173], v[228:229]
	v_mul_f64 v[228:229], v[226:227], v[172:173]
	v_fma_f64 v[170:171], -v[170:171], v[228:229], v[226:227]
	v_div_fmas_f64 v[170:171], v[170:171], v[172:173], v[228:229]
	v_div_fixup_f64 v[170:171], v[170:171], v[224:225], 1.0
	ds_write_b64 v252, v[170:171]
.LBB83_139:
	s_or_b64 exec, exec, s[2:3]
	s_waitcnt lgkmcnt(0)
	s_barrier
	ds_read_b64 v[224:225], v252
	v_cmp_lt_u32_e32 vcc, 27, v254
	s_and_saveexec_b64 s[2:3], vcc
	s_cbranch_execz .LBB83_141
; %bb.140:
	ds_read2_b64 v[226:229], v253 offset0:28 offset1:29
	ds_read2_b64 v[230:233], v253 offset0:30 offset1:31
	s_waitcnt vmcnt(18) lgkmcnt(2)
	v_mul_f64 v[100:101], v[224:225], v[100:101]
	ds_read2_b64 v[234:237], v253 offset0:32 offset1:33
	s_waitcnt vmcnt(17) lgkmcnt(2)
	v_fma_f64 v[140:141], -v[100:101], v[226:227], v[140:141]
	s_waitcnt vmcnt(16)
	v_fma_f64 v[98:99], -v[100:101], v[228:229], v[98:99]
	ds_read2_b64 v[226:229], v253 offset0:34 offset1:35
	s_waitcnt vmcnt(15) lgkmcnt(2)
	v_fma_f64 v[138:139], -v[100:101], v[230:231], v[138:139]
	s_waitcnt vmcnt(14)
	v_fma_f64 v[96:97], -v[100:101], v[232:233], v[96:97]
	s_waitcnt vmcnt(13) lgkmcnt(1)
	v_fma_f64 v[136:137], -v[100:101], v[234:235], v[136:137]
	s_waitcnt vmcnt(12)
	v_fma_f64 v[94:95], -v[100:101], v[236:237], v[94:95]
	ds_read2_b64 v[230:233], v253 offset0:36 offset1:37
	ds_read2_b64 v[234:237], v253 offset0:38 offset1:39
	s_waitcnt vmcnt(11) lgkmcnt(2)
	v_fma_f64 v[134:135], -v[100:101], v[226:227], v[134:135]
	s_waitcnt vmcnt(10)
	v_fma_f64 v[92:93], -v[100:101], v[228:229], v[92:93]
	ds_read2_b64 v[226:229], v253 offset0:40 offset1:41
	s_waitcnt vmcnt(9) lgkmcnt(2)
	v_fma_f64 v[132:133], -v[100:101], v[230:231], v[132:133]
	s_waitcnt vmcnt(8)
	v_fma_f64 v[90:91], -v[100:101], v[232:233], v[90:91]
	s_waitcnt vmcnt(7) lgkmcnt(1)
	v_fma_f64 v[130:131], -v[100:101], v[234:235], v[130:131]
	s_waitcnt vmcnt(6)
	v_fma_f64 v[88:89], -v[100:101], v[236:237], v[88:89]
	;; [unrolled: 4-line block ×3, first 2 shown]
.LBB83_141:
	s_or_b64 exec, exec, s[2:3]
	v_cmp_eq_u32_e32 vcc, 28, v254
	s_waitcnt lgkmcnt(0)
	s_barrier
	s_and_saveexec_b64 s[2:3], vcc
	s_cbranch_execz .LBB83_144
; %bb.142:
	s_waitcnt vmcnt(17)
	ds_write_b64 v252, v[140:141]
	s_waitcnt vmcnt(15)
	ds_write2_b64 v253, v[98:99], v[138:139] offset0:29 offset1:30
	s_waitcnt vmcnt(13)
	ds_write2_b64 v253, v[96:97], v[136:137] offset0:31 offset1:32
	;; [unrolled: 2-line block ×6, first 2 shown]
	s_waitcnt vmcnt(4)
	ds_write_b64 v253, v[168:169] offset:328
	ds_read_b64 v[226:227], v252
	s_waitcnt lgkmcnt(0)
	v_cmp_neq_f64_e32 vcc, 0, v[226:227]
	s_and_b64 exec, exec, vcc
	s_cbranch_execz .LBB83_144
; %bb.143:
	v_div_scale_f64 v[170:171], s[6:7], v[226:227], v[226:227], 1.0
	v_rcp_f64_e32 v[172:173], v[170:171]
	v_div_scale_f64 v[228:229], vcc, 1.0, v[226:227], 1.0
	v_fma_f64 v[230:231], -v[170:171], v[172:173], 1.0
	v_fmac_f64_e32 v[172:173], v[172:173], v[230:231]
	v_fma_f64 v[230:231], -v[170:171], v[172:173], 1.0
	v_fmac_f64_e32 v[172:173], v[172:173], v[230:231]
	v_mul_f64 v[230:231], v[228:229], v[172:173]
	v_fma_f64 v[170:171], -v[170:171], v[230:231], v[228:229]
	v_div_fmas_f64 v[170:171], v[170:171], v[172:173], v[230:231]
	v_div_fixup_f64 v[170:171], v[170:171], v[226:227], 1.0
	ds_write_b64 v252, v[170:171]
.LBB83_144:
	s_or_b64 exec, exec, s[2:3]
	s_waitcnt lgkmcnt(0)
	s_barrier
	ds_read_b64 v[226:227], v252
	v_cmp_lt_u32_e32 vcc, 28, v254
	s_and_saveexec_b64 s[2:3], vcc
	s_cbranch_execz .LBB83_146
; %bb.145:
	ds_read2_b64 v[228:231], v253 offset0:29 offset1:30
	ds_read2_b64 v[232:235], v253 offset0:31 offset1:32
	;; [unrolled: 1-line block ×3, first 2 shown]
	s_waitcnt vmcnt(17) lgkmcnt(3)
	v_mul_f64 v[140:141], v[226:227], v[140:141]
	ds_read_b64 v[170:171], v253 offset:328
	s_waitcnt vmcnt(16) lgkmcnt(3)
	v_fma_f64 v[98:99], -v[140:141], v[228:229], v[98:99]
	s_waitcnt vmcnt(15)
	v_fma_f64 v[138:139], -v[140:141], v[230:231], v[138:139]
	ds_read2_b64 v[228:231], v253 offset0:35 offset1:36
	s_waitcnt vmcnt(14) lgkmcnt(3)
	v_fma_f64 v[96:97], -v[140:141], v[232:233], v[96:97]
	s_waitcnt vmcnt(13)
	v_fma_f64 v[136:137], -v[140:141], v[234:235], v[136:137]
	s_waitcnt vmcnt(12) lgkmcnt(2)
	v_fma_f64 v[94:95], -v[140:141], v[236:237], v[94:95]
	s_waitcnt vmcnt(11)
	v_fma_f64 v[134:135], -v[140:141], v[238:239], v[134:135]
	ds_read2_b64 v[232:235], v253 offset0:37 offset1:38
	ds_read2_b64 v[236:239], v253 offset0:39 offset1:40
	s_waitcnt vmcnt(10) lgkmcnt(2)
	v_fma_f64 v[92:93], -v[140:141], v[228:229], v[92:93]
	s_waitcnt vmcnt(9)
	v_fma_f64 v[132:133], -v[140:141], v[230:231], v[132:133]
	s_waitcnt vmcnt(4)
	v_fma_f64 v[168:169], -v[140:141], v[170:171], v[168:169]
	s_waitcnt lgkmcnt(1)
	v_fma_f64 v[90:91], -v[140:141], v[232:233], v[90:91]
	v_fma_f64 v[130:131], -v[140:141], v[234:235], v[130:131]
	s_waitcnt lgkmcnt(0)
	v_fma_f64 v[88:89], -v[140:141], v[236:237], v[88:89]
	v_fma_f64 v[128:129], -v[140:141], v[238:239], v[128:129]
.LBB83_146:
	s_or_b64 exec, exec, s[2:3]
	v_cmp_eq_u32_e32 vcc, 29, v254
	s_waitcnt lgkmcnt(0)
	s_barrier
	s_and_saveexec_b64 s[2:3], vcc
	s_cbranch_execz .LBB83_149
; %bb.147:
	s_waitcnt vmcnt(15)
	v_mov_b32_e32 v170, v138
	v_mov_b32_e32 v171, v139
	s_waitcnt vmcnt(14)
	v_mov_b32_e32 v172, v96
	v_mov_b32_e32 v173, v97
	ds_write_b64 v252, v[98:99]
	ds_write2_b64 v253, v[170:171], v[172:173] offset0:30 offset1:31
	s_waitcnt vmcnt(13)
	v_mov_b32_e32 v170, v136
	v_mov_b32_e32 v171, v137
	s_waitcnt vmcnt(12)
	v_mov_b32_e32 v172, v94
	v_mov_b32_e32 v173, v95
	ds_write2_b64 v253, v[170:171], v[172:173] offset0:32 offset1:33
	s_waitcnt vmcnt(11)
	v_mov_b32_e32 v170, v134
	v_mov_b32_e32 v171, v135
	s_waitcnt vmcnt(10)
	v_mov_b32_e32 v172, v92
	v_mov_b32_e32 v173, v93
	;; [unrolled: 7-line block ×4, first 2 shown]
	ds_write2_b64 v253, v[170:171], v[172:173] offset0:38 offset1:39
	s_waitcnt vmcnt(5)
	v_mov_b32_e32 v170, v128
	v_mov_b32_e32 v171, v129
	s_waitcnt vmcnt(4)
	ds_write2_b64 v253, v[170:171], v[168:169] offset0:40 offset1:41
	ds_read_b64 v[228:229], v252
	s_waitcnt lgkmcnt(0)
	v_cmp_neq_f64_e32 vcc, 0, v[228:229]
	s_and_b64 exec, exec, vcc
	s_cbranch_execz .LBB83_149
; %bb.148:
	v_div_scale_f64 v[170:171], s[6:7], v[228:229], v[228:229], 1.0
	v_rcp_f64_e32 v[172:173], v[170:171]
	v_div_scale_f64 v[230:231], vcc, 1.0, v[228:229], 1.0
	v_fma_f64 v[232:233], -v[170:171], v[172:173], 1.0
	v_fmac_f64_e32 v[172:173], v[172:173], v[232:233]
	v_fma_f64 v[232:233], -v[170:171], v[172:173], 1.0
	v_fmac_f64_e32 v[172:173], v[172:173], v[232:233]
	v_mul_f64 v[232:233], v[230:231], v[172:173]
	v_fma_f64 v[170:171], -v[170:171], v[232:233], v[230:231]
	v_div_fmas_f64 v[170:171], v[170:171], v[172:173], v[232:233]
	v_div_fixup_f64 v[170:171], v[170:171], v[228:229], 1.0
	ds_write_b64 v252, v[170:171]
.LBB83_149:
	s_or_b64 exec, exec, s[2:3]
	s_waitcnt lgkmcnt(0)
	s_barrier
	ds_read_b64 v[228:229], v252
	v_cmp_lt_u32_e32 vcc, 29, v254
	s_and_saveexec_b64 s[2:3], vcc
	s_cbranch_execz .LBB83_151
; %bb.150:
	ds_read2_b64 v[230:233], v253 offset0:30 offset1:31
	ds_read2_b64 v[234:237], v253 offset0:32 offset1:33
	;; [unrolled: 1-line block ×3, first 2 shown]
	s_waitcnt vmcnt(16) lgkmcnt(3)
	v_mul_f64 v[98:99], v[228:229], v[98:99]
	s_waitcnt vmcnt(15) lgkmcnt(2)
	v_fma_f64 v[138:139], -v[98:99], v[230:231], v[138:139]
	s_waitcnt vmcnt(14)
	v_fma_f64 v[96:97], -v[98:99], v[232:233], v[96:97]
	ds_read2_b64 v[230:233], v253 offset0:36 offset1:37
	s_waitcnt vmcnt(13) lgkmcnt(2)
	v_fma_f64 v[136:137], -v[98:99], v[234:235], v[136:137]
	s_waitcnt vmcnt(12)
	v_fma_f64 v[94:95], -v[98:99], v[236:237], v[94:95]
	s_waitcnt vmcnt(11) lgkmcnt(1)
	v_fma_f64 v[134:135], -v[98:99], v[238:239], v[134:135]
	ds_read2_b64 v[234:237], v253 offset0:38 offset1:39
	s_waitcnt vmcnt(10)
	v_fma_f64 v[92:93], -v[98:99], v[240:241], v[92:93]
	ds_read2_b64 v[238:241], v253 offset0:40 offset1:41
	s_waitcnt vmcnt(9) lgkmcnt(2)
	v_fma_f64 v[132:133], -v[98:99], v[230:231], v[132:133]
	s_waitcnt vmcnt(8)
	v_fma_f64 v[90:91], -v[98:99], v[232:233], v[90:91]
	s_waitcnt vmcnt(7) lgkmcnt(1)
	v_fma_f64 v[130:131], -v[98:99], v[234:235], v[130:131]
	s_waitcnt vmcnt(6)
	v_fma_f64 v[88:89], -v[98:99], v[236:237], v[88:89]
	;; [unrolled: 4-line block ×3, first 2 shown]
.LBB83_151:
	s_or_b64 exec, exec, s[2:3]
	v_cmp_eq_u32_e32 vcc, 30, v254
	s_waitcnt lgkmcnt(0)
	s_barrier
	s_and_saveexec_b64 s[2:3], vcc
	s_cbranch_execz .LBB83_154
; %bb.152:
	s_waitcnt vmcnt(15)
	ds_write_b64 v252, v[138:139]
	s_waitcnt vmcnt(13)
	ds_write2_b64 v253, v[96:97], v[136:137] offset0:31 offset1:32
	s_waitcnt vmcnt(11)
	ds_write2_b64 v253, v[94:95], v[134:135] offset0:33 offset1:34
	;; [unrolled: 2-line block ×5, first 2 shown]
	s_waitcnt vmcnt(4)
	ds_write_b64 v253, v[168:169] offset:328
	ds_read_b64 v[230:231], v252
	s_waitcnt lgkmcnt(0)
	v_cmp_neq_f64_e32 vcc, 0, v[230:231]
	s_and_b64 exec, exec, vcc
	s_cbranch_execz .LBB83_154
; %bb.153:
	v_div_scale_f64 v[170:171], s[6:7], v[230:231], v[230:231], 1.0
	v_rcp_f64_e32 v[172:173], v[170:171]
	v_div_scale_f64 v[232:233], vcc, 1.0, v[230:231], 1.0
	v_fma_f64 v[234:235], -v[170:171], v[172:173], 1.0
	v_fmac_f64_e32 v[172:173], v[172:173], v[234:235]
	v_fma_f64 v[234:235], -v[170:171], v[172:173], 1.0
	v_fmac_f64_e32 v[172:173], v[172:173], v[234:235]
	v_mul_f64 v[234:235], v[232:233], v[172:173]
	v_fma_f64 v[170:171], -v[170:171], v[234:235], v[232:233]
	v_div_fmas_f64 v[170:171], v[170:171], v[172:173], v[234:235]
	v_div_fixup_f64 v[170:171], v[170:171], v[230:231], 1.0
	ds_write_b64 v252, v[170:171]
.LBB83_154:
	s_or_b64 exec, exec, s[2:3]
	s_waitcnt lgkmcnt(0)
	s_barrier
	ds_read_b64 v[230:231], v252
	v_cmp_lt_u32_e32 vcc, 30, v254
	s_and_saveexec_b64 s[2:3], vcc
	s_cbranch_execz .LBB83_156
; %bb.155:
	ds_read2_b64 v[232:235], v253 offset0:31 offset1:32
	ds_read2_b64 v[236:239], v253 offset0:33 offset1:34
	s_waitcnt vmcnt(15) lgkmcnt(2)
	v_mul_f64 v[138:139], v[230:231], v[138:139]
	ds_read2_b64 v[240:243], v253 offset0:35 offset1:36
	ds_read_b64 v[170:171], v253 offset:328
	s_waitcnt vmcnt(14) lgkmcnt(3)
	v_fma_f64 v[96:97], -v[138:139], v[232:233], v[96:97]
	s_waitcnt vmcnt(13)
	v_fma_f64 v[136:137], -v[138:139], v[234:235], v[136:137]
	ds_read2_b64 v[232:235], v253 offset0:37 offset1:38
	s_waitcnt vmcnt(12) lgkmcnt(3)
	v_fma_f64 v[94:95], -v[138:139], v[236:237], v[94:95]
	s_waitcnt vmcnt(11)
	v_fma_f64 v[134:135], -v[138:139], v[238:239], v[134:135]
	ds_read2_b64 v[236:239], v253 offset0:39 offset1:40
	s_waitcnt vmcnt(10) lgkmcnt(3)
	v_fma_f64 v[92:93], -v[138:139], v[240:241], v[92:93]
	s_waitcnt vmcnt(9)
	v_fma_f64 v[132:133], -v[138:139], v[242:243], v[132:133]
	s_waitcnt vmcnt(8) lgkmcnt(1)
	v_fma_f64 v[90:91], -v[138:139], v[232:233], v[90:91]
	s_waitcnt vmcnt(7)
	v_fma_f64 v[130:131], -v[138:139], v[234:235], v[130:131]
	s_waitcnt vmcnt(6) lgkmcnt(0)
	v_fma_f64 v[88:89], -v[138:139], v[236:237], v[88:89]
	s_waitcnt vmcnt(5)
	v_fma_f64 v[128:129], -v[138:139], v[238:239], v[128:129]
	s_waitcnt vmcnt(4)
	v_fma_f64 v[168:169], -v[138:139], v[170:171], v[168:169]
.LBB83_156:
	s_or_b64 exec, exec, s[2:3]
	v_cmp_eq_u32_e32 vcc, 31, v254
	s_waitcnt lgkmcnt(0)
	s_barrier
	s_and_saveexec_b64 s[2:3], vcc
	s_cbranch_execz .LBB83_159
; %bb.157:
	s_waitcnt vmcnt(13)
	v_mov_b32_e32 v170, v136
	v_mov_b32_e32 v171, v137
	s_waitcnt vmcnt(12)
	v_mov_b32_e32 v172, v94
	v_mov_b32_e32 v173, v95
	ds_write_b64 v252, v[96:97]
	ds_write2_b64 v253, v[170:171], v[172:173] offset0:32 offset1:33
	s_waitcnt vmcnt(11)
	v_mov_b32_e32 v170, v134
	v_mov_b32_e32 v171, v135
	s_waitcnt vmcnt(10)
	v_mov_b32_e32 v172, v92
	v_mov_b32_e32 v173, v93
	ds_write2_b64 v253, v[170:171], v[172:173] offset0:34 offset1:35
	s_waitcnt vmcnt(9)
	v_mov_b32_e32 v170, v132
	v_mov_b32_e32 v171, v133
	s_waitcnt vmcnt(8)
	v_mov_b32_e32 v172, v90
	v_mov_b32_e32 v173, v91
	;; [unrolled: 7-line block ×3, first 2 shown]
	ds_write2_b64 v253, v[170:171], v[172:173] offset0:38 offset1:39
	s_waitcnt vmcnt(5)
	v_mov_b32_e32 v170, v128
	v_mov_b32_e32 v171, v129
	s_waitcnt vmcnt(4)
	ds_write2_b64 v253, v[170:171], v[168:169] offset0:40 offset1:41
	ds_read_b64 v[232:233], v252
	s_waitcnt lgkmcnt(0)
	v_cmp_neq_f64_e32 vcc, 0, v[232:233]
	s_and_b64 exec, exec, vcc
	s_cbranch_execz .LBB83_159
; %bb.158:
	v_div_scale_f64 v[170:171], s[6:7], v[232:233], v[232:233], 1.0
	v_rcp_f64_e32 v[172:173], v[170:171]
	v_div_scale_f64 v[234:235], vcc, 1.0, v[232:233], 1.0
	v_fma_f64 v[236:237], -v[170:171], v[172:173], 1.0
	v_fmac_f64_e32 v[172:173], v[172:173], v[236:237]
	v_fma_f64 v[236:237], -v[170:171], v[172:173], 1.0
	v_fmac_f64_e32 v[172:173], v[172:173], v[236:237]
	v_mul_f64 v[236:237], v[234:235], v[172:173]
	v_fma_f64 v[170:171], -v[170:171], v[236:237], v[234:235]
	v_div_fmas_f64 v[170:171], v[170:171], v[172:173], v[236:237]
	v_div_fixup_f64 v[170:171], v[170:171], v[232:233], 1.0
	ds_write_b64 v252, v[170:171]
.LBB83_159:
	s_or_b64 exec, exec, s[2:3]
	s_waitcnt lgkmcnt(0)
	s_barrier
	ds_read_b64 v[232:233], v252
	v_cmp_lt_u32_e32 vcc, 31, v254
	s_and_saveexec_b64 s[2:3], vcc
	s_cbranch_execz .LBB83_161
; %bb.160:
	ds_read2_b64 v[234:237], v253 offset0:32 offset1:33
	ds_read2_b64 v[238:241], v253 offset0:34 offset1:35
	s_waitcnt vmcnt(14) lgkmcnt(2)
	v_mul_f64 v[96:97], v[232:233], v[96:97]
	ds_read2_b64 v[242:245], v253 offset0:38 offset1:39
	s_waitcnt vmcnt(13) lgkmcnt(2)
	v_fma_f64 v[136:137], -v[96:97], v[234:235], v[136:137]
	s_waitcnt vmcnt(12)
	v_fma_f64 v[94:95], -v[96:97], v[236:237], v[94:95]
	ds_read2_b64 v[234:237], v253 offset0:36 offset1:37
	s_waitcnt vmcnt(11) lgkmcnt(2)
	v_fma_f64 v[134:135], -v[96:97], v[238:239], v[134:135]
	s_waitcnt vmcnt(10)
	v_fma_f64 v[92:93], -v[96:97], v[240:241], v[92:93]
	ds_read2_b64 v[238:241], v253 offset0:40 offset1:41
	s_waitcnt vmcnt(7) lgkmcnt(2)
	v_fma_f64 v[130:131], -v[96:97], v[242:243], v[130:131]
	s_waitcnt lgkmcnt(1)
	v_fma_f64 v[132:133], -v[96:97], v[234:235], v[132:133]
	v_fma_f64 v[90:91], -v[96:97], v[236:237], v[90:91]
	s_waitcnt vmcnt(6)
	v_fma_f64 v[88:89], -v[96:97], v[244:245], v[88:89]
	s_waitcnt vmcnt(5) lgkmcnt(0)
	v_fma_f64 v[128:129], -v[96:97], v[238:239], v[128:129]
	s_waitcnt vmcnt(4)
	v_fma_f64 v[168:169], -v[96:97], v[240:241], v[168:169]
.LBB83_161:
	s_or_b64 exec, exec, s[2:3]
	v_cmp_eq_u32_e32 vcc, 32, v254
	s_waitcnt lgkmcnt(0)
	s_barrier
	s_and_saveexec_b64 s[2:3], vcc
	s_cbranch_execz .LBB83_164
; %bb.162:
	s_waitcnt vmcnt(13)
	ds_write_b64 v252, v[136:137]
	s_waitcnt vmcnt(11)
	ds_write2_b64 v253, v[94:95], v[134:135] offset0:33 offset1:34
	s_waitcnt vmcnt(9)
	ds_write2_b64 v253, v[92:93], v[132:133] offset0:35 offset1:36
	;; [unrolled: 2-line block ×4, first 2 shown]
	s_waitcnt vmcnt(4)
	ds_write_b64 v253, v[168:169] offset:328
	ds_read_b64 v[234:235], v252
	s_waitcnt lgkmcnt(0)
	v_cmp_neq_f64_e32 vcc, 0, v[234:235]
	s_and_b64 exec, exec, vcc
	s_cbranch_execz .LBB83_164
; %bb.163:
	v_div_scale_f64 v[170:171], s[6:7], v[234:235], v[234:235], 1.0
	v_rcp_f64_e32 v[172:173], v[170:171]
	v_div_scale_f64 v[236:237], vcc, 1.0, v[234:235], 1.0
	v_fma_f64 v[238:239], -v[170:171], v[172:173], 1.0
	v_fmac_f64_e32 v[172:173], v[172:173], v[238:239]
	v_fma_f64 v[238:239], -v[170:171], v[172:173], 1.0
	v_fmac_f64_e32 v[172:173], v[172:173], v[238:239]
	v_mul_f64 v[238:239], v[236:237], v[172:173]
	v_fma_f64 v[170:171], -v[170:171], v[238:239], v[236:237]
	v_div_fmas_f64 v[170:171], v[170:171], v[172:173], v[238:239]
	v_div_fixup_f64 v[170:171], v[170:171], v[234:235], 1.0
	ds_write_b64 v252, v[170:171]
.LBB83_164:
	s_or_b64 exec, exec, s[2:3]
	s_waitcnt lgkmcnt(0)
	s_barrier
	ds_read_b64 v[234:235], v252
	v_cmp_lt_u32_e32 vcc, 32, v254
	s_and_saveexec_b64 s[2:3], vcc
	s_cbranch_execz .LBB83_166
; %bb.165:
	ds_read2_b64 v[236:239], v253 offset0:33 offset1:34
	ds_read2_b64 v[240:243], v253 offset0:35 offset1:36
	s_waitcnt vmcnt(13) lgkmcnt(2)
	v_mul_f64 v[136:137], v[234:235], v[136:137]
	ds_read_b64 v[170:171], v253 offset:328
	ds_read2_b64 v[244:247], v253 offset0:39 offset1:40
	s_waitcnt vmcnt(12) lgkmcnt(3)
	v_fma_f64 v[94:95], -v[136:137], v[236:237], v[94:95]
	s_waitcnt vmcnt(11)
	v_fma_f64 v[134:135], -v[136:137], v[238:239], v[134:135]
	ds_read2_b64 v[236:239], v253 offset0:37 offset1:38
	s_waitcnt vmcnt(10) lgkmcnt(3)
	v_fma_f64 v[92:93], -v[136:137], v[240:241], v[92:93]
	s_waitcnt vmcnt(9)
	v_fma_f64 v[132:133], -v[136:137], v[242:243], v[132:133]
	s_waitcnt vmcnt(6) lgkmcnt(1)
	v_fma_f64 v[88:89], -v[136:137], v[244:245], v[88:89]
	s_waitcnt vmcnt(5)
	v_fma_f64 v[128:129], -v[136:137], v[246:247], v[128:129]
	s_waitcnt lgkmcnt(0)
	v_fma_f64 v[90:91], -v[136:137], v[236:237], v[90:91]
	v_fma_f64 v[130:131], -v[136:137], v[238:239], v[130:131]
	s_waitcnt vmcnt(4)
	v_fma_f64 v[168:169], -v[136:137], v[170:171], v[168:169]
.LBB83_166:
	s_or_b64 exec, exec, s[2:3]
	v_cmp_eq_u32_e32 vcc, 33, v254
	s_waitcnt lgkmcnt(0)
	s_barrier
	s_and_saveexec_b64 s[2:3], vcc
	s_cbranch_execz .LBB83_169
; %bb.167:
	s_waitcnt vmcnt(11)
	v_mov_b32_e32 v170, v134
	v_mov_b32_e32 v171, v135
	s_waitcnt vmcnt(10)
	v_mov_b32_e32 v172, v92
	v_mov_b32_e32 v173, v93
	ds_write_b64 v252, v[94:95]
	ds_write2_b64 v253, v[170:171], v[172:173] offset0:34 offset1:35
	s_waitcnt vmcnt(9)
	v_mov_b32_e32 v170, v132
	v_mov_b32_e32 v171, v133
	s_waitcnt vmcnt(8)
	v_mov_b32_e32 v172, v90
	v_mov_b32_e32 v173, v91
	ds_write2_b64 v253, v[170:171], v[172:173] offset0:36 offset1:37
	s_waitcnt vmcnt(7)
	v_mov_b32_e32 v170, v130
	v_mov_b32_e32 v171, v131
	s_waitcnt vmcnt(6)
	v_mov_b32_e32 v172, v88
	v_mov_b32_e32 v173, v89
	ds_write2_b64 v253, v[170:171], v[172:173] offset0:38 offset1:39
	s_waitcnt vmcnt(5)
	v_mov_b32_e32 v170, v128
	v_mov_b32_e32 v171, v129
	s_waitcnt vmcnt(4)
	ds_write2_b64 v253, v[170:171], v[168:169] offset0:40 offset1:41
	ds_read_b64 v[236:237], v252
	s_waitcnt lgkmcnt(0)
	v_cmp_neq_f64_e32 vcc, 0, v[236:237]
	s_and_b64 exec, exec, vcc
	s_cbranch_execz .LBB83_169
; %bb.168:
	v_div_scale_f64 v[170:171], s[6:7], v[236:237], v[236:237], 1.0
	v_rcp_f64_e32 v[172:173], v[170:171]
	v_div_scale_f64 v[238:239], vcc, 1.0, v[236:237], 1.0
	v_fma_f64 v[240:241], -v[170:171], v[172:173], 1.0
	v_fmac_f64_e32 v[172:173], v[172:173], v[240:241]
	v_fma_f64 v[240:241], -v[170:171], v[172:173], 1.0
	v_fmac_f64_e32 v[172:173], v[172:173], v[240:241]
	v_mul_f64 v[240:241], v[238:239], v[172:173]
	v_fma_f64 v[170:171], -v[170:171], v[240:241], v[238:239]
	v_div_fmas_f64 v[170:171], v[170:171], v[172:173], v[240:241]
	v_div_fixup_f64 v[170:171], v[170:171], v[236:237], 1.0
	ds_write_b64 v252, v[170:171]
.LBB83_169:
	s_or_b64 exec, exec, s[2:3]
	s_waitcnt lgkmcnt(0)
	s_barrier
	ds_read_b64 v[236:237], v252
	v_cmp_lt_u32_e32 vcc, 33, v254
	s_and_saveexec_b64 s[2:3], vcc
	s_cbranch_execz .LBB83_171
; %bb.170:
	ds_read2_b64 v[238:241], v253 offset0:34 offset1:35
	ds_read2_b64 v[242:245], v253 offset0:36 offset1:37
	s_waitcnt vmcnt(12) lgkmcnt(2)
	v_mul_f64 v[94:95], v[236:237], v[94:95]
	ds_read2_b64 v[246:249], v253 offset0:38 offset1:39
	s_waitcnt vmcnt(11) lgkmcnt(2)
	v_fma_f64 v[134:135], -v[94:95], v[238:239], v[134:135]
	s_waitcnt vmcnt(10)
	v_fma_f64 v[92:93], -v[94:95], v[240:241], v[92:93]
	ds_read2_b64 v[238:241], v253 offset0:40 offset1:41
	s_waitcnt vmcnt(9) lgkmcnt(2)
	v_fma_f64 v[132:133], -v[94:95], v[242:243], v[132:133]
	s_waitcnt vmcnt(8)
	v_fma_f64 v[90:91], -v[94:95], v[244:245], v[90:91]
	s_waitcnt vmcnt(7) lgkmcnt(1)
	v_fma_f64 v[130:131], -v[94:95], v[246:247], v[130:131]
	s_waitcnt vmcnt(6)
	v_fma_f64 v[88:89], -v[94:95], v[248:249], v[88:89]
	;; [unrolled: 4-line block ×3, first 2 shown]
.LBB83_171:
	s_or_b64 exec, exec, s[2:3]
	v_cmp_eq_u32_e32 vcc, 34, v254
	s_waitcnt lgkmcnt(0)
	s_barrier
	s_and_saveexec_b64 s[2:3], vcc
	s_cbranch_execz .LBB83_174
; %bb.172:
	s_waitcnt vmcnt(11)
	ds_write_b64 v252, v[134:135]
	s_waitcnt vmcnt(9)
	ds_write2_b64 v253, v[92:93], v[132:133] offset0:35 offset1:36
	s_waitcnt vmcnt(7)
	ds_write2_b64 v253, v[90:91], v[130:131] offset0:37 offset1:38
	;; [unrolled: 2-line block ×3, first 2 shown]
	s_waitcnt vmcnt(4)
	ds_write_b64 v253, v[168:169] offset:328
	ds_read_b64 v[238:239], v252
	s_waitcnt lgkmcnt(0)
	v_cmp_neq_f64_e32 vcc, 0, v[238:239]
	s_and_b64 exec, exec, vcc
	s_cbranch_execz .LBB83_174
; %bb.173:
	v_div_scale_f64 v[170:171], s[6:7], v[238:239], v[238:239], 1.0
	v_rcp_f64_e32 v[172:173], v[170:171]
	v_div_scale_f64 v[240:241], vcc, 1.0, v[238:239], 1.0
	v_fma_f64 v[242:243], -v[170:171], v[172:173], 1.0
	v_fmac_f64_e32 v[172:173], v[172:173], v[242:243]
	v_fma_f64 v[242:243], -v[170:171], v[172:173], 1.0
	v_fmac_f64_e32 v[172:173], v[172:173], v[242:243]
	v_mul_f64 v[242:243], v[240:241], v[172:173]
	v_fma_f64 v[170:171], -v[170:171], v[242:243], v[240:241]
	v_div_fmas_f64 v[170:171], v[170:171], v[172:173], v[242:243]
	v_div_fixup_f64 v[170:171], v[170:171], v[238:239], 1.0
	ds_write_b64 v252, v[170:171]
.LBB83_174:
	s_or_b64 exec, exec, s[2:3]
	s_waitcnt lgkmcnt(0)
	s_barrier
	ds_read_b64 v[238:239], v252
	v_cmp_lt_u32_e32 vcc, 34, v254
	s_and_saveexec_b64 s[2:3], vcc
	s_cbranch_execz .LBB83_176
; %bb.175:
	ds_read2_b64 v[240:243], v253 offset0:35 offset1:36
	ds_read2_b64 v[244:247], v253 offset0:37 offset1:38
	;; [unrolled: 1-line block ×3, first 2 shown]
	ds_read_b64 v[170:171], v253 offset:328
	s_waitcnt vmcnt(11) lgkmcnt(4)
	v_mul_f64 v[134:135], v[238:239], v[134:135]
	s_waitcnt vmcnt(10) lgkmcnt(3)
	v_fma_f64 v[92:93], -v[134:135], v[240:241], v[92:93]
	s_waitcnt vmcnt(9)
	v_fma_f64 v[132:133], -v[134:135], v[242:243], v[132:133]
	s_waitcnt vmcnt(8) lgkmcnt(2)
	v_fma_f64 v[90:91], -v[134:135], v[244:245], v[90:91]
	s_waitcnt vmcnt(7)
	v_fma_f64 v[130:131], -v[134:135], v[246:247], v[130:131]
	s_waitcnt vmcnt(6) lgkmcnt(1)
	v_fma_f64 v[88:89], -v[134:135], v[248:249], v[88:89]
	s_waitcnt vmcnt(5)
	v_fma_f64 v[128:129], -v[134:135], v[250:251], v[128:129]
	s_waitcnt vmcnt(4) lgkmcnt(0)
	v_fma_f64 v[168:169], -v[134:135], v[170:171], v[168:169]
.LBB83_176:
	s_or_b64 exec, exec, s[2:3]
	v_cmp_eq_u32_e32 vcc, 35, v254
	s_waitcnt lgkmcnt(0)
	s_barrier
	s_and_saveexec_b64 s[2:3], vcc
	s_cbranch_execz .LBB83_179
; %bb.177:
	s_waitcnt vmcnt(9)
	v_mov_b32_e32 v170, v132
	v_mov_b32_e32 v171, v133
	s_waitcnt vmcnt(8)
	v_mov_b32_e32 v172, v90
	v_mov_b32_e32 v173, v91
	ds_write_b64 v252, v[92:93]
	ds_write2_b64 v253, v[170:171], v[172:173] offset0:36 offset1:37
	s_waitcnt vmcnt(7)
	v_mov_b32_e32 v170, v130
	v_mov_b32_e32 v171, v131
	s_waitcnt vmcnt(6)
	v_mov_b32_e32 v172, v88
	v_mov_b32_e32 v173, v89
	ds_write2_b64 v253, v[170:171], v[172:173] offset0:38 offset1:39
	s_waitcnt vmcnt(5)
	v_mov_b32_e32 v170, v128
	v_mov_b32_e32 v171, v129
	s_waitcnt vmcnt(4)
	ds_write2_b64 v253, v[170:171], v[168:169] offset0:40 offset1:41
	ds_read_b64 v[240:241], v252
	s_waitcnt lgkmcnt(0)
	v_cmp_neq_f64_e32 vcc, 0, v[240:241]
	s_and_b64 exec, exec, vcc
	s_cbranch_execz .LBB83_179
; %bb.178:
	v_div_scale_f64 v[170:171], s[6:7], v[240:241], v[240:241], 1.0
	v_rcp_f64_e32 v[172:173], v[170:171]
	v_div_scale_f64 v[242:243], vcc, 1.0, v[240:241], 1.0
	v_fma_f64 v[244:245], -v[170:171], v[172:173], 1.0
	v_fmac_f64_e32 v[172:173], v[172:173], v[244:245]
	v_fma_f64 v[244:245], -v[170:171], v[172:173], 1.0
	v_fmac_f64_e32 v[172:173], v[172:173], v[244:245]
	v_mul_f64 v[244:245], v[242:243], v[172:173]
	v_fma_f64 v[170:171], -v[170:171], v[244:245], v[242:243]
	v_div_fmas_f64 v[170:171], v[170:171], v[172:173], v[244:245]
	v_div_fixup_f64 v[170:171], v[170:171], v[240:241], 1.0
	ds_write_b64 v252, v[170:171]
.LBB83_179:
	s_or_b64 exec, exec, s[2:3]
	s_waitcnt lgkmcnt(0)
	s_barrier
	ds_read_b64 v[240:241], v252
	v_cmp_lt_u32_e32 vcc, 35, v254
	s_and_saveexec_b64 s[2:3], vcc
	s_cbranch_execz .LBB83_181
; %bb.180:
	ds_read2_b64 v[242:245], v253 offset0:36 offset1:37
	s_waitcnt vmcnt(10) lgkmcnt(1)
	v_mul_f64 v[92:93], v[240:241], v[92:93]
	s_waitcnt vmcnt(9) lgkmcnt(0)
	v_fma_f64 v[132:133], -v[92:93], v[242:243], v[132:133]
	s_waitcnt vmcnt(8)
	v_fma_f64 v[90:91], -v[92:93], v[244:245], v[90:91]
	ds_read2_b64 v[242:245], v253 offset0:38 offset1:39
	s_waitcnt vmcnt(7) lgkmcnt(0)
	v_fma_f64 v[130:131], -v[92:93], v[242:243], v[130:131]
	s_waitcnt vmcnt(6)
	v_fma_f64 v[88:89], -v[92:93], v[244:245], v[88:89]
	ds_read2_b64 v[242:245], v253 offset0:40 offset1:41
	s_waitcnt vmcnt(5) lgkmcnt(0)
	v_fma_f64 v[128:129], -v[92:93], v[242:243], v[128:129]
	s_waitcnt vmcnt(4)
	v_fma_f64 v[168:169], -v[92:93], v[244:245], v[168:169]
.LBB83_181:
	s_or_b64 exec, exec, s[2:3]
	v_cmp_eq_u32_e32 vcc, 36, v254
	s_waitcnt lgkmcnt(0)
	s_barrier
	s_and_saveexec_b64 s[2:3], vcc
	s_cbranch_execz .LBB83_184
; %bb.182:
	s_waitcnt vmcnt(9)
	ds_write_b64 v252, v[132:133]
	s_waitcnt vmcnt(7)
	ds_write2_b64 v253, v[90:91], v[130:131] offset0:37 offset1:38
	s_waitcnt vmcnt(5)
	ds_write2_b64 v253, v[88:89], v[128:129] offset0:39 offset1:40
	s_waitcnt vmcnt(4)
	ds_write_b64 v253, v[168:169] offset:328
	ds_read_b64 v[242:243], v252
	s_waitcnt lgkmcnt(0)
	v_cmp_neq_f64_e32 vcc, 0, v[242:243]
	s_and_b64 exec, exec, vcc
	s_cbranch_execz .LBB83_184
; %bb.183:
	v_div_scale_f64 v[170:171], s[6:7], v[242:243], v[242:243], 1.0
	v_rcp_f64_e32 v[172:173], v[170:171]
	v_div_scale_f64 v[244:245], vcc, 1.0, v[242:243], 1.0
	v_fma_f64 v[246:247], -v[170:171], v[172:173], 1.0
	v_fmac_f64_e32 v[172:173], v[172:173], v[246:247]
	v_fma_f64 v[246:247], -v[170:171], v[172:173], 1.0
	v_fmac_f64_e32 v[172:173], v[172:173], v[246:247]
	v_mul_f64 v[246:247], v[244:245], v[172:173]
	v_fma_f64 v[170:171], -v[170:171], v[246:247], v[244:245]
	v_div_fmas_f64 v[170:171], v[170:171], v[172:173], v[246:247]
	v_div_fixup_f64 v[170:171], v[170:171], v[242:243], 1.0
	ds_write_b64 v252, v[170:171]
.LBB83_184:
	s_or_b64 exec, exec, s[2:3]
	s_waitcnt lgkmcnt(0)
	s_barrier
	ds_read_b64 v[242:243], v252
	v_cmp_lt_u32_e32 vcc, 36, v254
	s_and_saveexec_b64 s[2:3], vcc
	s_cbranch_execz .LBB83_186
; %bb.185:
	ds_read2_b64 v[244:247], v253 offset0:37 offset1:38
	ds_read_b64 v[170:171], v253 offset:328
	s_waitcnt vmcnt(9) lgkmcnt(2)
	v_mul_f64 v[132:133], v[242:243], v[132:133]
	s_waitcnt vmcnt(8) lgkmcnt(1)
	v_fma_f64 v[90:91], -v[132:133], v[244:245], v[90:91]
	s_waitcnt vmcnt(7)
	v_fma_f64 v[130:131], -v[132:133], v[246:247], v[130:131]
	ds_read2_b64 v[244:247], v253 offset0:39 offset1:40
	s_waitcnt vmcnt(4) lgkmcnt(1)
	v_fma_f64 v[168:169], -v[132:133], v[170:171], v[168:169]
	s_waitcnt lgkmcnt(0)
	v_fma_f64 v[88:89], -v[132:133], v[244:245], v[88:89]
	v_fma_f64 v[128:129], -v[132:133], v[246:247], v[128:129]
.LBB83_186:
	s_or_b64 exec, exec, s[2:3]
	v_cmp_eq_u32_e32 vcc, 37, v254
	s_waitcnt lgkmcnt(0)
	s_barrier
	s_and_saveexec_b64 s[2:3], vcc
	s_cbranch_execz .LBB83_189
; %bb.187:
	s_waitcnt vmcnt(7)
	v_mov_b32_e32 v170, v130
	v_mov_b32_e32 v171, v131
	s_waitcnt vmcnt(6)
	v_mov_b32_e32 v172, v88
	v_mov_b32_e32 v173, v89
	ds_write_b64 v252, v[90:91]
	ds_write2_b64 v253, v[170:171], v[172:173] offset0:38 offset1:39
	s_waitcnt vmcnt(5)
	v_mov_b32_e32 v170, v128
	v_mov_b32_e32 v171, v129
	s_waitcnt vmcnt(4)
	ds_write2_b64 v253, v[170:171], v[168:169] offset0:40 offset1:41
	ds_read_b64 v[244:245], v252
	s_waitcnt lgkmcnt(0)
	v_cmp_neq_f64_e32 vcc, 0, v[244:245]
	s_and_b64 exec, exec, vcc
	s_cbranch_execz .LBB83_189
; %bb.188:
	v_div_scale_f64 v[170:171], s[6:7], v[244:245], v[244:245], 1.0
	v_rcp_f64_e32 v[172:173], v[170:171]
	v_div_scale_f64 v[246:247], vcc, 1.0, v[244:245], 1.0
	v_fma_f64 v[248:249], -v[170:171], v[172:173], 1.0
	v_fmac_f64_e32 v[172:173], v[172:173], v[248:249]
	v_fma_f64 v[248:249], -v[170:171], v[172:173], 1.0
	v_fmac_f64_e32 v[172:173], v[172:173], v[248:249]
	v_mul_f64 v[248:249], v[246:247], v[172:173]
	v_fma_f64 v[170:171], -v[170:171], v[248:249], v[246:247]
	v_div_fmas_f64 v[170:171], v[170:171], v[172:173], v[248:249]
	v_div_fixup_f64 v[170:171], v[170:171], v[244:245], 1.0
	ds_write_b64 v252, v[170:171]
.LBB83_189:
	s_or_b64 exec, exec, s[2:3]
	s_waitcnt lgkmcnt(0)
	s_barrier
	ds_read_b64 v[244:245], v252
	v_cmp_lt_u32_e32 vcc, 37, v254
	s_and_saveexec_b64 s[2:3], vcc
	s_cbranch_execz .LBB83_191
; %bb.190:
	ds_read2_b64 v[246:249], v253 offset0:38 offset1:39
	s_waitcnt vmcnt(8) lgkmcnt(1)
	v_mul_f64 v[90:91], v[244:245], v[90:91]
	s_waitcnt vmcnt(7) lgkmcnt(0)
	v_fma_f64 v[130:131], -v[90:91], v[246:247], v[130:131]
	s_waitcnt vmcnt(6)
	v_fma_f64 v[88:89], -v[90:91], v[248:249], v[88:89]
	ds_read2_b64 v[246:249], v253 offset0:40 offset1:41
	s_waitcnt vmcnt(5) lgkmcnt(0)
	v_fma_f64 v[128:129], -v[90:91], v[246:247], v[128:129]
	s_waitcnt vmcnt(4)
	v_fma_f64 v[168:169], -v[90:91], v[248:249], v[168:169]
.LBB83_191:
	s_or_b64 exec, exec, s[2:3]
	v_cmp_eq_u32_e32 vcc, 38, v254
	s_waitcnt lgkmcnt(0)
	s_barrier
	s_and_saveexec_b64 s[2:3], vcc
	s_cbranch_execz .LBB83_194
; %bb.192:
	s_waitcnt vmcnt(7)
	ds_write_b64 v252, v[130:131]
	s_waitcnt vmcnt(5)
	ds_write2_b64 v253, v[88:89], v[128:129] offset0:39 offset1:40
	s_waitcnt vmcnt(4)
	ds_write_b64 v253, v[168:169] offset:328
	ds_read_b64 v[246:247], v252
	s_waitcnt lgkmcnt(0)
	v_cmp_neq_f64_e32 vcc, 0, v[246:247]
	s_and_b64 exec, exec, vcc
	s_cbranch_execz .LBB83_194
; %bb.193:
	v_div_scale_f64 v[170:171], s[6:7], v[246:247], v[246:247], 1.0
	v_rcp_f64_e32 v[172:173], v[170:171]
	v_div_scale_f64 v[248:249], vcc, 1.0, v[246:247], 1.0
	v_fma_f64 v[250:251], -v[170:171], v[172:173], 1.0
	v_fmac_f64_e32 v[172:173], v[172:173], v[250:251]
	v_fma_f64 v[250:251], -v[170:171], v[172:173], 1.0
	v_fmac_f64_e32 v[172:173], v[172:173], v[250:251]
	v_mul_f64 v[250:251], v[248:249], v[172:173]
	v_fma_f64 v[170:171], -v[170:171], v[250:251], v[248:249]
	v_div_fmas_f64 v[170:171], v[170:171], v[172:173], v[250:251]
	v_div_fixup_f64 v[170:171], v[170:171], v[246:247], 1.0
	ds_write_b64 v252, v[170:171]
.LBB83_194:
	s_or_b64 exec, exec, s[2:3]
	s_waitcnt lgkmcnt(0)
	s_barrier
	ds_read_b64 v[246:247], v252
	v_cmp_lt_u32_e32 vcc, 38, v254
	s_and_saveexec_b64 s[2:3], vcc
	s_cbranch_execz .LBB83_196
; %bb.195:
	ds_read2_b64 v[248:251], v253 offset0:39 offset1:40
	ds_read_b64 v[170:171], v253 offset:328
	s_waitcnt vmcnt(7) lgkmcnt(2)
	v_mul_f64 v[130:131], v[246:247], v[130:131]
	s_waitcnt vmcnt(6) lgkmcnt(1)
	v_fma_f64 v[88:89], -v[130:131], v[248:249], v[88:89]
	s_waitcnt vmcnt(5)
	v_fma_f64 v[128:129], -v[130:131], v[250:251], v[128:129]
	s_waitcnt vmcnt(4) lgkmcnt(0)
	v_fma_f64 v[168:169], -v[130:131], v[170:171], v[168:169]
.LBB83_196:
	s_or_b64 exec, exec, s[2:3]
	v_cmp_eq_u32_e32 vcc, 39, v254
	s_waitcnt lgkmcnt(0)
	s_barrier
	s_and_saveexec_b64 s[2:3], vcc
	s_cbranch_execz .LBB83_199
; %bb.197:
	s_waitcnt vmcnt(5)
	v_mov_b32_e32 v170, v128
	v_mov_b32_e32 v171, v129
	ds_write_b64 v252, v[88:89]
	s_waitcnt vmcnt(4)
	ds_write2_b64 v253, v[170:171], v[168:169] offset0:40 offset1:41
	ds_read_b64 v[248:249], v252
	s_waitcnt lgkmcnt(0)
	v_cmp_neq_f64_e32 vcc, 0, v[248:249]
	s_and_b64 exec, exec, vcc
	s_cbranch_execz .LBB83_199
; %bb.198:
	v_div_scale_f64 v[170:171], s[6:7], v[248:249], v[248:249], 1.0
	v_rcp_f64_e32 v[172:173], v[170:171]
	v_pk_mov_b32 v[200:201], v[198:199], v[198:199] op_sel:[0,1]
	v_pk_mov_b32 v[198:199], v[196:197], v[196:197] op_sel:[0,1]
	;; [unrolled: 1-line block ×14, first 2 shown]
	v_fma_f64 v[174:175], -v[170:171], v[172:173], 1.0
	v_fmac_f64_e32 v[172:173], v[172:173], v[174:175]
	v_fma_f64 v[174:175], -v[170:171], v[172:173], 1.0
	v_div_scale_f64 v[250:251], vcc, 1.0, v[248:249], 1.0
	v_fmac_f64_e32 v[172:173], v[172:173], v[174:175]
	v_mul_f64 v[174:175], v[250:251], v[172:173]
	v_fma_f64 v[170:171], -v[170:171], v[174:175], v[250:251]
	s_nop 0
	v_div_fmas_f64 v[170:171], v[170:171], v[172:173], v[174:175]
	v_pk_mov_b32 v[174:175], v[176:177], v[176:177] op_sel:[0,1]
	v_pk_mov_b32 v[176:177], v[178:179], v[178:179] op_sel:[0,1]
	;; [unrolled: 1-line block ×14, first 2 shown]
	v_div_fixup_f64 v[170:171], v[170:171], v[248:249], 1.0
	ds_write_b64 v252, v[170:171]
.LBB83_199:
	s_or_b64 exec, exec, s[2:3]
	s_waitcnt lgkmcnt(0)
	s_barrier
	ds_read_b64 v[248:249], v252
	v_cmp_lt_u32_e32 vcc, 39, v254
	s_and_saveexec_b64 s[2:3], vcc
	s_cbranch_execz .LBB83_201
; %bb.200:
	ds_read2_b64 v[170:173], v253 offset0:40 offset1:41
	s_waitcnt vmcnt(6) lgkmcnt(1)
	v_mul_f64 v[88:89], v[248:249], v[88:89]
	s_waitcnt vmcnt(5) lgkmcnt(0)
	v_fma_f64 v[128:129], -v[88:89], v[170:171], v[128:129]
	s_waitcnt vmcnt(4)
	v_fma_f64 v[168:169], -v[88:89], v[172:173], v[168:169]
.LBB83_201:
	s_or_b64 exec, exec, s[2:3]
	v_cmp_eq_u32_e32 vcc, 40, v254
	s_waitcnt lgkmcnt(0)
	s_barrier
	s_and_saveexec_b64 s[2:3], vcc
	s_cbranch_execz .LBB83_204
; %bb.202:
	s_waitcnt vmcnt(5)
	ds_write_b64 v252, v[128:129]
	s_waitcnt vmcnt(4)
	ds_write_b64 v253, v[168:169] offset:328
	ds_read_b64 v[250:251], v252
	s_waitcnt lgkmcnt(0)
	v_cmp_neq_f64_e32 vcc, 0, v[250:251]
	s_and_b64 exec, exec, vcc
	s_cbranch_execz .LBB83_204
; %bb.203:
	v_div_scale_f64 v[170:171], s[6:7], v[250:251], v[250:251], 1.0
	v_rcp_f64_e32 v[172:173], v[170:171]
	v_pk_mov_b32 v[200:201], v[196:197], v[196:197] op_sel:[0,1]
	v_pk_mov_b32 v[196:197], v[192:193], v[192:193] op_sel:[0,1]
	;; [unrolled: 1-line block ×6, first 2 shown]
	v_fma_f64 v[176:177], -v[170:171], v[172:173], 1.0
	v_fmac_f64_e32 v[172:173], v[172:173], v[176:177]
	v_fma_f64 v[176:177], -v[170:171], v[172:173], 1.0
	v_pk_mov_b32 v[22:23], v[20:21], v[20:21] op_sel:[0,1]
	v_pk_mov_b32 v[20:21], v[18:19], v[18:19] op_sel:[0,1]
	;; [unrolled: 1-line block ×18, first 2 shown]
	v_div_scale_f64 v[174:175], vcc, 1.0, v[250:251], 1.0
	v_fmac_f64_e32 v[172:173], v[172:173], v[176:177]
	v_mul_f64 v[176:177], v[174:175], v[172:173]
	v_fma_f64 v[170:171], -v[170:171], v[176:177], v[174:175]
	s_nop 0
	v_div_fmas_f64 v[170:171], v[170:171], v[172:173], v[176:177]
	v_pk_mov_b32 v[174:175], v[178:179], v[178:179] op_sel:[0,1]
	v_pk_mov_b32 v[178:179], v[182:183], v[182:183] op_sel:[0,1]
	;; [unrolled: 1-line block ×24, first 2 shown]
	v_div_fixup_f64 v[170:171], v[170:171], v[250:251], 1.0
	ds_write_b64 v252, v[170:171]
.LBB83_204:
	s_or_b64 exec, exec, s[2:3]
	s_waitcnt lgkmcnt(0)
	s_barrier
	ds_read_b64 v[250:251], v252
	v_cmp_lt_u32_e32 vcc, 40, v254
	s_and_saveexec_b64 s[2:3], vcc
	s_cbranch_execz .LBB83_206
; %bb.205:
	ds_read_b64 v[170:171], v253 offset:328
	s_waitcnt vmcnt(5) lgkmcnt(1)
	v_mul_f64 v[128:129], v[250:251], v[128:129]
	s_waitcnt vmcnt(4) lgkmcnt(0)
	v_fma_f64 v[168:169], -v[128:129], v[170:171], v[168:169]
.LBB83_206:
	s_or_b64 exec, exec, s[2:3]
	v_cmp_eq_u32_e32 vcc, 41, v254
	s_waitcnt lgkmcnt(0)
	s_barrier
	s_and_saveexec_b64 s[2:3], vcc
	s_cbranch_execz .LBB83_209
; %bb.207:
	s_waitcnt vmcnt(4)
	v_cmp_neq_f64_e32 vcc, 0, v[168:169]
	ds_write_b64 v252, v[168:169]
	s_and_b64 exec, exec, vcc
	s_cbranch_execz .LBB83_209
; %bb.208:
	v_div_scale_f64 v[170:171], s[6:7], v[168:169], v[168:169], 1.0
	v_rcp_f64_e32 v[172:173], v[170:171]
	v_pk_mov_b32 v[200:201], v[196:197], v[196:197] op_sel:[0,1]
	v_pk_mov_b32 v[196:197], v[192:193], v[192:193] op_sel:[0,1]
	;; [unrolled: 1-line block ×6, first 2 shown]
	v_fma_f64 v[176:177], -v[170:171], v[172:173], 1.0
	v_fmac_f64_e32 v[172:173], v[172:173], v[176:177]
	v_fma_f64 v[176:177], -v[170:171], v[172:173], 1.0
	v_pk_mov_b32 v[22:23], v[20:21], v[20:21] op_sel:[0,1]
	v_pk_mov_b32 v[20:21], v[18:19], v[18:19] op_sel:[0,1]
	v_pk_mov_b32 v[18:19], v[16:17], v[16:17] op_sel:[0,1]
	v_pk_mov_b32 v[16:17], v[14:15], v[14:15] op_sel:[0,1]
	v_pk_mov_b32 v[14:15], v[12:13], v[12:13] op_sel:[0,1]
	v_pk_mov_b32 v[12:13], v[10:11], v[10:11] op_sel:[0,1]
	v_pk_mov_b32 v[10:11], v[8:9], v[8:9] op_sel:[0,1]
	v_pk_mov_b32 v[8:9], v[6:7], v[6:7] op_sel:[0,1]
	v_pk_mov_b32 v[6:7], v[4:5], v[4:5] op_sel:[0,1]
	v_pk_mov_b32 v[4:5], v[0:1], v[0:1] op_sel:[0,1]
	v_pk_mov_b32 v[0:1], v[198:199], v[198:199] op_sel:[0,1]
	v_pk_mov_b32 v[198:199], v[194:195], v[194:195] op_sel:[0,1]
	v_pk_mov_b32 v[194:195], v[2:3], v[2:3] op_sel:[0,1]
	v_pk_mov_b32 v[2:3], v[190:191], v[190:191] op_sel:[0,1]
	v_pk_mov_b32 v[190:191], v[186:187], v[186:187] op_sel:[0,1]
	v_pk_mov_b32 v[186:187], v[182:183], v[182:183] op_sel:[0,1]
	v_pk_mov_b32 v[182:183], v[178:179], v[178:179] op_sel:[0,1]
	v_pk_mov_b32 v[178:179], v[174:175], v[174:175] op_sel:[0,1]
	v_div_scale_f64 v[174:175], vcc, 1.0, v[168:169], 1.0
	v_fmac_f64_e32 v[172:173], v[172:173], v[176:177]
	v_mul_f64 v[176:177], v[174:175], v[172:173]
	v_fma_f64 v[170:171], -v[170:171], v[176:177], v[174:175]
	s_nop 0
	v_div_fmas_f64 v[170:171], v[170:171], v[172:173], v[176:177]
	v_pk_mov_b32 v[174:175], v[178:179], v[178:179] op_sel:[0,1]
	v_pk_mov_b32 v[178:179], v[182:183], v[182:183] op_sel:[0,1]
	;; [unrolled: 1-line block ×24, first 2 shown]
	v_div_fixup_f64 v[170:171], v[170:171], v[168:169], 1.0
	ds_write_b64 v252, v[170:171]
.LBB83_209:
	s_or_b64 exec, exec, s[2:3]
	s_waitcnt lgkmcnt(0)
	s_barrier
	ds_read_b64 v[252:253], v252
	s_waitcnt lgkmcnt(0)
	s_barrier
	s_and_saveexec_b64 s[2:3], s[0:1]
	s_cbranch_execz .LBB83_212
; %bb.210:
	buffer_load_dword v170, off, s[16:19], 0 ; 4-byte Folded Reload
	buffer_load_dword v171, off, s[16:19], 0 offset:4 ; 4-byte Folded Reload
	buffer_load_dword v172, off, s[16:19], 0 offset:8 ; 4-byte Folded Reload
	;; [unrolled: 1-line block ×3, first 2 shown]
	s_load_dwordx2 s[4:5], s[4:5], 0x28
	v_lshlrev_b64 v[2:3], 2, v[2:3]
	s_waitcnt vmcnt(2)
	v_cmp_eq_f64_e32 vcc, 0, v[170:171]
	s_waitcnt vmcnt(0)
	v_cmp_neq_f64_e64 s[0:1], 0, v[172:173]
	v_cndmask_b32_e64 v170, 0, 1, vcc
	s_or_b64 vcc, s[0:1], vcc
	v_cndmask_b32_e32 v170, 2, v170, vcc
	v_cmp_eq_f64_e32 vcc, 0, v[174:175]
	v_cmp_eq_u32_e64 s[0:1], 0, v170
	s_and_b64 s[0:1], vcc, s[0:1]
	v_cndmask_b32_e64 v170, v170, 3, s[0:1]
	v_cmp_eq_f64_e32 vcc, 0, v[176:177]
	v_cmp_eq_u32_e64 s[0:1], 0, v170
	s_and_b64 s[0:1], vcc, s[0:1]
	v_cndmask_b32_e64 v170, v170, 4, s[0:1]
	;; [unrolled: 4-line block ×20, first 2 shown]
	s_waitcnt lgkmcnt(0)
	v_mov_b32_e32 v171, s5
	v_add_co_u32_e64 v2, s[0:1], s4, v2
	v_addc_co_u32_e64 v3, s[0:1], v171, v3, s[0:1]
	global_load_dword v171, v[2:3], off
	v_cmp_eq_f64_e32 vcc, 0, v[214:215]
	v_cmp_eq_u32_e64 s[0:1], 0, v170
	s_and_b64 s[0:1], vcc, s[0:1]
	v_cndmask_b32_e64 v170, v170, 23, s[0:1]
	v_cmp_eq_f64_e32 vcc, 0, v[216:217]
	v_cmp_eq_u32_e64 s[0:1], 0, v170
	s_and_b64 s[0:1], vcc, s[0:1]
	v_cndmask_b32_e64 v170, v170, 24, s[0:1]
	;; [unrolled: 4-line block ×20, first 2 shown]
	s_waitcnt vmcnt(0)
	v_cmp_eq_u32_e32 vcc, 0, v171
	v_cmp_ne_u32_e64 s[0:1], 0, v170
	s_and_b64 s[0:1], vcc, s[0:1]
	s_and_b64 exec, exec, s[0:1]
	s_cbranch_execz .LBB83_212
; %bb.211:
	v_add_u32_e32 v170, s9, v170
	global_store_dword v[2:3], v170, off
.LBB83_212:
	s_or_b64 exec, exec, s[2:3]
	s_waitcnt vmcnt(49)
	global_store_dwordx2 v[82:83], v[86:87], off
	s_waitcnt vmcnt(49)
	global_store_dwordx2 v[84:85], v[126:127], off
	buffer_load_dword v0, off, s[16:19], 0 offset:16 ; 4-byte Folded Reload
	buffer_load_dword v1, off, s[16:19], 0 offset:20 ; 4-byte Folded Reload
	s_waitcnt vmcnt(8)
	v_mul_f64 v[2:3], v[252:253], v[168:169]
	v_cmp_lt_u32_e32 vcc, 41, v254
	v_cndmask_b32_e32 v3, v169, v3, vcc
	v_cndmask_b32_e32 v2, v168, v2, vcc
	s_waitcnt vmcnt(0)
	global_store_dwordx2 v[0:1], v[166:167], off
	global_store_dwordx2 v[4:5], v[124:125], off
	;; [unrolled: 1-line block ×10, first 2 shown]
	buffer_load_dword v0, off, s[16:19], 0 offset:24 ; 4-byte Folded Reload
	buffer_load_dword v1, off, s[16:19], 0 offset:28 ; 4-byte Folded Reload
	s_waitcnt vmcnt(0)
	global_store_dwordx2 v[0:1], v[156:157], off
	global_store_dwordx2 v[24:25], v[114:115], off
	;; [unrolled: 1-line block ×30, first 2 shown]
.LBB83_213:
	s_endpgm
	.section	.rodata,"a",@progbits
	.p2align	6, 0x0
	.amdhsa_kernel _ZN9rocsolver6v33100L23getf2_npvt_small_kernelILi42EdiiPKPdEEvT1_T3_lS5_lPT2_S5_S5_
		.amdhsa_group_segment_fixed_size 0
		.amdhsa_private_segment_fixed_size 36
		.amdhsa_kernarg_size 312
		.amdhsa_user_sgpr_count 6
		.amdhsa_user_sgpr_private_segment_buffer 1
		.amdhsa_user_sgpr_dispatch_ptr 0
		.amdhsa_user_sgpr_queue_ptr 0
		.amdhsa_user_sgpr_kernarg_segment_ptr 1
		.amdhsa_user_sgpr_dispatch_id 0
		.amdhsa_user_sgpr_flat_scratch_init 0
		.amdhsa_user_sgpr_kernarg_preload_length 0
		.amdhsa_user_sgpr_kernarg_preload_offset 0
		.amdhsa_user_sgpr_private_segment_size 0
		.amdhsa_uses_dynamic_stack 0
		.amdhsa_system_sgpr_private_segment_wavefront_offset 1
		.amdhsa_system_sgpr_workgroup_id_x 1
		.amdhsa_system_sgpr_workgroup_id_y 1
		.amdhsa_system_sgpr_workgroup_id_z 0
		.amdhsa_system_sgpr_workgroup_info 0
		.amdhsa_system_vgpr_workitem_id 1
		.amdhsa_next_free_vgpr 255
		.amdhsa_next_free_sgpr 20
		.amdhsa_accum_offset 256
		.amdhsa_reserve_vcc 1
		.amdhsa_reserve_flat_scratch 0
		.amdhsa_float_round_mode_32 0
		.amdhsa_float_round_mode_16_64 0
		.amdhsa_float_denorm_mode_32 3
		.amdhsa_float_denorm_mode_16_64 3
		.amdhsa_dx10_clamp 1
		.amdhsa_ieee_mode 1
		.amdhsa_fp16_overflow 0
		.amdhsa_tg_split 0
		.amdhsa_exception_fp_ieee_invalid_op 0
		.amdhsa_exception_fp_denorm_src 0
		.amdhsa_exception_fp_ieee_div_zero 0
		.amdhsa_exception_fp_ieee_overflow 0
		.amdhsa_exception_fp_ieee_underflow 0
		.amdhsa_exception_fp_ieee_inexact 0
		.amdhsa_exception_int_div_zero 0
	.end_amdhsa_kernel
	.section	.text._ZN9rocsolver6v33100L23getf2_npvt_small_kernelILi42EdiiPKPdEEvT1_T3_lS5_lPT2_S5_S5_,"axG",@progbits,_ZN9rocsolver6v33100L23getf2_npvt_small_kernelILi42EdiiPKPdEEvT1_T3_lS5_lPT2_S5_S5_,comdat
.Lfunc_end83:
	.size	_ZN9rocsolver6v33100L23getf2_npvt_small_kernelILi42EdiiPKPdEEvT1_T3_lS5_lPT2_S5_S5_, .Lfunc_end83-_ZN9rocsolver6v33100L23getf2_npvt_small_kernelILi42EdiiPKPdEEvT1_T3_lS5_lPT2_S5_S5_
                                        ; -- End function
	.section	.AMDGPU.csdata,"",@progbits
; Kernel info:
; codeLenInByte = 34896
; NumSgprs: 24
; NumVgprs: 255
; NumAgprs: 0
; TotalNumVgprs: 255
; ScratchSize: 36
; MemoryBound: 0
; FloatMode: 240
; IeeeMode: 1
; LDSByteSize: 0 bytes/workgroup (compile time only)
; SGPRBlocks: 2
; VGPRBlocks: 31
; NumSGPRsForWavesPerEU: 24
; NumVGPRsForWavesPerEU: 255
; AccumOffset: 256
; Occupancy: 2
; WaveLimiterHint : 1
; COMPUTE_PGM_RSRC2:SCRATCH_EN: 1
; COMPUTE_PGM_RSRC2:USER_SGPR: 6
; COMPUTE_PGM_RSRC2:TRAP_HANDLER: 0
; COMPUTE_PGM_RSRC2:TGID_X_EN: 1
; COMPUTE_PGM_RSRC2:TGID_Y_EN: 1
; COMPUTE_PGM_RSRC2:TGID_Z_EN: 0
; COMPUTE_PGM_RSRC2:TIDIG_COMP_CNT: 1
; COMPUTE_PGM_RSRC3_GFX90A:ACCUM_OFFSET: 63
; COMPUTE_PGM_RSRC3_GFX90A:TG_SPLIT: 0
	.section	.text._ZN9rocsolver6v33100L18getf2_small_kernelILi43EdiiPKPdEEvT1_T3_lS5_lPS5_llPT2_S5_S5_S7_l,"axG",@progbits,_ZN9rocsolver6v33100L18getf2_small_kernelILi43EdiiPKPdEEvT1_T3_lS5_lPS5_llPT2_S5_S5_S7_l,comdat
	.globl	_ZN9rocsolver6v33100L18getf2_small_kernelILi43EdiiPKPdEEvT1_T3_lS5_lPS5_llPT2_S5_S5_S7_l ; -- Begin function _ZN9rocsolver6v33100L18getf2_small_kernelILi43EdiiPKPdEEvT1_T3_lS5_lPS5_llPT2_S5_S5_S7_l
	.p2align	8
	.type	_ZN9rocsolver6v33100L18getf2_small_kernelILi43EdiiPKPdEEvT1_T3_lS5_lPS5_llPT2_S5_S5_S7_l,@function
_ZN9rocsolver6v33100L18getf2_small_kernelILi43EdiiPKPdEEvT1_T3_lS5_lPS5_llPT2_S5_S5_S7_l: ; @_ZN9rocsolver6v33100L18getf2_small_kernelILi43EdiiPKPdEEvT1_T3_lS5_lPS5_llPT2_S5_S5_S7_l
; %bb.0:
	s_load_dword s0, s[4:5], 0x6c
	s_load_dwordx2 s[12:13], s[4:5], 0x48
	v_bfe_u32 v90, v0, 10, 10
	s_waitcnt lgkmcnt(0)
	s_lshr_b32 s0, s0, 16
	s_mul_i32 s7, s7, s0
	v_add_u32_e32 v2, s7, v90
	v_cmp_gt_i32_e32 vcc, s12, v2
	s_and_saveexec_b64 s[0:1], vcc
	s_cbranch_execz .LBB84_728
; %bb.1:
	s_load_dwordx4 s[0:3], s[4:5], 0x8
	s_load_dwordx4 s[8:11], s[4:5], 0x50
	v_ashrrev_i32_e32 v3, 31, v2
	v_lshlrev_b64 v[4:5], 3, v[2:3]
	s_waitcnt lgkmcnt(0)
	v_mov_b32_e32 v1, s1
	v_add_co_u32_e32 v4, vcc, s0, v4
	v_addc_co_u32_e32 v5, vcc, v1, v5, vcc
	global_load_dwordx2 v[6:7], v[4:5], off
	s_cmp_eq_u64 s[8:9], 0
	s_cselect_b64 s[6:7], -1, 0
	s_and_b64 vcc, exec, s[6:7]
	v_pk_mov_b32 v[4:5], 0, 0
	s_cbranch_vccnz .LBB84_3
; %bb.2:
	v_mul_lo_u32 v1, v3, s10
	v_mul_lo_u32 v8, v2, s11
	v_mad_u64_u32 v[4:5], s[0:1], v2, s10, 0
	v_add3_u32 v5, v5, v8, v1
	v_lshlrev_b64 v[4:5], 2, v[4:5]
	v_mov_b32_e32 v1, s9
	v_add_co_u32_e32 v4, vcc, s8, v4
	v_addc_co_u32_e32 v5, vcc, v1, v5, vcc
.LBB84_3:
	s_load_dword s8, s[4:5], 0x18
	s_load_dword s18, s[4:5], 0x0
	s_lshl_b64 s[0:1], s[2:3], 3
	v_and_b32_e32 v98, 0x3ff, v0
	v_mov_b32_e32 v1, s1
	s_waitcnt lgkmcnt(0)
	s_add_i32 s12, s8, s8
	s_waitcnt vmcnt(0)
	v_add_co_u32_e32 v96, vcc, s0, v6
	v_add_u32_e32 v0, s12, v98
	v_addc_co_u32_e32 v97, vcc, v7, v1, vcc
	v_ashrrev_i32_e32 v1, 31, v0
	v_lshlrev_b64 v[6:7], 3, v[0:1]
	v_add_u32_e32 v0, s8, v0
	v_add_co_u32_e32 v6, vcc, v96, v6
	v_ashrrev_i32_e32 v1, 31, v0
	v_addc_co_u32_e32 v7, vcc, v97, v7, vcc
	v_lshlrev_b64 v[8:9], 3, v[0:1]
	v_add_u32_e32 v0, s8, v0
	v_add_co_u32_e32 v8, vcc, v96, v8
	v_ashrrev_i32_e32 v1, 31, v0
	v_addc_co_u32_e32 v9, vcc, v97, v9, vcc
	;; [unrolled: 5-line block ×40, first 2 shown]
	v_lshlrev_b64 v[0:1], 3, v[0:1]
	v_add_co_u32_e32 v148, vcc, v96, v0
	v_addc_co_u32_e32 v149, vcc, v97, v1, vcc
	v_lshlrev_b32_e32 v91, 3, v98
	v_add_co_u32_e32 v0, vcc, v96, v91
	s_ashr_i32 s9, s8, 31
	v_addc_co_u32_e32 v1, vcc, 0, v97, vcc
	s_lshl_b64 s[10:11], s[8:9], 3
	v_mov_b32_e32 v33, s11
	v_add_co_u32_e32 v32, vcc, s10, v0
	v_addc_co_u32_e32 v33, vcc, v1, v33, vcc
	global_load_dwordx2 v[84:85], v[0:1], off
	global_load_dwordx2 v[86:87], v[32:33], off
	;; [unrolled: 1-line block ×15, first 2 shown]
                                        ; kill: killed $vgpr6 killed $vgpr7
                                        ; kill: killed $vgpr32 killed $vgpr33
                                        ; kill: killed $vgpr10 killed $vgpr11
                                        ; kill: killed $vgpr14 killed $vgpr15
                                        ; kill: killed $vgpr18 killed $vgpr19
                                        ; kill: killed $vgpr22 killed $vgpr23
                                        ; kill: killed $vgpr26 killed $vgpr27
                                        ; kill: killed $vgpr30 killed $vgpr31
                                        ; kill: killed $vgpr8 killed $vgpr9
                                        ; kill: killed $vgpr12 killed $vgpr13
                                        ; kill: killed $vgpr16 killed $vgpr17
                                        ; kill: killed $vgpr20 killed $vgpr21
                                        ; kill: killed $vgpr24 killed $vgpr25
                                        ; kill: killed $vgpr28 killed $vgpr29
                                        ; kill: killed $vgpr0 killed $vgpr1
	global_load_dwordx2 v[58:59], v[88:89], off
	global_load_dwordx2 v[54:55], v[92:93], off
	;; [unrolled: 1-line block ×15, first 2 shown]
                                        ; kill: killed $vgpr102 killed $vgpr103
                                        ; kill: killed $vgpr106 killed $vgpr107
                                        ; kill: killed $vgpr110 killed $vgpr111
                                        ; kill: killed $vgpr114 killed $vgpr115
                                        ; kill: killed $vgpr118 killed $vgpr119
                                        ; kill: killed $vgpr122 killed $vgpr123
                                        ; kill: killed $vgpr92 killed $vgpr93
                                        ; kill: killed $vgpr100 killed $vgpr101
                                        ; kill: killed $vgpr104 killed $vgpr105
                                        ; kill: killed $vgpr108 killed $vgpr109
                                        ; kill: killed $vgpr112 killed $vgpr113
                                        ; kill: killed $vgpr116 killed $vgpr117
                                        ; kill: killed $vgpr120 killed $vgpr121
                                        ; kill: killed $vgpr88 killed $vgpr89
                                        ; kill: killed $vgpr94 killed $vgpr95
	global_load_dwordx2 v[28:29], v[124:125], off
	global_load_dwordx2 v[24:25], v[126:127], off
	;; [unrolled: 1-line block ×13, first 2 shown]
	s_max_i32 s0, s18, 43
	v_mul_lo_u32 v92, s0, v90
	v_lshl_add_u32 v94, v92, 3, 0
	v_add_u32_e32 v90, v94, v91
	s_cmp_lt_i32 s18, 2
	v_lshlrev_b32_e32 v99, 3, v92
	v_mov_b32_e32 v92, 0
	s_waitcnt vmcnt(42)
	ds_write_b64 v90, v[84:85]
	s_waitcnt lgkmcnt(0)
	s_barrier
	ds_read_b64 v[90:91], v94
	s_cbranch_scc1 .LBB84_6
; %bb.4:
	v_add3_u32 v93, v99, 0, 8
	s_mov_b32 s0, 1
	v_mov_b32_e32 v92, 0
.LBB84_5:                               ; =>This Inner Loop Header: Depth=1
	ds_read_b64 v[100:101], v93
	v_mov_b32_e32 v95, s0
	s_add_i32 s0, s0, 1
	v_add_u32_e32 v93, 8, v93
	s_cmp_eq_u32 s18, s0
	s_waitcnt lgkmcnt(0)
	v_cmp_lt_f64_e64 vcc, |v[90:91]|, |v[100:101]|
	v_cndmask_b32_e32 v91, v91, v101, vcc
	v_cndmask_b32_e32 v90, v90, v100, vcc
	;; [unrolled: 1-line block ×3, first 2 shown]
	s_cbranch_scc0 .LBB84_5
.LBB84_6:
	v_cmp_ne_u32_e32 vcc, v98, v92
                                        ; implicit-def: $vgpr95
	s_and_saveexec_b64 s[0:1], vcc
	s_xor_b64 s[0:1], exec, s[0:1]
	s_cbranch_execz .LBB84_12
; %bb.7:
	v_cmp_eq_u32_e32 vcc, 0, v98
	s_and_saveexec_b64 s[2:3], vcc
	s_cbranch_execz .LBB84_11
; %bb.8:
	v_cmp_ne_u32_e32 vcc, 0, v92
	s_xor_b64 s[14:15], s[6:7], -1
	s_and_b64 s[16:17], s[14:15], vcc
	s_and_saveexec_b64 s[14:15], s[16:17]
	s_cbranch_execz .LBB84_10
; %bb.9:
	v_ashrrev_i32_e32 v93, 31, v92
	v_lshlrev_b64 v[100:101], 2, v[92:93]
	v_add_co_u32_e32 v100, vcc, v4, v100
	v_addc_co_u32_e32 v101, vcc, v5, v101, vcc
	flat_load_dword v93, v[100:101]
	flat_load_dword v95, v[4:5]
	s_waitcnt vmcnt(0) lgkmcnt(0)
	flat_store_dword v[4:5], v93
	flat_store_dword v[100:101], v95
.LBB84_10:
	s_or_b64 exec, exec, s[14:15]
	v_mov_b32_e32 v98, v92
.LBB84_11:
	s_or_b64 exec, exec, s[2:3]
	v_mov_b32_e32 v95, v98
                                        ; implicit-def: $vgpr98
.LBB84_12:
	s_or_saveexec_b64 s[0:1], s[0:1]
	v_mov_b32_e32 v93, v95
	s_xor_b64 exec, exec, s[0:1]
	s_cbranch_execz .LBB84_14
; %bb.13:
	v_mov_b32_e32 v95, 0
	v_mov_b32_e32 v93, v98
	s_waitcnt vmcnt(0)
	ds_write2_b64 v94, v[86:87], v[82:83] offset0:1 offset1:2
	ds_write2_b64 v94, v[80:81], v[78:79] offset0:3 offset1:4
	;; [unrolled: 1-line block ×21, first 2 shown]
.LBB84_14:
	s_or_b64 exec, exec, s[0:1]
	s_waitcnt lgkmcnt(0)
	v_cmp_eq_f64_e64 s[0:1], 0, v[90:91]
	v_cmp_lt_i32_e32 vcc, 0, v95
	s_barrier
	s_and_saveexec_b64 s[2:3], vcc
	s_cbranch_execz .LBB84_16
; %bb.15:
	v_div_scale_f64 v[100:101], s[14:15], v[90:91], v[90:91], 1.0
	v_rcp_f64_e32 v[102:103], v[100:101]
	v_div_scale_f64 v[104:105], vcc, 1.0, v[90:91], 1.0
	ds_read2_b64 v[108:111], v94 offset0:5 offset1:6
	v_fma_f64 v[106:107], -v[100:101], v[102:103], 1.0
	v_fmac_f64_e32 v[102:103], v[102:103], v[106:107]
	v_fma_f64 v[106:107], -v[100:101], v[102:103], 1.0
	v_fmac_f64_e32 v[102:103], v[102:103], v[106:107]
	v_mul_f64 v[106:107], v[104:105], v[102:103]
	v_fma_f64 v[100:101], -v[100:101], v[106:107], v[104:105]
	v_div_fmas_f64 v[100:101], v[100:101], v[102:103], v[106:107]
	v_div_fixup_f64 v[104:105], v[100:101], v[90:91], 1.0
	ds_read2_b64 v[100:103], v94 offset0:1 offset1:2
	v_cndmask_b32_e64 v91, v105, v91, s[0:1]
	v_cndmask_b32_e64 v90, v104, v90, s[0:1]
	ds_read2_b64 v[104:107], v94 offset0:3 offset1:4
	v_mul_f64 v[84:85], v[90:91], v[84:85]
	s_waitcnt vmcnt(0) lgkmcnt(0)
	v_fma_f64 v[86:87], -v[84:85], v[100:101], v[86:87]
	v_fma_f64 v[82:83], -v[84:85], v[102:103], v[82:83]
	ds_read2_b64 v[100:103], v94 offset0:7 offset1:8
	v_fma_f64 v[80:81], -v[84:85], v[104:105], v[80:81]
	v_fma_f64 v[78:79], -v[84:85], v[106:107], v[78:79]
	;; [unrolled: 1-line block ×3, first 2 shown]
	ds_read2_b64 v[104:107], v94 offset0:9 offset1:10
	v_fma_f64 v[74:75], -v[84:85], v[110:111], v[74:75]
	ds_read2_b64 v[108:111], v94 offset0:11 offset1:12
	s_waitcnt lgkmcnt(2)
	v_fma_f64 v[72:73], -v[84:85], v[100:101], v[72:73]
	v_fma_f64 v[70:71], -v[84:85], v[102:103], v[70:71]
	s_waitcnt lgkmcnt(1)
	v_fma_f64 v[68:69], -v[84:85], v[104:105], v[68:69]
	ds_read2_b64 v[100:103], v94 offset0:13 offset1:14
	v_fma_f64 v[66:67], -v[84:85], v[106:107], v[66:67]
	ds_read2_b64 v[104:107], v94 offset0:15 offset1:16
	s_waitcnt lgkmcnt(2)
	v_fma_f64 v[64:65], -v[84:85], v[108:109], v[64:65]
	v_fma_f64 v[62:63], -v[84:85], v[110:111], v[62:63]
	ds_read2_b64 v[108:111], v94 offset0:17 offset1:18
	s_waitcnt lgkmcnt(2)
	v_fma_f64 v[60:61], -v[84:85], v[100:101], v[60:61]
	;; [unrolled: 4-line block ×3, first 2 shown]
	v_fma_f64 v[54:55], -v[84:85], v[106:107], v[54:55]
	s_waitcnt lgkmcnt(1)
	v_fma_f64 v[52:53], -v[84:85], v[108:109], v[52:53]
	ds_read2_b64 v[104:107], v94 offset0:21 offset1:22
	v_fma_f64 v[50:51], -v[84:85], v[110:111], v[50:51]
	ds_read2_b64 v[108:111], v94 offset0:23 offset1:24
	s_waitcnt lgkmcnt(2)
	v_fma_f64 v[48:49], -v[84:85], v[100:101], v[48:49]
	v_fma_f64 v[46:47], -v[84:85], v[102:103], v[46:47]
	s_waitcnt lgkmcnt(1)
	v_fma_f64 v[44:45], -v[84:85], v[104:105], v[44:45]
	ds_read2_b64 v[100:103], v94 offset0:25 offset1:26
	v_fma_f64 v[42:43], -v[84:85], v[106:107], v[42:43]
	ds_read2_b64 v[104:107], v94 offset0:27 offset1:28
	s_waitcnt lgkmcnt(2)
	v_fma_f64 v[40:41], -v[84:85], v[108:109], v[40:41]
	v_fma_f64 v[38:39], -v[84:85], v[110:111], v[38:39]
	ds_read2_b64 v[108:111], v94 offset0:29 offset1:30
	s_waitcnt lgkmcnt(2)
	v_fma_f64 v[36:37], -v[84:85], v[100:101], v[36:37]
	;; [unrolled: 4-line block ×3, first 2 shown]
	v_fma_f64 v[30:31], -v[84:85], v[106:107], v[30:31]
	s_waitcnt lgkmcnt(1)
	v_fma_f64 v[26:27], -v[84:85], v[108:109], v[26:27]
	ds_read2_b64 v[104:107], v94 offset0:33 offset1:34
	v_fma_f64 v[28:29], -v[84:85], v[110:111], v[28:29]
	ds_read2_b64 v[108:111], v94 offset0:35 offset1:36
	s_waitcnt lgkmcnt(2)
	v_fma_f64 v[24:25], -v[84:85], v[100:101], v[24:25]
	v_fma_f64 v[22:23], -v[84:85], v[102:103], v[22:23]
	s_waitcnt lgkmcnt(1)
	v_fma_f64 v[20:21], -v[84:85], v[104:105], v[20:21]
	v_fma_f64 v[18:19], -v[84:85], v[106:107], v[18:19]
	ds_read2_b64 v[100:103], v94 offset0:37 offset1:38
	ds_read2_b64 v[104:107], v94 offset0:39 offset1:40
	s_waitcnt lgkmcnt(2)
	v_fma_f64 v[16:17], -v[84:85], v[108:109], v[16:17]
	v_fma_f64 v[14:15], -v[84:85], v[110:111], v[14:15]
	ds_read2_b64 v[108:111], v94 offset0:41 offset1:42
	s_waitcnt lgkmcnt(2)
	v_fma_f64 v[12:13], -v[84:85], v[100:101], v[12:13]
	v_fma_f64 v[10:11], -v[84:85], v[102:103], v[10:11]
	s_waitcnt lgkmcnt(1)
	v_fma_f64 v[8:9], -v[84:85], v[104:105], v[8:9]
	v_fma_f64 v[6:7], -v[84:85], v[106:107], v[6:7]
	;; [unrolled: 3-line block ×3, first 2 shown]
.LBB84_16:
	s_or_b64 exec, exec, s[2:3]
	v_lshl_add_u32 v90, v95, 3, v94
	s_barrier
	s_waitcnt vmcnt(0)
	ds_write_b64 v90, v[86:87]
	s_waitcnt lgkmcnt(0)
	s_barrier
	ds_read_b64 v[90:91], v94 offset:8
	s_cmp_lt_i32 s18, 3
	v_mov_b32_e32 v92, 1
	s_cbranch_scc1 .LBB84_19
; %bb.17:
	v_add3_u32 v98, v99, 0, 16
	s_mov_b32 s2, 2
	v_mov_b32_e32 v92, 1
.LBB84_18:                              ; =>This Inner Loop Header: Depth=1
	ds_read_b64 v[100:101], v98
	v_mov_b32_e32 v102, s2
	s_add_i32 s2, s2, 1
	v_add_u32_e32 v98, 8, v98
	s_cmp_lg_u32 s18, s2
	s_waitcnt lgkmcnt(0)
	v_cmp_lt_f64_e64 vcc, |v[90:91]|, |v[100:101]|
	v_cndmask_b32_e32 v91, v91, v101, vcc
	v_cndmask_b32_e32 v90, v90, v100, vcc
	;; [unrolled: 1-line block ×3, first 2 shown]
	s_cbranch_scc1 .LBB84_18
.LBB84_19:
	v_cmp_ne_u32_e32 vcc, v95, v92
	s_and_saveexec_b64 s[2:3], vcc
	s_xor_b64 s[2:3], exec, s[2:3]
	s_cbranch_execz .LBB84_25
; %bb.20:
	v_cmp_eq_u32_e32 vcc, 1, v95
	s_and_saveexec_b64 s[14:15], vcc
	s_cbranch_execz .LBB84_24
; %bb.21:
	v_cmp_ne_u32_e32 vcc, 1, v92
	s_xor_b64 s[16:17], s[6:7], -1
	s_and_b64 s[20:21], s[16:17], vcc
	s_and_saveexec_b64 s[16:17], s[20:21]
	s_cbranch_execz .LBB84_23
; %bb.22:
	v_ashrrev_i32_e32 v93, 31, v92
	v_lshlrev_b64 v[100:101], 2, v[92:93]
	v_add_co_u32_e32 v100, vcc, v4, v100
	v_addc_co_u32_e32 v101, vcc, v5, v101, vcc
	flat_load_dword v93, v[100:101]
	flat_load_dword v95, v[4:5] offset:4
	s_waitcnt vmcnt(0) lgkmcnt(0)
	flat_store_dword v[4:5], v93 offset:4
	flat_store_dword v[100:101], v95
.LBB84_23:
	s_or_b64 exec, exec, s[16:17]
	v_mov_b32_e32 v93, v92
	v_mov_b32_e32 v95, v92
.LBB84_24:
	s_or_b64 exec, exec, s[14:15]
.LBB84_25:
	s_andn2_saveexec_b64 s[2:3], s[2:3]
	s_cbranch_execz .LBB84_27
; %bb.26:
	v_mov_b32_e32 v100, v82
	v_mov_b32_e32 v101, v83
	v_mov_b32_e32 v102, v80
	v_mov_b32_e32 v103, v81
	ds_write2_b64 v94, v[100:101], v[102:103] offset0:2 offset1:3
	v_mov_b32_e32 v100, v78
	v_mov_b32_e32 v101, v79
	v_mov_b32_e32 v102, v76
	v_mov_b32_e32 v103, v77
	ds_write2_b64 v94, v[100:101], v[102:103] offset0:4 offset1:5
	v_mov_b32_e32 v100, v74
	v_mov_b32_e32 v101, v75
	v_mov_b32_e32 v102, v72
	v_mov_b32_e32 v103, v73
	ds_write2_b64 v94, v[100:101], v[102:103] offset0:6 offset1:7
	v_mov_b32_e32 v100, v70
	v_mov_b32_e32 v101, v71
	v_mov_b32_e32 v102, v68
	v_mov_b32_e32 v103, v69
	ds_write2_b64 v94, v[100:101], v[102:103] offset0:8 offset1:9
	v_mov_b32_e32 v100, v66
	v_mov_b32_e32 v101, v67
	v_mov_b32_e32 v102, v64
	v_mov_b32_e32 v103, v65
	ds_write2_b64 v94, v[100:101], v[102:103] offset0:10 offset1:11
	v_mov_b32_e32 v100, v62
	v_mov_b32_e32 v101, v63
	v_mov_b32_e32 v102, v60
	v_mov_b32_e32 v103, v61
	ds_write2_b64 v94, v[100:101], v[102:103] offset0:12 offset1:13
	v_mov_b32_e32 v100, v56
	v_mov_b32_e32 v101, v57
	v_mov_b32_e32 v102, v58
	v_mov_b32_e32 v103, v59
	ds_write2_b64 v94, v[100:101], v[102:103] offset0:14 offset1:15
	v_mov_b32_e32 v100, v54
	v_mov_b32_e32 v101, v55
	v_mov_b32_e32 v102, v52
	v_mov_b32_e32 v103, v53
	ds_write2_b64 v94, v[100:101], v[102:103] offset0:16 offset1:17
	v_mov_b32_e32 v100, v50
	v_mov_b32_e32 v101, v51
	v_mov_b32_e32 v102, v48
	v_mov_b32_e32 v103, v49
	ds_write2_b64 v94, v[100:101], v[102:103] offset0:18 offset1:19
	v_mov_b32_e32 v100, v46
	v_mov_b32_e32 v101, v47
	v_mov_b32_e32 v102, v44
	v_mov_b32_e32 v103, v45
	ds_write2_b64 v94, v[100:101], v[102:103] offset0:20 offset1:21
	v_mov_b32_e32 v100, v42
	v_mov_b32_e32 v101, v43
	v_mov_b32_e32 v102, v40
	v_mov_b32_e32 v103, v41
	ds_write2_b64 v94, v[100:101], v[102:103] offset0:22 offset1:23
	v_mov_b32_e32 v100, v38
	v_mov_b32_e32 v101, v39
	v_mov_b32_e32 v102, v36
	v_mov_b32_e32 v103, v37
	ds_write2_b64 v94, v[100:101], v[102:103] offset0:24 offset1:25
	v_mov_b32_e32 v100, v34
	v_mov_b32_e32 v101, v35
	v_mov_b32_e32 v102, v32
	v_mov_b32_e32 v103, v33
	ds_write2_b64 v94, v[100:101], v[102:103] offset0:26 offset1:27
	v_mov_b32_e32 v100, v30
	v_mov_b32_e32 v101, v31
	v_mov_b32_e32 v102, v26
	v_mov_b32_e32 v103, v27
	ds_write2_b64 v94, v[100:101], v[102:103] offset0:28 offset1:29
	v_mov_b32_e32 v100, v28
	v_mov_b32_e32 v101, v29
	v_mov_b32_e32 v102, v24
	v_mov_b32_e32 v103, v25
	ds_write2_b64 v94, v[100:101], v[102:103] offset0:30 offset1:31
	v_mov_b32_e32 v100, v22
	v_mov_b32_e32 v101, v23
	v_mov_b32_e32 v102, v20
	v_mov_b32_e32 v103, v21
	ds_write2_b64 v94, v[100:101], v[102:103] offset0:32 offset1:33
	v_mov_b32_e32 v100, v18
	v_mov_b32_e32 v101, v19
	v_mov_b32_e32 v102, v16
	v_mov_b32_e32 v103, v17
	ds_write2_b64 v94, v[100:101], v[102:103] offset0:34 offset1:35
	v_mov_b32_e32 v100, v14
	v_mov_b32_e32 v101, v15
	v_mov_b32_e32 v102, v12
	v_mov_b32_e32 v103, v13
	ds_write2_b64 v94, v[100:101], v[102:103] offset0:36 offset1:37
	v_mov_b32_e32 v100, v10
	v_mov_b32_e32 v101, v11
	v_mov_b32_e32 v102, v8
	v_mov_b32_e32 v103, v9
	ds_write2_b64 v94, v[100:101], v[102:103] offset0:38 offset1:39
	v_mov_b32_e32 v100, v6
	v_mov_b32_e32 v101, v7
	;; [unrolled: 1-line block ×5, first 2 shown]
	ds_write2_b64 v94, v[100:101], v[102:103] offset0:40 offset1:41
	ds_write_b64 v94, v[88:89] offset:336
.LBB84_27:
	s_or_b64 exec, exec, s[2:3]
	s_waitcnt lgkmcnt(0)
	v_cmp_neq_f64_e64 s[2:3], 0, v[90:91]
	v_cmp_lt_i32_e32 vcc, 1, v95
	s_barrier
	s_and_saveexec_b64 s[14:15], vcc
	s_cbranch_execz .LBB84_29
; %bb.28:
	v_div_scale_f64 v[100:101], s[16:17], v[90:91], v[90:91], 1.0
	v_rcp_f64_e32 v[102:103], v[100:101]
	v_div_scale_f64 v[104:105], vcc, 1.0, v[90:91], 1.0
	ds_read2_b64 v[108:111], v94 offset0:6 offset1:7
	v_fma_f64 v[106:107], -v[100:101], v[102:103], 1.0
	v_fmac_f64_e32 v[102:103], v[102:103], v[106:107]
	v_fma_f64 v[106:107], -v[100:101], v[102:103], 1.0
	v_fmac_f64_e32 v[102:103], v[102:103], v[106:107]
	v_mul_f64 v[106:107], v[104:105], v[102:103]
	v_fma_f64 v[100:101], -v[100:101], v[106:107], v[104:105]
	v_div_fmas_f64 v[100:101], v[100:101], v[102:103], v[106:107]
	v_div_fixup_f64 v[104:105], v[100:101], v[90:91], 1.0
	ds_read2_b64 v[100:103], v94 offset0:2 offset1:3
	v_cndmask_b32_e64 v91, v91, v105, s[2:3]
	v_cndmask_b32_e64 v90, v90, v104, s[2:3]
	ds_read2_b64 v[104:107], v94 offset0:4 offset1:5
	v_mul_f64 v[86:87], v[90:91], v[86:87]
	s_waitcnt lgkmcnt(0)
	v_fma_f64 v[82:83], -v[86:87], v[100:101], v[82:83]
	v_fma_f64 v[80:81], -v[86:87], v[102:103], v[80:81]
	ds_read2_b64 v[100:103], v94 offset0:8 offset1:9
	v_fma_f64 v[78:79], -v[86:87], v[104:105], v[78:79]
	v_fma_f64 v[76:77], -v[86:87], v[106:107], v[76:77]
	ds_read2_b64 v[104:107], v94 offset0:10 offset1:11
	;; [unrolled: 3-line block ×3, first 2 shown]
	s_waitcnt lgkmcnt(0)
	v_fma_f64 v[70:71], -v[86:87], v[100:101], v[70:71]
	v_fma_f64 v[68:69], -v[86:87], v[102:103], v[68:69]
	v_fma_f64 v[66:67], -v[86:87], v[104:105], v[66:67]
	ds_read2_b64 v[100:103], v94 offset0:14 offset1:15
	v_fma_f64 v[64:65], -v[86:87], v[106:107], v[64:65]
	ds_read2_b64 v[104:107], v94 offset0:16 offset1:17
	v_fma_f64 v[62:63], -v[86:87], v[108:109], v[62:63]
	v_fma_f64 v[60:61], -v[86:87], v[110:111], v[60:61]
	s_waitcnt lgkmcnt(0)
	v_fma_f64 v[56:57], -v[86:87], v[100:101], v[56:57]
	ds_read2_b64 v[108:111], v94 offset0:18 offset1:19
	v_fma_f64 v[58:59], -v[86:87], v[102:103], v[58:59]
	ds_read2_b64 v[100:103], v94 offset0:20 offset1:21
	v_fma_f64 v[54:55], -v[86:87], v[104:105], v[54:55]
	v_fma_f64 v[52:53], -v[86:87], v[106:107], v[52:53]
	ds_read2_b64 v[104:107], v94 offset0:22 offset1:23
	s_waitcnt lgkmcnt(0)
	v_fma_f64 v[50:51], -v[86:87], v[108:109], v[50:51]
	v_fma_f64 v[48:49], -v[86:87], v[110:111], v[48:49]
	ds_read2_b64 v[108:111], v94 offset0:24 offset1:25
	v_fma_f64 v[46:47], -v[86:87], v[100:101], v[46:47]
	v_fma_f64 v[44:45], -v[86:87], v[102:103], v[44:45]
	;; [unrolled: 1-line block ×3, first 2 shown]
	ds_read2_b64 v[100:103], v94 offset0:26 offset1:27
	v_fma_f64 v[40:41], -v[86:87], v[106:107], v[40:41]
	ds_read2_b64 v[104:107], v94 offset0:28 offset1:29
	s_waitcnt lgkmcnt(0)
	v_fma_f64 v[38:39], -v[86:87], v[108:109], v[38:39]
	v_fma_f64 v[36:37], -v[86:87], v[110:111], v[36:37]
	;; [unrolled: 1-line block ×3, first 2 shown]
	ds_read2_b64 v[108:111], v94 offset0:30 offset1:31
	v_fma_f64 v[32:33], -v[86:87], v[102:103], v[32:33]
	ds_read2_b64 v[100:103], v94 offset0:32 offset1:33
	v_fma_f64 v[30:31], -v[86:87], v[104:105], v[30:31]
	v_fma_f64 v[26:27], -v[86:87], v[106:107], v[26:27]
	ds_read2_b64 v[104:107], v94 offset0:34 offset1:35
	s_waitcnt lgkmcnt(0)
	v_fma_f64 v[28:29], -v[86:87], v[108:109], v[28:29]
	v_fma_f64 v[24:25], -v[86:87], v[110:111], v[24:25]
	ds_read2_b64 v[108:111], v94 offset0:36 offset1:37
	v_fma_f64 v[22:23], -v[86:87], v[100:101], v[22:23]
	v_fma_f64 v[20:21], -v[86:87], v[102:103], v[20:21]
	;; [unrolled: 1-line block ×4, first 2 shown]
	ds_read2_b64 v[100:103], v94 offset0:38 offset1:39
	ds_read2_b64 v[104:107], v94 offset0:40 offset1:41
	ds_read_b64 v[90:91], v94 offset:336
	s_waitcnt lgkmcnt(0)
	v_fma_f64 v[14:15], -v[86:87], v[108:109], v[14:15]
	v_fma_f64 v[12:13], -v[86:87], v[110:111], v[12:13]
	;; [unrolled: 1-line block ×7, first 2 shown]
.LBB84_29:
	s_or_b64 exec, exec, s[14:15]
	v_lshl_add_u32 v90, v95, 3, v94
	s_barrier
	ds_write_b64 v90, v[82:83]
	s_waitcnt lgkmcnt(0)
	s_barrier
	ds_read_b64 v[90:91], v94 offset:16
	s_mov_b32 s9, 3
	s_cmp_lt_i32 s18, 4
	v_mov_b32_e32 v92, 2
	s_cbranch_scc1 .LBB84_32
; %bb.30:
	v_add3_u32 v98, v99, 0, 24
	v_mov_b32_e32 v92, 2
.LBB84_31:                              ; =>This Inner Loop Header: Depth=1
	ds_read_b64 v[100:101], v98
	v_mov_b32_e32 v102, s9
	s_add_i32 s9, s9, 1
	v_add_u32_e32 v98, 8, v98
	s_cmp_lg_u32 s18, s9
	s_waitcnt lgkmcnt(0)
	v_cmp_lt_f64_e64 vcc, |v[90:91]|, |v[100:101]|
	v_cndmask_b32_e32 v91, v91, v101, vcc
	v_cndmask_b32_e32 v90, v90, v100, vcc
	;; [unrolled: 1-line block ×3, first 2 shown]
	s_cbranch_scc1 .LBB84_31
.LBB84_32:
	v_cndmask_b32_e64 v98, 2, 1, s[0:1]
	v_cndmask_b32_e64 v100, 0, 1, s[0:1]
	;; [unrolled: 1-line block ×3, first 2 shown]
	s_waitcnt lgkmcnt(0)
	v_cmp_eq_f64_e32 vcc, 0, v[90:91]
	s_and_saveexec_b64 s[0:1], vcc
	s_xor_b64 s[0:1], exec, s[0:1]
; %bb.33:
	v_cmp_ne_u32_e32 vcc, 0, v98
	v_cndmask_b32_e32 v98, 3, v98, vcc
; %bb.34:
	s_andn2_saveexec_b64 s[0:1], s[0:1]
; %bb.35:
	v_div_scale_f64 v[100:101], s[2:3], v[90:91], v[90:91], 1.0
	v_rcp_f64_e32 v[102:103], v[100:101]
	v_div_scale_f64 v[104:105], vcc, 1.0, v[90:91], 1.0
	v_fma_f64 v[106:107], -v[100:101], v[102:103], 1.0
	v_fmac_f64_e32 v[102:103], v[102:103], v[106:107]
	v_fma_f64 v[106:107], -v[100:101], v[102:103], 1.0
	v_fmac_f64_e32 v[102:103], v[102:103], v[106:107]
	v_mul_f64 v[106:107], v[104:105], v[102:103]
	v_fma_f64 v[100:101], -v[100:101], v[106:107], v[104:105]
	v_div_fmas_f64 v[100:101], v[100:101], v[102:103], v[106:107]
	v_div_fixup_f64 v[90:91], v[100:101], v[90:91], 1.0
; %bb.36:
	s_or_b64 exec, exec, s[0:1]
	v_cmp_ne_u32_e32 vcc, v95, v92
	s_and_saveexec_b64 s[0:1], vcc
	s_xor_b64 s[0:1], exec, s[0:1]
	s_cbranch_execz .LBB84_42
; %bb.37:
	v_cmp_eq_u32_e32 vcc, 2, v95
	s_and_saveexec_b64 s[2:3], vcc
	s_cbranch_execz .LBB84_41
; %bb.38:
	v_cmp_ne_u32_e32 vcc, 2, v92
	s_xor_b64 s[14:15], s[6:7], -1
	s_and_b64 s[16:17], s[14:15], vcc
	s_and_saveexec_b64 s[14:15], s[16:17]
	s_cbranch_execz .LBB84_40
; %bb.39:
	v_ashrrev_i32_e32 v93, 31, v92
	v_lshlrev_b64 v[100:101], 2, v[92:93]
	v_add_co_u32_e32 v100, vcc, v4, v100
	v_addc_co_u32_e32 v101, vcc, v5, v101, vcc
	flat_load_dword v93, v[100:101]
	flat_load_dword v95, v[4:5] offset:8
	s_waitcnt vmcnt(0) lgkmcnt(0)
	flat_store_dword v[4:5], v93 offset:8
	flat_store_dword v[100:101], v95
.LBB84_40:
	s_or_b64 exec, exec, s[14:15]
	v_mov_b32_e32 v93, v92
	v_mov_b32_e32 v95, v92
.LBB84_41:
	s_or_b64 exec, exec, s[2:3]
.LBB84_42:
	s_andn2_saveexec_b64 s[0:1], s[0:1]
	s_cbranch_execz .LBB84_44
; %bb.43:
	v_mov_b32_e32 v95, 2
	ds_write2_b64 v94, v[80:81], v[78:79] offset0:3 offset1:4
	ds_write2_b64 v94, v[76:77], v[74:75] offset0:5 offset1:6
	ds_write2_b64 v94, v[72:73], v[70:71] offset0:7 offset1:8
	ds_write2_b64 v94, v[68:69], v[66:67] offset0:9 offset1:10
	ds_write2_b64 v94, v[64:65], v[62:63] offset0:11 offset1:12
	ds_write2_b64 v94, v[60:61], v[56:57] offset0:13 offset1:14
	ds_write2_b64 v94, v[58:59], v[54:55] offset0:15 offset1:16
	ds_write2_b64 v94, v[52:53], v[50:51] offset0:17 offset1:18
	ds_write2_b64 v94, v[48:49], v[46:47] offset0:19 offset1:20
	ds_write2_b64 v94, v[44:45], v[42:43] offset0:21 offset1:22
	ds_write2_b64 v94, v[40:41], v[38:39] offset0:23 offset1:24
	ds_write2_b64 v94, v[36:37], v[34:35] offset0:25 offset1:26
	ds_write2_b64 v94, v[32:33], v[30:31] offset0:27 offset1:28
	ds_write2_b64 v94, v[26:27], v[28:29] offset0:29 offset1:30
	ds_write2_b64 v94, v[24:25], v[22:23] offset0:31 offset1:32
	ds_write2_b64 v94, v[20:21], v[18:19] offset0:33 offset1:34
	ds_write2_b64 v94, v[16:17], v[14:15] offset0:35 offset1:36
	ds_write2_b64 v94, v[12:13], v[10:11] offset0:37 offset1:38
	ds_write2_b64 v94, v[8:9], v[6:7] offset0:39 offset1:40
	ds_write2_b64 v94, v[0:1], v[88:89] offset0:41 offset1:42
.LBB84_44:
	s_or_b64 exec, exec, s[0:1]
	v_cmp_lt_i32_e32 vcc, 2, v95
	s_waitcnt lgkmcnt(0)
	s_barrier
	s_and_saveexec_b64 s[0:1], vcc
	s_cbranch_execz .LBB84_46
; %bb.45:
	ds_read2_b64 v[100:103], v94 offset0:3 offset1:4
	ds_read2_b64 v[104:107], v94 offset0:5 offset1:6
	v_mul_f64 v[82:83], v[90:91], v[82:83]
	ds_read2_b64 v[108:111], v94 offset0:7 offset1:8
	s_waitcnt lgkmcnt(0)
	v_fma_f64 v[80:81], -v[82:83], v[100:101], v[80:81]
	v_fma_f64 v[78:79], -v[82:83], v[102:103], v[78:79]
	ds_read2_b64 v[100:103], v94 offset0:9 offset1:10
	v_fma_f64 v[76:77], -v[82:83], v[104:105], v[76:77]
	v_fma_f64 v[74:75], -v[82:83], v[106:107], v[74:75]
	ds_read2_b64 v[104:107], v94 offset0:11 offset1:12
	;; [unrolled: 3-line block ×3, first 2 shown]
	s_waitcnt lgkmcnt(0)
	v_fma_f64 v[68:69], -v[82:83], v[100:101], v[68:69]
	v_fma_f64 v[66:67], -v[82:83], v[102:103], v[66:67]
	;; [unrolled: 1-line block ×3, first 2 shown]
	ds_read2_b64 v[100:103], v94 offset0:15 offset1:16
	v_fma_f64 v[62:63], -v[82:83], v[106:107], v[62:63]
	ds_read2_b64 v[104:107], v94 offset0:17 offset1:18
	v_fma_f64 v[60:61], -v[82:83], v[108:109], v[60:61]
	v_fma_f64 v[56:57], -v[82:83], v[110:111], v[56:57]
	s_waitcnt lgkmcnt(0)
	v_fma_f64 v[58:59], -v[82:83], v[100:101], v[58:59]
	ds_read2_b64 v[108:111], v94 offset0:19 offset1:20
	v_fma_f64 v[54:55], -v[82:83], v[102:103], v[54:55]
	ds_read2_b64 v[100:103], v94 offset0:21 offset1:22
	v_fma_f64 v[52:53], -v[82:83], v[104:105], v[52:53]
	v_fma_f64 v[50:51], -v[82:83], v[106:107], v[50:51]
	ds_read2_b64 v[104:107], v94 offset0:23 offset1:24
	s_waitcnt lgkmcnt(0)
	v_fma_f64 v[48:49], -v[82:83], v[108:109], v[48:49]
	v_fma_f64 v[46:47], -v[82:83], v[110:111], v[46:47]
	ds_read2_b64 v[108:111], v94 offset0:25 offset1:26
	v_fma_f64 v[44:45], -v[82:83], v[100:101], v[44:45]
	v_fma_f64 v[42:43], -v[82:83], v[102:103], v[42:43]
	;; [unrolled: 1-line block ×3, first 2 shown]
	ds_read2_b64 v[100:103], v94 offset0:27 offset1:28
	v_fma_f64 v[38:39], -v[82:83], v[106:107], v[38:39]
	ds_read2_b64 v[104:107], v94 offset0:29 offset1:30
	s_waitcnt lgkmcnt(0)
	v_fma_f64 v[36:37], -v[82:83], v[108:109], v[36:37]
	v_fma_f64 v[34:35], -v[82:83], v[110:111], v[34:35]
	;; [unrolled: 1-line block ×3, first 2 shown]
	ds_read2_b64 v[108:111], v94 offset0:31 offset1:32
	v_fma_f64 v[30:31], -v[82:83], v[102:103], v[30:31]
	ds_read2_b64 v[100:103], v94 offset0:33 offset1:34
	v_fma_f64 v[26:27], -v[82:83], v[104:105], v[26:27]
	v_fma_f64 v[28:29], -v[82:83], v[106:107], v[28:29]
	ds_read2_b64 v[104:107], v94 offset0:35 offset1:36
	s_waitcnt lgkmcnt(0)
	v_fma_f64 v[24:25], -v[82:83], v[108:109], v[24:25]
	v_fma_f64 v[22:23], -v[82:83], v[110:111], v[22:23]
	;; [unrolled: 1-line block ×4, first 2 shown]
	ds_read2_b64 v[100:103], v94 offset0:37 offset1:38
	v_fma_f64 v[16:17], -v[82:83], v[104:105], v[16:17]
	ds_read2_b64 v[108:111], v94 offset0:39 offset1:40
	v_fma_f64 v[14:15], -v[82:83], v[106:107], v[14:15]
	ds_read2_b64 v[104:107], v94 offset0:41 offset1:42
	s_waitcnt lgkmcnt(0)
	v_fma_f64 v[12:13], -v[82:83], v[100:101], v[12:13]
	v_fma_f64 v[10:11], -v[82:83], v[102:103], v[10:11]
	v_fma_f64 v[8:9], -v[82:83], v[108:109], v[8:9]
	v_fma_f64 v[6:7], -v[82:83], v[110:111], v[6:7]
	v_fma_f64 v[0:1], -v[82:83], v[104:105], v[0:1]
	v_fma_f64 v[88:89], -v[82:83], v[106:107], v[88:89]
.LBB84_46:
	s_or_b64 exec, exec, s[0:1]
	v_lshl_add_u32 v90, v95, 3, v94
	s_barrier
	ds_write_b64 v90, v[80:81]
	s_waitcnt lgkmcnt(0)
	s_barrier
	ds_read_b64 v[90:91], v94 offset:24
	s_cmp_lt_i32 s18, 5
	v_mov_b32_e32 v92, 3
	s_cbranch_scc1 .LBB84_49
; %bb.47:
	v_add3_u32 v100, v99, 0, 32
	s_mov_b32 s0, 4
	v_mov_b32_e32 v92, 3
.LBB84_48:                              ; =>This Inner Loop Header: Depth=1
	ds_read_b64 v[102:103], v100
	v_mov_b32_e32 v101, s0
	s_add_i32 s0, s0, 1
	v_add_u32_e32 v100, 8, v100
	s_cmp_lg_u32 s18, s0
	s_waitcnt lgkmcnt(0)
	v_cmp_lt_f64_e64 vcc, |v[90:91]|, |v[102:103]|
	v_cndmask_b32_e32 v91, v91, v103, vcc
	v_cndmask_b32_e32 v90, v90, v102, vcc
	;; [unrolled: 1-line block ×3, first 2 shown]
	s_cbranch_scc1 .LBB84_48
.LBB84_49:
	s_waitcnt lgkmcnt(0)
	v_cmp_eq_f64_e32 vcc, 0, v[90:91]
	s_and_saveexec_b64 s[0:1], vcc
	s_xor_b64 s[0:1], exec, s[0:1]
; %bb.50:
	v_cmp_ne_u32_e32 vcc, 0, v98
	v_cndmask_b32_e32 v98, 4, v98, vcc
; %bb.51:
	s_andn2_saveexec_b64 s[0:1], s[0:1]
; %bb.52:
	v_div_scale_f64 v[100:101], s[2:3], v[90:91], v[90:91], 1.0
	v_rcp_f64_e32 v[102:103], v[100:101]
	v_div_scale_f64 v[104:105], vcc, 1.0, v[90:91], 1.0
	v_fma_f64 v[106:107], -v[100:101], v[102:103], 1.0
	v_fmac_f64_e32 v[102:103], v[102:103], v[106:107]
	v_fma_f64 v[106:107], -v[100:101], v[102:103], 1.0
	v_fmac_f64_e32 v[102:103], v[102:103], v[106:107]
	v_mul_f64 v[106:107], v[104:105], v[102:103]
	v_fma_f64 v[100:101], -v[100:101], v[106:107], v[104:105]
	v_div_fmas_f64 v[100:101], v[100:101], v[102:103], v[106:107]
	v_div_fixup_f64 v[90:91], v[100:101], v[90:91], 1.0
; %bb.53:
	s_or_b64 exec, exec, s[0:1]
	v_cmp_ne_u32_e32 vcc, v95, v92
	s_and_saveexec_b64 s[0:1], vcc
	s_xor_b64 s[0:1], exec, s[0:1]
	s_cbranch_execz .LBB84_59
; %bb.54:
	v_cmp_eq_u32_e32 vcc, 3, v95
	s_and_saveexec_b64 s[2:3], vcc
	s_cbranch_execz .LBB84_58
; %bb.55:
	v_cmp_ne_u32_e32 vcc, 3, v92
	s_xor_b64 s[14:15], s[6:7], -1
	s_and_b64 s[16:17], s[14:15], vcc
	s_and_saveexec_b64 s[14:15], s[16:17]
	s_cbranch_execz .LBB84_57
; %bb.56:
	v_ashrrev_i32_e32 v93, 31, v92
	v_lshlrev_b64 v[100:101], 2, v[92:93]
	v_add_co_u32_e32 v100, vcc, v4, v100
	v_addc_co_u32_e32 v101, vcc, v5, v101, vcc
	flat_load_dword v93, v[100:101]
	flat_load_dword v95, v[4:5] offset:12
	s_waitcnt vmcnt(0) lgkmcnt(0)
	flat_store_dword v[4:5], v93 offset:12
	flat_store_dword v[100:101], v95
.LBB84_57:
	s_or_b64 exec, exec, s[14:15]
	v_mov_b32_e32 v93, v92
	v_mov_b32_e32 v95, v92
.LBB84_58:
	s_or_b64 exec, exec, s[2:3]
.LBB84_59:
	s_andn2_saveexec_b64 s[0:1], s[0:1]
	s_cbranch_execz .LBB84_61
; %bb.60:
	v_mov_b32_e32 v100, v78
	v_mov_b32_e32 v101, v79
	v_mov_b32_e32 v102, v76
	v_mov_b32_e32 v103, v77
	ds_write2_b64 v94, v[100:101], v[102:103] offset0:4 offset1:5
	v_mov_b32_e32 v100, v74
	v_mov_b32_e32 v101, v75
	v_mov_b32_e32 v102, v72
	v_mov_b32_e32 v103, v73
	ds_write2_b64 v94, v[100:101], v[102:103] offset0:6 offset1:7
	;; [unrolled: 5-line block ×18, first 2 shown]
	v_mov_b32_e32 v100, v6
	v_mov_b32_e32 v101, v7
	;; [unrolled: 1-line block ×5, first 2 shown]
	ds_write2_b64 v94, v[100:101], v[102:103] offset0:40 offset1:41
	ds_write_b64 v94, v[88:89] offset:336
.LBB84_61:
	s_or_b64 exec, exec, s[0:1]
	v_cmp_lt_i32_e32 vcc, 3, v95
	s_waitcnt lgkmcnt(0)
	s_barrier
	s_and_saveexec_b64 s[0:1], vcc
	s_cbranch_execz .LBB84_63
; %bb.62:
	ds_read2_b64 v[100:103], v94 offset0:4 offset1:5
	ds_read2_b64 v[104:107], v94 offset0:6 offset1:7
	v_mul_f64 v[80:81], v[90:91], v[80:81]
	ds_read2_b64 v[108:111], v94 offset0:8 offset1:9
	ds_read_b64 v[90:91], v94 offset:336
	s_waitcnt lgkmcnt(0)
	v_fma_f64 v[78:79], -v[80:81], v[100:101], v[78:79]
	v_fma_f64 v[76:77], -v[80:81], v[102:103], v[76:77]
	ds_read2_b64 v[100:103], v94 offset0:10 offset1:11
	v_fma_f64 v[74:75], -v[80:81], v[104:105], v[74:75]
	v_fma_f64 v[72:73], -v[80:81], v[106:107], v[72:73]
	;; [unrolled: 1-line block ×3, first 2 shown]
	ds_read2_b64 v[104:107], v94 offset0:12 offset1:13
	v_fma_f64 v[68:69], -v[80:81], v[110:111], v[68:69]
	ds_read2_b64 v[108:111], v94 offset0:14 offset1:15
	s_waitcnt lgkmcnt(0)
	v_fma_f64 v[66:67], -v[80:81], v[100:101], v[66:67]
	v_fma_f64 v[64:65], -v[80:81], v[102:103], v[64:65]
	ds_read2_b64 v[100:103], v94 offset0:16 offset1:17
	v_fma_f64 v[62:63], -v[80:81], v[104:105], v[62:63]
	v_fma_f64 v[60:61], -v[80:81], v[106:107], v[60:61]
	ds_read2_b64 v[104:107], v94 offset0:18 offset1:19
	v_fma_f64 v[56:57], -v[80:81], v[108:109], v[56:57]
	v_fma_f64 v[58:59], -v[80:81], v[110:111], v[58:59]
	s_waitcnt lgkmcnt(0)
	v_fma_f64 v[54:55], -v[80:81], v[100:101], v[54:55]
	ds_read2_b64 v[108:111], v94 offset0:20 offset1:21
	v_fma_f64 v[52:53], -v[80:81], v[102:103], v[52:53]
	ds_read2_b64 v[100:103], v94 offset0:22 offset1:23
	v_fma_f64 v[50:51], -v[80:81], v[104:105], v[50:51]
	v_fma_f64 v[48:49], -v[80:81], v[106:107], v[48:49]
	s_waitcnt lgkmcnt(0)
	v_fma_f64 v[46:47], -v[80:81], v[108:109], v[46:47]
	ds_read2_b64 v[104:107], v94 offset0:24 offset1:25
	v_fma_f64 v[44:45], -v[80:81], v[110:111], v[44:45]
	ds_read2_b64 v[108:111], v94 offset0:26 offset1:27
	v_fma_f64 v[42:43], -v[80:81], v[100:101], v[42:43]
	v_fma_f64 v[40:41], -v[80:81], v[102:103], v[40:41]
	ds_read2_b64 v[100:103], v94 offset0:28 offset1:29
	s_waitcnt lgkmcnt(0)
	v_fma_f64 v[38:39], -v[80:81], v[104:105], v[38:39]
	v_fma_f64 v[36:37], -v[80:81], v[106:107], v[36:37]
	ds_read2_b64 v[104:107], v94 offset0:30 offset1:31
	v_fma_f64 v[34:35], -v[80:81], v[108:109], v[34:35]
	v_fma_f64 v[32:33], -v[80:81], v[110:111], v[32:33]
	;; [unrolled: 1-line block ×3, first 2 shown]
	ds_read2_b64 v[108:111], v94 offset0:32 offset1:33
	v_fma_f64 v[26:27], -v[80:81], v[102:103], v[26:27]
	ds_read2_b64 v[100:103], v94 offset0:34 offset1:35
	s_waitcnt lgkmcnt(0)
	v_fma_f64 v[28:29], -v[80:81], v[104:105], v[28:29]
	v_fma_f64 v[24:25], -v[80:81], v[106:107], v[24:25]
	;; [unrolled: 1-line block ×3, first 2 shown]
	ds_read2_b64 v[104:107], v94 offset0:36 offset1:37
	v_fma_f64 v[20:21], -v[80:81], v[110:111], v[20:21]
	v_fma_f64 v[18:19], -v[80:81], v[100:101], v[18:19]
	;; [unrolled: 1-line block ×3, first 2 shown]
	ds_read2_b64 v[100:103], v94 offset0:38 offset1:39
	ds_read2_b64 v[108:111], v94 offset0:40 offset1:41
	s_waitcnt lgkmcnt(0)
	v_fma_f64 v[14:15], -v[80:81], v[104:105], v[14:15]
	v_fma_f64 v[12:13], -v[80:81], v[106:107], v[12:13]
	;; [unrolled: 1-line block ×7, first 2 shown]
.LBB84_63:
	s_or_b64 exec, exec, s[0:1]
	v_lshl_add_u32 v90, v95, 3, v94
	s_barrier
	ds_write_b64 v90, v[78:79]
	s_waitcnt lgkmcnt(0)
	s_barrier
	ds_read_b64 v[90:91], v94 offset:32
	s_cmp_lt_i32 s18, 6
	v_mov_b32_e32 v92, 4
	s_cbranch_scc1 .LBB84_66
; %bb.64:
	v_add3_u32 v100, v99, 0, 40
	s_mov_b32 s0, 5
	v_mov_b32_e32 v92, 4
.LBB84_65:                              ; =>This Inner Loop Header: Depth=1
	ds_read_b64 v[102:103], v100
	v_mov_b32_e32 v101, s0
	s_add_i32 s0, s0, 1
	v_add_u32_e32 v100, 8, v100
	s_cmp_lg_u32 s18, s0
	s_waitcnt lgkmcnt(0)
	v_cmp_lt_f64_e64 vcc, |v[90:91]|, |v[102:103]|
	v_cndmask_b32_e32 v91, v91, v103, vcc
	v_cndmask_b32_e32 v90, v90, v102, vcc
	;; [unrolled: 1-line block ×3, first 2 shown]
	s_cbranch_scc1 .LBB84_65
.LBB84_66:
	s_waitcnt lgkmcnt(0)
	v_cmp_eq_f64_e32 vcc, 0, v[90:91]
	s_and_saveexec_b64 s[0:1], vcc
	s_xor_b64 s[0:1], exec, s[0:1]
; %bb.67:
	v_cmp_ne_u32_e32 vcc, 0, v98
	v_cndmask_b32_e32 v98, 5, v98, vcc
; %bb.68:
	s_andn2_saveexec_b64 s[0:1], s[0:1]
; %bb.69:
	v_div_scale_f64 v[100:101], s[2:3], v[90:91], v[90:91], 1.0
	v_rcp_f64_e32 v[102:103], v[100:101]
	v_div_scale_f64 v[104:105], vcc, 1.0, v[90:91], 1.0
	v_fma_f64 v[106:107], -v[100:101], v[102:103], 1.0
	v_fmac_f64_e32 v[102:103], v[102:103], v[106:107]
	v_fma_f64 v[106:107], -v[100:101], v[102:103], 1.0
	v_fmac_f64_e32 v[102:103], v[102:103], v[106:107]
	v_mul_f64 v[106:107], v[104:105], v[102:103]
	v_fma_f64 v[100:101], -v[100:101], v[106:107], v[104:105]
	v_div_fmas_f64 v[100:101], v[100:101], v[102:103], v[106:107]
	v_div_fixup_f64 v[90:91], v[100:101], v[90:91], 1.0
; %bb.70:
	s_or_b64 exec, exec, s[0:1]
	v_cmp_ne_u32_e32 vcc, v95, v92
	s_and_saveexec_b64 s[0:1], vcc
	s_xor_b64 s[0:1], exec, s[0:1]
	s_cbranch_execz .LBB84_76
; %bb.71:
	v_cmp_eq_u32_e32 vcc, 4, v95
	s_and_saveexec_b64 s[2:3], vcc
	s_cbranch_execz .LBB84_75
; %bb.72:
	v_cmp_ne_u32_e32 vcc, 4, v92
	s_xor_b64 s[14:15], s[6:7], -1
	s_and_b64 s[16:17], s[14:15], vcc
	s_and_saveexec_b64 s[14:15], s[16:17]
	s_cbranch_execz .LBB84_74
; %bb.73:
	v_ashrrev_i32_e32 v93, 31, v92
	v_lshlrev_b64 v[100:101], 2, v[92:93]
	v_add_co_u32_e32 v100, vcc, v4, v100
	v_addc_co_u32_e32 v101, vcc, v5, v101, vcc
	flat_load_dword v93, v[100:101]
	flat_load_dword v95, v[4:5] offset:16
	s_waitcnt vmcnt(0) lgkmcnt(0)
	flat_store_dword v[4:5], v93 offset:16
	flat_store_dword v[100:101], v95
.LBB84_74:
	s_or_b64 exec, exec, s[14:15]
	v_mov_b32_e32 v93, v92
	v_mov_b32_e32 v95, v92
.LBB84_75:
	s_or_b64 exec, exec, s[2:3]
.LBB84_76:
	s_andn2_saveexec_b64 s[0:1], s[0:1]
	s_cbranch_execz .LBB84_78
; %bb.77:
	v_mov_b32_e32 v95, 4
	ds_write2_b64 v94, v[76:77], v[74:75] offset0:5 offset1:6
	ds_write2_b64 v94, v[72:73], v[70:71] offset0:7 offset1:8
	ds_write2_b64 v94, v[68:69], v[66:67] offset0:9 offset1:10
	ds_write2_b64 v94, v[64:65], v[62:63] offset0:11 offset1:12
	ds_write2_b64 v94, v[60:61], v[56:57] offset0:13 offset1:14
	ds_write2_b64 v94, v[58:59], v[54:55] offset0:15 offset1:16
	ds_write2_b64 v94, v[52:53], v[50:51] offset0:17 offset1:18
	ds_write2_b64 v94, v[48:49], v[46:47] offset0:19 offset1:20
	ds_write2_b64 v94, v[44:45], v[42:43] offset0:21 offset1:22
	ds_write2_b64 v94, v[40:41], v[38:39] offset0:23 offset1:24
	ds_write2_b64 v94, v[36:37], v[34:35] offset0:25 offset1:26
	ds_write2_b64 v94, v[32:33], v[30:31] offset0:27 offset1:28
	ds_write2_b64 v94, v[26:27], v[28:29] offset0:29 offset1:30
	ds_write2_b64 v94, v[24:25], v[22:23] offset0:31 offset1:32
	ds_write2_b64 v94, v[20:21], v[18:19] offset0:33 offset1:34
	ds_write2_b64 v94, v[16:17], v[14:15] offset0:35 offset1:36
	ds_write2_b64 v94, v[12:13], v[10:11] offset0:37 offset1:38
	ds_write2_b64 v94, v[8:9], v[6:7] offset0:39 offset1:40
	ds_write2_b64 v94, v[0:1], v[88:89] offset0:41 offset1:42
.LBB84_78:
	s_or_b64 exec, exec, s[0:1]
	v_cmp_lt_i32_e32 vcc, 4, v95
	s_waitcnt lgkmcnt(0)
	s_barrier
	s_and_saveexec_b64 s[0:1], vcc
	s_cbranch_execz .LBB84_80
; %bb.79:
	ds_read2_b64 v[100:103], v94 offset0:5 offset1:6
	ds_read2_b64 v[104:107], v94 offset0:7 offset1:8
	v_mul_f64 v[78:79], v[90:91], v[78:79]
	ds_read2_b64 v[108:111], v94 offset0:9 offset1:10
	s_waitcnt lgkmcnt(0)
	v_fma_f64 v[76:77], -v[78:79], v[100:101], v[76:77]
	v_fma_f64 v[74:75], -v[78:79], v[102:103], v[74:75]
	ds_read2_b64 v[100:103], v94 offset0:11 offset1:12
	v_fma_f64 v[72:73], -v[78:79], v[104:105], v[72:73]
	v_fma_f64 v[70:71], -v[78:79], v[106:107], v[70:71]
	;; [unrolled: 1-line block ×3, first 2 shown]
	ds_read2_b64 v[104:107], v94 offset0:13 offset1:14
	v_fma_f64 v[66:67], -v[78:79], v[110:111], v[66:67]
	ds_read2_b64 v[108:111], v94 offset0:15 offset1:16
	s_waitcnt lgkmcnt(0)
	v_fma_f64 v[64:65], -v[78:79], v[100:101], v[64:65]
	v_fma_f64 v[62:63], -v[78:79], v[102:103], v[62:63]
	ds_read2_b64 v[100:103], v94 offset0:17 offset1:18
	v_fma_f64 v[60:61], -v[78:79], v[104:105], v[60:61]
	v_fma_f64 v[56:57], -v[78:79], v[106:107], v[56:57]
	ds_read2_b64 v[104:107], v94 offset0:19 offset1:20
	v_fma_f64 v[58:59], -v[78:79], v[108:109], v[58:59]
	v_fma_f64 v[54:55], -v[78:79], v[110:111], v[54:55]
	s_waitcnt lgkmcnt(0)
	v_fma_f64 v[52:53], -v[78:79], v[100:101], v[52:53]
	ds_read2_b64 v[108:111], v94 offset0:21 offset1:22
	v_fma_f64 v[50:51], -v[78:79], v[102:103], v[50:51]
	ds_read2_b64 v[100:103], v94 offset0:23 offset1:24
	v_fma_f64 v[48:49], -v[78:79], v[104:105], v[48:49]
	v_fma_f64 v[46:47], -v[78:79], v[106:107], v[46:47]
	s_waitcnt lgkmcnt(0)
	v_fma_f64 v[44:45], -v[78:79], v[108:109], v[44:45]
	ds_read2_b64 v[104:107], v94 offset0:25 offset1:26
	v_fma_f64 v[42:43], -v[78:79], v[110:111], v[42:43]
	ds_read2_b64 v[108:111], v94 offset0:27 offset1:28
	v_fma_f64 v[40:41], -v[78:79], v[100:101], v[40:41]
	v_fma_f64 v[38:39], -v[78:79], v[102:103], v[38:39]
	ds_read2_b64 v[100:103], v94 offset0:29 offset1:30
	s_waitcnt lgkmcnt(0)
	v_fma_f64 v[36:37], -v[78:79], v[104:105], v[36:37]
	v_fma_f64 v[34:35], -v[78:79], v[106:107], v[34:35]
	ds_read2_b64 v[104:107], v94 offset0:31 offset1:32
	v_fma_f64 v[32:33], -v[78:79], v[108:109], v[32:33]
	v_fma_f64 v[30:31], -v[78:79], v[110:111], v[30:31]
	;; [unrolled: 1-line block ×3, first 2 shown]
	ds_read2_b64 v[108:111], v94 offset0:33 offset1:34
	v_fma_f64 v[28:29], -v[78:79], v[102:103], v[28:29]
	ds_read2_b64 v[100:103], v94 offset0:35 offset1:36
	s_waitcnt lgkmcnt(0)
	v_fma_f64 v[24:25], -v[78:79], v[104:105], v[24:25]
	v_fma_f64 v[22:23], -v[78:79], v[106:107], v[22:23]
	v_fma_f64 v[20:21], -v[78:79], v[108:109], v[20:21]
	v_fma_f64 v[18:19], -v[78:79], v[110:111], v[18:19]
	ds_read2_b64 v[104:107], v94 offset0:37 offset1:38
	ds_read2_b64 v[108:111], v94 offset0:39 offset1:40
	v_fma_f64 v[16:17], -v[78:79], v[100:101], v[16:17]
	v_fma_f64 v[14:15], -v[78:79], v[102:103], v[14:15]
	ds_read2_b64 v[100:103], v94 offset0:41 offset1:42
	s_waitcnt lgkmcnt(0)
	v_fma_f64 v[12:13], -v[78:79], v[104:105], v[12:13]
	v_fma_f64 v[10:11], -v[78:79], v[106:107], v[10:11]
	;; [unrolled: 1-line block ×6, first 2 shown]
.LBB84_80:
	s_or_b64 exec, exec, s[0:1]
	v_lshl_add_u32 v90, v95, 3, v94
	s_barrier
	ds_write_b64 v90, v[76:77]
	s_waitcnt lgkmcnt(0)
	s_barrier
	ds_read_b64 v[90:91], v94 offset:40
	s_cmp_lt_i32 s18, 7
	v_mov_b32_e32 v92, 5
	s_cbranch_scc1 .LBB84_83
; %bb.81:
	v_add3_u32 v100, v99, 0, 48
	s_mov_b32 s0, 6
	v_mov_b32_e32 v92, 5
.LBB84_82:                              ; =>This Inner Loop Header: Depth=1
	ds_read_b64 v[102:103], v100
	v_mov_b32_e32 v101, s0
	s_add_i32 s0, s0, 1
	v_add_u32_e32 v100, 8, v100
	s_cmp_lg_u32 s18, s0
	s_waitcnt lgkmcnt(0)
	v_cmp_lt_f64_e64 vcc, |v[90:91]|, |v[102:103]|
	v_cndmask_b32_e32 v91, v91, v103, vcc
	v_cndmask_b32_e32 v90, v90, v102, vcc
	;; [unrolled: 1-line block ×3, first 2 shown]
	s_cbranch_scc1 .LBB84_82
.LBB84_83:
	s_waitcnt lgkmcnt(0)
	v_cmp_eq_f64_e32 vcc, 0, v[90:91]
	s_and_saveexec_b64 s[0:1], vcc
	s_xor_b64 s[0:1], exec, s[0:1]
; %bb.84:
	v_cmp_ne_u32_e32 vcc, 0, v98
	v_cndmask_b32_e32 v98, 6, v98, vcc
; %bb.85:
	s_andn2_saveexec_b64 s[0:1], s[0:1]
; %bb.86:
	v_div_scale_f64 v[100:101], s[2:3], v[90:91], v[90:91], 1.0
	v_rcp_f64_e32 v[102:103], v[100:101]
	v_div_scale_f64 v[104:105], vcc, 1.0, v[90:91], 1.0
	v_fma_f64 v[106:107], -v[100:101], v[102:103], 1.0
	v_fmac_f64_e32 v[102:103], v[102:103], v[106:107]
	v_fma_f64 v[106:107], -v[100:101], v[102:103], 1.0
	v_fmac_f64_e32 v[102:103], v[102:103], v[106:107]
	v_mul_f64 v[106:107], v[104:105], v[102:103]
	v_fma_f64 v[100:101], -v[100:101], v[106:107], v[104:105]
	v_div_fmas_f64 v[100:101], v[100:101], v[102:103], v[106:107]
	v_div_fixup_f64 v[90:91], v[100:101], v[90:91], 1.0
; %bb.87:
	s_or_b64 exec, exec, s[0:1]
	v_cmp_ne_u32_e32 vcc, v95, v92
	s_and_saveexec_b64 s[0:1], vcc
	s_xor_b64 s[0:1], exec, s[0:1]
	s_cbranch_execz .LBB84_93
; %bb.88:
	v_cmp_eq_u32_e32 vcc, 5, v95
	s_and_saveexec_b64 s[2:3], vcc
	s_cbranch_execz .LBB84_92
; %bb.89:
	v_cmp_ne_u32_e32 vcc, 5, v92
	s_xor_b64 s[14:15], s[6:7], -1
	s_and_b64 s[16:17], s[14:15], vcc
	s_and_saveexec_b64 s[14:15], s[16:17]
	s_cbranch_execz .LBB84_91
; %bb.90:
	v_ashrrev_i32_e32 v93, 31, v92
	v_lshlrev_b64 v[100:101], 2, v[92:93]
	v_add_co_u32_e32 v100, vcc, v4, v100
	v_addc_co_u32_e32 v101, vcc, v5, v101, vcc
	flat_load_dword v93, v[100:101]
	flat_load_dword v95, v[4:5] offset:20
	s_waitcnt vmcnt(0) lgkmcnt(0)
	flat_store_dword v[4:5], v93 offset:20
	flat_store_dword v[100:101], v95
.LBB84_91:
	s_or_b64 exec, exec, s[14:15]
	v_mov_b32_e32 v93, v92
	v_mov_b32_e32 v95, v92
.LBB84_92:
	s_or_b64 exec, exec, s[2:3]
.LBB84_93:
	s_andn2_saveexec_b64 s[0:1], s[0:1]
	s_cbranch_execz .LBB84_95
; %bb.94:
	v_mov_b32_e32 v100, v74
	v_mov_b32_e32 v101, v75
	v_mov_b32_e32 v102, v72
	v_mov_b32_e32 v103, v73
	ds_write2_b64 v94, v[100:101], v[102:103] offset0:6 offset1:7
	v_mov_b32_e32 v100, v70
	v_mov_b32_e32 v101, v71
	v_mov_b32_e32 v102, v68
	v_mov_b32_e32 v103, v69
	ds_write2_b64 v94, v[100:101], v[102:103] offset0:8 offset1:9
	;; [unrolled: 5-line block ×17, first 2 shown]
	v_mov_b32_e32 v100, v6
	v_mov_b32_e32 v101, v7
	;; [unrolled: 1-line block ×5, first 2 shown]
	ds_write2_b64 v94, v[100:101], v[102:103] offset0:40 offset1:41
	ds_write_b64 v94, v[88:89] offset:336
.LBB84_95:
	s_or_b64 exec, exec, s[0:1]
	v_cmp_lt_i32_e32 vcc, 5, v95
	s_waitcnt lgkmcnt(0)
	s_barrier
	s_and_saveexec_b64 s[0:1], vcc
	s_cbranch_execz .LBB84_97
; %bb.96:
	ds_read2_b64 v[100:103], v94 offset0:6 offset1:7
	ds_read2_b64 v[104:107], v94 offset0:8 offset1:9
	;; [unrolled: 1-line block ×3, first 2 shown]
	v_mul_f64 v[76:77], v[90:91], v[76:77]
	ds_read_b64 v[90:91], v94 offset:336
	s_waitcnt lgkmcnt(0)
	v_fma_f64 v[74:75], -v[76:77], v[100:101], v[74:75]
	v_fma_f64 v[72:73], -v[76:77], v[102:103], v[72:73]
	ds_read2_b64 v[100:103], v94 offset0:12 offset1:13
	v_fma_f64 v[70:71], -v[76:77], v[104:105], v[70:71]
	v_fma_f64 v[68:69], -v[76:77], v[106:107], v[68:69]
	;; [unrolled: 1-line block ×3, first 2 shown]
	ds_read2_b64 v[104:107], v94 offset0:14 offset1:15
	v_fma_f64 v[64:65], -v[76:77], v[110:111], v[64:65]
	ds_read2_b64 v[108:111], v94 offset0:16 offset1:17
	s_waitcnt lgkmcnt(0)
	v_fma_f64 v[62:63], -v[76:77], v[100:101], v[62:63]
	v_fma_f64 v[60:61], -v[76:77], v[102:103], v[60:61]
	;; [unrolled: 1-line block ×3, first 2 shown]
	ds_read2_b64 v[100:103], v94 offset0:18 offset1:19
	v_fma_f64 v[58:59], -v[76:77], v[106:107], v[58:59]
	ds_read2_b64 v[104:107], v94 offset0:20 offset1:21
	v_fma_f64 v[54:55], -v[76:77], v[108:109], v[54:55]
	v_fma_f64 v[52:53], -v[76:77], v[110:111], v[52:53]
	ds_read2_b64 v[108:111], v94 offset0:22 offset1:23
	s_waitcnt lgkmcnt(0)
	v_fma_f64 v[50:51], -v[76:77], v[100:101], v[50:51]
	v_fma_f64 v[48:49], -v[76:77], v[102:103], v[48:49]
	ds_read2_b64 v[100:103], v94 offset0:24 offset1:25
	v_fma_f64 v[46:47], -v[76:77], v[104:105], v[46:47]
	v_fma_f64 v[44:45], -v[76:77], v[106:107], v[44:45]
	;; [unrolled: 1-line block ×3, first 2 shown]
	ds_read2_b64 v[104:107], v94 offset0:26 offset1:27
	v_fma_f64 v[40:41], -v[76:77], v[110:111], v[40:41]
	ds_read2_b64 v[108:111], v94 offset0:28 offset1:29
	s_waitcnt lgkmcnt(0)
	v_fma_f64 v[38:39], -v[76:77], v[100:101], v[38:39]
	v_fma_f64 v[36:37], -v[76:77], v[102:103], v[36:37]
	;; [unrolled: 1-line block ×3, first 2 shown]
	ds_read2_b64 v[100:103], v94 offset0:30 offset1:31
	v_fma_f64 v[32:33], -v[76:77], v[106:107], v[32:33]
	ds_read2_b64 v[104:107], v94 offset0:32 offset1:33
	v_fma_f64 v[30:31], -v[76:77], v[108:109], v[30:31]
	v_fma_f64 v[26:27], -v[76:77], v[110:111], v[26:27]
	ds_read2_b64 v[108:111], v94 offset0:34 offset1:35
	s_waitcnt lgkmcnt(0)
	v_fma_f64 v[28:29], -v[76:77], v[100:101], v[28:29]
	v_fma_f64 v[24:25], -v[76:77], v[102:103], v[24:25]
	ds_read2_b64 v[100:103], v94 offset0:36 offset1:37
	v_fma_f64 v[22:23], -v[76:77], v[104:105], v[22:23]
	v_fma_f64 v[20:21], -v[76:77], v[106:107], v[20:21]
	;; [unrolled: 1-line block ×4, first 2 shown]
	ds_read2_b64 v[104:107], v94 offset0:38 offset1:39
	ds_read2_b64 v[108:111], v94 offset0:40 offset1:41
	s_waitcnt lgkmcnt(0)
	v_fma_f64 v[14:15], -v[76:77], v[100:101], v[14:15]
	v_fma_f64 v[12:13], -v[76:77], v[102:103], v[12:13]
	;; [unrolled: 1-line block ×7, first 2 shown]
.LBB84_97:
	s_or_b64 exec, exec, s[0:1]
	v_lshl_add_u32 v90, v95, 3, v94
	s_barrier
	ds_write_b64 v90, v[74:75]
	s_waitcnt lgkmcnt(0)
	s_barrier
	ds_read_b64 v[90:91], v94 offset:48
	s_cmp_lt_i32 s18, 8
	v_mov_b32_e32 v92, 6
	s_cbranch_scc1 .LBB84_100
; %bb.98:
	v_add3_u32 v100, v99, 0, 56
	s_mov_b32 s0, 7
	v_mov_b32_e32 v92, 6
.LBB84_99:                              ; =>This Inner Loop Header: Depth=1
	ds_read_b64 v[102:103], v100
	v_mov_b32_e32 v101, s0
	s_add_i32 s0, s0, 1
	v_add_u32_e32 v100, 8, v100
	s_cmp_lg_u32 s18, s0
	s_waitcnt lgkmcnt(0)
	v_cmp_lt_f64_e64 vcc, |v[90:91]|, |v[102:103]|
	v_cndmask_b32_e32 v91, v91, v103, vcc
	v_cndmask_b32_e32 v90, v90, v102, vcc
	;; [unrolled: 1-line block ×3, first 2 shown]
	s_cbranch_scc1 .LBB84_99
.LBB84_100:
	s_waitcnt lgkmcnt(0)
	v_cmp_eq_f64_e32 vcc, 0, v[90:91]
	s_and_saveexec_b64 s[0:1], vcc
	s_xor_b64 s[0:1], exec, s[0:1]
; %bb.101:
	v_cmp_ne_u32_e32 vcc, 0, v98
	v_cndmask_b32_e32 v98, 7, v98, vcc
; %bb.102:
	s_andn2_saveexec_b64 s[0:1], s[0:1]
; %bb.103:
	v_div_scale_f64 v[100:101], s[2:3], v[90:91], v[90:91], 1.0
	v_rcp_f64_e32 v[102:103], v[100:101]
	v_div_scale_f64 v[104:105], vcc, 1.0, v[90:91], 1.0
	v_fma_f64 v[106:107], -v[100:101], v[102:103], 1.0
	v_fmac_f64_e32 v[102:103], v[102:103], v[106:107]
	v_fma_f64 v[106:107], -v[100:101], v[102:103], 1.0
	v_fmac_f64_e32 v[102:103], v[102:103], v[106:107]
	v_mul_f64 v[106:107], v[104:105], v[102:103]
	v_fma_f64 v[100:101], -v[100:101], v[106:107], v[104:105]
	v_div_fmas_f64 v[100:101], v[100:101], v[102:103], v[106:107]
	v_div_fixup_f64 v[90:91], v[100:101], v[90:91], 1.0
; %bb.104:
	s_or_b64 exec, exec, s[0:1]
	v_cmp_ne_u32_e32 vcc, v95, v92
	s_and_saveexec_b64 s[0:1], vcc
	s_xor_b64 s[0:1], exec, s[0:1]
	s_cbranch_execz .LBB84_110
; %bb.105:
	v_cmp_eq_u32_e32 vcc, 6, v95
	s_and_saveexec_b64 s[2:3], vcc
	s_cbranch_execz .LBB84_109
; %bb.106:
	v_cmp_ne_u32_e32 vcc, 6, v92
	s_xor_b64 s[14:15], s[6:7], -1
	s_and_b64 s[16:17], s[14:15], vcc
	s_and_saveexec_b64 s[14:15], s[16:17]
	s_cbranch_execz .LBB84_108
; %bb.107:
	v_ashrrev_i32_e32 v93, 31, v92
	v_lshlrev_b64 v[100:101], 2, v[92:93]
	v_add_co_u32_e32 v100, vcc, v4, v100
	v_addc_co_u32_e32 v101, vcc, v5, v101, vcc
	flat_load_dword v93, v[100:101]
	flat_load_dword v95, v[4:5] offset:24
	s_waitcnt vmcnt(0) lgkmcnt(0)
	flat_store_dword v[4:5], v93 offset:24
	flat_store_dword v[100:101], v95
.LBB84_108:
	s_or_b64 exec, exec, s[14:15]
	v_mov_b32_e32 v93, v92
	v_mov_b32_e32 v95, v92
.LBB84_109:
	s_or_b64 exec, exec, s[2:3]
.LBB84_110:
	s_andn2_saveexec_b64 s[0:1], s[0:1]
	s_cbranch_execz .LBB84_112
; %bb.111:
	v_mov_b32_e32 v95, 6
	ds_write2_b64 v94, v[72:73], v[70:71] offset0:7 offset1:8
	ds_write2_b64 v94, v[68:69], v[66:67] offset0:9 offset1:10
	;; [unrolled: 1-line block ×18, first 2 shown]
.LBB84_112:
	s_or_b64 exec, exec, s[0:1]
	v_cmp_lt_i32_e32 vcc, 6, v95
	s_waitcnt lgkmcnt(0)
	s_barrier
	s_and_saveexec_b64 s[0:1], vcc
	s_cbranch_execz .LBB84_114
; %bb.113:
	ds_read2_b64 v[100:103], v94 offset0:7 offset1:8
	ds_read2_b64 v[104:107], v94 offset0:9 offset1:10
	ds_read2_b64 v[108:111], v94 offset0:11 offset1:12
	v_mul_f64 v[74:75], v[90:91], v[74:75]
	s_waitcnt lgkmcnt(0)
	v_fma_f64 v[72:73], -v[74:75], v[100:101], v[72:73]
	v_fma_f64 v[70:71], -v[74:75], v[102:103], v[70:71]
	ds_read2_b64 v[100:103], v94 offset0:13 offset1:14
	v_fma_f64 v[68:69], -v[74:75], v[104:105], v[68:69]
	v_fma_f64 v[66:67], -v[74:75], v[106:107], v[66:67]
	;; [unrolled: 1-line block ×3, first 2 shown]
	ds_read2_b64 v[104:107], v94 offset0:15 offset1:16
	v_fma_f64 v[62:63], -v[74:75], v[110:111], v[62:63]
	ds_read2_b64 v[108:111], v94 offset0:17 offset1:18
	s_waitcnt lgkmcnt(0)
	v_fma_f64 v[60:61], -v[74:75], v[100:101], v[60:61]
	v_fma_f64 v[56:57], -v[74:75], v[102:103], v[56:57]
	;; [unrolled: 1-line block ×3, first 2 shown]
	ds_read2_b64 v[100:103], v94 offset0:19 offset1:20
	v_fma_f64 v[54:55], -v[74:75], v[106:107], v[54:55]
	ds_read2_b64 v[104:107], v94 offset0:21 offset1:22
	v_fma_f64 v[52:53], -v[74:75], v[108:109], v[52:53]
	v_fma_f64 v[50:51], -v[74:75], v[110:111], v[50:51]
	ds_read2_b64 v[108:111], v94 offset0:23 offset1:24
	s_waitcnt lgkmcnt(0)
	v_fma_f64 v[48:49], -v[74:75], v[100:101], v[48:49]
	v_fma_f64 v[46:47], -v[74:75], v[102:103], v[46:47]
	ds_read2_b64 v[100:103], v94 offset0:25 offset1:26
	v_fma_f64 v[44:45], -v[74:75], v[104:105], v[44:45]
	v_fma_f64 v[42:43], -v[74:75], v[106:107], v[42:43]
	;; [unrolled: 1-line block ×3, first 2 shown]
	ds_read2_b64 v[104:107], v94 offset0:27 offset1:28
	v_fma_f64 v[38:39], -v[74:75], v[110:111], v[38:39]
	ds_read2_b64 v[108:111], v94 offset0:29 offset1:30
	s_waitcnt lgkmcnt(0)
	v_fma_f64 v[36:37], -v[74:75], v[100:101], v[36:37]
	v_fma_f64 v[34:35], -v[74:75], v[102:103], v[34:35]
	;; [unrolled: 1-line block ×3, first 2 shown]
	ds_read2_b64 v[100:103], v94 offset0:31 offset1:32
	v_fma_f64 v[30:31], -v[74:75], v[106:107], v[30:31]
	ds_read2_b64 v[104:107], v94 offset0:33 offset1:34
	v_fma_f64 v[26:27], -v[74:75], v[108:109], v[26:27]
	v_fma_f64 v[28:29], -v[74:75], v[110:111], v[28:29]
	ds_read2_b64 v[108:111], v94 offset0:35 offset1:36
	s_waitcnt lgkmcnt(0)
	v_fma_f64 v[24:25], -v[74:75], v[100:101], v[24:25]
	v_fma_f64 v[22:23], -v[74:75], v[102:103], v[22:23]
	ds_read2_b64 v[100:103], v94 offset0:37 offset1:38
	v_fma_f64 v[20:21], -v[74:75], v[104:105], v[20:21]
	v_fma_f64 v[18:19], -v[74:75], v[106:107], v[18:19]
	;; [unrolled: 1-line block ×3, first 2 shown]
	ds_read2_b64 v[104:107], v94 offset0:39 offset1:40
	v_fma_f64 v[14:15], -v[74:75], v[110:111], v[14:15]
	ds_read2_b64 v[108:111], v94 offset0:41 offset1:42
	s_waitcnt lgkmcnt(0)
	v_fma_f64 v[12:13], -v[74:75], v[100:101], v[12:13]
	v_fma_f64 v[10:11], -v[74:75], v[102:103], v[10:11]
	;; [unrolled: 1-line block ×6, first 2 shown]
.LBB84_114:
	s_or_b64 exec, exec, s[0:1]
	v_lshl_add_u32 v90, v95, 3, v94
	s_barrier
	ds_write_b64 v90, v[72:73]
	s_waitcnt lgkmcnt(0)
	s_barrier
	ds_read_b64 v[90:91], v94 offset:56
	s_cmp_lt_i32 s18, 9
	v_mov_b32_e32 v92, 7
	s_cbranch_scc1 .LBB84_117
; %bb.115:
	v_add3_u32 v99, v99, 0, 64
	s_mov_b32 s0, 8
	v_mov_b32_e32 v92, 7
.LBB84_116:                             ; =>This Inner Loop Header: Depth=1
	ds_read_b64 v[100:101], v99
	v_mov_b32_e32 v102, s0
	s_add_i32 s0, s0, 1
	v_add_u32_e32 v99, 8, v99
	s_cmp_lg_u32 s18, s0
	s_waitcnt lgkmcnt(0)
	v_cmp_lt_f64_e64 vcc, |v[90:91]|, |v[100:101]|
	v_cndmask_b32_e32 v91, v91, v101, vcc
	v_cndmask_b32_e32 v90, v90, v100, vcc
	;; [unrolled: 1-line block ×3, first 2 shown]
	s_cbranch_scc1 .LBB84_116
.LBB84_117:
	s_waitcnt lgkmcnt(0)
	v_cmp_eq_f64_e32 vcc, 0, v[90:91]
	s_and_saveexec_b64 s[0:1], vcc
	s_xor_b64 s[0:1], exec, s[0:1]
; %bb.118:
	v_cmp_ne_u32_e32 vcc, 0, v98
	v_cndmask_b32_e32 v98, 8, v98, vcc
; %bb.119:
	s_andn2_saveexec_b64 s[0:1], s[0:1]
; %bb.120:
	v_div_scale_f64 v[100:101], s[2:3], v[90:91], v[90:91], 1.0
	v_rcp_f64_e32 v[102:103], v[100:101]
	v_div_scale_f64 v[104:105], vcc, 1.0, v[90:91], 1.0
	v_fma_f64 v[106:107], -v[100:101], v[102:103], 1.0
	v_fmac_f64_e32 v[102:103], v[102:103], v[106:107]
	v_fma_f64 v[106:107], -v[100:101], v[102:103], 1.0
	v_fmac_f64_e32 v[102:103], v[102:103], v[106:107]
	v_mul_f64 v[106:107], v[104:105], v[102:103]
	v_fma_f64 v[100:101], -v[100:101], v[106:107], v[104:105]
	v_div_fmas_f64 v[100:101], v[100:101], v[102:103], v[106:107]
	v_div_fixup_f64 v[90:91], v[100:101], v[90:91], 1.0
; %bb.121:
	s_or_b64 exec, exec, s[0:1]
	v_cmp_ne_u32_e32 vcc, v95, v92
	s_and_saveexec_b64 s[0:1], vcc
	s_xor_b64 s[0:1], exec, s[0:1]
	s_cbranch_execz .LBB84_127
; %bb.122:
	v_cmp_eq_u32_e32 vcc, 7, v95
	s_and_saveexec_b64 s[2:3], vcc
	s_cbranch_execz .LBB84_126
; %bb.123:
	v_cmp_ne_u32_e32 vcc, 7, v92
	s_xor_b64 s[14:15], s[6:7], -1
	s_and_b64 s[16:17], s[14:15], vcc
	s_and_saveexec_b64 s[14:15], s[16:17]
	s_cbranch_execz .LBB84_125
; %bb.124:
	v_ashrrev_i32_e32 v93, 31, v92
	v_lshlrev_b64 v[100:101], 2, v[92:93]
	v_add_co_u32_e32 v100, vcc, v4, v100
	v_addc_co_u32_e32 v101, vcc, v5, v101, vcc
	flat_load_dword v93, v[100:101]
	flat_load_dword v95, v[4:5] offset:28
	s_waitcnt vmcnt(0) lgkmcnt(0)
	flat_store_dword v[4:5], v93 offset:28
	flat_store_dword v[100:101], v95
.LBB84_125:
	s_or_b64 exec, exec, s[14:15]
	v_mov_b32_e32 v93, v92
	v_mov_b32_e32 v95, v92
.LBB84_126:
	s_or_b64 exec, exec, s[2:3]
.LBB84_127:
	s_andn2_saveexec_b64 s[0:1], s[0:1]
	s_cbranch_execz .LBB84_129
; %bb.128:
	v_mov_b32_e32 v100, v70
	v_mov_b32_e32 v101, v71
	v_mov_b32_e32 v102, v68
	v_mov_b32_e32 v103, v69
	ds_write2_b64 v94, v[100:101], v[102:103] offset0:8 offset1:9
	v_mov_b32_e32 v100, v66
	v_mov_b32_e32 v101, v67
	v_mov_b32_e32 v102, v64
	v_mov_b32_e32 v103, v65
	ds_write2_b64 v94, v[100:101], v[102:103] offset0:10 offset1:11
	;; [unrolled: 5-line block ×16, first 2 shown]
	v_mov_b32_e32 v100, v6
	v_mov_b32_e32 v101, v7
	;; [unrolled: 1-line block ×5, first 2 shown]
	ds_write2_b64 v94, v[100:101], v[102:103] offset0:40 offset1:41
	ds_write_b64 v94, v[88:89] offset:336
.LBB84_129:
	s_or_b64 exec, exec, s[0:1]
	v_cmp_lt_i32_e32 vcc, 7, v95
	s_waitcnt lgkmcnt(0)
	s_barrier
	s_and_saveexec_b64 s[0:1], vcc
	s_cbranch_execz .LBB84_131
; %bb.130:
	ds_read2_b64 v[100:103], v94 offset0:8 offset1:9
	ds_read2_b64 v[104:107], v94 offset0:10 offset1:11
	v_mul_f64 v[72:73], v[90:91], v[72:73]
	ds_read2_b64 v[108:111], v94 offset0:12 offset1:13
	ds_read_b64 v[90:91], v94 offset:336
	s_waitcnt lgkmcnt(0)
	v_fma_f64 v[70:71], -v[72:73], v[100:101], v[70:71]
	v_fma_f64 v[68:69], -v[72:73], v[102:103], v[68:69]
	ds_read2_b64 v[100:103], v94 offset0:14 offset1:15
	v_fma_f64 v[66:67], -v[72:73], v[104:105], v[66:67]
	v_fma_f64 v[64:65], -v[72:73], v[106:107], v[64:65]
	ds_read2_b64 v[104:107], v94 offset0:16 offset1:17
	;; [unrolled: 3-line block ×3, first 2 shown]
	s_waitcnt lgkmcnt(0)
	v_fma_f64 v[56:57], -v[72:73], v[100:101], v[56:57]
	v_fma_f64 v[58:59], -v[72:73], v[102:103], v[58:59]
	;; [unrolled: 1-line block ×3, first 2 shown]
	ds_read2_b64 v[100:103], v94 offset0:20 offset1:21
	v_fma_f64 v[52:53], -v[72:73], v[106:107], v[52:53]
	ds_read2_b64 v[104:107], v94 offset0:22 offset1:23
	v_fma_f64 v[50:51], -v[72:73], v[108:109], v[50:51]
	v_fma_f64 v[48:49], -v[72:73], v[110:111], v[48:49]
	s_waitcnt lgkmcnt(0)
	v_fma_f64 v[46:47], -v[72:73], v[100:101], v[46:47]
	ds_read2_b64 v[108:111], v94 offset0:24 offset1:25
	v_fma_f64 v[44:45], -v[72:73], v[102:103], v[44:45]
	ds_read2_b64 v[100:103], v94 offset0:26 offset1:27
	v_fma_f64 v[42:43], -v[72:73], v[104:105], v[42:43]
	v_fma_f64 v[40:41], -v[72:73], v[106:107], v[40:41]
	ds_read2_b64 v[104:107], v94 offset0:28 offset1:29
	s_waitcnt lgkmcnt(0)
	v_fma_f64 v[38:39], -v[72:73], v[108:109], v[38:39]
	v_fma_f64 v[36:37], -v[72:73], v[110:111], v[36:37]
	ds_read2_b64 v[108:111], v94 offset0:30 offset1:31
	v_fma_f64 v[34:35], -v[72:73], v[100:101], v[34:35]
	v_fma_f64 v[32:33], -v[72:73], v[102:103], v[32:33]
	;; [unrolled: 1-line block ×3, first 2 shown]
	ds_read2_b64 v[100:103], v94 offset0:32 offset1:33
	v_fma_f64 v[26:27], -v[72:73], v[106:107], v[26:27]
	ds_read2_b64 v[104:107], v94 offset0:34 offset1:35
	s_waitcnt lgkmcnt(0)
	v_fma_f64 v[28:29], -v[72:73], v[108:109], v[28:29]
	v_fma_f64 v[24:25], -v[72:73], v[110:111], v[24:25]
	;; [unrolled: 1-line block ×3, first 2 shown]
	ds_read2_b64 v[108:111], v94 offset0:36 offset1:37
	v_fma_f64 v[20:21], -v[72:73], v[102:103], v[20:21]
	ds_read2_b64 v[100:103], v94 offset0:38 offset1:39
	v_fma_f64 v[18:19], -v[72:73], v[104:105], v[18:19]
	v_fma_f64 v[16:17], -v[72:73], v[106:107], v[16:17]
	ds_read2_b64 v[104:107], v94 offset0:40 offset1:41
	s_waitcnt lgkmcnt(0)
	v_fma_f64 v[14:15], -v[72:73], v[108:109], v[14:15]
	v_fma_f64 v[12:13], -v[72:73], v[110:111], v[12:13]
	;; [unrolled: 1-line block ×7, first 2 shown]
.LBB84_131:
	s_or_b64 exec, exec, s[0:1]
	v_lshl_add_u32 v90, v95, 3, v94
	s_barrier
	ds_write_b64 v90, v[70:71]
	s_waitcnt lgkmcnt(0)
	s_barrier
	ds_read_b64 v[90:91], v94 offset:64
	s_cmp_lt_i32 s18, 10
	v_mov_b32_e32 v92, 8
	s_cbranch_scc1 .LBB84_134
; %bb.132:
	v_add_u32_e32 v99, 0x48, v94
	s_mov_b32 s0, 9
	v_mov_b32_e32 v92, 8
.LBB84_133:                             ; =>This Inner Loop Header: Depth=1
	ds_read_b64 v[100:101], v99
	v_mov_b32_e32 v102, s0
	s_add_i32 s0, s0, 1
	v_add_u32_e32 v99, 8, v99
	s_cmp_lg_u32 s18, s0
	s_waitcnt lgkmcnt(0)
	v_cmp_lt_f64_e64 vcc, |v[90:91]|, |v[100:101]|
	v_cndmask_b32_e32 v91, v91, v101, vcc
	v_cndmask_b32_e32 v90, v90, v100, vcc
	;; [unrolled: 1-line block ×3, first 2 shown]
	s_cbranch_scc1 .LBB84_133
.LBB84_134:
	s_waitcnt lgkmcnt(0)
	v_cmp_eq_f64_e32 vcc, 0, v[90:91]
	s_and_saveexec_b64 s[0:1], vcc
	s_xor_b64 s[0:1], exec, s[0:1]
; %bb.135:
	v_cmp_ne_u32_e32 vcc, 0, v98
	v_cndmask_b32_e32 v98, 9, v98, vcc
; %bb.136:
	s_andn2_saveexec_b64 s[0:1], s[0:1]
; %bb.137:
	v_div_scale_f64 v[100:101], s[2:3], v[90:91], v[90:91], 1.0
	v_rcp_f64_e32 v[102:103], v[100:101]
	v_div_scale_f64 v[104:105], vcc, 1.0, v[90:91], 1.0
	v_fma_f64 v[106:107], -v[100:101], v[102:103], 1.0
	v_fmac_f64_e32 v[102:103], v[102:103], v[106:107]
	v_fma_f64 v[106:107], -v[100:101], v[102:103], 1.0
	v_fmac_f64_e32 v[102:103], v[102:103], v[106:107]
	v_mul_f64 v[106:107], v[104:105], v[102:103]
	v_fma_f64 v[100:101], -v[100:101], v[106:107], v[104:105]
	v_div_fmas_f64 v[100:101], v[100:101], v[102:103], v[106:107]
	v_div_fixup_f64 v[90:91], v[100:101], v[90:91], 1.0
; %bb.138:
	s_or_b64 exec, exec, s[0:1]
	v_cmp_ne_u32_e32 vcc, v95, v92
	s_and_saveexec_b64 s[0:1], vcc
	s_xor_b64 s[0:1], exec, s[0:1]
	s_cbranch_execz .LBB84_144
; %bb.139:
	v_cmp_eq_u32_e32 vcc, 8, v95
	s_and_saveexec_b64 s[2:3], vcc
	s_cbranch_execz .LBB84_143
; %bb.140:
	v_cmp_ne_u32_e32 vcc, 8, v92
	s_xor_b64 s[14:15], s[6:7], -1
	s_and_b64 s[16:17], s[14:15], vcc
	s_and_saveexec_b64 s[14:15], s[16:17]
	s_cbranch_execz .LBB84_142
; %bb.141:
	v_ashrrev_i32_e32 v93, 31, v92
	v_lshlrev_b64 v[100:101], 2, v[92:93]
	v_add_co_u32_e32 v100, vcc, v4, v100
	v_addc_co_u32_e32 v101, vcc, v5, v101, vcc
	flat_load_dword v93, v[100:101]
	flat_load_dword v95, v[4:5] offset:32
	s_waitcnt vmcnt(0) lgkmcnt(0)
	flat_store_dword v[4:5], v93 offset:32
	flat_store_dword v[100:101], v95
.LBB84_142:
	s_or_b64 exec, exec, s[14:15]
	v_mov_b32_e32 v93, v92
	v_mov_b32_e32 v95, v92
.LBB84_143:
	s_or_b64 exec, exec, s[2:3]
.LBB84_144:
	s_andn2_saveexec_b64 s[0:1], s[0:1]
	s_cbranch_execz .LBB84_146
; %bb.145:
	v_mov_b32_e32 v95, 8
	ds_write2_b64 v94, v[68:69], v[66:67] offset0:9 offset1:10
	ds_write2_b64 v94, v[64:65], v[62:63] offset0:11 offset1:12
	;; [unrolled: 1-line block ×17, first 2 shown]
.LBB84_146:
	s_or_b64 exec, exec, s[0:1]
	v_cmp_lt_i32_e32 vcc, 8, v95
	s_waitcnt lgkmcnt(0)
	s_barrier
	s_and_saveexec_b64 s[0:1], vcc
	s_cbranch_execz .LBB84_148
; %bb.147:
	ds_read2_b64 v[100:103], v94 offset0:9 offset1:10
	ds_read2_b64 v[104:107], v94 offset0:11 offset1:12
	v_mul_f64 v[70:71], v[90:91], v[70:71]
	ds_read2_b64 v[108:111], v94 offset0:13 offset1:14
	s_waitcnt lgkmcnt(0)
	v_fma_f64 v[68:69], -v[70:71], v[100:101], v[68:69]
	v_fma_f64 v[66:67], -v[70:71], v[102:103], v[66:67]
	ds_read2_b64 v[100:103], v94 offset0:15 offset1:16
	v_fma_f64 v[64:65], -v[70:71], v[104:105], v[64:65]
	v_fma_f64 v[62:63], -v[70:71], v[106:107], v[62:63]
	ds_read2_b64 v[104:107], v94 offset0:17 offset1:18
	;; [unrolled: 3-line block ×3, first 2 shown]
	s_waitcnt lgkmcnt(0)
	v_fma_f64 v[58:59], -v[70:71], v[100:101], v[58:59]
	v_fma_f64 v[54:55], -v[70:71], v[102:103], v[54:55]
	v_fma_f64 v[52:53], -v[70:71], v[104:105], v[52:53]
	ds_read2_b64 v[100:103], v94 offset0:21 offset1:22
	v_fma_f64 v[50:51], -v[70:71], v[106:107], v[50:51]
	ds_read2_b64 v[104:107], v94 offset0:23 offset1:24
	v_fma_f64 v[48:49], -v[70:71], v[108:109], v[48:49]
	v_fma_f64 v[46:47], -v[70:71], v[110:111], v[46:47]
	s_waitcnt lgkmcnt(0)
	v_fma_f64 v[44:45], -v[70:71], v[100:101], v[44:45]
	ds_read2_b64 v[108:111], v94 offset0:25 offset1:26
	v_fma_f64 v[42:43], -v[70:71], v[102:103], v[42:43]
	ds_read2_b64 v[100:103], v94 offset0:27 offset1:28
	v_fma_f64 v[40:41], -v[70:71], v[104:105], v[40:41]
	v_fma_f64 v[38:39], -v[70:71], v[106:107], v[38:39]
	ds_read2_b64 v[104:107], v94 offset0:29 offset1:30
	s_waitcnt lgkmcnt(0)
	v_fma_f64 v[36:37], -v[70:71], v[108:109], v[36:37]
	v_fma_f64 v[34:35], -v[70:71], v[110:111], v[34:35]
	ds_read2_b64 v[108:111], v94 offset0:31 offset1:32
	v_fma_f64 v[32:33], -v[70:71], v[100:101], v[32:33]
	v_fma_f64 v[30:31], -v[70:71], v[102:103], v[30:31]
	;; [unrolled: 1-line block ×3, first 2 shown]
	ds_read2_b64 v[100:103], v94 offset0:33 offset1:34
	v_fma_f64 v[28:29], -v[70:71], v[106:107], v[28:29]
	ds_read2_b64 v[104:107], v94 offset0:35 offset1:36
	s_waitcnt lgkmcnt(0)
	v_fma_f64 v[24:25], -v[70:71], v[108:109], v[24:25]
	v_fma_f64 v[22:23], -v[70:71], v[110:111], v[22:23]
	;; [unrolled: 1-line block ×4, first 2 shown]
	ds_read2_b64 v[100:103], v94 offset0:37 offset1:38
	ds_read2_b64 v[108:111], v94 offset0:39 offset1:40
	v_fma_f64 v[16:17], -v[70:71], v[104:105], v[16:17]
	v_fma_f64 v[14:15], -v[70:71], v[106:107], v[14:15]
	ds_read2_b64 v[104:107], v94 offset0:41 offset1:42
	s_waitcnt lgkmcnt(0)
	v_fma_f64 v[12:13], -v[70:71], v[100:101], v[12:13]
	v_fma_f64 v[10:11], -v[70:71], v[102:103], v[10:11]
	;; [unrolled: 1-line block ×6, first 2 shown]
.LBB84_148:
	s_or_b64 exec, exec, s[0:1]
	v_lshl_add_u32 v90, v95, 3, v94
	s_barrier
	ds_write_b64 v90, v[68:69]
	s_waitcnt lgkmcnt(0)
	s_barrier
	ds_read_b64 v[90:91], v94 offset:72
	s_cmp_lt_i32 s18, 11
	v_mov_b32_e32 v92, 9
	s_cbranch_scc1 .LBB84_151
; %bb.149:
	v_add_u32_e32 v99, 0x50, v94
	s_mov_b32 s0, 10
	v_mov_b32_e32 v92, 9
.LBB84_150:                             ; =>This Inner Loop Header: Depth=1
	ds_read_b64 v[100:101], v99
	v_mov_b32_e32 v102, s0
	s_add_i32 s0, s0, 1
	v_add_u32_e32 v99, 8, v99
	s_cmp_lg_u32 s18, s0
	s_waitcnt lgkmcnt(0)
	v_cmp_lt_f64_e64 vcc, |v[90:91]|, |v[100:101]|
	v_cndmask_b32_e32 v91, v91, v101, vcc
	v_cndmask_b32_e32 v90, v90, v100, vcc
	;; [unrolled: 1-line block ×3, first 2 shown]
	s_cbranch_scc1 .LBB84_150
.LBB84_151:
	s_waitcnt lgkmcnt(0)
	v_cmp_eq_f64_e32 vcc, 0, v[90:91]
	s_and_saveexec_b64 s[0:1], vcc
	s_xor_b64 s[0:1], exec, s[0:1]
; %bb.152:
	v_cmp_ne_u32_e32 vcc, 0, v98
	v_cndmask_b32_e32 v98, 10, v98, vcc
; %bb.153:
	s_andn2_saveexec_b64 s[0:1], s[0:1]
; %bb.154:
	v_div_scale_f64 v[100:101], s[2:3], v[90:91], v[90:91], 1.0
	v_rcp_f64_e32 v[102:103], v[100:101]
	v_div_scale_f64 v[104:105], vcc, 1.0, v[90:91], 1.0
	v_fma_f64 v[106:107], -v[100:101], v[102:103], 1.0
	v_fmac_f64_e32 v[102:103], v[102:103], v[106:107]
	v_fma_f64 v[106:107], -v[100:101], v[102:103], 1.0
	v_fmac_f64_e32 v[102:103], v[102:103], v[106:107]
	v_mul_f64 v[106:107], v[104:105], v[102:103]
	v_fma_f64 v[100:101], -v[100:101], v[106:107], v[104:105]
	v_div_fmas_f64 v[100:101], v[100:101], v[102:103], v[106:107]
	v_div_fixup_f64 v[90:91], v[100:101], v[90:91], 1.0
; %bb.155:
	s_or_b64 exec, exec, s[0:1]
	v_cmp_ne_u32_e32 vcc, v95, v92
	s_and_saveexec_b64 s[0:1], vcc
	s_xor_b64 s[0:1], exec, s[0:1]
	s_cbranch_execz .LBB84_161
; %bb.156:
	v_cmp_eq_u32_e32 vcc, 9, v95
	s_and_saveexec_b64 s[2:3], vcc
	s_cbranch_execz .LBB84_160
; %bb.157:
	v_cmp_ne_u32_e32 vcc, 9, v92
	s_xor_b64 s[14:15], s[6:7], -1
	s_and_b64 s[16:17], s[14:15], vcc
	s_and_saveexec_b64 s[14:15], s[16:17]
	s_cbranch_execz .LBB84_159
; %bb.158:
	v_ashrrev_i32_e32 v93, 31, v92
	v_lshlrev_b64 v[100:101], 2, v[92:93]
	v_add_co_u32_e32 v100, vcc, v4, v100
	v_addc_co_u32_e32 v101, vcc, v5, v101, vcc
	flat_load_dword v93, v[100:101]
	flat_load_dword v95, v[4:5] offset:36
	s_waitcnt vmcnt(0) lgkmcnt(0)
	flat_store_dword v[4:5], v93 offset:36
	flat_store_dword v[100:101], v95
.LBB84_159:
	s_or_b64 exec, exec, s[14:15]
	v_mov_b32_e32 v93, v92
	v_mov_b32_e32 v95, v92
.LBB84_160:
	s_or_b64 exec, exec, s[2:3]
.LBB84_161:
	s_andn2_saveexec_b64 s[0:1], s[0:1]
	s_cbranch_execz .LBB84_163
; %bb.162:
	v_mov_b32_e32 v100, v66
	v_mov_b32_e32 v101, v67
	v_mov_b32_e32 v102, v64
	v_mov_b32_e32 v103, v65
	ds_write2_b64 v94, v[100:101], v[102:103] offset0:10 offset1:11
	v_mov_b32_e32 v100, v62
	v_mov_b32_e32 v101, v63
	v_mov_b32_e32 v102, v60
	v_mov_b32_e32 v103, v61
	ds_write2_b64 v94, v[100:101], v[102:103] offset0:12 offset1:13
	;; [unrolled: 5-line block ×15, first 2 shown]
	v_mov_b32_e32 v100, v6
	v_mov_b32_e32 v101, v7
	;; [unrolled: 1-line block ×5, first 2 shown]
	ds_write2_b64 v94, v[100:101], v[102:103] offset0:40 offset1:41
	ds_write_b64 v94, v[88:89] offset:336
.LBB84_163:
	s_or_b64 exec, exec, s[0:1]
	v_cmp_lt_i32_e32 vcc, 9, v95
	s_waitcnt lgkmcnt(0)
	s_barrier
	s_and_saveexec_b64 s[0:1], vcc
	s_cbranch_execz .LBB84_165
; %bb.164:
	ds_read2_b64 v[100:103], v94 offset0:10 offset1:11
	ds_read2_b64 v[104:107], v94 offset0:12 offset1:13
	v_mul_f64 v[68:69], v[90:91], v[68:69]
	ds_read2_b64 v[108:111], v94 offset0:14 offset1:15
	ds_read_b64 v[90:91], v94 offset:336
	s_waitcnt lgkmcnt(0)
	v_fma_f64 v[66:67], -v[68:69], v[100:101], v[66:67]
	v_fma_f64 v[64:65], -v[68:69], v[102:103], v[64:65]
	ds_read2_b64 v[100:103], v94 offset0:16 offset1:17
	v_fma_f64 v[62:63], -v[68:69], v[104:105], v[62:63]
	v_fma_f64 v[60:61], -v[68:69], v[106:107], v[60:61]
	;; [unrolled: 1-line block ×3, first 2 shown]
	ds_read2_b64 v[104:107], v94 offset0:18 offset1:19
	v_fma_f64 v[58:59], -v[68:69], v[110:111], v[58:59]
	ds_read2_b64 v[108:111], v94 offset0:20 offset1:21
	s_waitcnt lgkmcnt(0)
	v_fma_f64 v[54:55], -v[68:69], v[100:101], v[54:55]
	v_fma_f64 v[52:53], -v[68:69], v[102:103], v[52:53]
	ds_read2_b64 v[100:103], v94 offset0:22 offset1:23
	v_fma_f64 v[50:51], -v[68:69], v[104:105], v[50:51]
	v_fma_f64 v[48:49], -v[68:69], v[106:107], v[48:49]
	ds_read2_b64 v[104:107], v94 offset0:24 offset1:25
	v_fma_f64 v[46:47], -v[68:69], v[108:109], v[46:47]
	v_fma_f64 v[44:45], -v[68:69], v[110:111], v[44:45]
	s_waitcnt lgkmcnt(0)
	v_fma_f64 v[42:43], -v[68:69], v[100:101], v[42:43]
	ds_read2_b64 v[108:111], v94 offset0:26 offset1:27
	v_fma_f64 v[40:41], -v[68:69], v[102:103], v[40:41]
	ds_read2_b64 v[100:103], v94 offset0:28 offset1:29
	v_fma_f64 v[38:39], -v[68:69], v[104:105], v[38:39]
	v_fma_f64 v[36:37], -v[68:69], v[106:107], v[36:37]
	s_waitcnt lgkmcnt(0)
	v_fma_f64 v[34:35], -v[68:69], v[108:109], v[34:35]
	ds_read2_b64 v[104:107], v94 offset0:30 offset1:31
	v_fma_f64 v[32:33], -v[68:69], v[110:111], v[32:33]
	ds_read2_b64 v[108:111], v94 offset0:32 offset1:33
	v_fma_f64 v[30:31], -v[68:69], v[100:101], v[30:31]
	v_fma_f64 v[26:27], -v[68:69], v[102:103], v[26:27]
	ds_read2_b64 v[100:103], v94 offset0:34 offset1:35
	s_waitcnt lgkmcnt(0)
	v_fma_f64 v[28:29], -v[68:69], v[104:105], v[28:29]
	v_fma_f64 v[24:25], -v[68:69], v[106:107], v[24:25]
	ds_read2_b64 v[104:107], v94 offset0:36 offset1:37
	v_fma_f64 v[22:23], -v[68:69], v[108:109], v[22:23]
	v_fma_f64 v[20:21], -v[68:69], v[110:111], v[20:21]
	;; [unrolled: 1-line block ×4, first 2 shown]
	ds_read2_b64 v[100:103], v94 offset0:38 offset1:39
	ds_read2_b64 v[108:111], v94 offset0:40 offset1:41
	s_waitcnt lgkmcnt(0)
	v_fma_f64 v[14:15], -v[68:69], v[104:105], v[14:15]
	v_fma_f64 v[12:13], -v[68:69], v[106:107], v[12:13]
	;; [unrolled: 1-line block ×7, first 2 shown]
.LBB84_165:
	s_or_b64 exec, exec, s[0:1]
	v_lshl_add_u32 v90, v95, 3, v94
	s_barrier
	ds_write_b64 v90, v[66:67]
	s_waitcnt lgkmcnt(0)
	s_barrier
	ds_read_b64 v[90:91], v94 offset:80
	s_cmp_lt_i32 s18, 12
	v_mov_b32_e32 v92, 10
	s_cbranch_scc1 .LBB84_168
; %bb.166:
	v_add_u32_e32 v99, 0x58, v94
	s_mov_b32 s0, 11
	v_mov_b32_e32 v92, 10
.LBB84_167:                             ; =>This Inner Loop Header: Depth=1
	ds_read_b64 v[100:101], v99
	v_mov_b32_e32 v102, s0
	s_add_i32 s0, s0, 1
	v_add_u32_e32 v99, 8, v99
	s_cmp_lg_u32 s18, s0
	s_waitcnt lgkmcnt(0)
	v_cmp_lt_f64_e64 vcc, |v[90:91]|, |v[100:101]|
	v_cndmask_b32_e32 v91, v91, v101, vcc
	v_cndmask_b32_e32 v90, v90, v100, vcc
	;; [unrolled: 1-line block ×3, first 2 shown]
	s_cbranch_scc1 .LBB84_167
.LBB84_168:
	s_waitcnt lgkmcnt(0)
	v_cmp_eq_f64_e32 vcc, 0, v[90:91]
	s_and_saveexec_b64 s[0:1], vcc
	s_xor_b64 s[0:1], exec, s[0:1]
; %bb.169:
	v_cmp_ne_u32_e32 vcc, 0, v98
	v_cndmask_b32_e32 v98, 11, v98, vcc
; %bb.170:
	s_andn2_saveexec_b64 s[0:1], s[0:1]
; %bb.171:
	v_div_scale_f64 v[100:101], s[2:3], v[90:91], v[90:91], 1.0
	v_rcp_f64_e32 v[102:103], v[100:101]
	v_div_scale_f64 v[104:105], vcc, 1.0, v[90:91], 1.0
	v_fma_f64 v[106:107], -v[100:101], v[102:103], 1.0
	v_fmac_f64_e32 v[102:103], v[102:103], v[106:107]
	v_fma_f64 v[106:107], -v[100:101], v[102:103], 1.0
	v_fmac_f64_e32 v[102:103], v[102:103], v[106:107]
	v_mul_f64 v[106:107], v[104:105], v[102:103]
	v_fma_f64 v[100:101], -v[100:101], v[106:107], v[104:105]
	v_div_fmas_f64 v[100:101], v[100:101], v[102:103], v[106:107]
	v_div_fixup_f64 v[90:91], v[100:101], v[90:91], 1.0
; %bb.172:
	s_or_b64 exec, exec, s[0:1]
	v_cmp_ne_u32_e32 vcc, v95, v92
	s_and_saveexec_b64 s[0:1], vcc
	s_xor_b64 s[0:1], exec, s[0:1]
	s_cbranch_execz .LBB84_178
; %bb.173:
	v_cmp_eq_u32_e32 vcc, 10, v95
	s_and_saveexec_b64 s[2:3], vcc
	s_cbranch_execz .LBB84_177
; %bb.174:
	v_cmp_ne_u32_e32 vcc, 10, v92
	s_xor_b64 s[14:15], s[6:7], -1
	s_and_b64 s[16:17], s[14:15], vcc
	s_and_saveexec_b64 s[14:15], s[16:17]
	s_cbranch_execz .LBB84_176
; %bb.175:
	v_ashrrev_i32_e32 v93, 31, v92
	v_lshlrev_b64 v[100:101], 2, v[92:93]
	v_add_co_u32_e32 v100, vcc, v4, v100
	v_addc_co_u32_e32 v101, vcc, v5, v101, vcc
	flat_load_dword v93, v[100:101]
	flat_load_dword v95, v[4:5] offset:40
	s_waitcnt vmcnt(0) lgkmcnt(0)
	flat_store_dword v[4:5], v93 offset:40
	flat_store_dword v[100:101], v95
.LBB84_176:
	s_or_b64 exec, exec, s[14:15]
	v_mov_b32_e32 v93, v92
	v_mov_b32_e32 v95, v92
.LBB84_177:
	s_or_b64 exec, exec, s[2:3]
.LBB84_178:
	s_andn2_saveexec_b64 s[0:1], s[0:1]
	s_cbranch_execz .LBB84_180
; %bb.179:
	v_mov_b32_e32 v95, 10
	ds_write2_b64 v94, v[64:65], v[62:63] offset0:11 offset1:12
	ds_write2_b64 v94, v[60:61], v[56:57] offset0:13 offset1:14
	;; [unrolled: 1-line block ×16, first 2 shown]
.LBB84_180:
	s_or_b64 exec, exec, s[0:1]
	v_cmp_lt_i32_e32 vcc, 10, v95
	s_waitcnt lgkmcnt(0)
	s_barrier
	s_and_saveexec_b64 s[0:1], vcc
	s_cbranch_execz .LBB84_182
; %bb.181:
	ds_read2_b64 v[100:103], v94 offset0:11 offset1:12
	ds_read2_b64 v[104:107], v94 offset0:13 offset1:14
	v_mul_f64 v[66:67], v[90:91], v[66:67]
	ds_read2_b64 v[108:111], v94 offset0:15 offset1:16
	s_waitcnt lgkmcnt(0)
	v_fma_f64 v[64:65], -v[66:67], v[100:101], v[64:65]
	v_fma_f64 v[62:63], -v[66:67], v[102:103], v[62:63]
	ds_read2_b64 v[100:103], v94 offset0:17 offset1:18
	v_fma_f64 v[60:61], -v[66:67], v[104:105], v[60:61]
	v_fma_f64 v[56:57], -v[66:67], v[106:107], v[56:57]
	;; [unrolled: 1-line block ×3, first 2 shown]
	ds_read2_b64 v[104:107], v94 offset0:19 offset1:20
	v_fma_f64 v[54:55], -v[66:67], v[110:111], v[54:55]
	ds_read2_b64 v[108:111], v94 offset0:21 offset1:22
	s_waitcnt lgkmcnt(0)
	v_fma_f64 v[52:53], -v[66:67], v[100:101], v[52:53]
	v_fma_f64 v[50:51], -v[66:67], v[102:103], v[50:51]
	ds_read2_b64 v[100:103], v94 offset0:23 offset1:24
	v_fma_f64 v[48:49], -v[66:67], v[104:105], v[48:49]
	v_fma_f64 v[46:47], -v[66:67], v[106:107], v[46:47]
	ds_read2_b64 v[104:107], v94 offset0:25 offset1:26
	v_fma_f64 v[44:45], -v[66:67], v[108:109], v[44:45]
	v_fma_f64 v[42:43], -v[66:67], v[110:111], v[42:43]
	s_waitcnt lgkmcnt(0)
	v_fma_f64 v[40:41], -v[66:67], v[100:101], v[40:41]
	ds_read2_b64 v[108:111], v94 offset0:27 offset1:28
	v_fma_f64 v[38:39], -v[66:67], v[102:103], v[38:39]
	ds_read2_b64 v[100:103], v94 offset0:29 offset1:30
	v_fma_f64 v[36:37], -v[66:67], v[104:105], v[36:37]
	v_fma_f64 v[34:35], -v[66:67], v[106:107], v[34:35]
	s_waitcnt lgkmcnt(0)
	v_fma_f64 v[32:33], -v[66:67], v[108:109], v[32:33]
	ds_read2_b64 v[104:107], v94 offset0:31 offset1:32
	v_fma_f64 v[30:31], -v[66:67], v[110:111], v[30:31]
	ds_read2_b64 v[108:111], v94 offset0:33 offset1:34
	v_fma_f64 v[26:27], -v[66:67], v[100:101], v[26:27]
	v_fma_f64 v[28:29], -v[66:67], v[102:103], v[28:29]
	ds_read2_b64 v[100:103], v94 offset0:35 offset1:36
	s_waitcnt lgkmcnt(0)
	v_fma_f64 v[24:25], -v[66:67], v[104:105], v[24:25]
	v_fma_f64 v[22:23], -v[66:67], v[106:107], v[22:23]
	ds_read2_b64 v[104:107], v94 offset0:37 offset1:38
	v_fma_f64 v[20:21], -v[66:67], v[108:109], v[20:21]
	v_fma_f64 v[18:19], -v[66:67], v[110:111], v[18:19]
	;; [unrolled: 1-line block ×3, first 2 shown]
	ds_read2_b64 v[108:111], v94 offset0:39 offset1:40
	v_fma_f64 v[14:15], -v[66:67], v[102:103], v[14:15]
	ds_read2_b64 v[100:103], v94 offset0:41 offset1:42
	s_waitcnt lgkmcnt(0)
	v_fma_f64 v[12:13], -v[66:67], v[104:105], v[12:13]
	v_fma_f64 v[10:11], -v[66:67], v[106:107], v[10:11]
	;; [unrolled: 1-line block ×6, first 2 shown]
.LBB84_182:
	s_or_b64 exec, exec, s[0:1]
	v_lshl_add_u32 v90, v95, 3, v94
	s_barrier
	ds_write_b64 v90, v[64:65]
	s_waitcnt lgkmcnt(0)
	s_barrier
	ds_read_b64 v[90:91], v94 offset:88
	s_cmp_lt_i32 s18, 13
	v_mov_b32_e32 v92, 11
	s_cbranch_scc1 .LBB84_185
; %bb.183:
	v_add_u32_e32 v99, 0x60, v94
	s_mov_b32 s0, 12
	v_mov_b32_e32 v92, 11
.LBB84_184:                             ; =>This Inner Loop Header: Depth=1
	ds_read_b64 v[100:101], v99
	v_mov_b32_e32 v102, s0
	s_add_i32 s0, s0, 1
	v_add_u32_e32 v99, 8, v99
	s_cmp_lg_u32 s18, s0
	s_waitcnt lgkmcnt(0)
	v_cmp_lt_f64_e64 vcc, |v[90:91]|, |v[100:101]|
	v_cndmask_b32_e32 v91, v91, v101, vcc
	v_cndmask_b32_e32 v90, v90, v100, vcc
	;; [unrolled: 1-line block ×3, first 2 shown]
	s_cbranch_scc1 .LBB84_184
.LBB84_185:
	s_waitcnt lgkmcnt(0)
	v_cmp_eq_f64_e32 vcc, 0, v[90:91]
	s_and_saveexec_b64 s[0:1], vcc
	s_xor_b64 s[0:1], exec, s[0:1]
; %bb.186:
	v_cmp_ne_u32_e32 vcc, 0, v98
	v_cndmask_b32_e32 v98, 12, v98, vcc
; %bb.187:
	s_andn2_saveexec_b64 s[0:1], s[0:1]
; %bb.188:
	v_div_scale_f64 v[100:101], s[2:3], v[90:91], v[90:91], 1.0
	v_rcp_f64_e32 v[102:103], v[100:101]
	v_div_scale_f64 v[104:105], vcc, 1.0, v[90:91], 1.0
	v_fma_f64 v[106:107], -v[100:101], v[102:103], 1.0
	v_fmac_f64_e32 v[102:103], v[102:103], v[106:107]
	v_fma_f64 v[106:107], -v[100:101], v[102:103], 1.0
	v_fmac_f64_e32 v[102:103], v[102:103], v[106:107]
	v_mul_f64 v[106:107], v[104:105], v[102:103]
	v_fma_f64 v[100:101], -v[100:101], v[106:107], v[104:105]
	v_div_fmas_f64 v[100:101], v[100:101], v[102:103], v[106:107]
	v_div_fixup_f64 v[90:91], v[100:101], v[90:91], 1.0
; %bb.189:
	s_or_b64 exec, exec, s[0:1]
	v_cmp_ne_u32_e32 vcc, v95, v92
	s_and_saveexec_b64 s[0:1], vcc
	s_xor_b64 s[0:1], exec, s[0:1]
	s_cbranch_execz .LBB84_195
; %bb.190:
	v_cmp_eq_u32_e32 vcc, 11, v95
	s_and_saveexec_b64 s[2:3], vcc
	s_cbranch_execz .LBB84_194
; %bb.191:
	v_cmp_ne_u32_e32 vcc, 11, v92
	s_xor_b64 s[14:15], s[6:7], -1
	s_and_b64 s[16:17], s[14:15], vcc
	s_and_saveexec_b64 s[14:15], s[16:17]
	s_cbranch_execz .LBB84_193
; %bb.192:
	v_ashrrev_i32_e32 v93, 31, v92
	v_lshlrev_b64 v[100:101], 2, v[92:93]
	v_add_co_u32_e32 v100, vcc, v4, v100
	v_addc_co_u32_e32 v101, vcc, v5, v101, vcc
	flat_load_dword v93, v[100:101]
	flat_load_dword v95, v[4:5] offset:44
	s_waitcnt vmcnt(0) lgkmcnt(0)
	flat_store_dword v[4:5], v93 offset:44
	flat_store_dword v[100:101], v95
.LBB84_193:
	s_or_b64 exec, exec, s[14:15]
	v_mov_b32_e32 v93, v92
	v_mov_b32_e32 v95, v92
.LBB84_194:
	s_or_b64 exec, exec, s[2:3]
.LBB84_195:
	s_andn2_saveexec_b64 s[0:1], s[0:1]
	s_cbranch_execz .LBB84_197
; %bb.196:
	v_mov_b32_e32 v100, v62
	v_mov_b32_e32 v101, v63
	v_mov_b32_e32 v102, v60
	v_mov_b32_e32 v103, v61
	ds_write2_b64 v94, v[100:101], v[102:103] offset0:12 offset1:13
	v_mov_b32_e32 v100, v56
	v_mov_b32_e32 v101, v57
	v_mov_b32_e32 v102, v58
	v_mov_b32_e32 v103, v59
	ds_write2_b64 v94, v[100:101], v[102:103] offset0:14 offset1:15
	;; [unrolled: 5-line block ×14, first 2 shown]
	v_mov_b32_e32 v100, v6
	v_mov_b32_e32 v101, v7
	;; [unrolled: 1-line block ×5, first 2 shown]
	ds_write2_b64 v94, v[100:101], v[102:103] offset0:40 offset1:41
	ds_write_b64 v94, v[88:89] offset:336
.LBB84_197:
	s_or_b64 exec, exec, s[0:1]
	v_cmp_lt_i32_e32 vcc, 11, v95
	s_waitcnt lgkmcnt(0)
	s_barrier
	s_and_saveexec_b64 s[0:1], vcc
	s_cbranch_execz .LBB84_199
; %bb.198:
	ds_read2_b64 v[100:103], v94 offset0:12 offset1:13
	ds_read2_b64 v[104:107], v94 offset0:14 offset1:15
	;; [unrolled: 1-line block ×3, first 2 shown]
	v_mul_f64 v[64:65], v[90:91], v[64:65]
	ds_read_b64 v[90:91], v94 offset:336
	s_waitcnt lgkmcnt(0)
	v_fma_f64 v[62:63], -v[64:65], v[100:101], v[62:63]
	v_fma_f64 v[60:61], -v[64:65], v[102:103], v[60:61]
	ds_read2_b64 v[100:103], v94 offset0:18 offset1:19
	v_fma_f64 v[56:57], -v[64:65], v[104:105], v[56:57]
	v_fma_f64 v[58:59], -v[64:65], v[106:107], v[58:59]
	;; [unrolled: 1-line block ×3, first 2 shown]
	ds_read2_b64 v[104:107], v94 offset0:20 offset1:21
	v_fma_f64 v[52:53], -v[64:65], v[110:111], v[52:53]
	ds_read2_b64 v[108:111], v94 offset0:22 offset1:23
	s_waitcnt lgkmcnt(0)
	v_fma_f64 v[50:51], -v[64:65], v[100:101], v[50:51]
	v_fma_f64 v[48:49], -v[64:65], v[102:103], v[48:49]
	v_fma_f64 v[46:47], -v[64:65], v[104:105], v[46:47]
	ds_read2_b64 v[100:103], v94 offset0:24 offset1:25
	v_fma_f64 v[44:45], -v[64:65], v[106:107], v[44:45]
	ds_read2_b64 v[104:107], v94 offset0:26 offset1:27
	v_fma_f64 v[42:43], -v[64:65], v[108:109], v[42:43]
	v_fma_f64 v[40:41], -v[64:65], v[110:111], v[40:41]
	ds_read2_b64 v[108:111], v94 offset0:28 offset1:29
	s_waitcnt lgkmcnt(0)
	v_fma_f64 v[38:39], -v[64:65], v[100:101], v[38:39]
	v_fma_f64 v[36:37], -v[64:65], v[102:103], v[36:37]
	ds_read2_b64 v[100:103], v94 offset0:30 offset1:31
	v_fma_f64 v[34:35], -v[64:65], v[104:105], v[34:35]
	v_fma_f64 v[32:33], -v[64:65], v[106:107], v[32:33]
	;; [unrolled: 1-line block ×3, first 2 shown]
	ds_read2_b64 v[104:107], v94 offset0:32 offset1:33
	v_fma_f64 v[26:27], -v[64:65], v[110:111], v[26:27]
	ds_read2_b64 v[108:111], v94 offset0:34 offset1:35
	s_waitcnt lgkmcnt(0)
	v_fma_f64 v[28:29], -v[64:65], v[100:101], v[28:29]
	v_fma_f64 v[24:25], -v[64:65], v[102:103], v[24:25]
	;; [unrolled: 1-line block ×3, first 2 shown]
	ds_read2_b64 v[100:103], v94 offset0:36 offset1:37
	v_fma_f64 v[20:21], -v[64:65], v[106:107], v[20:21]
	ds_read2_b64 v[104:107], v94 offset0:38 offset1:39
	v_fma_f64 v[18:19], -v[64:65], v[108:109], v[18:19]
	v_fma_f64 v[16:17], -v[64:65], v[110:111], v[16:17]
	ds_read2_b64 v[108:111], v94 offset0:40 offset1:41
	s_waitcnt lgkmcnt(0)
	v_fma_f64 v[14:15], -v[64:65], v[100:101], v[14:15]
	v_fma_f64 v[12:13], -v[64:65], v[102:103], v[12:13]
	;; [unrolled: 1-line block ×7, first 2 shown]
.LBB84_199:
	s_or_b64 exec, exec, s[0:1]
	v_lshl_add_u32 v90, v95, 3, v94
	s_barrier
	ds_write_b64 v90, v[62:63]
	s_waitcnt lgkmcnt(0)
	s_barrier
	ds_read_b64 v[90:91], v94 offset:96
	s_cmp_lt_i32 s18, 14
	v_mov_b32_e32 v92, 12
	s_cbranch_scc1 .LBB84_202
; %bb.200:
	v_add_u32_e32 v99, 0x68, v94
	s_mov_b32 s0, 13
	v_mov_b32_e32 v92, 12
.LBB84_201:                             ; =>This Inner Loop Header: Depth=1
	ds_read_b64 v[100:101], v99
	v_mov_b32_e32 v102, s0
	s_add_i32 s0, s0, 1
	v_add_u32_e32 v99, 8, v99
	s_cmp_lg_u32 s18, s0
	s_waitcnt lgkmcnt(0)
	v_cmp_lt_f64_e64 vcc, |v[90:91]|, |v[100:101]|
	v_cndmask_b32_e32 v91, v91, v101, vcc
	v_cndmask_b32_e32 v90, v90, v100, vcc
	;; [unrolled: 1-line block ×3, first 2 shown]
	s_cbranch_scc1 .LBB84_201
.LBB84_202:
	s_waitcnt lgkmcnt(0)
	v_cmp_eq_f64_e32 vcc, 0, v[90:91]
	s_and_saveexec_b64 s[0:1], vcc
	s_xor_b64 s[0:1], exec, s[0:1]
; %bb.203:
	v_cmp_ne_u32_e32 vcc, 0, v98
	v_cndmask_b32_e32 v98, 13, v98, vcc
; %bb.204:
	s_andn2_saveexec_b64 s[0:1], s[0:1]
; %bb.205:
	v_div_scale_f64 v[100:101], s[2:3], v[90:91], v[90:91], 1.0
	v_rcp_f64_e32 v[102:103], v[100:101]
	v_div_scale_f64 v[104:105], vcc, 1.0, v[90:91], 1.0
	v_fma_f64 v[106:107], -v[100:101], v[102:103], 1.0
	v_fmac_f64_e32 v[102:103], v[102:103], v[106:107]
	v_fma_f64 v[106:107], -v[100:101], v[102:103], 1.0
	v_fmac_f64_e32 v[102:103], v[102:103], v[106:107]
	v_mul_f64 v[106:107], v[104:105], v[102:103]
	v_fma_f64 v[100:101], -v[100:101], v[106:107], v[104:105]
	v_div_fmas_f64 v[100:101], v[100:101], v[102:103], v[106:107]
	v_div_fixup_f64 v[90:91], v[100:101], v[90:91], 1.0
; %bb.206:
	s_or_b64 exec, exec, s[0:1]
	v_cmp_ne_u32_e32 vcc, v95, v92
	s_and_saveexec_b64 s[0:1], vcc
	s_xor_b64 s[0:1], exec, s[0:1]
	s_cbranch_execz .LBB84_212
; %bb.207:
	v_cmp_eq_u32_e32 vcc, 12, v95
	s_and_saveexec_b64 s[2:3], vcc
	s_cbranch_execz .LBB84_211
; %bb.208:
	v_cmp_ne_u32_e32 vcc, 12, v92
	s_xor_b64 s[14:15], s[6:7], -1
	s_and_b64 s[16:17], s[14:15], vcc
	s_and_saveexec_b64 s[14:15], s[16:17]
	s_cbranch_execz .LBB84_210
; %bb.209:
	v_ashrrev_i32_e32 v93, 31, v92
	v_lshlrev_b64 v[100:101], 2, v[92:93]
	v_add_co_u32_e32 v100, vcc, v4, v100
	v_addc_co_u32_e32 v101, vcc, v5, v101, vcc
	flat_load_dword v93, v[100:101]
	flat_load_dword v95, v[4:5] offset:48
	s_waitcnt vmcnt(0) lgkmcnt(0)
	flat_store_dword v[4:5], v93 offset:48
	flat_store_dword v[100:101], v95
.LBB84_210:
	s_or_b64 exec, exec, s[14:15]
	v_mov_b32_e32 v93, v92
	v_mov_b32_e32 v95, v92
.LBB84_211:
	s_or_b64 exec, exec, s[2:3]
.LBB84_212:
	s_andn2_saveexec_b64 s[0:1], s[0:1]
	s_cbranch_execz .LBB84_214
; %bb.213:
	v_mov_b32_e32 v95, 12
	ds_write2_b64 v94, v[60:61], v[56:57] offset0:13 offset1:14
	ds_write2_b64 v94, v[58:59], v[54:55] offset0:15 offset1:16
	;; [unrolled: 1-line block ×15, first 2 shown]
.LBB84_214:
	s_or_b64 exec, exec, s[0:1]
	v_cmp_lt_i32_e32 vcc, 12, v95
	s_waitcnt lgkmcnt(0)
	s_barrier
	s_and_saveexec_b64 s[0:1], vcc
	s_cbranch_execz .LBB84_216
; %bb.215:
	ds_read2_b64 v[100:103], v94 offset0:13 offset1:14
	ds_read2_b64 v[104:107], v94 offset0:15 offset1:16
	;; [unrolled: 1-line block ×3, first 2 shown]
	v_mul_f64 v[62:63], v[90:91], v[62:63]
	s_waitcnt lgkmcnt(0)
	v_fma_f64 v[60:61], -v[62:63], v[100:101], v[60:61]
	v_fma_f64 v[56:57], -v[62:63], v[102:103], v[56:57]
	ds_read2_b64 v[100:103], v94 offset0:19 offset1:20
	v_fma_f64 v[58:59], -v[62:63], v[104:105], v[58:59]
	v_fma_f64 v[54:55], -v[62:63], v[106:107], v[54:55]
	;; [unrolled: 1-line block ×3, first 2 shown]
	ds_read2_b64 v[104:107], v94 offset0:21 offset1:22
	v_fma_f64 v[50:51], -v[62:63], v[110:111], v[50:51]
	ds_read2_b64 v[108:111], v94 offset0:23 offset1:24
	s_waitcnt lgkmcnt(0)
	v_fma_f64 v[48:49], -v[62:63], v[100:101], v[48:49]
	v_fma_f64 v[46:47], -v[62:63], v[102:103], v[46:47]
	;; [unrolled: 1-line block ×3, first 2 shown]
	ds_read2_b64 v[100:103], v94 offset0:25 offset1:26
	v_fma_f64 v[42:43], -v[62:63], v[106:107], v[42:43]
	ds_read2_b64 v[104:107], v94 offset0:27 offset1:28
	v_fma_f64 v[40:41], -v[62:63], v[108:109], v[40:41]
	v_fma_f64 v[38:39], -v[62:63], v[110:111], v[38:39]
	ds_read2_b64 v[108:111], v94 offset0:29 offset1:30
	s_waitcnt lgkmcnt(0)
	v_fma_f64 v[36:37], -v[62:63], v[100:101], v[36:37]
	v_fma_f64 v[34:35], -v[62:63], v[102:103], v[34:35]
	ds_read2_b64 v[100:103], v94 offset0:31 offset1:32
	v_fma_f64 v[32:33], -v[62:63], v[104:105], v[32:33]
	v_fma_f64 v[30:31], -v[62:63], v[106:107], v[30:31]
	;; [unrolled: 1-line block ×3, first 2 shown]
	ds_read2_b64 v[104:107], v94 offset0:33 offset1:34
	v_fma_f64 v[28:29], -v[62:63], v[110:111], v[28:29]
	ds_read2_b64 v[108:111], v94 offset0:35 offset1:36
	s_waitcnt lgkmcnt(0)
	v_fma_f64 v[24:25], -v[62:63], v[100:101], v[24:25]
	v_fma_f64 v[22:23], -v[62:63], v[102:103], v[22:23]
	;; [unrolled: 1-line block ×4, first 2 shown]
	ds_read2_b64 v[100:103], v94 offset0:37 offset1:38
	ds_read2_b64 v[104:107], v94 offset0:39 offset1:40
	v_fma_f64 v[16:17], -v[62:63], v[108:109], v[16:17]
	v_fma_f64 v[14:15], -v[62:63], v[110:111], v[14:15]
	ds_read2_b64 v[108:111], v94 offset0:41 offset1:42
	s_waitcnt lgkmcnt(0)
	v_fma_f64 v[12:13], -v[62:63], v[100:101], v[12:13]
	v_fma_f64 v[10:11], -v[62:63], v[102:103], v[10:11]
	;; [unrolled: 1-line block ×6, first 2 shown]
.LBB84_216:
	s_or_b64 exec, exec, s[0:1]
	v_lshl_add_u32 v90, v95, 3, v94
	s_barrier
	ds_write_b64 v90, v[60:61]
	s_waitcnt lgkmcnt(0)
	s_barrier
	ds_read_b64 v[90:91], v94 offset:104
	s_cmp_lt_i32 s18, 15
	v_mov_b32_e32 v92, 13
	s_cbranch_scc1 .LBB84_219
; %bb.217:
	v_add_u32_e32 v99, 0x70, v94
	s_mov_b32 s0, 14
	v_mov_b32_e32 v92, 13
.LBB84_218:                             ; =>This Inner Loop Header: Depth=1
	ds_read_b64 v[100:101], v99
	v_mov_b32_e32 v102, s0
	s_add_i32 s0, s0, 1
	v_add_u32_e32 v99, 8, v99
	s_cmp_lg_u32 s18, s0
	s_waitcnt lgkmcnt(0)
	v_cmp_lt_f64_e64 vcc, |v[90:91]|, |v[100:101]|
	v_cndmask_b32_e32 v91, v91, v101, vcc
	v_cndmask_b32_e32 v90, v90, v100, vcc
	;; [unrolled: 1-line block ×3, first 2 shown]
	s_cbranch_scc1 .LBB84_218
.LBB84_219:
	s_waitcnt lgkmcnt(0)
	v_cmp_eq_f64_e32 vcc, 0, v[90:91]
	s_and_saveexec_b64 s[0:1], vcc
	s_xor_b64 s[0:1], exec, s[0:1]
; %bb.220:
	v_cmp_ne_u32_e32 vcc, 0, v98
	v_cndmask_b32_e32 v98, 14, v98, vcc
; %bb.221:
	s_andn2_saveexec_b64 s[0:1], s[0:1]
; %bb.222:
	v_div_scale_f64 v[100:101], s[2:3], v[90:91], v[90:91], 1.0
	v_rcp_f64_e32 v[102:103], v[100:101]
	v_div_scale_f64 v[104:105], vcc, 1.0, v[90:91], 1.0
	v_fma_f64 v[106:107], -v[100:101], v[102:103], 1.0
	v_fmac_f64_e32 v[102:103], v[102:103], v[106:107]
	v_fma_f64 v[106:107], -v[100:101], v[102:103], 1.0
	v_fmac_f64_e32 v[102:103], v[102:103], v[106:107]
	v_mul_f64 v[106:107], v[104:105], v[102:103]
	v_fma_f64 v[100:101], -v[100:101], v[106:107], v[104:105]
	v_div_fmas_f64 v[100:101], v[100:101], v[102:103], v[106:107]
	v_div_fixup_f64 v[90:91], v[100:101], v[90:91], 1.0
; %bb.223:
	s_or_b64 exec, exec, s[0:1]
	v_cmp_ne_u32_e32 vcc, v95, v92
	s_and_saveexec_b64 s[0:1], vcc
	s_xor_b64 s[0:1], exec, s[0:1]
	s_cbranch_execz .LBB84_229
; %bb.224:
	v_cmp_eq_u32_e32 vcc, 13, v95
	s_and_saveexec_b64 s[2:3], vcc
	s_cbranch_execz .LBB84_228
; %bb.225:
	v_cmp_ne_u32_e32 vcc, 13, v92
	s_xor_b64 s[14:15], s[6:7], -1
	s_and_b64 s[16:17], s[14:15], vcc
	s_and_saveexec_b64 s[14:15], s[16:17]
	s_cbranch_execz .LBB84_227
; %bb.226:
	v_ashrrev_i32_e32 v93, 31, v92
	v_lshlrev_b64 v[100:101], 2, v[92:93]
	v_add_co_u32_e32 v100, vcc, v4, v100
	v_addc_co_u32_e32 v101, vcc, v5, v101, vcc
	flat_load_dword v93, v[100:101]
	flat_load_dword v95, v[4:5] offset:52
	s_waitcnt vmcnt(0) lgkmcnt(0)
	flat_store_dword v[4:5], v93 offset:52
	flat_store_dword v[100:101], v95
.LBB84_227:
	s_or_b64 exec, exec, s[14:15]
	v_mov_b32_e32 v93, v92
	v_mov_b32_e32 v95, v92
.LBB84_228:
	s_or_b64 exec, exec, s[2:3]
.LBB84_229:
	s_andn2_saveexec_b64 s[0:1], s[0:1]
	s_cbranch_execz .LBB84_231
; %bb.230:
	v_mov_b32_e32 v100, v56
	v_mov_b32_e32 v101, v57
	v_mov_b32_e32 v102, v58
	v_mov_b32_e32 v103, v59
	ds_write2_b64 v94, v[100:101], v[102:103] offset0:14 offset1:15
	v_mov_b32_e32 v100, v54
	v_mov_b32_e32 v101, v55
	v_mov_b32_e32 v102, v52
	v_mov_b32_e32 v103, v53
	ds_write2_b64 v94, v[100:101], v[102:103] offset0:16 offset1:17
	;; [unrolled: 5-line block ×13, first 2 shown]
	v_mov_b32_e32 v100, v6
	v_mov_b32_e32 v101, v7
	;; [unrolled: 1-line block ×5, first 2 shown]
	ds_write2_b64 v94, v[100:101], v[102:103] offset0:40 offset1:41
	ds_write_b64 v94, v[88:89] offset:336
.LBB84_231:
	s_or_b64 exec, exec, s[0:1]
	v_cmp_lt_i32_e32 vcc, 13, v95
	s_waitcnt lgkmcnt(0)
	s_barrier
	s_and_saveexec_b64 s[0:1], vcc
	s_cbranch_execz .LBB84_233
; %bb.232:
	ds_read2_b64 v[100:103], v94 offset0:14 offset1:15
	ds_read2_b64 v[104:107], v94 offset0:16 offset1:17
	v_mul_f64 v[60:61], v[90:91], v[60:61]
	ds_read2_b64 v[108:111], v94 offset0:18 offset1:19
	ds_read_b64 v[90:91], v94 offset:336
	s_waitcnt lgkmcnt(0)
	v_fma_f64 v[56:57], -v[60:61], v[100:101], v[56:57]
	v_fma_f64 v[58:59], -v[60:61], v[102:103], v[58:59]
	ds_read2_b64 v[100:103], v94 offset0:20 offset1:21
	v_fma_f64 v[54:55], -v[60:61], v[104:105], v[54:55]
	v_fma_f64 v[52:53], -v[60:61], v[106:107], v[52:53]
	ds_read2_b64 v[104:107], v94 offset0:22 offset1:23
	;; [unrolled: 3-line block ×3, first 2 shown]
	s_waitcnt lgkmcnt(0)
	v_fma_f64 v[46:47], -v[60:61], v[100:101], v[46:47]
	v_fma_f64 v[44:45], -v[60:61], v[102:103], v[44:45]
	;; [unrolled: 1-line block ×3, first 2 shown]
	ds_read2_b64 v[100:103], v94 offset0:26 offset1:27
	v_fma_f64 v[40:41], -v[60:61], v[106:107], v[40:41]
	ds_read2_b64 v[104:107], v94 offset0:28 offset1:29
	v_fma_f64 v[38:39], -v[60:61], v[108:109], v[38:39]
	v_fma_f64 v[36:37], -v[60:61], v[110:111], v[36:37]
	s_waitcnt lgkmcnt(0)
	v_fma_f64 v[34:35], -v[60:61], v[100:101], v[34:35]
	ds_read2_b64 v[108:111], v94 offset0:30 offset1:31
	v_fma_f64 v[32:33], -v[60:61], v[102:103], v[32:33]
	ds_read2_b64 v[100:103], v94 offset0:32 offset1:33
	v_fma_f64 v[30:31], -v[60:61], v[104:105], v[30:31]
	v_fma_f64 v[26:27], -v[60:61], v[106:107], v[26:27]
	ds_read2_b64 v[104:107], v94 offset0:34 offset1:35
	s_waitcnt lgkmcnt(0)
	v_fma_f64 v[28:29], -v[60:61], v[108:109], v[28:29]
	v_fma_f64 v[24:25], -v[60:61], v[110:111], v[24:25]
	ds_read2_b64 v[108:111], v94 offset0:36 offset1:37
	v_fma_f64 v[22:23], -v[60:61], v[100:101], v[22:23]
	v_fma_f64 v[20:21], -v[60:61], v[102:103], v[20:21]
	;; [unrolled: 1-line block ×4, first 2 shown]
	ds_read2_b64 v[100:103], v94 offset0:38 offset1:39
	ds_read2_b64 v[104:107], v94 offset0:40 offset1:41
	s_waitcnt lgkmcnt(0)
	v_fma_f64 v[14:15], -v[60:61], v[108:109], v[14:15]
	v_fma_f64 v[12:13], -v[60:61], v[110:111], v[12:13]
	;; [unrolled: 1-line block ×7, first 2 shown]
.LBB84_233:
	s_or_b64 exec, exec, s[0:1]
	v_lshl_add_u32 v90, v95, 3, v94
	s_barrier
	ds_write_b64 v90, v[56:57]
	s_waitcnt lgkmcnt(0)
	s_barrier
	ds_read_b64 v[90:91], v94 offset:112
	s_cmp_lt_i32 s18, 16
	v_mov_b32_e32 v92, 14
	s_cbranch_scc1 .LBB84_236
; %bb.234:
	v_add_u32_e32 v99, 0x78, v94
	s_mov_b32 s0, 15
	v_mov_b32_e32 v92, 14
.LBB84_235:                             ; =>This Inner Loop Header: Depth=1
	ds_read_b64 v[100:101], v99
	v_mov_b32_e32 v102, s0
	s_add_i32 s0, s0, 1
	v_add_u32_e32 v99, 8, v99
	s_cmp_lg_u32 s18, s0
	s_waitcnt lgkmcnt(0)
	v_cmp_lt_f64_e64 vcc, |v[90:91]|, |v[100:101]|
	v_cndmask_b32_e32 v91, v91, v101, vcc
	v_cndmask_b32_e32 v90, v90, v100, vcc
	;; [unrolled: 1-line block ×3, first 2 shown]
	s_cbranch_scc1 .LBB84_235
.LBB84_236:
	s_waitcnt lgkmcnt(0)
	v_cmp_eq_f64_e32 vcc, 0, v[90:91]
	s_and_saveexec_b64 s[0:1], vcc
	s_xor_b64 s[0:1], exec, s[0:1]
; %bb.237:
	v_cmp_ne_u32_e32 vcc, 0, v98
	v_cndmask_b32_e32 v98, 15, v98, vcc
; %bb.238:
	s_andn2_saveexec_b64 s[0:1], s[0:1]
; %bb.239:
	v_div_scale_f64 v[100:101], s[2:3], v[90:91], v[90:91], 1.0
	v_rcp_f64_e32 v[102:103], v[100:101]
	v_div_scale_f64 v[104:105], vcc, 1.0, v[90:91], 1.0
	v_fma_f64 v[106:107], -v[100:101], v[102:103], 1.0
	v_fmac_f64_e32 v[102:103], v[102:103], v[106:107]
	v_fma_f64 v[106:107], -v[100:101], v[102:103], 1.0
	v_fmac_f64_e32 v[102:103], v[102:103], v[106:107]
	v_mul_f64 v[106:107], v[104:105], v[102:103]
	v_fma_f64 v[100:101], -v[100:101], v[106:107], v[104:105]
	v_div_fmas_f64 v[100:101], v[100:101], v[102:103], v[106:107]
	v_div_fixup_f64 v[90:91], v[100:101], v[90:91], 1.0
; %bb.240:
	s_or_b64 exec, exec, s[0:1]
	v_cmp_ne_u32_e32 vcc, v95, v92
	s_and_saveexec_b64 s[0:1], vcc
	s_xor_b64 s[0:1], exec, s[0:1]
	s_cbranch_execz .LBB84_246
; %bb.241:
	v_cmp_eq_u32_e32 vcc, 14, v95
	s_and_saveexec_b64 s[2:3], vcc
	s_cbranch_execz .LBB84_245
; %bb.242:
	v_cmp_ne_u32_e32 vcc, 14, v92
	s_xor_b64 s[14:15], s[6:7], -1
	s_and_b64 s[16:17], s[14:15], vcc
	s_and_saveexec_b64 s[14:15], s[16:17]
	s_cbranch_execz .LBB84_244
; %bb.243:
	v_ashrrev_i32_e32 v93, 31, v92
	v_lshlrev_b64 v[100:101], 2, v[92:93]
	v_add_co_u32_e32 v100, vcc, v4, v100
	v_addc_co_u32_e32 v101, vcc, v5, v101, vcc
	flat_load_dword v93, v[100:101]
	flat_load_dword v95, v[4:5] offset:56
	s_waitcnt vmcnt(0) lgkmcnt(0)
	flat_store_dword v[4:5], v93 offset:56
	flat_store_dword v[100:101], v95
.LBB84_244:
	s_or_b64 exec, exec, s[14:15]
	v_mov_b32_e32 v93, v92
	v_mov_b32_e32 v95, v92
.LBB84_245:
	s_or_b64 exec, exec, s[2:3]
.LBB84_246:
	s_andn2_saveexec_b64 s[0:1], s[0:1]
	s_cbranch_execz .LBB84_248
; %bb.247:
	v_mov_b32_e32 v95, 14
	ds_write2_b64 v94, v[58:59], v[54:55] offset0:15 offset1:16
	ds_write2_b64 v94, v[52:53], v[50:51] offset0:17 offset1:18
	;; [unrolled: 1-line block ×14, first 2 shown]
.LBB84_248:
	s_or_b64 exec, exec, s[0:1]
	v_cmp_lt_i32_e32 vcc, 14, v95
	s_waitcnt lgkmcnt(0)
	s_barrier
	s_and_saveexec_b64 s[0:1], vcc
	s_cbranch_execz .LBB84_250
; %bb.249:
	ds_read2_b64 v[100:103], v94 offset0:15 offset1:16
	ds_read2_b64 v[104:107], v94 offset0:17 offset1:18
	v_mul_f64 v[56:57], v[90:91], v[56:57]
	ds_read2_b64 v[108:111], v94 offset0:19 offset1:20
	s_waitcnt lgkmcnt(0)
	v_fma_f64 v[58:59], -v[56:57], v[100:101], v[58:59]
	v_fma_f64 v[54:55], -v[56:57], v[102:103], v[54:55]
	ds_read2_b64 v[100:103], v94 offset0:21 offset1:22
	v_fma_f64 v[52:53], -v[56:57], v[104:105], v[52:53]
	v_fma_f64 v[50:51], -v[56:57], v[106:107], v[50:51]
	ds_read2_b64 v[104:107], v94 offset0:23 offset1:24
	;; [unrolled: 3-line block ×3, first 2 shown]
	s_waitcnt lgkmcnt(0)
	v_fma_f64 v[44:45], -v[56:57], v[100:101], v[44:45]
	v_fma_f64 v[42:43], -v[56:57], v[102:103], v[42:43]
	;; [unrolled: 1-line block ×3, first 2 shown]
	ds_read2_b64 v[100:103], v94 offset0:27 offset1:28
	v_fma_f64 v[38:39], -v[56:57], v[106:107], v[38:39]
	ds_read2_b64 v[104:107], v94 offset0:29 offset1:30
	v_fma_f64 v[36:37], -v[56:57], v[108:109], v[36:37]
	v_fma_f64 v[34:35], -v[56:57], v[110:111], v[34:35]
	s_waitcnt lgkmcnt(0)
	v_fma_f64 v[32:33], -v[56:57], v[100:101], v[32:33]
	ds_read2_b64 v[108:111], v94 offset0:31 offset1:32
	v_fma_f64 v[30:31], -v[56:57], v[102:103], v[30:31]
	ds_read2_b64 v[100:103], v94 offset0:33 offset1:34
	v_fma_f64 v[26:27], -v[56:57], v[104:105], v[26:27]
	v_fma_f64 v[28:29], -v[56:57], v[106:107], v[28:29]
	ds_read2_b64 v[104:107], v94 offset0:35 offset1:36
	s_waitcnt lgkmcnt(0)
	v_fma_f64 v[24:25], -v[56:57], v[108:109], v[24:25]
	v_fma_f64 v[22:23], -v[56:57], v[110:111], v[22:23]
	;; [unrolled: 1-line block ×4, first 2 shown]
	ds_read2_b64 v[100:103], v94 offset0:37 offset1:38
	v_fma_f64 v[16:17], -v[56:57], v[104:105], v[16:17]
	ds_read2_b64 v[108:111], v94 offset0:39 offset1:40
	v_fma_f64 v[14:15], -v[56:57], v[106:107], v[14:15]
	ds_read2_b64 v[104:107], v94 offset0:41 offset1:42
	s_waitcnt lgkmcnt(0)
	v_fma_f64 v[12:13], -v[56:57], v[100:101], v[12:13]
	v_fma_f64 v[10:11], -v[56:57], v[102:103], v[10:11]
	;; [unrolled: 1-line block ×6, first 2 shown]
.LBB84_250:
	s_or_b64 exec, exec, s[0:1]
	v_lshl_add_u32 v90, v95, 3, v94
	s_barrier
	ds_write_b64 v90, v[58:59]
	s_waitcnt lgkmcnt(0)
	s_barrier
	ds_read_b64 v[90:91], v94 offset:120
	s_cmp_lt_i32 s18, 17
	v_mov_b32_e32 v92, 15
	s_cbranch_scc1 .LBB84_253
; %bb.251:
	v_add_u32_e32 v99, 0x80, v94
	s_mov_b32 s0, 16
	v_mov_b32_e32 v92, 15
.LBB84_252:                             ; =>This Inner Loop Header: Depth=1
	ds_read_b64 v[100:101], v99
	v_mov_b32_e32 v102, s0
	s_add_i32 s0, s0, 1
	v_add_u32_e32 v99, 8, v99
	s_cmp_lg_u32 s18, s0
	s_waitcnt lgkmcnt(0)
	v_cmp_lt_f64_e64 vcc, |v[90:91]|, |v[100:101]|
	v_cndmask_b32_e32 v91, v91, v101, vcc
	v_cndmask_b32_e32 v90, v90, v100, vcc
	;; [unrolled: 1-line block ×3, first 2 shown]
	s_cbranch_scc1 .LBB84_252
.LBB84_253:
	s_waitcnt lgkmcnt(0)
	v_cmp_eq_f64_e32 vcc, 0, v[90:91]
	s_and_saveexec_b64 s[0:1], vcc
	s_xor_b64 s[0:1], exec, s[0:1]
; %bb.254:
	v_cmp_ne_u32_e32 vcc, 0, v98
	v_cndmask_b32_e32 v98, 16, v98, vcc
; %bb.255:
	s_andn2_saveexec_b64 s[0:1], s[0:1]
; %bb.256:
	v_div_scale_f64 v[100:101], s[2:3], v[90:91], v[90:91], 1.0
	v_rcp_f64_e32 v[102:103], v[100:101]
	v_div_scale_f64 v[104:105], vcc, 1.0, v[90:91], 1.0
	v_fma_f64 v[106:107], -v[100:101], v[102:103], 1.0
	v_fmac_f64_e32 v[102:103], v[102:103], v[106:107]
	v_fma_f64 v[106:107], -v[100:101], v[102:103], 1.0
	v_fmac_f64_e32 v[102:103], v[102:103], v[106:107]
	v_mul_f64 v[106:107], v[104:105], v[102:103]
	v_fma_f64 v[100:101], -v[100:101], v[106:107], v[104:105]
	v_div_fmas_f64 v[100:101], v[100:101], v[102:103], v[106:107]
	v_div_fixup_f64 v[90:91], v[100:101], v[90:91], 1.0
; %bb.257:
	s_or_b64 exec, exec, s[0:1]
	v_cmp_ne_u32_e32 vcc, v95, v92
	s_and_saveexec_b64 s[0:1], vcc
	s_xor_b64 s[0:1], exec, s[0:1]
	s_cbranch_execz .LBB84_263
; %bb.258:
	v_cmp_eq_u32_e32 vcc, 15, v95
	s_and_saveexec_b64 s[2:3], vcc
	s_cbranch_execz .LBB84_262
; %bb.259:
	v_cmp_ne_u32_e32 vcc, 15, v92
	s_xor_b64 s[14:15], s[6:7], -1
	s_and_b64 s[16:17], s[14:15], vcc
	s_and_saveexec_b64 s[14:15], s[16:17]
	s_cbranch_execz .LBB84_261
; %bb.260:
	v_ashrrev_i32_e32 v93, 31, v92
	v_lshlrev_b64 v[100:101], 2, v[92:93]
	v_add_co_u32_e32 v100, vcc, v4, v100
	v_addc_co_u32_e32 v101, vcc, v5, v101, vcc
	flat_load_dword v93, v[100:101]
	flat_load_dword v95, v[4:5] offset:60
	s_waitcnt vmcnt(0) lgkmcnt(0)
	flat_store_dword v[4:5], v93 offset:60
	flat_store_dword v[100:101], v95
.LBB84_261:
	s_or_b64 exec, exec, s[14:15]
	v_mov_b32_e32 v93, v92
	v_mov_b32_e32 v95, v92
.LBB84_262:
	s_or_b64 exec, exec, s[2:3]
.LBB84_263:
	s_andn2_saveexec_b64 s[0:1], s[0:1]
	s_cbranch_execz .LBB84_265
; %bb.264:
	v_mov_b32_e32 v100, v54
	v_mov_b32_e32 v101, v55
	v_mov_b32_e32 v102, v52
	v_mov_b32_e32 v103, v53
	ds_write2_b64 v94, v[100:101], v[102:103] offset0:16 offset1:17
	v_mov_b32_e32 v100, v50
	v_mov_b32_e32 v101, v51
	v_mov_b32_e32 v102, v48
	v_mov_b32_e32 v103, v49
	ds_write2_b64 v94, v[100:101], v[102:103] offset0:18 offset1:19
	;; [unrolled: 5-line block ×12, first 2 shown]
	v_mov_b32_e32 v100, v6
	v_mov_b32_e32 v101, v7
	;; [unrolled: 1-line block ×5, first 2 shown]
	ds_write2_b64 v94, v[100:101], v[102:103] offset0:40 offset1:41
	ds_write_b64 v94, v[88:89] offset:336
.LBB84_265:
	s_or_b64 exec, exec, s[0:1]
	v_cmp_lt_i32_e32 vcc, 15, v95
	s_waitcnt lgkmcnt(0)
	s_barrier
	s_and_saveexec_b64 s[0:1], vcc
	s_cbranch_execz .LBB84_267
; %bb.266:
	ds_read2_b64 v[100:103], v94 offset0:16 offset1:17
	ds_read2_b64 v[104:107], v94 offset0:18 offset1:19
	v_mul_f64 v[58:59], v[90:91], v[58:59]
	ds_read2_b64 v[108:111], v94 offset0:20 offset1:21
	ds_read_b64 v[90:91], v94 offset:336
	s_waitcnt lgkmcnt(0)
	v_fma_f64 v[54:55], -v[58:59], v[100:101], v[54:55]
	v_fma_f64 v[52:53], -v[58:59], v[102:103], v[52:53]
	ds_read2_b64 v[100:103], v94 offset0:22 offset1:23
	v_fma_f64 v[50:51], -v[58:59], v[104:105], v[50:51]
	v_fma_f64 v[48:49], -v[58:59], v[106:107], v[48:49]
	;; [unrolled: 1-line block ×3, first 2 shown]
	ds_read2_b64 v[104:107], v94 offset0:24 offset1:25
	v_fma_f64 v[44:45], -v[58:59], v[110:111], v[44:45]
	ds_read2_b64 v[108:111], v94 offset0:26 offset1:27
	s_waitcnt lgkmcnt(0)
	v_fma_f64 v[42:43], -v[58:59], v[100:101], v[42:43]
	v_fma_f64 v[40:41], -v[58:59], v[102:103], v[40:41]
	ds_read2_b64 v[100:103], v94 offset0:28 offset1:29
	v_fma_f64 v[38:39], -v[58:59], v[104:105], v[38:39]
	v_fma_f64 v[36:37], -v[58:59], v[106:107], v[36:37]
	ds_read2_b64 v[104:107], v94 offset0:30 offset1:31
	v_fma_f64 v[34:35], -v[58:59], v[108:109], v[34:35]
	v_fma_f64 v[32:33], -v[58:59], v[110:111], v[32:33]
	s_waitcnt lgkmcnt(0)
	v_fma_f64 v[30:31], -v[58:59], v[100:101], v[30:31]
	ds_read2_b64 v[108:111], v94 offset0:32 offset1:33
	v_fma_f64 v[26:27], -v[58:59], v[102:103], v[26:27]
	ds_read2_b64 v[100:103], v94 offset0:34 offset1:35
	v_fma_f64 v[28:29], -v[58:59], v[104:105], v[28:29]
	v_fma_f64 v[24:25], -v[58:59], v[106:107], v[24:25]
	s_waitcnt lgkmcnt(0)
	v_fma_f64 v[22:23], -v[58:59], v[108:109], v[22:23]
	ds_read2_b64 v[104:107], v94 offset0:36 offset1:37
	v_fma_f64 v[20:21], -v[58:59], v[110:111], v[20:21]
	v_fma_f64 v[18:19], -v[58:59], v[100:101], v[18:19]
	;; [unrolled: 1-line block ×3, first 2 shown]
	ds_read2_b64 v[100:103], v94 offset0:38 offset1:39
	ds_read2_b64 v[108:111], v94 offset0:40 offset1:41
	s_waitcnt lgkmcnt(0)
	v_fma_f64 v[14:15], -v[58:59], v[104:105], v[14:15]
	v_fma_f64 v[12:13], -v[58:59], v[106:107], v[12:13]
	;; [unrolled: 1-line block ×7, first 2 shown]
.LBB84_267:
	s_or_b64 exec, exec, s[0:1]
	v_lshl_add_u32 v90, v95, 3, v94
	s_barrier
	ds_write_b64 v90, v[54:55]
	s_waitcnt lgkmcnt(0)
	s_barrier
	ds_read_b64 v[90:91], v94 offset:128
	s_cmp_lt_i32 s18, 18
	v_mov_b32_e32 v92, 16
	s_cbranch_scc1 .LBB84_270
; %bb.268:
	v_add_u32_e32 v99, 0x88, v94
	s_mov_b32 s0, 17
	v_mov_b32_e32 v92, 16
.LBB84_269:                             ; =>This Inner Loop Header: Depth=1
	ds_read_b64 v[100:101], v99
	v_mov_b32_e32 v102, s0
	s_add_i32 s0, s0, 1
	v_add_u32_e32 v99, 8, v99
	s_cmp_lg_u32 s18, s0
	s_waitcnt lgkmcnt(0)
	v_cmp_lt_f64_e64 vcc, |v[90:91]|, |v[100:101]|
	v_cndmask_b32_e32 v91, v91, v101, vcc
	v_cndmask_b32_e32 v90, v90, v100, vcc
	;; [unrolled: 1-line block ×3, first 2 shown]
	s_cbranch_scc1 .LBB84_269
.LBB84_270:
	s_waitcnt lgkmcnt(0)
	v_cmp_eq_f64_e32 vcc, 0, v[90:91]
	s_and_saveexec_b64 s[0:1], vcc
	s_xor_b64 s[0:1], exec, s[0:1]
; %bb.271:
	v_cmp_ne_u32_e32 vcc, 0, v98
	v_cndmask_b32_e32 v98, 17, v98, vcc
; %bb.272:
	s_andn2_saveexec_b64 s[0:1], s[0:1]
; %bb.273:
	v_div_scale_f64 v[100:101], s[2:3], v[90:91], v[90:91], 1.0
	v_rcp_f64_e32 v[102:103], v[100:101]
	v_div_scale_f64 v[104:105], vcc, 1.0, v[90:91], 1.0
	v_fma_f64 v[106:107], -v[100:101], v[102:103], 1.0
	v_fmac_f64_e32 v[102:103], v[102:103], v[106:107]
	v_fma_f64 v[106:107], -v[100:101], v[102:103], 1.0
	v_fmac_f64_e32 v[102:103], v[102:103], v[106:107]
	v_mul_f64 v[106:107], v[104:105], v[102:103]
	v_fma_f64 v[100:101], -v[100:101], v[106:107], v[104:105]
	v_div_fmas_f64 v[100:101], v[100:101], v[102:103], v[106:107]
	v_div_fixup_f64 v[90:91], v[100:101], v[90:91], 1.0
; %bb.274:
	s_or_b64 exec, exec, s[0:1]
	v_cmp_ne_u32_e32 vcc, v95, v92
	s_and_saveexec_b64 s[0:1], vcc
	s_xor_b64 s[0:1], exec, s[0:1]
	s_cbranch_execz .LBB84_280
; %bb.275:
	v_cmp_eq_u32_e32 vcc, 16, v95
	s_and_saveexec_b64 s[2:3], vcc
	s_cbranch_execz .LBB84_279
; %bb.276:
	v_cmp_ne_u32_e32 vcc, 16, v92
	s_xor_b64 s[14:15], s[6:7], -1
	s_and_b64 s[16:17], s[14:15], vcc
	s_and_saveexec_b64 s[14:15], s[16:17]
	s_cbranch_execz .LBB84_278
; %bb.277:
	v_ashrrev_i32_e32 v93, 31, v92
	v_lshlrev_b64 v[100:101], 2, v[92:93]
	v_add_co_u32_e32 v100, vcc, v4, v100
	v_addc_co_u32_e32 v101, vcc, v5, v101, vcc
	flat_load_dword v93, v[100:101]
	flat_load_dword v95, v[4:5] offset:64
	s_waitcnt vmcnt(0) lgkmcnt(0)
	flat_store_dword v[4:5], v93 offset:64
	flat_store_dword v[100:101], v95
.LBB84_278:
	s_or_b64 exec, exec, s[14:15]
	v_mov_b32_e32 v93, v92
	v_mov_b32_e32 v95, v92
.LBB84_279:
	s_or_b64 exec, exec, s[2:3]
.LBB84_280:
	s_andn2_saveexec_b64 s[0:1], s[0:1]
	s_cbranch_execz .LBB84_282
; %bb.281:
	v_mov_b32_e32 v95, 16
	ds_write2_b64 v94, v[52:53], v[50:51] offset0:17 offset1:18
	ds_write2_b64 v94, v[48:49], v[46:47] offset0:19 offset1:20
	;; [unrolled: 1-line block ×13, first 2 shown]
.LBB84_282:
	s_or_b64 exec, exec, s[0:1]
	v_cmp_lt_i32_e32 vcc, 16, v95
	s_waitcnt lgkmcnt(0)
	s_barrier
	s_and_saveexec_b64 s[0:1], vcc
	s_cbranch_execz .LBB84_284
; %bb.283:
	ds_read2_b64 v[100:103], v94 offset0:17 offset1:18
	ds_read2_b64 v[104:107], v94 offset0:19 offset1:20
	v_mul_f64 v[54:55], v[90:91], v[54:55]
	ds_read2_b64 v[108:111], v94 offset0:21 offset1:22
	s_waitcnt lgkmcnt(0)
	v_fma_f64 v[52:53], -v[54:55], v[100:101], v[52:53]
	v_fma_f64 v[50:51], -v[54:55], v[102:103], v[50:51]
	ds_read2_b64 v[100:103], v94 offset0:23 offset1:24
	v_fma_f64 v[48:49], -v[54:55], v[104:105], v[48:49]
	v_fma_f64 v[46:47], -v[54:55], v[106:107], v[46:47]
	;; [unrolled: 1-line block ×3, first 2 shown]
	ds_read2_b64 v[104:107], v94 offset0:25 offset1:26
	v_fma_f64 v[42:43], -v[54:55], v[110:111], v[42:43]
	ds_read2_b64 v[108:111], v94 offset0:27 offset1:28
	s_waitcnt lgkmcnt(0)
	v_fma_f64 v[40:41], -v[54:55], v[100:101], v[40:41]
	v_fma_f64 v[38:39], -v[54:55], v[102:103], v[38:39]
	ds_read2_b64 v[100:103], v94 offset0:29 offset1:30
	v_fma_f64 v[36:37], -v[54:55], v[104:105], v[36:37]
	v_fma_f64 v[34:35], -v[54:55], v[106:107], v[34:35]
	ds_read2_b64 v[104:107], v94 offset0:31 offset1:32
	v_fma_f64 v[32:33], -v[54:55], v[108:109], v[32:33]
	v_fma_f64 v[30:31], -v[54:55], v[110:111], v[30:31]
	s_waitcnt lgkmcnt(0)
	v_fma_f64 v[26:27], -v[54:55], v[100:101], v[26:27]
	ds_read2_b64 v[108:111], v94 offset0:33 offset1:34
	v_fma_f64 v[28:29], -v[54:55], v[102:103], v[28:29]
	ds_read2_b64 v[100:103], v94 offset0:35 offset1:36
	v_fma_f64 v[24:25], -v[54:55], v[104:105], v[24:25]
	v_fma_f64 v[22:23], -v[54:55], v[106:107], v[22:23]
	s_waitcnt lgkmcnt(0)
	v_fma_f64 v[20:21], -v[54:55], v[108:109], v[20:21]
	v_fma_f64 v[18:19], -v[54:55], v[110:111], v[18:19]
	ds_read2_b64 v[104:107], v94 offset0:37 offset1:38
	ds_read2_b64 v[108:111], v94 offset0:39 offset1:40
	v_fma_f64 v[16:17], -v[54:55], v[100:101], v[16:17]
	v_fma_f64 v[14:15], -v[54:55], v[102:103], v[14:15]
	ds_read2_b64 v[100:103], v94 offset0:41 offset1:42
	s_waitcnt lgkmcnt(0)
	v_fma_f64 v[12:13], -v[54:55], v[104:105], v[12:13]
	v_fma_f64 v[10:11], -v[54:55], v[106:107], v[10:11]
	;; [unrolled: 1-line block ×6, first 2 shown]
.LBB84_284:
	s_or_b64 exec, exec, s[0:1]
	v_lshl_add_u32 v90, v95, 3, v94
	s_barrier
	ds_write_b64 v90, v[52:53]
	s_waitcnt lgkmcnt(0)
	s_barrier
	ds_read_b64 v[90:91], v94 offset:136
	s_cmp_lt_i32 s18, 19
	v_mov_b32_e32 v92, 17
	s_cbranch_scc1 .LBB84_287
; %bb.285:
	v_add_u32_e32 v99, 0x90, v94
	s_mov_b32 s0, 18
	v_mov_b32_e32 v92, 17
.LBB84_286:                             ; =>This Inner Loop Header: Depth=1
	ds_read_b64 v[100:101], v99
	v_mov_b32_e32 v102, s0
	s_add_i32 s0, s0, 1
	v_add_u32_e32 v99, 8, v99
	s_cmp_lg_u32 s18, s0
	s_waitcnt lgkmcnt(0)
	v_cmp_lt_f64_e64 vcc, |v[90:91]|, |v[100:101]|
	v_cndmask_b32_e32 v91, v91, v101, vcc
	v_cndmask_b32_e32 v90, v90, v100, vcc
	;; [unrolled: 1-line block ×3, first 2 shown]
	s_cbranch_scc1 .LBB84_286
.LBB84_287:
	s_waitcnt lgkmcnt(0)
	v_cmp_eq_f64_e32 vcc, 0, v[90:91]
	s_and_saveexec_b64 s[0:1], vcc
	s_xor_b64 s[0:1], exec, s[0:1]
; %bb.288:
	v_cmp_ne_u32_e32 vcc, 0, v98
	v_cndmask_b32_e32 v98, 18, v98, vcc
; %bb.289:
	s_andn2_saveexec_b64 s[0:1], s[0:1]
; %bb.290:
	v_div_scale_f64 v[100:101], s[2:3], v[90:91], v[90:91], 1.0
	v_rcp_f64_e32 v[102:103], v[100:101]
	v_div_scale_f64 v[104:105], vcc, 1.0, v[90:91], 1.0
	v_fma_f64 v[106:107], -v[100:101], v[102:103], 1.0
	v_fmac_f64_e32 v[102:103], v[102:103], v[106:107]
	v_fma_f64 v[106:107], -v[100:101], v[102:103], 1.0
	v_fmac_f64_e32 v[102:103], v[102:103], v[106:107]
	v_mul_f64 v[106:107], v[104:105], v[102:103]
	v_fma_f64 v[100:101], -v[100:101], v[106:107], v[104:105]
	v_div_fmas_f64 v[100:101], v[100:101], v[102:103], v[106:107]
	v_div_fixup_f64 v[90:91], v[100:101], v[90:91], 1.0
; %bb.291:
	s_or_b64 exec, exec, s[0:1]
	v_cmp_ne_u32_e32 vcc, v95, v92
	s_and_saveexec_b64 s[0:1], vcc
	s_xor_b64 s[0:1], exec, s[0:1]
	s_cbranch_execz .LBB84_297
; %bb.292:
	v_cmp_eq_u32_e32 vcc, 17, v95
	s_and_saveexec_b64 s[2:3], vcc
	s_cbranch_execz .LBB84_296
; %bb.293:
	v_cmp_ne_u32_e32 vcc, 17, v92
	s_xor_b64 s[14:15], s[6:7], -1
	s_and_b64 s[16:17], s[14:15], vcc
	s_and_saveexec_b64 s[14:15], s[16:17]
	s_cbranch_execz .LBB84_295
; %bb.294:
	v_ashrrev_i32_e32 v93, 31, v92
	v_lshlrev_b64 v[100:101], 2, v[92:93]
	v_add_co_u32_e32 v100, vcc, v4, v100
	v_addc_co_u32_e32 v101, vcc, v5, v101, vcc
	flat_load_dword v93, v[100:101]
	flat_load_dword v95, v[4:5] offset:68
	s_waitcnt vmcnt(0) lgkmcnt(0)
	flat_store_dword v[4:5], v93 offset:68
	flat_store_dword v[100:101], v95
.LBB84_295:
	s_or_b64 exec, exec, s[14:15]
	v_mov_b32_e32 v93, v92
	v_mov_b32_e32 v95, v92
.LBB84_296:
	s_or_b64 exec, exec, s[2:3]
.LBB84_297:
	s_andn2_saveexec_b64 s[0:1], s[0:1]
	s_cbranch_execz .LBB84_299
; %bb.298:
	v_mov_b32_e32 v100, v50
	v_mov_b32_e32 v101, v51
	v_mov_b32_e32 v102, v48
	v_mov_b32_e32 v103, v49
	ds_write2_b64 v94, v[100:101], v[102:103] offset0:18 offset1:19
	v_mov_b32_e32 v100, v46
	v_mov_b32_e32 v101, v47
	v_mov_b32_e32 v102, v44
	v_mov_b32_e32 v103, v45
	ds_write2_b64 v94, v[100:101], v[102:103] offset0:20 offset1:21
	;; [unrolled: 5-line block ×11, first 2 shown]
	v_mov_b32_e32 v100, v6
	v_mov_b32_e32 v101, v7
	;; [unrolled: 1-line block ×5, first 2 shown]
	ds_write2_b64 v94, v[100:101], v[102:103] offset0:40 offset1:41
	ds_write_b64 v94, v[88:89] offset:336
.LBB84_299:
	s_or_b64 exec, exec, s[0:1]
	v_cmp_lt_i32_e32 vcc, 17, v95
	s_waitcnt lgkmcnt(0)
	s_barrier
	s_and_saveexec_b64 s[0:1], vcc
	s_cbranch_execz .LBB84_301
; %bb.300:
	ds_read2_b64 v[100:103], v94 offset0:18 offset1:19
	ds_read2_b64 v[104:107], v94 offset0:20 offset1:21
	ds_read2_b64 v[108:111], v94 offset0:22 offset1:23
	v_mul_f64 v[52:53], v[90:91], v[52:53]
	ds_read_b64 v[90:91], v94 offset:336
	s_waitcnt lgkmcnt(0)
	v_fma_f64 v[50:51], -v[52:53], v[100:101], v[50:51]
	v_fma_f64 v[48:49], -v[52:53], v[102:103], v[48:49]
	ds_read2_b64 v[100:103], v94 offset0:24 offset1:25
	v_fma_f64 v[46:47], -v[52:53], v[104:105], v[46:47]
	v_fma_f64 v[44:45], -v[52:53], v[106:107], v[44:45]
	;; [unrolled: 1-line block ×3, first 2 shown]
	ds_read2_b64 v[104:107], v94 offset0:26 offset1:27
	v_fma_f64 v[40:41], -v[52:53], v[110:111], v[40:41]
	ds_read2_b64 v[108:111], v94 offset0:28 offset1:29
	s_waitcnt lgkmcnt(0)
	v_fma_f64 v[38:39], -v[52:53], v[100:101], v[38:39]
	v_fma_f64 v[36:37], -v[52:53], v[102:103], v[36:37]
	;; [unrolled: 1-line block ×3, first 2 shown]
	ds_read2_b64 v[100:103], v94 offset0:30 offset1:31
	v_fma_f64 v[32:33], -v[52:53], v[106:107], v[32:33]
	ds_read2_b64 v[104:107], v94 offset0:32 offset1:33
	v_fma_f64 v[30:31], -v[52:53], v[108:109], v[30:31]
	v_fma_f64 v[26:27], -v[52:53], v[110:111], v[26:27]
	ds_read2_b64 v[108:111], v94 offset0:34 offset1:35
	s_waitcnt lgkmcnt(0)
	v_fma_f64 v[28:29], -v[52:53], v[100:101], v[28:29]
	v_fma_f64 v[24:25], -v[52:53], v[102:103], v[24:25]
	ds_read2_b64 v[100:103], v94 offset0:36 offset1:37
	v_fma_f64 v[22:23], -v[52:53], v[104:105], v[22:23]
	v_fma_f64 v[20:21], -v[52:53], v[106:107], v[20:21]
	;; [unrolled: 1-line block ×4, first 2 shown]
	ds_read2_b64 v[104:107], v94 offset0:38 offset1:39
	ds_read2_b64 v[108:111], v94 offset0:40 offset1:41
	s_waitcnt lgkmcnt(0)
	v_fma_f64 v[14:15], -v[52:53], v[100:101], v[14:15]
	v_fma_f64 v[12:13], -v[52:53], v[102:103], v[12:13]
	;; [unrolled: 1-line block ×7, first 2 shown]
.LBB84_301:
	s_or_b64 exec, exec, s[0:1]
	v_lshl_add_u32 v90, v95, 3, v94
	s_barrier
	ds_write_b64 v90, v[50:51]
	s_waitcnt lgkmcnt(0)
	s_barrier
	ds_read_b64 v[90:91], v94 offset:144
	s_cmp_lt_i32 s18, 20
	v_mov_b32_e32 v92, 18
	s_cbranch_scc1 .LBB84_304
; %bb.302:
	v_add_u32_e32 v99, 0x98, v94
	s_mov_b32 s0, 19
	v_mov_b32_e32 v92, 18
.LBB84_303:                             ; =>This Inner Loop Header: Depth=1
	ds_read_b64 v[100:101], v99
	v_mov_b32_e32 v102, s0
	s_add_i32 s0, s0, 1
	v_add_u32_e32 v99, 8, v99
	s_cmp_lg_u32 s18, s0
	s_waitcnt lgkmcnt(0)
	v_cmp_lt_f64_e64 vcc, |v[90:91]|, |v[100:101]|
	v_cndmask_b32_e32 v91, v91, v101, vcc
	v_cndmask_b32_e32 v90, v90, v100, vcc
	;; [unrolled: 1-line block ×3, first 2 shown]
	s_cbranch_scc1 .LBB84_303
.LBB84_304:
	s_waitcnt lgkmcnt(0)
	v_cmp_eq_f64_e32 vcc, 0, v[90:91]
	s_and_saveexec_b64 s[0:1], vcc
	s_xor_b64 s[0:1], exec, s[0:1]
; %bb.305:
	v_cmp_ne_u32_e32 vcc, 0, v98
	v_cndmask_b32_e32 v98, 19, v98, vcc
; %bb.306:
	s_andn2_saveexec_b64 s[0:1], s[0:1]
; %bb.307:
	v_div_scale_f64 v[100:101], s[2:3], v[90:91], v[90:91], 1.0
	v_rcp_f64_e32 v[102:103], v[100:101]
	v_div_scale_f64 v[104:105], vcc, 1.0, v[90:91], 1.0
	v_fma_f64 v[106:107], -v[100:101], v[102:103], 1.0
	v_fmac_f64_e32 v[102:103], v[102:103], v[106:107]
	v_fma_f64 v[106:107], -v[100:101], v[102:103], 1.0
	v_fmac_f64_e32 v[102:103], v[102:103], v[106:107]
	v_mul_f64 v[106:107], v[104:105], v[102:103]
	v_fma_f64 v[100:101], -v[100:101], v[106:107], v[104:105]
	v_div_fmas_f64 v[100:101], v[100:101], v[102:103], v[106:107]
	v_div_fixup_f64 v[90:91], v[100:101], v[90:91], 1.0
; %bb.308:
	s_or_b64 exec, exec, s[0:1]
	v_cmp_ne_u32_e32 vcc, v95, v92
	s_and_saveexec_b64 s[0:1], vcc
	s_xor_b64 s[0:1], exec, s[0:1]
	s_cbranch_execz .LBB84_314
; %bb.309:
	v_cmp_eq_u32_e32 vcc, 18, v95
	s_and_saveexec_b64 s[2:3], vcc
	s_cbranch_execz .LBB84_313
; %bb.310:
	v_cmp_ne_u32_e32 vcc, 18, v92
	s_xor_b64 s[14:15], s[6:7], -1
	s_and_b64 s[16:17], s[14:15], vcc
	s_and_saveexec_b64 s[14:15], s[16:17]
	s_cbranch_execz .LBB84_312
; %bb.311:
	v_ashrrev_i32_e32 v93, 31, v92
	v_lshlrev_b64 v[100:101], 2, v[92:93]
	v_add_co_u32_e32 v100, vcc, v4, v100
	v_addc_co_u32_e32 v101, vcc, v5, v101, vcc
	flat_load_dword v93, v[100:101]
	flat_load_dword v95, v[4:5] offset:72
	s_waitcnt vmcnt(0) lgkmcnt(0)
	flat_store_dword v[4:5], v93 offset:72
	flat_store_dword v[100:101], v95
.LBB84_312:
	s_or_b64 exec, exec, s[14:15]
	v_mov_b32_e32 v93, v92
	v_mov_b32_e32 v95, v92
.LBB84_313:
	s_or_b64 exec, exec, s[2:3]
.LBB84_314:
	s_andn2_saveexec_b64 s[0:1], s[0:1]
	s_cbranch_execz .LBB84_316
; %bb.315:
	v_mov_b32_e32 v95, 18
	ds_write2_b64 v94, v[48:49], v[46:47] offset0:19 offset1:20
	ds_write2_b64 v94, v[44:45], v[42:43] offset0:21 offset1:22
	;; [unrolled: 1-line block ×12, first 2 shown]
.LBB84_316:
	s_or_b64 exec, exec, s[0:1]
	v_cmp_lt_i32_e32 vcc, 18, v95
	s_waitcnt lgkmcnt(0)
	s_barrier
	s_and_saveexec_b64 s[0:1], vcc
	s_cbranch_execz .LBB84_318
; %bb.317:
	ds_read2_b64 v[100:103], v94 offset0:19 offset1:20
	ds_read2_b64 v[104:107], v94 offset0:21 offset1:22
	;; [unrolled: 1-line block ×3, first 2 shown]
	v_mul_f64 v[50:51], v[90:91], v[50:51]
	s_waitcnt lgkmcnt(0)
	v_fma_f64 v[48:49], -v[50:51], v[100:101], v[48:49]
	v_fma_f64 v[46:47], -v[50:51], v[102:103], v[46:47]
	ds_read2_b64 v[100:103], v94 offset0:25 offset1:26
	v_fma_f64 v[44:45], -v[50:51], v[104:105], v[44:45]
	v_fma_f64 v[42:43], -v[50:51], v[106:107], v[42:43]
	;; [unrolled: 1-line block ×3, first 2 shown]
	ds_read2_b64 v[104:107], v94 offset0:27 offset1:28
	v_fma_f64 v[38:39], -v[50:51], v[110:111], v[38:39]
	ds_read2_b64 v[108:111], v94 offset0:29 offset1:30
	s_waitcnt lgkmcnt(0)
	v_fma_f64 v[36:37], -v[50:51], v[100:101], v[36:37]
	v_fma_f64 v[34:35], -v[50:51], v[102:103], v[34:35]
	;; [unrolled: 1-line block ×3, first 2 shown]
	ds_read2_b64 v[100:103], v94 offset0:31 offset1:32
	v_fma_f64 v[30:31], -v[50:51], v[106:107], v[30:31]
	ds_read2_b64 v[104:107], v94 offset0:33 offset1:34
	v_fma_f64 v[26:27], -v[50:51], v[108:109], v[26:27]
	v_fma_f64 v[28:29], -v[50:51], v[110:111], v[28:29]
	ds_read2_b64 v[108:111], v94 offset0:35 offset1:36
	s_waitcnt lgkmcnt(0)
	v_fma_f64 v[24:25], -v[50:51], v[100:101], v[24:25]
	v_fma_f64 v[22:23], -v[50:51], v[102:103], v[22:23]
	ds_read2_b64 v[100:103], v94 offset0:37 offset1:38
	v_fma_f64 v[20:21], -v[50:51], v[104:105], v[20:21]
	v_fma_f64 v[18:19], -v[50:51], v[106:107], v[18:19]
	;; [unrolled: 1-line block ×3, first 2 shown]
	ds_read2_b64 v[104:107], v94 offset0:39 offset1:40
	v_fma_f64 v[14:15], -v[50:51], v[110:111], v[14:15]
	ds_read2_b64 v[108:111], v94 offset0:41 offset1:42
	s_waitcnt lgkmcnt(0)
	v_fma_f64 v[12:13], -v[50:51], v[100:101], v[12:13]
	v_fma_f64 v[10:11], -v[50:51], v[102:103], v[10:11]
	;; [unrolled: 1-line block ×6, first 2 shown]
.LBB84_318:
	s_or_b64 exec, exec, s[0:1]
	v_lshl_add_u32 v90, v95, 3, v94
	s_barrier
	ds_write_b64 v90, v[48:49]
	s_waitcnt lgkmcnt(0)
	s_barrier
	ds_read_b64 v[90:91], v94 offset:152
	s_cmp_lt_i32 s18, 21
	v_mov_b32_e32 v92, 19
	s_cbranch_scc1 .LBB84_321
; %bb.319:
	v_add_u32_e32 v99, 0xa0, v94
	s_mov_b32 s0, 20
	v_mov_b32_e32 v92, 19
.LBB84_320:                             ; =>This Inner Loop Header: Depth=1
	ds_read_b64 v[100:101], v99
	v_mov_b32_e32 v102, s0
	s_add_i32 s0, s0, 1
	v_add_u32_e32 v99, 8, v99
	s_cmp_lg_u32 s18, s0
	s_waitcnt lgkmcnt(0)
	v_cmp_lt_f64_e64 vcc, |v[90:91]|, |v[100:101]|
	v_cndmask_b32_e32 v91, v91, v101, vcc
	v_cndmask_b32_e32 v90, v90, v100, vcc
	;; [unrolled: 1-line block ×3, first 2 shown]
	s_cbranch_scc1 .LBB84_320
.LBB84_321:
	s_waitcnt lgkmcnt(0)
	v_cmp_eq_f64_e32 vcc, 0, v[90:91]
	s_and_saveexec_b64 s[0:1], vcc
	s_xor_b64 s[0:1], exec, s[0:1]
; %bb.322:
	v_cmp_ne_u32_e32 vcc, 0, v98
	v_cndmask_b32_e32 v98, 20, v98, vcc
; %bb.323:
	s_andn2_saveexec_b64 s[0:1], s[0:1]
; %bb.324:
	v_div_scale_f64 v[100:101], s[2:3], v[90:91], v[90:91], 1.0
	v_rcp_f64_e32 v[102:103], v[100:101]
	v_div_scale_f64 v[104:105], vcc, 1.0, v[90:91], 1.0
	v_fma_f64 v[106:107], -v[100:101], v[102:103], 1.0
	v_fmac_f64_e32 v[102:103], v[102:103], v[106:107]
	v_fma_f64 v[106:107], -v[100:101], v[102:103], 1.0
	v_fmac_f64_e32 v[102:103], v[102:103], v[106:107]
	v_mul_f64 v[106:107], v[104:105], v[102:103]
	v_fma_f64 v[100:101], -v[100:101], v[106:107], v[104:105]
	v_div_fmas_f64 v[100:101], v[100:101], v[102:103], v[106:107]
	v_div_fixup_f64 v[90:91], v[100:101], v[90:91], 1.0
; %bb.325:
	s_or_b64 exec, exec, s[0:1]
	v_cmp_ne_u32_e32 vcc, v95, v92
	s_and_saveexec_b64 s[0:1], vcc
	s_xor_b64 s[0:1], exec, s[0:1]
	s_cbranch_execz .LBB84_331
; %bb.326:
	v_cmp_eq_u32_e32 vcc, 19, v95
	s_and_saveexec_b64 s[2:3], vcc
	s_cbranch_execz .LBB84_330
; %bb.327:
	v_cmp_ne_u32_e32 vcc, 19, v92
	s_xor_b64 s[14:15], s[6:7], -1
	s_and_b64 s[16:17], s[14:15], vcc
	s_and_saveexec_b64 s[14:15], s[16:17]
	s_cbranch_execz .LBB84_329
; %bb.328:
	v_ashrrev_i32_e32 v93, 31, v92
	v_lshlrev_b64 v[100:101], 2, v[92:93]
	v_add_co_u32_e32 v100, vcc, v4, v100
	v_addc_co_u32_e32 v101, vcc, v5, v101, vcc
	flat_load_dword v93, v[100:101]
	flat_load_dword v95, v[4:5] offset:76
	s_waitcnt vmcnt(0) lgkmcnt(0)
	flat_store_dword v[4:5], v93 offset:76
	flat_store_dword v[100:101], v95
.LBB84_329:
	s_or_b64 exec, exec, s[14:15]
	v_mov_b32_e32 v93, v92
	v_mov_b32_e32 v95, v92
.LBB84_330:
	s_or_b64 exec, exec, s[2:3]
.LBB84_331:
	s_andn2_saveexec_b64 s[0:1], s[0:1]
	s_cbranch_execz .LBB84_333
; %bb.332:
	v_mov_b32_e32 v100, v46
	v_mov_b32_e32 v101, v47
	v_mov_b32_e32 v102, v44
	v_mov_b32_e32 v103, v45
	ds_write2_b64 v94, v[100:101], v[102:103] offset0:20 offset1:21
	v_mov_b32_e32 v100, v42
	v_mov_b32_e32 v101, v43
	v_mov_b32_e32 v102, v40
	v_mov_b32_e32 v103, v41
	ds_write2_b64 v94, v[100:101], v[102:103] offset0:22 offset1:23
	;; [unrolled: 5-line block ×10, first 2 shown]
	v_mov_b32_e32 v100, v6
	v_mov_b32_e32 v101, v7
	;; [unrolled: 1-line block ×5, first 2 shown]
	ds_write2_b64 v94, v[100:101], v[102:103] offset0:40 offset1:41
	ds_write_b64 v94, v[88:89] offset:336
.LBB84_333:
	s_or_b64 exec, exec, s[0:1]
	v_cmp_lt_i32_e32 vcc, 19, v95
	s_waitcnt lgkmcnt(0)
	s_barrier
	s_and_saveexec_b64 s[0:1], vcc
	s_cbranch_execz .LBB84_335
; %bb.334:
	ds_read2_b64 v[100:103], v94 offset0:20 offset1:21
	ds_read2_b64 v[104:107], v94 offset0:22 offset1:23
	v_mul_f64 v[48:49], v[90:91], v[48:49]
	ds_read2_b64 v[108:111], v94 offset0:24 offset1:25
	ds_read_b64 v[90:91], v94 offset:336
	s_waitcnt lgkmcnt(0)
	v_fma_f64 v[46:47], -v[48:49], v[100:101], v[46:47]
	v_fma_f64 v[44:45], -v[48:49], v[102:103], v[44:45]
	ds_read2_b64 v[100:103], v94 offset0:26 offset1:27
	v_fma_f64 v[42:43], -v[48:49], v[104:105], v[42:43]
	v_fma_f64 v[40:41], -v[48:49], v[106:107], v[40:41]
	ds_read2_b64 v[104:107], v94 offset0:28 offset1:29
	;; [unrolled: 3-line block ×3, first 2 shown]
	s_waitcnt lgkmcnt(0)
	v_fma_f64 v[34:35], -v[48:49], v[100:101], v[34:35]
	v_fma_f64 v[32:33], -v[48:49], v[102:103], v[32:33]
	;; [unrolled: 1-line block ×3, first 2 shown]
	ds_read2_b64 v[100:103], v94 offset0:32 offset1:33
	v_fma_f64 v[26:27], -v[48:49], v[106:107], v[26:27]
	ds_read2_b64 v[104:107], v94 offset0:34 offset1:35
	v_fma_f64 v[28:29], -v[48:49], v[108:109], v[28:29]
	v_fma_f64 v[24:25], -v[48:49], v[110:111], v[24:25]
	s_waitcnt lgkmcnt(0)
	v_fma_f64 v[22:23], -v[48:49], v[100:101], v[22:23]
	ds_read2_b64 v[108:111], v94 offset0:36 offset1:37
	v_fma_f64 v[20:21], -v[48:49], v[102:103], v[20:21]
	ds_read2_b64 v[100:103], v94 offset0:38 offset1:39
	v_fma_f64 v[18:19], -v[48:49], v[104:105], v[18:19]
	v_fma_f64 v[16:17], -v[48:49], v[106:107], v[16:17]
	ds_read2_b64 v[104:107], v94 offset0:40 offset1:41
	s_waitcnt lgkmcnt(0)
	v_fma_f64 v[14:15], -v[48:49], v[108:109], v[14:15]
	v_fma_f64 v[12:13], -v[48:49], v[110:111], v[12:13]
	;; [unrolled: 1-line block ×7, first 2 shown]
.LBB84_335:
	s_or_b64 exec, exec, s[0:1]
	v_lshl_add_u32 v90, v95, 3, v94
	s_barrier
	ds_write_b64 v90, v[46:47]
	s_waitcnt lgkmcnt(0)
	s_barrier
	ds_read_b64 v[90:91], v94 offset:160
	s_cmp_lt_i32 s18, 22
	v_mov_b32_e32 v92, 20
	s_cbranch_scc1 .LBB84_338
; %bb.336:
	v_add_u32_e32 v99, 0xa8, v94
	s_mov_b32 s0, 21
	v_mov_b32_e32 v92, 20
.LBB84_337:                             ; =>This Inner Loop Header: Depth=1
	ds_read_b64 v[100:101], v99
	v_mov_b32_e32 v102, s0
	s_add_i32 s0, s0, 1
	v_add_u32_e32 v99, 8, v99
	s_cmp_lg_u32 s18, s0
	s_waitcnt lgkmcnt(0)
	v_cmp_lt_f64_e64 vcc, |v[90:91]|, |v[100:101]|
	v_cndmask_b32_e32 v91, v91, v101, vcc
	v_cndmask_b32_e32 v90, v90, v100, vcc
	;; [unrolled: 1-line block ×3, first 2 shown]
	s_cbranch_scc1 .LBB84_337
.LBB84_338:
	s_waitcnt lgkmcnt(0)
	v_cmp_eq_f64_e32 vcc, 0, v[90:91]
	s_and_saveexec_b64 s[0:1], vcc
	s_xor_b64 s[0:1], exec, s[0:1]
; %bb.339:
	v_cmp_ne_u32_e32 vcc, 0, v98
	v_cndmask_b32_e32 v98, 21, v98, vcc
; %bb.340:
	s_andn2_saveexec_b64 s[0:1], s[0:1]
; %bb.341:
	v_div_scale_f64 v[100:101], s[2:3], v[90:91], v[90:91], 1.0
	v_rcp_f64_e32 v[102:103], v[100:101]
	v_div_scale_f64 v[104:105], vcc, 1.0, v[90:91], 1.0
	v_fma_f64 v[106:107], -v[100:101], v[102:103], 1.0
	v_fmac_f64_e32 v[102:103], v[102:103], v[106:107]
	v_fma_f64 v[106:107], -v[100:101], v[102:103], 1.0
	v_fmac_f64_e32 v[102:103], v[102:103], v[106:107]
	v_mul_f64 v[106:107], v[104:105], v[102:103]
	v_fma_f64 v[100:101], -v[100:101], v[106:107], v[104:105]
	v_div_fmas_f64 v[100:101], v[100:101], v[102:103], v[106:107]
	v_div_fixup_f64 v[90:91], v[100:101], v[90:91], 1.0
; %bb.342:
	s_or_b64 exec, exec, s[0:1]
	v_cmp_ne_u32_e32 vcc, v95, v92
	s_and_saveexec_b64 s[0:1], vcc
	s_xor_b64 s[0:1], exec, s[0:1]
	s_cbranch_execz .LBB84_348
; %bb.343:
	v_cmp_eq_u32_e32 vcc, 20, v95
	s_and_saveexec_b64 s[2:3], vcc
	s_cbranch_execz .LBB84_347
; %bb.344:
	v_cmp_ne_u32_e32 vcc, 20, v92
	s_xor_b64 s[14:15], s[6:7], -1
	s_and_b64 s[16:17], s[14:15], vcc
	s_and_saveexec_b64 s[14:15], s[16:17]
	s_cbranch_execz .LBB84_346
; %bb.345:
	v_ashrrev_i32_e32 v93, 31, v92
	v_lshlrev_b64 v[100:101], 2, v[92:93]
	v_add_co_u32_e32 v100, vcc, v4, v100
	v_addc_co_u32_e32 v101, vcc, v5, v101, vcc
	flat_load_dword v93, v[100:101]
	flat_load_dword v95, v[4:5] offset:80
	s_waitcnt vmcnt(0) lgkmcnt(0)
	flat_store_dword v[4:5], v93 offset:80
	flat_store_dword v[100:101], v95
.LBB84_346:
	s_or_b64 exec, exec, s[14:15]
	v_mov_b32_e32 v93, v92
	v_mov_b32_e32 v95, v92
.LBB84_347:
	s_or_b64 exec, exec, s[2:3]
.LBB84_348:
	s_andn2_saveexec_b64 s[0:1], s[0:1]
	s_cbranch_execz .LBB84_350
; %bb.349:
	v_mov_b32_e32 v95, 20
	ds_write2_b64 v94, v[44:45], v[42:43] offset0:21 offset1:22
	ds_write2_b64 v94, v[40:41], v[38:39] offset0:23 offset1:24
	;; [unrolled: 1-line block ×11, first 2 shown]
.LBB84_350:
	s_or_b64 exec, exec, s[0:1]
	v_cmp_lt_i32_e32 vcc, 20, v95
	s_waitcnt lgkmcnt(0)
	s_barrier
	s_and_saveexec_b64 s[0:1], vcc
	s_cbranch_execz .LBB84_352
; %bb.351:
	ds_read2_b64 v[100:103], v94 offset0:21 offset1:22
	ds_read2_b64 v[104:107], v94 offset0:23 offset1:24
	v_mul_f64 v[46:47], v[90:91], v[46:47]
	ds_read2_b64 v[108:111], v94 offset0:25 offset1:26
	s_waitcnt lgkmcnt(0)
	v_fma_f64 v[44:45], -v[46:47], v[100:101], v[44:45]
	v_fma_f64 v[42:43], -v[46:47], v[102:103], v[42:43]
	ds_read2_b64 v[100:103], v94 offset0:27 offset1:28
	v_fma_f64 v[40:41], -v[46:47], v[104:105], v[40:41]
	v_fma_f64 v[38:39], -v[46:47], v[106:107], v[38:39]
	ds_read2_b64 v[104:107], v94 offset0:29 offset1:30
	;; [unrolled: 3-line block ×3, first 2 shown]
	s_waitcnt lgkmcnt(0)
	v_fma_f64 v[32:33], -v[46:47], v[100:101], v[32:33]
	v_fma_f64 v[30:31], -v[46:47], v[102:103], v[30:31]
	;; [unrolled: 1-line block ×3, first 2 shown]
	ds_read2_b64 v[100:103], v94 offset0:33 offset1:34
	v_fma_f64 v[28:29], -v[46:47], v[106:107], v[28:29]
	ds_read2_b64 v[104:107], v94 offset0:35 offset1:36
	v_fma_f64 v[24:25], -v[46:47], v[108:109], v[24:25]
	v_fma_f64 v[22:23], -v[46:47], v[110:111], v[22:23]
	s_waitcnt lgkmcnt(0)
	v_fma_f64 v[20:21], -v[46:47], v[100:101], v[20:21]
	v_fma_f64 v[18:19], -v[46:47], v[102:103], v[18:19]
	ds_read2_b64 v[100:103], v94 offset0:37 offset1:38
	ds_read2_b64 v[108:111], v94 offset0:39 offset1:40
	v_fma_f64 v[16:17], -v[46:47], v[104:105], v[16:17]
	v_fma_f64 v[14:15], -v[46:47], v[106:107], v[14:15]
	ds_read2_b64 v[104:107], v94 offset0:41 offset1:42
	s_waitcnt lgkmcnt(0)
	v_fma_f64 v[12:13], -v[46:47], v[100:101], v[12:13]
	v_fma_f64 v[10:11], -v[46:47], v[102:103], v[10:11]
	;; [unrolled: 1-line block ×6, first 2 shown]
.LBB84_352:
	s_or_b64 exec, exec, s[0:1]
	v_lshl_add_u32 v90, v95, 3, v94
	s_barrier
	ds_write_b64 v90, v[44:45]
	s_waitcnt lgkmcnt(0)
	s_barrier
	ds_read_b64 v[90:91], v94 offset:168
	s_cmp_lt_i32 s18, 23
	v_mov_b32_e32 v92, 21
	s_cbranch_scc1 .LBB84_355
; %bb.353:
	v_add_u32_e32 v99, 0xb0, v94
	s_mov_b32 s0, 22
	v_mov_b32_e32 v92, 21
.LBB84_354:                             ; =>This Inner Loop Header: Depth=1
	ds_read_b64 v[100:101], v99
	v_mov_b32_e32 v102, s0
	s_add_i32 s0, s0, 1
	v_add_u32_e32 v99, 8, v99
	s_cmp_lg_u32 s18, s0
	s_waitcnt lgkmcnt(0)
	v_cmp_lt_f64_e64 vcc, |v[90:91]|, |v[100:101]|
	v_cndmask_b32_e32 v91, v91, v101, vcc
	v_cndmask_b32_e32 v90, v90, v100, vcc
	v_cndmask_b32_e32 v92, v92, v102, vcc
	s_cbranch_scc1 .LBB84_354
.LBB84_355:
	s_waitcnt lgkmcnt(0)
	v_cmp_eq_f64_e32 vcc, 0, v[90:91]
	s_and_saveexec_b64 s[0:1], vcc
	s_xor_b64 s[0:1], exec, s[0:1]
; %bb.356:
	v_cmp_ne_u32_e32 vcc, 0, v98
	v_cndmask_b32_e32 v98, 22, v98, vcc
; %bb.357:
	s_andn2_saveexec_b64 s[0:1], s[0:1]
; %bb.358:
	v_div_scale_f64 v[100:101], s[2:3], v[90:91], v[90:91], 1.0
	v_rcp_f64_e32 v[102:103], v[100:101]
	v_div_scale_f64 v[104:105], vcc, 1.0, v[90:91], 1.0
	v_fma_f64 v[106:107], -v[100:101], v[102:103], 1.0
	v_fmac_f64_e32 v[102:103], v[102:103], v[106:107]
	v_fma_f64 v[106:107], -v[100:101], v[102:103], 1.0
	v_fmac_f64_e32 v[102:103], v[102:103], v[106:107]
	v_mul_f64 v[106:107], v[104:105], v[102:103]
	v_fma_f64 v[100:101], -v[100:101], v[106:107], v[104:105]
	v_div_fmas_f64 v[100:101], v[100:101], v[102:103], v[106:107]
	v_div_fixup_f64 v[90:91], v[100:101], v[90:91], 1.0
; %bb.359:
	s_or_b64 exec, exec, s[0:1]
	v_cmp_ne_u32_e32 vcc, v95, v92
	s_and_saveexec_b64 s[0:1], vcc
	s_xor_b64 s[0:1], exec, s[0:1]
	s_cbranch_execz .LBB84_365
; %bb.360:
	v_cmp_eq_u32_e32 vcc, 21, v95
	s_and_saveexec_b64 s[2:3], vcc
	s_cbranch_execz .LBB84_364
; %bb.361:
	v_cmp_ne_u32_e32 vcc, 21, v92
	s_xor_b64 s[14:15], s[6:7], -1
	s_and_b64 s[16:17], s[14:15], vcc
	s_and_saveexec_b64 s[14:15], s[16:17]
	s_cbranch_execz .LBB84_363
; %bb.362:
	v_ashrrev_i32_e32 v93, 31, v92
	v_lshlrev_b64 v[100:101], 2, v[92:93]
	v_add_co_u32_e32 v100, vcc, v4, v100
	v_addc_co_u32_e32 v101, vcc, v5, v101, vcc
	flat_load_dword v93, v[100:101]
	flat_load_dword v95, v[4:5] offset:84
	s_waitcnt vmcnt(0) lgkmcnt(0)
	flat_store_dword v[4:5], v93 offset:84
	flat_store_dword v[100:101], v95
.LBB84_363:
	s_or_b64 exec, exec, s[14:15]
	v_mov_b32_e32 v93, v92
	v_mov_b32_e32 v95, v92
.LBB84_364:
	s_or_b64 exec, exec, s[2:3]
.LBB84_365:
	s_andn2_saveexec_b64 s[0:1], s[0:1]
	s_cbranch_execz .LBB84_367
; %bb.366:
	v_mov_b32_e32 v100, v42
	v_mov_b32_e32 v101, v43
	v_mov_b32_e32 v102, v40
	v_mov_b32_e32 v103, v41
	ds_write2_b64 v94, v[100:101], v[102:103] offset0:22 offset1:23
	v_mov_b32_e32 v100, v38
	v_mov_b32_e32 v101, v39
	v_mov_b32_e32 v102, v36
	v_mov_b32_e32 v103, v37
	ds_write2_b64 v94, v[100:101], v[102:103] offset0:24 offset1:25
	;; [unrolled: 5-line block ×9, first 2 shown]
	v_mov_b32_e32 v100, v6
	v_mov_b32_e32 v101, v7
	;; [unrolled: 1-line block ×5, first 2 shown]
	ds_write2_b64 v94, v[100:101], v[102:103] offset0:40 offset1:41
	ds_write_b64 v94, v[88:89] offset:336
.LBB84_367:
	s_or_b64 exec, exec, s[0:1]
	v_cmp_lt_i32_e32 vcc, 21, v95
	s_waitcnt lgkmcnt(0)
	s_barrier
	s_and_saveexec_b64 s[0:1], vcc
	s_cbranch_execz .LBB84_369
; %bb.368:
	ds_read2_b64 v[100:103], v94 offset0:22 offset1:23
	ds_read2_b64 v[104:107], v94 offset0:24 offset1:25
	v_mul_f64 v[44:45], v[90:91], v[44:45]
	ds_read2_b64 v[108:111], v94 offset0:26 offset1:27
	ds_read_b64 v[90:91], v94 offset:336
	s_waitcnt lgkmcnt(0)
	v_fma_f64 v[42:43], -v[44:45], v[100:101], v[42:43]
	v_fma_f64 v[40:41], -v[44:45], v[102:103], v[40:41]
	ds_read2_b64 v[100:103], v94 offset0:28 offset1:29
	v_fma_f64 v[38:39], -v[44:45], v[104:105], v[38:39]
	v_fma_f64 v[36:37], -v[44:45], v[106:107], v[36:37]
	;; [unrolled: 1-line block ×3, first 2 shown]
	ds_read2_b64 v[104:107], v94 offset0:30 offset1:31
	v_fma_f64 v[32:33], -v[44:45], v[110:111], v[32:33]
	ds_read2_b64 v[108:111], v94 offset0:32 offset1:33
	s_waitcnt lgkmcnt(0)
	v_fma_f64 v[30:31], -v[44:45], v[100:101], v[30:31]
	v_fma_f64 v[26:27], -v[44:45], v[102:103], v[26:27]
	ds_read2_b64 v[100:103], v94 offset0:34 offset1:35
	v_fma_f64 v[28:29], -v[44:45], v[104:105], v[28:29]
	v_fma_f64 v[24:25], -v[44:45], v[106:107], v[24:25]
	ds_read2_b64 v[104:107], v94 offset0:36 offset1:37
	v_fma_f64 v[22:23], -v[44:45], v[108:109], v[22:23]
	v_fma_f64 v[20:21], -v[44:45], v[110:111], v[20:21]
	s_waitcnt lgkmcnt(0)
	v_fma_f64 v[18:19], -v[44:45], v[100:101], v[18:19]
	v_fma_f64 v[16:17], -v[44:45], v[102:103], v[16:17]
	ds_read2_b64 v[100:103], v94 offset0:38 offset1:39
	ds_read2_b64 v[108:111], v94 offset0:40 offset1:41
	v_fma_f64 v[14:15], -v[44:45], v[104:105], v[14:15]
	v_fma_f64 v[12:13], -v[44:45], v[106:107], v[12:13]
	;; [unrolled: 1-line block ×3, first 2 shown]
	s_waitcnt lgkmcnt(0)
	v_fma_f64 v[10:11], -v[44:45], v[100:101], v[10:11]
	v_fma_f64 v[8:9], -v[44:45], v[102:103], v[8:9]
	v_fma_f64 v[6:7], -v[44:45], v[108:109], v[6:7]
	v_fma_f64 v[0:1], -v[44:45], v[110:111], v[0:1]
.LBB84_369:
	s_or_b64 exec, exec, s[0:1]
	v_lshl_add_u32 v90, v95, 3, v94
	s_barrier
	ds_write_b64 v90, v[42:43]
	s_waitcnt lgkmcnt(0)
	s_barrier
	ds_read_b64 v[90:91], v94 offset:176
	s_cmp_lt_i32 s18, 24
	v_mov_b32_e32 v92, 22
	s_cbranch_scc1 .LBB84_372
; %bb.370:
	v_add_u32_e32 v99, 0xb8, v94
	s_mov_b32 s0, 23
	v_mov_b32_e32 v92, 22
.LBB84_371:                             ; =>This Inner Loop Header: Depth=1
	ds_read_b64 v[100:101], v99
	v_mov_b32_e32 v102, s0
	s_add_i32 s0, s0, 1
	v_add_u32_e32 v99, 8, v99
	s_cmp_lg_u32 s18, s0
	s_waitcnt lgkmcnt(0)
	v_cmp_lt_f64_e64 vcc, |v[90:91]|, |v[100:101]|
	v_cndmask_b32_e32 v91, v91, v101, vcc
	v_cndmask_b32_e32 v90, v90, v100, vcc
	;; [unrolled: 1-line block ×3, first 2 shown]
	s_cbranch_scc1 .LBB84_371
.LBB84_372:
	s_waitcnt lgkmcnt(0)
	v_cmp_eq_f64_e32 vcc, 0, v[90:91]
	s_and_saveexec_b64 s[0:1], vcc
	s_xor_b64 s[0:1], exec, s[0:1]
; %bb.373:
	v_cmp_ne_u32_e32 vcc, 0, v98
	v_cndmask_b32_e32 v98, 23, v98, vcc
; %bb.374:
	s_andn2_saveexec_b64 s[0:1], s[0:1]
; %bb.375:
	v_div_scale_f64 v[100:101], s[2:3], v[90:91], v[90:91], 1.0
	v_rcp_f64_e32 v[102:103], v[100:101]
	v_div_scale_f64 v[104:105], vcc, 1.0, v[90:91], 1.0
	v_fma_f64 v[106:107], -v[100:101], v[102:103], 1.0
	v_fmac_f64_e32 v[102:103], v[102:103], v[106:107]
	v_fma_f64 v[106:107], -v[100:101], v[102:103], 1.0
	v_fmac_f64_e32 v[102:103], v[102:103], v[106:107]
	v_mul_f64 v[106:107], v[104:105], v[102:103]
	v_fma_f64 v[100:101], -v[100:101], v[106:107], v[104:105]
	v_div_fmas_f64 v[100:101], v[100:101], v[102:103], v[106:107]
	v_div_fixup_f64 v[90:91], v[100:101], v[90:91], 1.0
; %bb.376:
	s_or_b64 exec, exec, s[0:1]
	v_cmp_ne_u32_e32 vcc, v95, v92
	s_and_saveexec_b64 s[0:1], vcc
	s_xor_b64 s[0:1], exec, s[0:1]
	s_cbranch_execz .LBB84_382
; %bb.377:
	v_cmp_eq_u32_e32 vcc, 22, v95
	s_and_saveexec_b64 s[2:3], vcc
	s_cbranch_execz .LBB84_381
; %bb.378:
	v_cmp_ne_u32_e32 vcc, 22, v92
	s_xor_b64 s[14:15], s[6:7], -1
	s_and_b64 s[16:17], s[14:15], vcc
	s_and_saveexec_b64 s[14:15], s[16:17]
	s_cbranch_execz .LBB84_380
; %bb.379:
	v_ashrrev_i32_e32 v93, 31, v92
	v_lshlrev_b64 v[100:101], 2, v[92:93]
	v_add_co_u32_e32 v100, vcc, v4, v100
	v_addc_co_u32_e32 v101, vcc, v5, v101, vcc
	flat_load_dword v93, v[100:101]
	flat_load_dword v95, v[4:5] offset:88
	s_waitcnt vmcnt(0) lgkmcnt(0)
	flat_store_dword v[4:5], v93 offset:88
	flat_store_dword v[100:101], v95
.LBB84_380:
	s_or_b64 exec, exec, s[14:15]
	v_mov_b32_e32 v93, v92
	v_mov_b32_e32 v95, v92
.LBB84_381:
	s_or_b64 exec, exec, s[2:3]
.LBB84_382:
	s_andn2_saveexec_b64 s[0:1], s[0:1]
	s_cbranch_execz .LBB84_384
; %bb.383:
	v_mov_b32_e32 v95, 22
	ds_write2_b64 v94, v[40:41], v[38:39] offset0:23 offset1:24
	ds_write2_b64 v94, v[36:37], v[34:35] offset0:25 offset1:26
	ds_write2_b64 v94, v[32:33], v[30:31] offset0:27 offset1:28
	ds_write2_b64 v94, v[26:27], v[28:29] offset0:29 offset1:30
	ds_write2_b64 v94, v[24:25], v[22:23] offset0:31 offset1:32
	ds_write2_b64 v94, v[20:21], v[18:19] offset0:33 offset1:34
	ds_write2_b64 v94, v[16:17], v[14:15] offset0:35 offset1:36
	ds_write2_b64 v94, v[12:13], v[10:11] offset0:37 offset1:38
	ds_write2_b64 v94, v[8:9], v[6:7] offset0:39 offset1:40
	ds_write2_b64 v94, v[0:1], v[88:89] offset0:41 offset1:42
.LBB84_384:
	s_or_b64 exec, exec, s[0:1]
	v_cmp_lt_i32_e32 vcc, 22, v95
	s_waitcnt lgkmcnt(0)
	s_barrier
	s_and_saveexec_b64 s[0:1], vcc
	s_cbranch_execz .LBB84_386
; %bb.385:
	ds_read2_b64 v[100:103], v94 offset0:23 offset1:24
	ds_read2_b64 v[104:107], v94 offset0:25 offset1:26
	v_mul_f64 v[42:43], v[90:91], v[42:43]
	ds_read2_b64 v[108:111], v94 offset0:27 offset1:28
	s_waitcnt lgkmcnt(0)
	v_fma_f64 v[40:41], -v[42:43], v[100:101], v[40:41]
	v_fma_f64 v[38:39], -v[42:43], v[102:103], v[38:39]
	ds_read2_b64 v[100:103], v94 offset0:29 offset1:30
	v_fma_f64 v[36:37], -v[42:43], v[104:105], v[36:37]
	v_fma_f64 v[34:35], -v[42:43], v[106:107], v[34:35]
	;; [unrolled: 1-line block ×3, first 2 shown]
	ds_read2_b64 v[104:107], v94 offset0:31 offset1:32
	v_fma_f64 v[30:31], -v[42:43], v[110:111], v[30:31]
	ds_read2_b64 v[108:111], v94 offset0:33 offset1:34
	s_waitcnt lgkmcnt(0)
	v_fma_f64 v[26:27], -v[42:43], v[100:101], v[26:27]
	v_fma_f64 v[28:29], -v[42:43], v[102:103], v[28:29]
	ds_read2_b64 v[100:103], v94 offset0:35 offset1:36
	v_fma_f64 v[24:25], -v[42:43], v[104:105], v[24:25]
	v_fma_f64 v[22:23], -v[42:43], v[106:107], v[22:23]
	ds_read2_b64 v[104:107], v94 offset0:37 offset1:38
	v_fma_f64 v[20:21], -v[42:43], v[108:109], v[20:21]
	v_fma_f64 v[18:19], -v[42:43], v[110:111], v[18:19]
	s_waitcnt lgkmcnt(0)
	v_fma_f64 v[16:17], -v[42:43], v[100:101], v[16:17]
	ds_read2_b64 v[108:111], v94 offset0:39 offset1:40
	v_fma_f64 v[14:15], -v[42:43], v[102:103], v[14:15]
	ds_read2_b64 v[100:103], v94 offset0:41 offset1:42
	v_fma_f64 v[12:13], -v[42:43], v[104:105], v[12:13]
	v_fma_f64 v[10:11], -v[42:43], v[106:107], v[10:11]
	s_waitcnt lgkmcnt(0)
	v_fma_f64 v[8:9], -v[42:43], v[108:109], v[8:9]
	v_fma_f64 v[6:7], -v[42:43], v[110:111], v[6:7]
	;; [unrolled: 1-line block ×4, first 2 shown]
.LBB84_386:
	s_or_b64 exec, exec, s[0:1]
	v_lshl_add_u32 v90, v95, 3, v94
	s_barrier
	ds_write_b64 v90, v[40:41]
	s_waitcnt lgkmcnt(0)
	s_barrier
	ds_read_b64 v[90:91], v94 offset:184
	s_cmp_lt_i32 s18, 25
	v_mov_b32_e32 v92, 23
	s_cbranch_scc1 .LBB84_389
; %bb.387:
	v_add_u32_e32 v99, 0xc0, v94
	s_mov_b32 s0, 24
	v_mov_b32_e32 v92, 23
.LBB84_388:                             ; =>This Inner Loop Header: Depth=1
	ds_read_b64 v[100:101], v99
	v_mov_b32_e32 v102, s0
	s_add_i32 s0, s0, 1
	v_add_u32_e32 v99, 8, v99
	s_cmp_lg_u32 s18, s0
	s_waitcnt lgkmcnt(0)
	v_cmp_lt_f64_e64 vcc, |v[90:91]|, |v[100:101]|
	v_cndmask_b32_e32 v91, v91, v101, vcc
	v_cndmask_b32_e32 v90, v90, v100, vcc
	;; [unrolled: 1-line block ×3, first 2 shown]
	s_cbranch_scc1 .LBB84_388
.LBB84_389:
	s_waitcnt lgkmcnt(0)
	v_cmp_eq_f64_e32 vcc, 0, v[90:91]
	s_and_saveexec_b64 s[0:1], vcc
	s_xor_b64 s[0:1], exec, s[0:1]
; %bb.390:
	v_cmp_ne_u32_e32 vcc, 0, v98
	v_cndmask_b32_e32 v98, 24, v98, vcc
; %bb.391:
	s_andn2_saveexec_b64 s[0:1], s[0:1]
; %bb.392:
	v_div_scale_f64 v[100:101], s[2:3], v[90:91], v[90:91], 1.0
	v_rcp_f64_e32 v[102:103], v[100:101]
	v_div_scale_f64 v[104:105], vcc, 1.0, v[90:91], 1.0
	v_fma_f64 v[106:107], -v[100:101], v[102:103], 1.0
	v_fmac_f64_e32 v[102:103], v[102:103], v[106:107]
	v_fma_f64 v[106:107], -v[100:101], v[102:103], 1.0
	v_fmac_f64_e32 v[102:103], v[102:103], v[106:107]
	v_mul_f64 v[106:107], v[104:105], v[102:103]
	v_fma_f64 v[100:101], -v[100:101], v[106:107], v[104:105]
	v_div_fmas_f64 v[100:101], v[100:101], v[102:103], v[106:107]
	v_div_fixup_f64 v[90:91], v[100:101], v[90:91], 1.0
; %bb.393:
	s_or_b64 exec, exec, s[0:1]
	v_cmp_ne_u32_e32 vcc, v95, v92
	s_and_saveexec_b64 s[0:1], vcc
	s_xor_b64 s[0:1], exec, s[0:1]
	s_cbranch_execz .LBB84_399
; %bb.394:
	v_cmp_eq_u32_e32 vcc, 23, v95
	s_and_saveexec_b64 s[2:3], vcc
	s_cbranch_execz .LBB84_398
; %bb.395:
	v_cmp_ne_u32_e32 vcc, 23, v92
	s_xor_b64 s[14:15], s[6:7], -1
	s_and_b64 s[16:17], s[14:15], vcc
	s_and_saveexec_b64 s[14:15], s[16:17]
	s_cbranch_execz .LBB84_397
; %bb.396:
	v_ashrrev_i32_e32 v93, 31, v92
	v_lshlrev_b64 v[100:101], 2, v[92:93]
	v_add_co_u32_e32 v100, vcc, v4, v100
	v_addc_co_u32_e32 v101, vcc, v5, v101, vcc
	flat_load_dword v93, v[100:101]
	flat_load_dword v95, v[4:5] offset:92
	s_waitcnt vmcnt(0) lgkmcnt(0)
	flat_store_dword v[4:5], v93 offset:92
	flat_store_dword v[100:101], v95
.LBB84_397:
	s_or_b64 exec, exec, s[14:15]
	v_mov_b32_e32 v93, v92
	v_mov_b32_e32 v95, v92
.LBB84_398:
	s_or_b64 exec, exec, s[2:3]
.LBB84_399:
	s_andn2_saveexec_b64 s[0:1], s[0:1]
	s_cbranch_execz .LBB84_401
; %bb.400:
	v_mov_b32_e32 v100, v38
	v_mov_b32_e32 v101, v39
	v_mov_b32_e32 v102, v36
	v_mov_b32_e32 v103, v37
	ds_write2_b64 v94, v[100:101], v[102:103] offset0:24 offset1:25
	v_mov_b32_e32 v100, v34
	v_mov_b32_e32 v101, v35
	v_mov_b32_e32 v102, v32
	v_mov_b32_e32 v103, v33
	ds_write2_b64 v94, v[100:101], v[102:103] offset0:26 offset1:27
	;; [unrolled: 5-line block ×8, first 2 shown]
	v_mov_b32_e32 v100, v6
	v_mov_b32_e32 v101, v7
	;; [unrolled: 1-line block ×5, first 2 shown]
	ds_write2_b64 v94, v[100:101], v[102:103] offset0:40 offset1:41
	ds_write_b64 v94, v[88:89] offset:336
.LBB84_401:
	s_or_b64 exec, exec, s[0:1]
	v_cmp_lt_i32_e32 vcc, 23, v95
	s_waitcnt lgkmcnt(0)
	s_barrier
	s_and_saveexec_b64 s[0:1], vcc
	s_cbranch_execz .LBB84_403
; %bb.402:
	ds_read2_b64 v[100:103], v94 offset0:24 offset1:25
	ds_read2_b64 v[104:107], v94 offset0:26 offset1:27
	;; [unrolled: 1-line block ×3, first 2 shown]
	v_mul_f64 v[40:41], v[90:91], v[40:41]
	ds_read_b64 v[90:91], v94 offset:336
	s_waitcnt lgkmcnt(0)
	v_fma_f64 v[38:39], -v[40:41], v[100:101], v[38:39]
	v_fma_f64 v[36:37], -v[40:41], v[102:103], v[36:37]
	ds_read2_b64 v[100:103], v94 offset0:30 offset1:31
	v_fma_f64 v[34:35], -v[40:41], v[104:105], v[34:35]
	v_fma_f64 v[32:33], -v[40:41], v[106:107], v[32:33]
	;; [unrolled: 1-line block ×3, first 2 shown]
	ds_read2_b64 v[104:107], v94 offset0:32 offset1:33
	v_fma_f64 v[26:27], -v[40:41], v[110:111], v[26:27]
	ds_read2_b64 v[108:111], v94 offset0:34 offset1:35
	s_waitcnt lgkmcnt(0)
	v_fma_f64 v[28:29], -v[40:41], v[100:101], v[28:29]
	v_fma_f64 v[24:25], -v[40:41], v[102:103], v[24:25]
	;; [unrolled: 1-line block ×3, first 2 shown]
	ds_read2_b64 v[100:103], v94 offset0:36 offset1:37
	v_fma_f64 v[20:21], -v[40:41], v[106:107], v[20:21]
	ds_read2_b64 v[104:107], v94 offset0:38 offset1:39
	v_fma_f64 v[18:19], -v[40:41], v[108:109], v[18:19]
	v_fma_f64 v[16:17], -v[40:41], v[110:111], v[16:17]
	ds_read2_b64 v[108:111], v94 offset0:40 offset1:41
	s_waitcnt lgkmcnt(0)
	v_fma_f64 v[14:15], -v[40:41], v[100:101], v[14:15]
	v_fma_f64 v[12:13], -v[40:41], v[102:103], v[12:13]
	;; [unrolled: 1-line block ×7, first 2 shown]
.LBB84_403:
	s_or_b64 exec, exec, s[0:1]
	v_lshl_add_u32 v90, v95, 3, v94
	s_barrier
	ds_write_b64 v90, v[38:39]
	s_waitcnt lgkmcnt(0)
	s_barrier
	ds_read_b64 v[90:91], v94 offset:192
	s_cmp_lt_i32 s18, 26
	v_mov_b32_e32 v92, 24
	s_cbranch_scc1 .LBB84_406
; %bb.404:
	v_add_u32_e32 v99, 0xc8, v94
	s_mov_b32 s0, 25
	v_mov_b32_e32 v92, 24
.LBB84_405:                             ; =>This Inner Loop Header: Depth=1
	ds_read_b64 v[100:101], v99
	v_mov_b32_e32 v102, s0
	s_add_i32 s0, s0, 1
	v_add_u32_e32 v99, 8, v99
	s_cmp_lg_u32 s18, s0
	s_waitcnt lgkmcnt(0)
	v_cmp_lt_f64_e64 vcc, |v[90:91]|, |v[100:101]|
	v_cndmask_b32_e32 v91, v91, v101, vcc
	v_cndmask_b32_e32 v90, v90, v100, vcc
	v_cndmask_b32_e32 v92, v92, v102, vcc
	s_cbranch_scc1 .LBB84_405
.LBB84_406:
	s_waitcnt lgkmcnt(0)
	v_cmp_eq_f64_e32 vcc, 0, v[90:91]
	s_and_saveexec_b64 s[0:1], vcc
	s_xor_b64 s[0:1], exec, s[0:1]
; %bb.407:
	v_cmp_ne_u32_e32 vcc, 0, v98
	v_cndmask_b32_e32 v98, 25, v98, vcc
; %bb.408:
	s_andn2_saveexec_b64 s[0:1], s[0:1]
; %bb.409:
	v_div_scale_f64 v[100:101], s[2:3], v[90:91], v[90:91], 1.0
	v_rcp_f64_e32 v[102:103], v[100:101]
	v_div_scale_f64 v[104:105], vcc, 1.0, v[90:91], 1.0
	v_fma_f64 v[106:107], -v[100:101], v[102:103], 1.0
	v_fmac_f64_e32 v[102:103], v[102:103], v[106:107]
	v_fma_f64 v[106:107], -v[100:101], v[102:103], 1.0
	v_fmac_f64_e32 v[102:103], v[102:103], v[106:107]
	v_mul_f64 v[106:107], v[104:105], v[102:103]
	v_fma_f64 v[100:101], -v[100:101], v[106:107], v[104:105]
	v_div_fmas_f64 v[100:101], v[100:101], v[102:103], v[106:107]
	v_div_fixup_f64 v[90:91], v[100:101], v[90:91], 1.0
; %bb.410:
	s_or_b64 exec, exec, s[0:1]
	v_cmp_ne_u32_e32 vcc, v95, v92
	s_and_saveexec_b64 s[0:1], vcc
	s_xor_b64 s[0:1], exec, s[0:1]
	s_cbranch_execz .LBB84_416
; %bb.411:
	v_cmp_eq_u32_e32 vcc, 24, v95
	s_and_saveexec_b64 s[2:3], vcc
	s_cbranch_execz .LBB84_415
; %bb.412:
	v_cmp_ne_u32_e32 vcc, 24, v92
	s_xor_b64 s[14:15], s[6:7], -1
	s_and_b64 s[16:17], s[14:15], vcc
	s_and_saveexec_b64 s[14:15], s[16:17]
	s_cbranch_execz .LBB84_414
; %bb.413:
	v_ashrrev_i32_e32 v93, 31, v92
	v_lshlrev_b64 v[100:101], 2, v[92:93]
	v_add_co_u32_e32 v100, vcc, v4, v100
	v_addc_co_u32_e32 v101, vcc, v5, v101, vcc
	flat_load_dword v93, v[100:101]
	flat_load_dword v95, v[4:5] offset:96
	s_waitcnt vmcnt(0) lgkmcnt(0)
	flat_store_dword v[4:5], v93 offset:96
	flat_store_dword v[100:101], v95
.LBB84_414:
	s_or_b64 exec, exec, s[14:15]
	v_mov_b32_e32 v93, v92
	v_mov_b32_e32 v95, v92
.LBB84_415:
	s_or_b64 exec, exec, s[2:3]
.LBB84_416:
	s_andn2_saveexec_b64 s[0:1], s[0:1]
	s_cbranch_execz .LBB84_418
; %bb.417:
	v_mov_b32_e32 v95, 24
	ds_write2_b64 v94, v[36:37], v[34:35] offset0:25 offset1:26
	ds_write2_b64 v94, v[32:33], v[30:31] offset0:27 offset1:28
	;; [unrolled: 1-line block ×9, first 2 shown]
.LBB84_418:
	s_or_b64 exec, exec, s[0:1]
	v_cmp_lt_i32_e32 vcc, 24, v95
	s_waitcnt lgkmcnt(0)
	s_barrier
	s_and_saveexec_b64 s[0:1], vcc
	s_cbranch_execz .LBB84_420
; %bb.419:
	ds_read2_b64 v[100:103], v94 offset0:25 offset1:26
	ds_read2_b64 v[104:107], v94 offset0:27 offset1:28
	;; [unrolled: 1-line block ×3, first 2 shown]
	v_mul_f64 v[38:39], v[90:91], v[38:39]
	s_waitcnt lgkmcnt(0)
	v_fma_f64 v[36:37], -v[38:39], v[100:101], v[36:37]
	v_fma_f64 v[34:35], -v[38:39], v[102:103], v[34:35]
	ds_read2_b64 v[100:103], v94 offset0:31 offset1:32
	v_fma_f64 v[32:33], -v[38:39], v[104:105], v[32:33]
	v_fma_f64 v[30:31], -v[38:39], v[106:107], v[30:31]
	;; [unrolled: 1-line block ×3, first 2 shown]
	ds_read2_b64 v[104:107], v94 offset0:33 offset1:34
	v_fma_f64 v[28:29], -v[38:39], v[110:111], v[28:29]
	ds_read2_b64 v[108:111], v94 offset0:35 offset1:36
	s_waitcnt lgkmcnt(0)
	v_fma_f64 v[24:25], -v[38:39], v[100:101], v[24:25]
	v_fma_f64 v[22:23], -v[38:39], v[102:103], v[22:23]
	;; [unrolled: 1-line block ×4, first 2 shown]
	ds_read2_b64 v[100:103], v94 offset0:37 offset1:38
	ds_read2_b64 v[104:107], v94 offset0:39 offset1:40
	v_fma_f64 v[16:17], -v[38:39], v[108:109], v[16:17]
	v_fma_f64 v[14:15], -v[38:39], v[110:111], v[14:15]
	ds_read2_b64 v[108:111], v94 offset0:41 offset1:42
	s_waitcnt lgkmcnt(0)
	v_fma_f64 v[12:13], -v[38:39], v[100:101], v[12:13]
	v_fma_f64 v[10:11], -v[38:39], v[102:103], v[10:11]
	;; [unrolled: 1-line block ×6, first 2 shown]
.LBB84_420:
	s_or_b64 exec, exec, s[0:1]
	v_lshl_add_u32 v90, v95, 3, v94
	s_barrier
	ds_write_b64 v90, v[36:37]
	s_waitcnt lgkmcnt(0)
	s_barrier
	ds_read_b64 v[90:91], v94 offset:200
	s_cmp_lt_i32 s18, 27
	v_mov_b32_e32 v92, 25
	s_cbranch_scc1 .LBB84_423
; %bb.421:
	v_add_u32_e32 v99, 0xd0, v94
	s_mov_b32 s0, 26
	v_mov_b32_e32 v92, 25
.LBB84_422:                             ; =>This Inner Loop Header: Depth=1
	ds_read_b64 v[100:101], v99
	v_mov_b32_e32 v102, s0
	s_add_i32 s0, s0, 1
	v_add_u32_e32 v99, 8, v99
	s_cmp_lg_u32 s18, s0
	s_waitcnt lgkmcnt(0)
	v_cmp_lt_f64_e64 vcc, |v[90:91]|, |v[100:101]|
	v_cndmask_b32_e32 v91, v91, v101, vcc
	v_cndmask_b32_e32 v90, v90, v100, vcc
	;; [unrolled: 1-line block ×3, first 2 shown]
	s_cbranch_scc1 .LBB84_422
.LBB84_423:
	s_waitcnt lgkmcnt(0)
	v_cmp_eq_f64_e32 vcc, 0, v[90:91]
	s_and_saveexec_b64 s[0:1], vcc
	s_xor_b64 s[0:1], exec, s[0:1]
; %bb.424:
	v_cmp_ne_u32_e32 vcc, 0, v98
	v_cndmask_b32_e32 v98, 26, v98, vcc
; %bb.425:
	s_andn2_saveexec_b64 s[0:1], s[0:1]
; %bb.426:
	v_div_scale_f64 v[100:101], s[2:3], v[90:91], v[90:91], 1.0
	v_rcp_f64_e32 v[102:103], v[100:101]
	v_div_scale_f64 v[104:105], vcc, 1.0, v[90:91], 1.0
	v_fma_f64 v[106:107], -v[100:101], v[102:103], 1.0
	v_fmac_f64_e32 v[102:103], v[102:103], v[106:107]
	v_fma_f64 v[106:107], -v[100:101], v[102:103], 1.0
	v_fmac_f64_e32 v[102:103], v[102:103], v[106:107]
	v_mul_f64 v[106:107], v[104:105], v[102:103]
	v_fma_f64 v[100:101], -v[100:101], v[106:107], v[104:105]
	v_div_fmas_f64 v[100:101], v[100:101], v[102:103], v[106:107]
	v_div_fixup_f64 v[90:91], v[100:101], v[90:91], 1.0
; %bb.427:
	s_or_b64 exec, exec, s[0:1]
	v_cmp_ne_u32_e32 vcc, v95, v92
	s_and_saveexec_b64 s[0:1], vcc
	s_xor_b64 s[0:1], exec, s[0:1]
	s_cbranch_execz .LBB84_433
; %bb.428:
	v_cmp_eq_u32_e32 vcc, 25, v95
	s_and_saveexec_b64 s[2:3], vcc
	s_cbranch_execz .LBB84_432
; %bb.429:
	v_cmp_ne_u32_e32 vcc, 25, v92
	s_xor_b64 s[14:15], s[6:7], -1
	s_and_b64 s[16:17], s[14:15], vcc
	s_and_saveexec_b64 s[14:15], s[16:17]
	s_cbranch_execz .LBB84_431
; %bb.430:
	v_ashrrev_i32_e32 v93, 31, v92
	v_lshlrev_b64 v[100:101], 2, v[92:93]
	v_add_co_u32_e32 v100, vcc, v4, v100
	v_addc_co_u32_e32 v101, vcc, v5, v101, vcc
	flat_load_dword v93, v[100:101]
	flat_load_dword v95, v[4:5] offset:100
	s_waitcnt vmcnt(0) lgkmcnt(0)
	flat_store_dword v[4:5], v93 offset:100
	flat_store_dword v[100:101], v95
.LBB84_431:
	s_or_b64 exec, exec, s[14:15]
	v_mov_b32_e32 v93, v92
	v_mov_b32_e32 v95, v92
.LBB84_432:
	s_or_b64 exec, exec, s[2:3]
.LBB84_433:
	s_andn2_saveexec_b64 s[0:1], s[0:1]
	s_cbranch_execz .LBB84_435
; %bb.434:
	v_mov_b32_e32 v100, v34
	v_mov_b32_e32 v101, v35
	v_mov_b32_e32 v102, v32
	v_mov_b32_e32 v103, v33
	ds_write2_b64 v94, v[100:101], v[102:103] offset0:26 offset1:27
	v_mov_b32_e32 v100, v30
	v_mov_b32_e32 v101, v31
	v_mov_b32_e32 v102, v26
	v_mov_b32_e32 v103, v27
	ds_write2_b64 v94, v[100:101], v[102:103] offset0:28 offset1:29
	;; [unrolled: 5-line block ×7, first 2 shown]
	v_mov_b32_e32 v100, v6
	v_mov_b32_e32 v101, v7
	;; [unrolled: 1-line block ×5, first 2 shown]
	ds_write2_b64 v94, v[100:101], v[102:103] offset0:40 offset1:41
	ds_write_b64 v94, v[88:89] offset:336
.LBB84_435:
	s_or_b64 exec, exec, s[0:1]
	v_cmp_lt_i32_e32 vcc, 25, v95
	s_waitcnt lgkmcnt(0)
	s_barrier
	s_and_saveexec_b64 s[0:1], vcc
	s_cbranch_execz .LBB84_437
; %bb.436:
	ds_read2_b64 v[100:103], v94 offset0:26 offset1:27
	ds_read2_b64 v[104:107], v94 offset0:28 offset1:29
	v_mul_f64 v[36:37], v[90:91], v[36:37]
	ds_read2_b64 v[108:111], v94 offset0:30 offset1:31
	ds_read_b64 v[90:91], v94 offset:336
	s_waitcnt lgkmcnt(0)
	v_fma_f64 v[34:35], -v[36:37], v[100:101], v[34:35]
	v_fma_f64 v[32:33], -v[36:37], v[102:103], v[32:33]
	ds_read2_b64 v[100:103], v94 offset0:32 offset1:33
	v_fma_f64 v[30:31], -v[36:37], v[104:105], v[30:31]
	v_fma_f64 v[26:27], -v[36:37], v[106:107], v[26:27]
	ds_read2_b64 v[104:107], v94 offset0:34 offset1:35
	;; [unrolled: 3-line block ×3, first 2 shown]
	s_waitcnt lgkmcnt(0)
	v_fma_f64 v[22:23], -v[36:37], v[100:101], v[22:23]
	v_fma_f64 v[20:21], -v[36:37], v[102:103], v[20:21]
	;; [unrolled: 1-line block ×4, first 2 shown]
	ds_read2_b64 v[100:103], v94 offset0:38 offset1:39
	ds_read2_b64 v[104:107], v94 offset0:40 offset1:41
	v_fma_f64 v[14:15], -v[36:37], v[108:109], v[14:15]
	v_fma_f64 v[12:13], -v[36:37], v[110:111], v[12:13]
	;; [unrolled: 1-line block ×3, first 2 shown]
	s_waitcnt lgkmcnt(0)
	v_fma_f64 v[10:11], -v[36:37], v[100:101], v[10:11]
	v_fma_f64 v[8:9], -v[36:37], v[102:103], v[8:9]
	;; [unrolled: 1-line block ×4, first 2 shown]
.LBB84_437:
	s_or_b64 exec, exec, s[0:1]
	v_lshl_add_u32 v90, v95, 3, v94
	s_barrier
	ds_write_b64 v90, v[34:35]
	s_waitcnt lgkmcnt(0)
	s_barrier
	ds_read_b64 v[90:91], v94 offset:208
	s_cmp_lt_i32 s18, 28
	v_mov_b32_e32 v92, 26
	s_cbranch_scc1 .LBB84_440
; %bb.438:
	v_add_u32_e32 v99, 0xd8, v94
	s_mov_b32 s0, 27
	v_mov_b32_e32 v92, 26
.LBB84_439:                             ; =>This Inner Loop Header: Depth=1
	ds_read_b64 v[100:101], v99
	v_mov_b32_e32 v102, s0
	s_add_i32 s0, s0, 1
	v_add_u32_e32 v99, 8, v99
	s_cmp_lg_u32 s18, s0
	s_waitcnt lgkmcnt(0)
	v_cmp_lt_f64_e64 vcc, |v[90:91]|, |v[100:101]|
	v_cndmask_b32_e32 v91, v91, v101, vcc
	v_cndmask_b32_e32 v90, v90, v100, vcc
	;; [unrolled: 1-line block ×3, first 2 shown]
	s_cbranch_scc1 .LBB84_439
.LBB84_440:
	s_waitcnt lgkmcnt(0)
	v_cmp_eq_f64_e32 vcc, 0, v[90:91]
	s_and_saveexec_b64 s[0:1], vcc
	s_xor_b64 s[0:1], exec, s[0:1]
; %bb.441:
	v_cmp_ne_u32_e32 vcc, 0, v98
	v_cndmask_b32_e32 v98, 27, v98, vcc
; %bb.442:
	s_andn2_saveexec_b64 s[0:1], s[0:1]
; %bb.443:
	v_div_scale_f64 v[100:101], s[2:3], v[90:91], v[90:91], 1.0
	v_rcp_f64_e32 v[102:103], v[100:101]
	v_div_scale_f64 v[104:105], vcc, 1.0, v[90:91], 1.0
	v_fma_f64 v[106:107], -v[100:101], v[102:103], 1.0
	v_fmac_f64_e32 v[102:103], v[102:103], v[106:107]
	v_fma_f64 v[106:107], -v[100:101], v[102:103], 1.0
	v_fmac_f64_e32 v[102:103], v[102:103], v[106:107]
	v_mul_f64 v[106:107], v[104:105], v[102:103]
	v_fma_f64 v[100:101], -v[100:101], v[106:107], v[104:105]
	v_div_fmas_f64 v[100:101], v[100:101], v[102:103], v[106:107]
	v_div_fixup_f64 v[90:91], v[100:101], v[90:91], 1.0
; %bb.444:
	s_or_b64 exec, exec, s[0:1]
	v_cmp_ne_u32_e32 vcc, v95, v92
	s_and_saveexec_b64 s[0:1], vcc
	s_xor_b64 s[0:1], exec, s[0:1]
	s_cbranch_execz .LBB84_450
; %bb.445:
	v_cmp_eq_u32_e32 vcc, 26, v95
	s_and_saveexec_b64 s[2:3], vcc
	s_cbranch_execz .LBB84_449
; %bb.446:
	v_cmp_ne_u32_e32 vcc, 26, v92
	s_xor_b64 s[14:15], s[6:7], -1
	s_and_b64 s[16:17], s[14:15], vcc
	s_and_saveexec_b64 s[14:15], s[16:17]
	s_cbranch_execz .LBB84_448
; %bb.447:
	v_ashrrev_i32_e32 v93, 31, v92
	v_lshlrev_b64 v[100:101], 2, v[92:93]
	v_add_co_u32_e32 v100, vcc, v4, v100
	v_addc_co_u32_e32 v101, vcc, v5, v101, vcc
	flat_load_dword v93, v[100:101]
	flat_load_dword v95, v[4:5] offset:104
	s_waitcnt vmcnt(0) lgkmcnt(0)
	flat_store_dword v[4:5], v93 offset:104
	flat_store_dword v[100:101], v95
.LBB84_448:
	s_or_b64 exec, exec, s[14:15]
	v_mov_b32_e32 v93, v92
	v_mov_b32_e32 v95, v92
.LBB84_449:
	s_or_b64 exec, exec, s[2:3]
.LBB84_450:
	s_andn2_saveexec_b64 s[0:1], s[0:1]
	s_cbranch_execz .LBB84_452
; %bb.451:
	v_mov_b32_e32 v95, 26
	ds_write2_b64 v94, v[32:33], v[30:31] offset0:27 offset1:28
	ds_write2_b64 v94, v[26:27], v[28:29] offset0:29 offset1:30
	;; [unrolled: 1-line block ×8, first 2 shown]
.LBB84_452:
	s_or_b64 exec, exec, s[0:1]
	v_cmp_lt_i32_e32 vcc, 26, v95
	s_waitcnt lgkmcnt(0)
	s_barrier
	s_and_saveexec_b64 s[0:1], vcc
	s_cbranch_execz .LBB84_454
; %bb.453:
	ds_read2_b64 v[100:103], v94 offset0:27 offset1:28
	ds_read2_b64 v[104:107], v94 offset0:29 offset1:30
	v_mul_f64 v[34:35], v[90:91], v[34:35]
	ds_read2_b64 v[108:111], v94 offset0:31 offset1:32
	s_waitcnt lgkmcnt(0)
	v_fma_f64 v[32:33], -v[34:35], v[100:101], v[32:33]
	v_fma_f64 v[30:31], -v[34:35], v[102:103], v[30:31]
	ds_read2_b64 v[100:103], v94 offset0:33 offset1:34
	v_fma_f64 v[26:27], -v[34:35], v[104:105], v[26:27]
	v_fma_f64 v[28:29], -v[34:35], v[106:107], v[28:29]
	ds_read2_b64 v[104:107], v94 offset0:35 offset1:36
	v_fma_f64 v[24:25], -v[34:35], v[108:109], v[24:25]
	v_fma_f64 v[22:23], -v[34:35], v[110:111], v[22:23]
	s_waitcnt lgkmcnt(0)
	v_fma_f64 v[20:21], -v[34:35], v[100:101], v[20:21]
	v_fma_f64 v[18:19], -v[34:35], v[102:103], v[18:19]
	ds_read2_b64 v[100:103], v94 offset0:37 offset1:38
	v_fma_f64 v[16:17], -v[34:35], v[104:105], v[16:17]
	ds_read2_b64 v[108:111], v94 offset0:39 offset1:40
	;; [unrolled: 2-line block ×3, first 2 shown]
	s_waitcnt lgkmcnt(0)
	v_fma_f64 v[12:13], -v[34:35], v[100:101], v[12:13]
	v_fma_f64 v[10:11], -v[34:35], v[102:103], v[10:11]
	;; [unrolled: 1-line block ×6, first 2 shown]
.LBB84_454:
	s_or_b64 exec, exec, s[0:1]
	v_lshl_add_u32 v90, v95, 3, v94
	s_barrier
	ds_write_b64 v90, v[32:33]
	s_waitcnt lgkmcnt(0)
	s_barrier
	ds_read_b64 v[90:91], v94 offset:216
	s_cmp_lt_i32 s18, 29
	v_mov_b32_e32 v92, 27
	s_cbranch_scc1 .LBB84_457
; %bb.455:
	v_add_u32_e32 v99, 0xe0, v94
	s_mov_b32 s0, 28
	v_mov_b32_e32 v92, 27
.LBB84_456:                             ; =>This Inner Loop Header: Depth=1
	ds_read_b64 v[100:101], v99
	v_mov_b32_e32 v102, s0
	s_add_i32 s0, s0, 1
	v_add_u32_e32 v99, 8, v99
	s_cmp_lg_u32 s18, s0
	s_waitcnt lgkmcnt(0)
	v_cmp_lt_f64_e64 vcc, |v[90:91]|, |v[100:101]|
	v_cndmask_b32_e32 v91, v91, v101, vcc
	v_cndmask_b32_e32 v90, v90, v100, vcc
	;; [unrolled: 1-line block ×3, first 2 shown]
	s_cbranch_scc1 .LBB84_456
.LBB84_457:
	s_waitcnt lgkmcnt(0)
	v_cmp_eq_f64_e32 vcc, 0, v[90:91]
	s_and_saveexec_b64 s[0:1], vcc
	s_xor_b64 s[0:1], exec, s[0:1]
; %bb.458:
	v_cmp_ne_u32_e32 vcc, 0, v98
	v_cndmask_b32_e32 v98, 28, v98, vcc
; %bb.459:
	s_andn2_saveexec_b64 s[0:1], s[0:1]
; %bb.460:
	v_div_scale_f64 v[100:101], s[2:3], v[90:91], v[90:91], 1.0
	v_rcp_f64_e32 v[102:103], v[100:101]
	v_div_scale_f64 v[104:105], vcc, 1.0, v[90:91], 1.0
	v_fma_f64 v[106:107], -v[100:101], v[102:103], 1.0
	v_fmac_f64_e32 v[102:103], v[102:103], v[106:107]
	v_fma_f64 v[106:107], -v[100:101], v[102:103], 1.0
	v_fmac_f64_e32 v[102:103], v[102:103], v[106:107]
	v_mul_f64 v[106:107], v[104:105], v[102:103]
	v_fma_f64 v[100:101], -v[100:101], v[106:107], v[104:105]
	v_div_fmas_f64 v[100:101], v[100:101], v[102:103], v[106:107]
	v_div_fixup_f64 v[90:91], v[100:101], v[90:91], 1.0
; %bb.461:
	s_or_b64 exec, exec, s[0:1]
	v_cmp_ne_u32_e32 vcc, v95, v92
	s_and_saveexec_b64 s[0:1], vcc
	s_xor_b64 s[0:1], exec, s[0:1]
	s_cbranch_execz .LBB84_467
; %bb.462:
	v_cmp_eq_u32_e32 vcc, 27, v95
	s_and_saveexec_b64 s[2:3], vcc
	s_cbranch_execz .LBB84_466
; %bb.463:
	v_cmp_ne_u32_e32 vcc, 27, v92
	s_xor_b64 s[14:15], s[6:7], -1
	s_and_b64 s[16:17], s[14:15], vcc
	s_and_saveexec_b64 s[14:15], s[16:17]
	s_cbranch_execz .LBB84_465
; %bb.464:
	v_ashrrev_i32_e32 v93, 31, v92
	v_lshlrev_b64 v[100:101], 2, v[92:93]
	v_add_co_u32_e32 v100, vcc, v4, v100
	v_addc_co_u32_e32 v101, vcc, v5, v101, vcc
	flat_load_dword v93, v[100:101]
	flat_load_dword v95, v[4:5] offset:108
	s_waitcnt vmcnt(0) lgkmcnt(0)
	flat_store_dword v[4:5], v93 offset:108
	flat_store_dword v[100:101], v95
.LBB84_465:
	s_or_b64 exec, exec, s[14:15]
	v_mov_b32_e32 v93, v92
	v_mov_b32_e32 v95, v92
.LBB84_466:
	s_or_b64 exec, exec, s[2:3]
.LBB84_467:
	s_andn2_saveexec_b64 s[0:1], s[0:1]
	s_cbranch_execz .LBB84_469
; %bb.468:
	v_mov_b32_e32 v100, v30
	v_mov_b32_e32 v101, v31
	v_mov_b32_e32 v102, v26
	v_mov_b32_e32 v103, v27
	ds_write2_b64 v94, v[100:101], v[102:103] offset0:28 offset1:29
	v_mov_b32_e32 v100, v28
	v_mov_b32_e32 v101, v29
	v_mov_b32_e32 v102, v24
	v_mov_b32_e32 v103, v25
	ds_write2_b64 v94, v[100:101], v[102:103] offset0:30 offset1:31
	;; [unrolled: 5-line block ×6, first 2 shown]
	v_mov_b32_e32 v100, v6
	v_mov_b32_e32 v101, v7
	;; [unrolled: 1-line block ×5, first 2 shown]
	ds_write2_b64 v94, v[100:101], v[102:103] offset0:40 offset1:41
	ds_write_b64 v94, v[88:89] offset:336
.LBB84_469:
	s_or_b64 exec, exec, s[0:1]
	v_cmp_lt_i32_e32 vcc, 27, v95
	s_waitcnt lgkmcnt(0)
	s_barrier
	s_and_saveexec_b64 s[0:1], vcc
	s_cbranch_execz .LBB84_471
; %bb.470:
	ds_read2_b64 v[100:103], v94 offset0:28 offset1:29
	ds_read2_b64 v[104:107], v94 offset0:30 offset1:31
	v_mul_f64 v[32:33], v[90:91], v[32:33]
	ds_read2_b64 v[108:111], v94 offset0:32 offset1:33
	ds_read_b64 v[90:91], v94 offset:336
	s_waitcnt lgkmcnt(0)
	v_fma_f64 v[30:31], -v[32:33], v[100:101], v[30:31]
	v_fma_f64 v[26:27], -v[32:33], v[102:103], v[26:27]
	ds_read2_b64 v[100:103], v94 offset0:34 offset1:35
	v_fma_f64 v[28:29], -v[32:33], v[104:105], v[28:29]
	v_fma_f64 v[24:25], -v[32:33], v[106:107], v[24:25]
	;; [unrolled: 1-line block ×3, first 2 shown]
	ds_read2_b64 v[104:107], v94 offset0:36 offset1:37
	v_fma_f64 v[20:21], -v[32:33], v[110:111], v[20:21]
	s_waitcnt lgkmcnt(0)
	v_fma_f64 v[18:19], -v[32:33], v[100:101], v[18:19]
	v_fma_f64 v[16:17], -v[32:33], v[102:103], v[16:17]
	ds_read2_b64 v[100:103], v94 offset0:38 offset1:39
	ds_read2_b64 v[108:111], v94 offset0:40 offset1:41
	v_fma_f64 v[14:15], -v[32:33], v[104:105], v[14:15]
	v_fma_f64 v[12:13], -v[32:33], v[106:107], v[12:13]
	;; [unrolled: 1-line block ×3, first 2 shown]
	s_waitcnt lgkmcnt(0)
	v_fma_f64 v[10:11], -v[32:33], v[100:101], v[10:11]
	v_fma_f64 v[8:9], -v[32:33], v[102:103], v[8:9]
	;; [unrolled: 1-line block ×4, first 2 shown]
.LBB84_471:
	s_or_b64 exec, exec, s[0:1]
	v_lshl_add_u32 v90, v95, 3, v94
	s_barrier
	ds_write_b64 v90, v[30:31]
	s_waitcnt lgkmcnt(0)
	s_barrier
	ds_read_b64 v[90:91], v94 offset:224
	s_cmp_lt_i32 s18, 30
	v_mov_b32_e32 v92, 28
	s_cbranch_scc1 .LBB84_474
; %bb.472:
	v_add_u32_e32 v99, 0xe8, v94
	s_mov_b32 s0, 29
	v_mov_b32_e32 v92, 28
.LBB84_473:                             ; =>This Inner Loop Header: Depth=1
	ds_read_b64 v[100:101], v99
	v_mov_b32_e32 v102, s0
	s_add_i32 s0, s0, 1
	v_add_u32_e32 v99, 8, v99
	s_cmp_lg_u32 s18, s0
	s_waitcnt lgkmcnt(0)
	v_cmp_lt_f64_e64 vcc, |v[90:91]|, |v[100:101]|
	v_cndmask_b32_e32 v91, v91, v101, vcc
	v_cndmask_b32_e32 v90, v90, v100, vcc
	;; [unrolled: 1-line block ×3, first 2 shown]
	s_cbranch_scc1 .LBB84_473
.LBB84_474:
	s_waitcnt lgkmcnt(0)
	v_cmp_eq_f64_e32 vcc, 0, v[90:91]
	s_and_saveexec_b64 s[0:1], vcc
	s_xor_b64 s[0:1], exec, s[0:1]
; %bb.475:
	v_cmp_ne_u32_e32 vcc, 0, v98
	v_cndmask_b32_e32 v98, 29, v98, vcc
; %bb.476:
	s_andn2_saveexec_b64 s[0:1], s[0:1]
; %bb.477:
	v_div_scale_f64 v[100:101], s[2:3], v[90:91], v[90:91], 1.0
	v_rcp_f64_e32 v[102:103], v[100:101]
	v_div_scale_f64 v[104:105], vcc, 1.0, v[90:91], 1.0
	v_fma_f64 v[106:107], -v[100:101], v[102:103], 1.0
	v_fmac_f64_e32 v[102:103], v[102:103], v[106:107]
	v_fma_f64 v[106:107], -v[100:101], v[102:103], 1.0
	v_fmac_f64_e32 v[102:103], v[102:103], v[106:107]
	v_mul_f64 v[106:107], v[104:105], v[102:103]
	v_fma_f64 v[100:101], -v[100:101], v[106:107], v[104:105]
	v_div_fmas_f64 v[100:101], v[100:101], v[102:103], v[106:107]
	v_div_fixup_f64 v[90:91], v[100:101], v[90:91], 1.0
; %bb.478:
	s_or_b64 exec, exec, s[0:1]
	v_cmp_ne_u32_e32 vcc, v95, v92
	s_and_saveexec_b64 s[0:1], vcc
	s_xor_b64 s[0:1], exec, s[0:1]
	s_cbranch_execz .LBB84_484
; %bb.479:
	v_cmp_eq_u32_e32 vcc, 28, v95
	s_and_saveexec_b64 s[2:3], vcc
	s_cbranch_execz .LBB84_483
; %bb.480:
	v_cmp_ne_u32_e32 vcc, 28, v92
	s_xor_b64 s[14:15], s[6:7], -1
	s_and_b64 s[16:17], s[14:15], vcc
	s_and_saveexec_b64 s[14:15], s[16:17]
	s_cbranch_execz .LBB84_482
; %bb.481:
	v_ashrrev_i32_e32 v93, 31, v92
	v_lshlrev_b64 v[100:101], 2, v[92:93]
	v_add_co_u32_e32 v100, vcc, v4, v100
	v_addc_co_u32_e32 v101, vcc, v5, v101, vcc
	flat_load_dword v93, v[100:101]
	flat_load_dword v95, v[4:5] offset:112
	s_waitcnt vmcnt(0) lgkmcnt(0)
	flat_store_dword v[4:5], v93 offset:112
	flat_store_dword v[100:101], v95
.LBB84_482:
	s_or_b64 exec, exec, s[14:15]
	v_mov_b32_e32 v93, v92
	v_mov_b32_e32 v95, v92
.LBB84_483:
	s_or_b64 exec, exec, s[2:3]
.LBB84_484:
	s_andn2_saveexec_b64 s[0:1], s[0:1]
	s_cbranch_execz .LBB84_486
; %bb.485:
	v_mov_b32_e32 v95, 28
	ds_write2_b64 v94, v[26:27], v[28:29] offset0:29 offset1:30
	ds_write2_b64 v94, v[24:25], v[22:23] offset0:31 offset1:32
	;; [unrolled: 1-line block ×7, first 2 shown]
.LBB84_486:
	s_or_b64 exec, exec, s[0:1]
	v_cmp_lt_i32_e32 vcc, 28, v95
	s_waitcnt lgkmcnt(0)
	s_barrier
	s_and_saveexec_b64 s[0:1], vcc
	s_cbranch_execz .LBB84_488
; %bb.487:
	ds_read2_b64 v[100:103], v94 offset0:29 offset1:30
	ds_read2_b64 v[104:107], v94 offset0:31 offset1:32
	v_mul_f64 v[30:31], v[90:91], v[30:31]
	ds_read2_b64 v[108:111], v94 offset0:33 offset1:34
	s_waitcnt lgkmcnt(0)
	v_fma_f64 v[26:27], -v[30:31], v[100:101], v[26:27]
	v_fma_f64 v[28:29], -v[30:31], v[102:103], v[28:29]
	ds_read2_b64 v[100:103], v94 offset0:35 offset1:36
	v_fma_f64 v[24:25], -v[30:31], v[104:105], v[24:25]
	v_fma_f64 v[22:23], -v[30:31], v[106:107], v[22:23]
	;; [unrolled: 1-line block ×4, first 2 shown]
	ds_read2_b64 v[104:107], v94 offset0:37 offset1:38
	ds_read2_b64 v[108:111], v94 offset0:39 offset1:40
	s_waitcnt lgkmcnt(0)
	v_fma_f64 v[16:17], -v[30:31], v[100:101], v[16:17]
	v_fma_f64 v[14:15], -v[30:31], v[102:103], v[14:15]
	ds_read2_b64 v[100:103], v94 offset0:41 offset1:42
	v_fma_f64 v[12:13], -v[30:31], v[104:105], v[12:13]
	v_fma_f64 v[10:11], -v[30:31], v[106:107], v[10:11]
	;; [unrolled: 1-line block ×4, first 2 shown]
	s_waitcnt lgkmcnt(0)
	v_fma_f64 v[0:1], -v[30:31], v[100:101], v[0:1]
	v_fma_f64 v[88:89], -v[30:31], v[102:103], v[88:89]
.LBB84_488:
	s_or_b64 exec, exec, s[0:1]
	v_lshl_add_u32 v90, v95, 3, v94
	s_barrier
	ds_write_b64 v90, v[26:27]
	s_waitcnt lgkmcnt(0)
	s_barrier
	ds_read_b64 v[90:91], v94 offset:232
	s_cmp_lt_i32 s18, 31
	v_mov_b32_e32 v92, 29
	s_cbranch_scc1 .LBB84_491
; %bb.489:
	v_add_u32_e32 v99, 0xf0, v94
	s_mov_b32 s0, 30
	v_mov_b32_e32 v92, 29
.LBB84_490:                             ; =>This Inner Loop Header: Depth=1
	ds_read_b64 v[100:101], v99
	v_mov_b32_e32 v102, s0
	s_add_i32 s0, s0, 1
	v_add_u32_e32 v99, 8, v99
	s_cmp_lg_u32 s18, s0
	s_waitcnt lgkmcnt(0)
	v_cmp_lt_f64_e64 vcc, |v[90:91]|, |v[100:101]|
	v_cndmask_b32_e32 v91, v91, v101, vcc
	v_cndmask_b32_e32 v90, v90, v100, vcc
	;; [unrolled: 1-line block ×3, first 2 shown]
	s_cbranch_scc1 .LBB84_490
.LBB84_491:
	s_waitcnt lgkmcnt(0)
	v_cmp_eq_f64_e32 vcc, 0, v[90:91]
	s_and_saveexec_b64 s[0:1], vcc
	s_xor_b64 s[0:1], exec, s[0:1]
; %bb.492:
	v_cmp_ne_u32_e32 vcc, 0, v98
	v_cndmask_b32_e32 v98, 30, v98, vcc
; %bb.493:
	s_andn2_saveexec_b64 s[0:1], s[0:1]
; %bb.494:
	v_div_scale_f64 v[100:101], s[2:3], v[90:91], v[90:91], 1.0
	v_rcp_f64_e32 v[102:103], v[100:101]
	v_div_scale_f64 v[104:105], vcc, 1.0, v[90:91], 1.0
	v_fma_f64 v[106:107], -v[100:101], v[102:103], 1.0
	v_fmac_f64_e32 v[102:103], v[102:103], v[106:107]
	v_fma_f64 v[106:107], -v[100:101], v[102:103], 1.0
	v_fmac_f64_e32 v[102:103], v[102:103], v[106:107]
	v_mul_f64 v[106:107], v[104:105], v[102:103]
	v_fma_f64 v[100:101], -v[100:101], v[106:107], v[104:105]
	v_div_fmas_f64 v[100:101], v[100:101], v[102:103], v[106:107]
	v_div_fixup_f64 v[90:91], v[100:101], v[90:91], 1.0
; %bb.495:
	s_or_b64 exec, exec, s[0:1]
	v_cmp_ne_u32_e32 vcc, v95, v92
	s_and_saveexec_b64 s[0:1], vcc
	s_xor_b64 s[0:1], exec, s[0:1]
	s_cbranch_execz .LBB84_501
; %bb.496:
	v_cmp_eq_u32_e32 vcc, 29, v95
	s_and_saveexec_b64 s[2:3], vcc
	s_cbranch_execz .LBB84_500
; %bb.497:
	v_cmp_ne_u32_e32 vcc, 29, v92
	s_xor_b64 s[14:15], s[6:7], -1
	s_and_b64 s[16:17], s[14:15], vcc
	s_and_saveexec_b64 s[14:15], s[16:17]
	s_cbranch_execz .LBB84_499
; %bb.498:
	v_ashrrev_i32_e32 v93, 31, v92
	v_lshlrev_b64 v[100:101], 2, v[92:93]
	v_add_co_u32_e32 v100, vcc, v4, v100
	v_addc_co_u32_e32 v101, vcc, v5, v101, vcc
	flat_load_dword v93, v[100:101]
	flat_load_dword v95, v[4:5] offset:116
	s_waitcnt vmcnt(0) lgkmcnt(0)
	flat_store_dword v[4:5], v93 offset:116
	flat_store_dword v[100:101], v95
.LBB84_499:
	s_or_b64 exec, exec, s[14:15]
	v_mov_b32_e32 v93, v92
	v_mov_b32_e32 v95, v92
.LBB84_500:
	s_or_b64 exec, exec, s[2:3]
.LBB84_501:
	s_andn2_saveexec_b64 s[0:1], s[0:1]
	s_cbranch_execz .LBB84_503
; %bb.502:
	v_mov_b32_e32 v100, v28
	v_mov_b32_e32 v101, v29
	v_mov_b32_e32 v102, v24
	v_mov_b32_e32 v103, v25
	ds_write2_b64 v94, v[100:101], v[102:103] offset0:30 offset1:31
	v_mov_b32_e32 v100, v22
	v_mov_b32_e32 v101, v23
	v_mov_b32_e32 v102, v20
	v_mov_b32_e32 v103, v21
	ds_write2_b64 v94, v[100:101], v[102:103] offset0:32 offset1:33
	;; [unrolled: 5-line block ×5, first 2 shown]
	v_mov_b32_e32 v100, v6
	v_mov_b32_e32 v101, v7
	;; [unrolled: 1-line block ×5, first 2 shown]
	ds_write2_b64 v94, v[100:101], v[102:103] offset0:40 offset1:41
	ds_write_b64 v94, v[88:89] offset:336
.LBB84_503:
	s_or_b64 exec, exec, s[0:1]
	v_cmp_lt_i32_e32 vcc, 29, v95
	s_waitcnt lgkmcnt(0)
	s_barrier
	s_and_saveexec_b64 s[0:1], vcc
	s_cbranch_execz .LBB84_505
; %bb.504:
	ds_read2_b64 v[100:103], v94 offset0:30 offset1:31
	ds_read2_b64 v[104:107], v94 offset0:32 offset1:33
	;; [unrolled: 1-line block ×3, first 2 shown]
	v_mul_f64 v[26:27], v[90:91], v[26:27]
	ds_read_b64 v[90:91], v94 offset:336
	s_waitcnt lgkmcnt(0)
	v_fma_f64 v[28:29], -v[26:27], v[100:101], v[28:29]
	v_fma_f64 v[24:25], -v[26:27], v[102:103], v[24:25]
	ds_read2_b64 v[100:103], v94 offset0:36 offset1:37
	v_fma_f64 v[22:23], -v[26:27], v[104:105], v[22:23]
	v_fma_f64 v[20:21], -v[26:27], v[106:107], v[20:21]
	;; [unrolled: 1-line block ×4, first 2 shown]
	ds_read2_b64 v[104:107], v94 offset0:38 offset1:39
	ds_read2_b64 v[108:111], v94 offset0:40 offset1:41
	s_waitcnt lgkmcnt(0)
	v_fma_f64 v[14:15], -v[26:27], v[100:101], v[14:15]
	v_fma_f64 v[12:13], -v[26:27], v[102:103], v[12:13]
	;; [unrolled: 1-line block ×7, first 2 shown]
.LBB84_505:
	s_or_b64 exec, exec, s[0:1]
	v_lshl_add_u32 v90, v95, 3, v94
	s_barrier
	ds_write_b64 v90, v[28:29]
	s_waitcnt lgkmcnt(0)
	s_barrier
	ds_read_b64 v[90:91], v94 offset:240
	s_cmp_lt_i32 s18, 32
	v_mov_b32_e32 v92, 30
	s_cbranch_scc1 .LBB84_508
; %bb.506:
	v_add_u32_e32 v99, 0xf8, v94
	s_mov_b32 s0, 31
	v_mov_b32_e32 v92, 30
.LBB84_507:                             ; =>This Inner Loop Header: Depth=1
	ds_read_b64 v[100:101], v99
	v_mov_b32_e32 v102, s0
	s_add_i32 s0, s0, 1
	v_add_u32_e32 v99, 8, v99
	s_cmp_lg_u32 s18, s0
	s_waitcnt lgkmcnt(0)
	v_cmp_lt_f64_e64 vcc, |v[90:91]|, |v[100:101]|
	v_cndmask_b32_e32 v91, v91, v101, vcc
	v_cndmask_b32_e32 v90, v90, v100, vcc
	;; [unrolled: 1-line block ×3, first 2 shown]
	s_cbranch_scc1 .LBB84_507
.LBB84_508:
	s_waitcnt lgkmcnt(0)
	v_cmp_eq_f64_e32 vcc, 0, v[90:91]
	s_and_saveexec_b64 s[0:1], vcc
	s_xor_b64 s[0:1], exec, s[0:1]
; %bb.509:
	v_cmp_ne_u32_e32 vcc, 0, v98
	v_cndmask_b32_e32 v98, 31, v98, vcc
; %bb.510:
	s_andn2_saveexec_b64 s[0:1], s[0:1]
; %bb.511:
	v_div_scale_f64 v[100:101], s[2:3], v[90:91], v[90:91], 1.0
	v_rcp_f64_e32 v[102:103], v[100:101]
	v_div_scale_f64 v[104:105], vcc, 1.0, v[90:91], 1.0
	v_fma_f64 v[106:107], -v[100:101], v[102:103], 1.0
	v_fmac_f64_e32 v[102:103], v[102:103], v[106:107]
	v_fma_f64 v[106:107], -v[100:101], v[102:103], 1.0
	v_fmac_f64_e32 v[102:103], v[102:103], v[106:107]
	v_mul_f64 v[106:107], v[104:105], v[102:103]
	v_fma_f64 v[100:101], -v[100:101], v[106:107], v[104:105]
	v_div_fmas_f64 v[100:101], v[100:101], v[102:103], v[106:107]
	v_div_fixup_f64 v[90:91], v[100:101], v[90:91], 1.0
; %bb.512:
	s_or_b64 exec, exec, s[0:1]
	v_cmp_ne_u32_e32 vcc, v95, v92
	s_and_saveexec_b64 s[0:1], vcc
	s_xor_b64 s[0:1], exec, s[0:1]
	s_cbranch_execz .LBB84_518
; %bb.513:
	v_cmp_eq_u32_e32 vcc, 30, v95
	s_and_saveexec_b64 s[2:3], vcc
	s_cbranch_execz .LBB84_517
; %bb.514:
	v_cmp_ne_u32_e32 vcc, 30, v92
	s_xor_b64 s[14:15], s[6:7], -1
	s_and_b64 s[16:17], s[14:15], vcc
	s_and_saveexec_b64 s[14:15], s[16:17]
	s_cbranch_execz .LBB84_516
; %bb.515:
	v_ashrrev_i32_e32 v93, 31, v92
	v_lshlrev_b64 v[100:101], 2, v[92:93]
	v_add_co_u32_e32 v100, vcc, v4, v100
	v_addc_co_u32_e32 v101, vcc, v5, v101, vcc
	flat_load_dword v93, v[100:101]
	flat_load_dword v95, v[4:5] offset:120
	s_waitcnt vmcnt(0) lgkmcnt(0)
	flat_store_dword v[4:5], v93 offset:120
	flat_store_dword v[100:101], v95
.LBB84_516:
	s_or_b64 exec, exec, s[14:15]
	v_mov_b32_e32 v93, v92
	v_mov_b32_e32 v95, v92
.LBB84_517:
	s_or_b64 exec, exec, s[2:3]
.LBB84_518:
	s_andn2_saveexec_b64 s[0:1], s[0:1]
	s_cbranch_execz .LBB84_520
; %bb.519:
	v_mov_b32_e32 v95, 30
	ds_write2_b64 v94, v[24:25], v[22:23] offset0:31 offset1:32
	ds_write2_b64 v94, v[20:21], v[18:19] offset0:33 offset1:34
	;; [unrolled: 1-line block ×6, first 2 shown]
.LBB84_520:
	s_or_b64 exec, exec, s[0:1]
	v_cmp_lt_i32_e32 vcc, 30, v95
	s_waitcnt lgkmcnt(0)
	s_barrier
	s_and_saveexec_b64 s[0:1], vcc
	s_cbranch_execz .LBB84_522
; %bb.521:
	ds_read2_b64 v[100:103], v94 offset0:31 offset1:32
	ds_read2_b64 v[104:107], v94 offset0:33 offset1:34
	;; [unrolled: 1-line block ×3, first 2 shown]
	v_mul_f64 v[28:29], v[90:91], v[28:29]
	s_waitcnt lgkmcnt(0)
	v_fma_f64 v[24:25], -v[28:29], v[100:101], v[24:25]
	v_fma_f64 v[22:23], -v[28:29], v[102:103], v[22:23]
	ds_read2_b64 v[100:103], v94 offset0:37 offset1:38
	v_fma_f64 v[20:21], -v[28:29], v[104:105], v[20:21]
	v_fma_f64 v[18:19], -v[28:29], v[106:107], v[18:19]
	;; [unrolled: 1-line block ×3, first 2 shown]
	ds_read2_b64 v[104:107], v94 offset0:39 offset1:40
	v_fma_f64 v[14:15], -v[28:29], v[110:111], v[14:15]
	ds_read2_b64 v[108:111], v94 offset0:41 offset1:42
	s_waitcnt lgkmcnt(0)
	v_fma_f64 v[12:13], -v[28:29], v[100:101], v[12:13]
	v_fma_f64 v[10:11], -v[28:29], v[102:103], v[10:11]
	;; [unrolled: 1-line block ×6, first 2 shown]
.LBB84_522:
	s_or_b64 exec, exec, s[0:1]
	v_lshl_add_u32 v90, v95, 3, v94
	s_barrier
	ds_write_b64 v90, v[24:25]
	s_waitcnt lgkmcnt(0)
	s_barrier
	ds_read_b64 v[90:91], v94 offset:248
	s_cmp_lt_i32 s18, 33
	v_mov_b32_e32 v92, 31
	s_cbranch_scc1 .LBB84_525
; %bb.523:
	v_add_u32_e32 v99, 0x100, v94
	s_mov_b32 s0, 32
	v_mov_b32_e32 v92, 31
.LBB84_524:                             ; =>This Inner Loop Header: Depth=1
	ds_read_b64 v[100:101], v99
	v_mov_b32_e32 v102, s0
	s_add_i32 s0, s0, 1
	v_add_u32_e32 v99, 8, v99
	s_cmp_lg_u32 s18, s0
	s_waitcnt lgkmcnt(0)
	v_cmp_lt_f64_e64 vcc, |v[90:91]|, |v[100:101]|
	v_cndmask_b32_e32 v91, v91, v101, vcc
	v_cndmask_b32_e32 v90, v90, v100, vcc
	v_cndmask_b32_e32 v92, v92, v102, vcc
	s_cbranch_scc1 .LBB84_524
.LBB84_525:
	s_waitcnt lgkmcnt(0)
	v_cmp_eq_f64_e32 vcc, 0, v[90:91]
	s_and_saveexec_b64 s[0:1], vcc
	s_xor_b64 s[0:1], exec, s[0:1]
; %bb.526:
	v_cmp_ne_u32_e32 vcc, 0, v98
	v_cndmask_b32_e32 v98, 32, v98, vcc
; %bb.527:
	s_andn2_saveexec_b64 s[0:1], s[0:1]
; %bb.528:
	v_div_scale_f64 v[100:101], s[2:3], v[90:91], v[90:91], 1.0
	v_rcp_f64_e32 v[102:103], v[100:101]
	v_div_scale_f64 v[104:105], vcc, 1.0, v[90:91], 1.0
	v_fma_f64 v[106:107], -v[100:101], v[102:103], 1.0
	v_fmac_f64_e32 v[102:103], v[102:103], v[106:107]
	v_fma_f64 v[106:107], -v[100:101], v[102:103], 1.0
	v_fmac_f64_e32 v[102:103], v[102:103], v[106:107]
	v_mul_f64 v[106:107], v[104:105], v[102:103]
	v_fma_f64 v[100:101], -v[100:101], v[106:107], v[104:105]
	v_div_fmas_f64 v[100:101], v[100:101], v[102:103], v[106:107]
	v_div_fixup_f64 v[90:91], v[100:101], v[90:91], 1.0
; %bb.529:
	s_or_b64 exec, exec, s[0:1]
	v_cmp_ne_u32_e32 vcc, v95, v92
	s_and_saveexec_b64 s[0:1], vcc
	s_xor_b64 s[0:1], exec, s[0:1]
	s_cbranch_execz .LBB84_535
; %bb.530:
	v_cmp_eq_u32_e32 vcc, 31, v95
	s_and_saveexec_b64 s[2:3], vcc
	s_cbranch_execz .LBB84_534
; %bb.531:
	v_cmp_ne_u32_e32 vcc, 31, v92
	s_xor_b64 s[14:15], s[6:7], -1
	s_and_b64 s[16:17], s[14:15], vcc
	s_and_saveexec_b64 s[14:15], s[16:17]
	s_cbranch_execz .LBB84_533
; %bb.532:
	v_ashrrev_i32_e32 v93, 31, v92
	v_lshlrev_b64 v[100:101], 2, v[92:93]
	v_add_co_u32_e32 v100, vcc, v4, v100
	v_addc_co_u32_e32 v101, vcc, v5, v101, vcc
	flat_load_dword v93, v[100:101]
	flat_load_dword v95, v[4:5] offset:124
	s_waitcnt vmcnt(0) lgkmcnt(0)
	flat_store_dword v[4:5], v93 offset:124
	flat_store_dword v[100:101], v95
.LBB84_533:
	s_or_b64 exec, exec, s[14:15]
	v_mov_b32_e32 v93, v92
	v_mov_b32_e32 v95, v92
.LBB84_534:
	s_or_b64 exec, exec, s[2:3]
.LBB84_535:
	s_andn2_saveexec_b64 s[0:1], s[0:1]
	s_cbranch_execz .LBB84_537
; %bb.536:
	v_mov_b32_e32 v100, v22
	v_mov_b32_e32 v101, v23
	v_mov_b32_e32 v102, v20
	v_mov_b32_e32 v103, v21
	ds_write2_b64 v94, v[100:101], v[102:103] offset0:32 offset1:33
	v_mov_b32_e32 v100, v18
	v_mov_b32_e32 v101, v19
	v_mov_b32_e32 v102, v16
	v_mov_b32_e32 v103, v17
	ds_write2_b64 v94, v[100:101], v[102:103] offset0:34 offset1:35
	;; [unrolled: 5-line block ×4, first 2 shown]
	v_mov_b32_e32 v100, v6
	v_mov_b32_e32 v101, v7
	;; [unrolled: 1-line block ×5, first 2 shown]
	ds_write2_b64 v94, v[100:101], v[102:103] offset0:40 offset1:41
	ds_write_b64 v94, v[88:89] offset:336
.LBB84_537:
	s_or_b64 exec, exec, s[0:1]
	v_cmp_lt_i32_e32 vcc, 31, v95
	s_waitcnt lgkmcnt(0)
	s_barrier
	s_and_saveexec_b64 s[0:1], vcc
	s_cbranch_execz .LBB84_539
; %bb.538:
	ds_read2_b64 v[100:103], v94 offset0:32 offset1:33
	ds_read2_b64 v[104:107], v94 offset0:34 offset1:35
	v_mul_f64 v[24:25], v[90:91], v[24:25]
	ds_read2_b64 v[108:111], v94 offset0:36 offset1:37
	ds_read_b64 v[90:91], v94 offset:336
	s_waitcnt lgkmcnt(0)
	v_fma_f64 v[22:23], -v[24:25], v[100:101], v[22:23]
	v_fma_f64 v[20:21], -v[24:25], v[102:103], v[20:21]
	ds_read2_b64 v[100:103], v94 offset0:38 offset1:39
	v_fma_f64 v[18:19], -v[24:25], v[104:105], v[18:19]
	v_fma_f64 v[16:17], -v[24:25], v[106:107], v[16:17]
	ds_read2_b64 v[104:107], v94 offset0:40 offset1:41
	v_fma_f64 v[14:15], -v[24:25], v[108:109], v[14:15]
	v_fma_f64 v[12:13], -v[24:25], v[110:111], v[12:13]
	s_waitcnt lgkmcnt(0)
	v_fma_f64 v[10:11], -v[24:25], v[100:101], v[10:11]
	v_fma_f64 v[8:9], -v[24:25], v[102:103], v[8:9]
	;; [unrolled: 1-line block ×5, first 2 shown]
.LBB84_539:
	s_or_b64 exec, exec, s[0:1]
	v_lshl_add_u32 v90, v95, 3, v94
	s_barrier
	ds_write_b64 v90, v[22:23]
	s_waitcnt lgkmcnt(0)
	s_barrier
	ds_read_b64 v[90:91], v94 offset:256
	s_cmp_lt_i32 s18, 34
	v_mov_b32_e32 v92, 32
	s_cbranch_scc1 .LBB84_542
; %bb.540:
	v_add_u32_e32 v99, 0x108, v94
	s_mov_b32 s0, 33
	v_mov_b32_e32 v92, 32
.LBB84_541:                             ; =>This Inner Loop Header: Depth=1
	ds_read_b64 v[100:101], v99
	v_mov_b32_e32 v102, s0
	s_add_i32 s0, s0, 1
	v_add_u32_e32 v99, 8, v99
	s_cmp_lg_u32 s18, s0
	s_waitcnt lgkmcnt(0)
	v_cmp_lt_f64_e64 vcc, |v[90:91]|, |v[100:101]|
	v_cndmask_b32_e32 v91, v91, v101, vcc
	v_cndmask_b32_e32 v90, v90, v100, vcc
	;; [unrolled: 1-line block ×3, first 2 shown]
	s_cbranch_scc1 .LBB84_541
.LBB84_542:
	s_waitcnt lgkmcnt(0)
	v_cmp_eq_f64_e32 vcc, 0, v[90:91]
	s_and_saveexec_b64 s[0:1], vcc
	s_xor_b64 s[0:1], exec, s[0:1]
; %bb.543:
	v_cmp_ne_u32_e32 vcc, 0, v98
	v_cndmask_b32_e32 v98, 33, v98, vcc
; %bb.544:
	s_andn2_saveexec_b64 s[0:1], s[0:1]
; %bb.545:
	v_div_scale_f64 v[100:101], s[2:3], v[90:91], v[90:91], 1.0
	v_rcp_f64_e32 v[102:103], v[100:101]
	v_div_scale_f64 v[104:105], vcc, 1.0, v[90:91], 1.0
	v_fma_f64 v[106:107], -v[100:101], v[102:103], 1.0
	v_fmac_f64_e32 v[102:103], v[102:103], v[106:107]
	v_fma_f64 v[106:107], -v[100:101], v[102:103], 1.0
	v_fmac_f64_e32 v[102:103], v[102:103], v[106:107]
	v_mul_f64 v[106:107], v[104:105], v[102:103]
	v_fma_f64 v[100:101], -v[100:101], v[106:107], v[104:105]
	v_div_fmas_f64 v[100:101], v[100:101], v[102:103], v[106:107]
	v_div_fixup_f64 v[90:91], v[100:101], v[90:91], 1.0
; %bb.546:
	s_or_b64 exec, exec, s[0:1]
	v_cmp_ne_u32_e32 vcc, v95, v92
	s_and_saveexec_b64 s[0:1], vcc
	s_xor_b64 s[0:1], exec, s[0:1]
	s_cbranch_execz .LBB84_552
; %bb.547:
	v_cmp_eq_u32_e32 vcc, 32, v95
	s_and_saveexec_b64 s[2:3], vcc
	s_cbranch_execz .LBB84_551
; %bb.548:
	v_cmp_ne_u32_e32 vcc, 32, v92
	s_xor_b64 s[14:15], s[6:7], -1
	s_and_b64 s[16:17], s[14:15], vcc
	s_and_saveexec_b64 s[14:15], s[16:17]
	s_cbranch_execz .LBB84_550
; %bb.549:
	v_ashrrev_i32_e32 v93, 31, v92
	v_lshlrev_b64 v[100:101], 2, v[92:93]
	v_add_co_u32_e32 v100, vcc, v4, v100
	v_addc_co_u32_e32 v101, vcc, v5, v101, vcc
	flat_load_dword v93, v[100:101]
	flat_load_dword v95, v[4:5] offset:128
	s_waitcnt vmcnt(0) lgkmcnt(0)
	flat_store_dword v[4:5], v93 offset:128
	flat_store_dword v[100:101], v95
.LBB84_550:
	s_or_b64 exec, exec, s[14:15]
	v_mov_b32_e32 v93, v92
	v_mov_b32_e32 v95, v92
.LBB84_551:
	s_or_b64 exec, exec, s[2:3]
.LBB84_552:
	s_andn2_saveexec_b64 s[0:1], s[0:1]
	s_cbranch_execz .LBB84_554
; %bb.553:
	v_mov_b32_e32 v95, 32
	ds_write2_b64 v94, v[20:21], v[18:19] offset0:33 offset1:34
	ds_write2_b64 v94, v[16:17], v[14:15] offset0:35 offset1:36
	;; [unrolled: 1-line block ×5, first 2 shown]
.LBB84_554:
	s_or_b64 exec, exec, s[0:1]
	v_cmp_lt_i32_e32 vcc, 32, v95
	s_waitcnt lgkmcnt(0)
	s_barrier
	s_and_saveexec_b64 s[0:1], vcc
	s_cbranch_execz .LBB84_556
; %bb.555:
	ds_read2_b64 v[100:103], v94 offset0:33 offset1:34
	ds_read2_b64 v[104:107], v94 offset0:35 offset1:36
	v_mul_f64 v[22:23], v[90:91], v[22:23]
	ds_read2_b64 v[108:111], v94 offset0:39 offset1:40
	s_waitcnt lgkmcnt(0)
	v_fma_f64 v[20:21], -v[22:23], v[100:101], v[20:21]
	v_fma_f64 v[18:19], -v[22:23], v[102:103], v[18:19]
	ds_read2_b64 v[100:103], v94 offset0:37 offset1:38
	v_fma_f64 v[16:17], -v[22:23], v[104:105], v[16:17]
	v_fma_f64 v[14:15], -v[22:23], v[106:107], v[14:15]
	ds_read2_b64 v[104:107], v94 offset0:41 offset1:42
	v_fma_f64 v[8:9], -v[22:23], v[108:109], v[8:9]
	s_waitcnt lgkmcnt(0)
	v_fma_f64 v[12:13], -v[22:23], v[100:101], v[12:13]
	v_fma_f64 v[10:11], -v[22:23], v[102:103], v[10:11]
	;; [unrolled: 1-line block ×5, first 2 shown]
.LBB84_556:
	s_or_b64 exec, exec, s[0:1]
	v_lshl_add_u32 v90, v95, 3, v94
	s_barrier
	ds_write_b64 v90, v[20:21]
	s_waitcnt lgkmcnt(0)
	s_barrier
	ds_read_b64 v[90:91], v94 offset:264
	s_cmp_lt_i32 s18, 35
	v_mov_b32_e32 v92, 33
	s_cbranch_scc1 .LBB84_559
; %bb.557:
	v_add_u32_e32 v99, 0x110, v94
	s_mov_b32 s0, 34
	v_mov_b32_e32 v92, 33
.LBB84_558:                             ; =>This Inner Loop Header: Depth=1
	ds_read_b64 v[100:101], v99
	v_mov_b32_e32 v102, s0
	s_add_i32 s0, s0, 1
	v_add_u32_e32 v99, 8, v99
	s_cmp_lg_u32 s18, s0
	s_waitcnt lgkmcnt(0)
	v_cmp_lt_f64_e64 vcc, |v[90:91]|, |v[100:101]|
	v_cndmask_b32_e32 v91, v91, v101, vcc
	v_cndmask_b32_e32 v90, v90, v100, vcc
	;; [unrolled: 1-line block ×3, first 2 shown]
	s_cbranch_scc1 .LBB84_558
.LBB84_559:
	s_waitcnt lgkmcnt(0)
	v_cmp_eq_f64_e32 vcc, 0, v[90:91]
	s_and_saveexec_b64 s[0:1], vcc
	s_xor_b64 s[0:1], exec, s[0:1]
; %bb.560:
	v_cmp_ne_u32_e32 vcc, 0, v98
	v_cndmask_b32_e32 v98, 34, v98, vcc
; %bb.561:
	s_andn2_saveexec_b64 s[0:1], s[0:1]
; %bb.562:
	v_div_scale_f64 v[100:101], s[2:3], v[90:91], v[90:91], 1.0
	v_rcp_f64_e32 v[102:103], v[100:101]
	v_div_scale_f64 v[104:105], vcc, 1.0, v[90:91], 1.0
	v_fma_f64 v[106:107], -v[100:101], v[102:103], 1.0
	v_fmac_f64_e32 v[102:103], v[102:103], v[106:107]
	v_fma_f64 v[106:107], -v[100:101], v[102:103], 1.0
	v_fmac_f64_e32 v[102:103], v[102:103], v[106:107]
	v_mul_f64 v[106:107], v[104:105], v[102:103]
	v_fma_f64 v[100:101], -v[100:101], v[106:107], v[104:105]
	v_div_fmas_f64 v[100:101], v[100:101], v[102:103], v[106:107]
	v_div_fixup_f64 v[90:91], v[100:101], v[90:91], 1.0
; %bb.563:
	s_or_b64 exec, exec, s[0:1]
	v_cmp_ne_u32_e32 vcc, v95, v92
	s_and_saveexec_b64 s[0:1], vcc
	s_xor_b64 s[0:1], exec, s[0:1]
	s_cbranch_execz .LBB84_569
; %bb.564:
	v_cmp_eq_u32_e32 vcc, 33, v95
	s_and_saveexec_b64 s[2:3], vcc
	s_cbranch_execz .LBB84_568
; %bb.565:
	v_cmp_ne_u32_e32 vcc, 33, v92
	s_xor_b64 s[14:15], s[6:7], -1
	s_and_b64 s[16:17], s[14:15], vcc
	s_and_saveexec_b64 s[14:15], s[16:17]
	s_cbranch_execz .LBB84_567
; %bb.566:
	v_ashrrev_i32_e32 v93, 31, v92
	v_lshlrev_b64 v[100:101], 2, v[92:93]
	v_add_co_u32_e32 v100, vcc, v4, v100
	v_addc_co_u32_e32 v101, vcc, v5, v101, vcc
	flat_load_dword v93, v[100:101]
	flat_load_dword v95, v[4:5] offset:132
	s_waitcnt vmcnt(0) lgkmcnt(0)
	flat_store_dword v[4:5], v93 offset:132
	flat_store_dword v[100:101], v95
.LBB84_567:
	s_or_b64 exec, exec, s[14:15]
	v_mov_b32_e32 v93, v92
	v_mov_b32_e32 v95, v92
.LBB84_568:
	s_or_b64 exec, exec, s[2:3]
.LBB84_569:
	s_andn2_saveexec_b64 s[0:1], s[0:1]
	s_cbranch_execz .LBB84_571
; %bb.570:
	v_mov_b32_e32 v100, v18
	v_mov_b32_e32 v101, v19
	v_mov_b32_e32 v102, v16
	v_mov_b32_e32 v103, v17
	ds_write2_b64 v94, v[100:101], v[102:103] offset0:34 offset1:35
	v_mov_b32_e32 v100, v14
	v_mov_b32_e32 v101, v15
	v_mov_b32_e32 v102, v12
	v_mov_b32_e32 v103, v13
	ds_write2_b64 v94, v[100:101], v[102:103] offset0:36 offset1:37
	;; [unrolled: 5-line block ×3, first 2 shown]
	v_mov_b32_e32 v100, v6
	v_mov_b32_e32 v101, v7
	;; [unrolled: 1-line block ×5, first 2 shown]
	ds_write2_b64 v94, v[100:101], v[102:103] offset0:40 offset1:41
	ds_write_b64 v94, v[88:89] offset:336
.LBB84_571:
	s_or_b64 exec, exec, s[0:1]
	v_cmp_lt_i32_e32 vcc, 33, v95
	s_waitcnt lgkmcnt(0)
	s_barrier
	s_and_saveexec_b64 s[0:1], vcc
	s_cbranch_execz .LBB84_573
; %bb.572:
	ds_read2_b64 v[100:103], v94 offset0:34 offset1:35
	ds_read2_b64 v[104:107], v94 offset0:36 offset1:37
	v_mul_f64 v[20:21], v[90:91], v[20:21]
	ds_read_b64 v[90:91], v94 offset:336
	ds_read2_b64 v[108:111], v94 offset0:40 offset1:41
	s_waitcnt lgkmcnt(0)
	v_fma_f64 v[18:19], -v[20:21], v[100:101], v[18:19]
	v_fma_f64 v[16:17], -v[20:21], v[102:103], v[16:17]
	ds_read2_b64 v[100:103], v94 offset0:38 offset1:39
	v_fma_f64 v[14:15], -v[20:21], v[104:105], v[14:15]
	v_fma_f64 v[12:13], -v[20:21], v[106:107], v[12:13]
	;; [unrolled: 1-line block ×4, first 2 shown]
	s_waitcnt lgkmcnt(0)
	v_fma_f64 v[10:11], -v[20:21], v[100:101], v[10:11]
	v_fma_f64 v[8:9], -v[20:21], v[102:103], v[8:9]
	;; [unrolled: 1-line block ×3, first 2 shown]
.LBB84_573:
	s_or_b64 exec, exec, s[0:1]
	v_lshl_add_u32 v90, v95, 3, v94
	s_barrier
	ds_write_b64 v90, v[18:19]
	s_waitcnt lgkmcnt(0)
	s_barrier
	ds_read_b64 v[90:91], v94 offset:272
	s_cmp_lt_i32 s18, 36
	v_mov_b32_e32 v92, 34
	s_cbranch_scc1 .LBB84_576
; %bb.574:
	v_add_u32_e32 v99, 0x118, v94
	s_mov_b32 s0, 35
	v_mov_b32_e32 v92, 34
.LBB84_575:                             ; =>This Inner Loop Header: Depth=1
	ds_read_b64 v[100:101], v99
	v_mov_b32_e32 v102, s0
	s_add_i32 s0, s0, 1
	v_add_u32_e32 v99, 8, v99
	s_cmp_lg_u32 s18, s0
	s_waitcnt lgkmcnt(0)
	v_cmp_lt_f64_e64 vcc, |v[90:91]|, |v[100:101]|
	v_cndmask_b32_e32 v91, v91, v101, vcc
	v_cndmask_b32_e32 v90, v90, v100, vcc
	;; [unrolled: 1-line block ×3, first 2 shown]
	s_cbranch_scc1 .LBB84_575
.LBB84_576:
	s_waitcnt lgkmcnt(0)
	v_cmp_eq_f64_e32 vcc, 0, v[90:91]
	s_and_saveexec_b64 s[0:1], vcc
	s_xor_b64 s[0:1], exec, s[0:1]
; %bb.577:
	v_cmp_ne_u32_e32 vcc, 0, v98
	v_cndmask_b32_e32 v98, 35, v98, vcc
; %bb.578:
	s_andn2_saveexec_b64 s[0:1], s[0:1]
; %bb.579:
	v_div_scale_f64 v[100:101], s[2:3], v[90:91], v[90:91], 1.0
	v_rcp_f64_e32 v[102:103], v[100:101]
	v_div_scale_f64 v[104:105], vcc, 1.0, v[90:91], 1.0
	v_fma_f64 v[106:107], -v[100:101], v[102:103], 1.0
	v_fmac_f64_e32 v[102:103], v[102:103], v[106:107]
	v_fma_f64 v[106:107], -v[100:101], v[102:103], 1.0
	v_fmac_f64_e32 v[102:103], v[102:103], v[106:107]
	v_mul_f64 v[106:107], v[104:105], v[102:103]
	v_fma_f64 v[100:101], -v[100:101], v[106:107], v[104:105]
	v_div_fmas_f64 v[100:101], v[100:101], v[102:103], v[106:107]
	v_div_fixup_f64 v[90:91], v[100:101], v[90:91], 1.0
; %bb.580:
	s_or_b64 exec, exec, s[0:1]
	v_cmp_ne_u32_e32 vcc, v95, v92
	s_and_saveexec_b64 s[0:1], vcc
	s_xor_b64 s[0:1], exec, s[0:1]
	s_cbranch_execz .LBB84_586
; %bb.581:
	v_cmp_eq_u32_e32 vcc, 34, v95
	s_and_saveexec_b64 s[2:3], vcc
	s_cbranch_execz .LBB84_585
; %bb.582:
	v_cmp_ne_u32_e32 vcc, 34, v92
	s_xor_b64 s[14:15], s[6:7], -1
	s_and_b64 s[16:17], s[14:15], vcc
	s_and_saveexec_b64 s[14:15], s[16:17]
	s_cbranch_execz .LBB84_584
; %bb.583:
	v_ashrrev_i32_e32 v93, 31, v92
	v_lshlrev_b64 v[100:101], 2, v[92:93]
	v_add_co_u32_e32 v100, vcc, v4, v100
	v_addc_co_u32_e32 v101, vcc, v5, v101, vcc
	flat_load_dword v93, v[100:101]
	flat_load_dword v95, v[4:5] offset:136
	s_waitcnt vmcnt(0) lgkmcnt(0)
	flat_store_dword v[4:5], v93 offset:136
	flat_store_dword v[100:101], v95
.LBB84_584:
	s_or_b64 exec, exec, s[14:15]
	v_mov_b32_e32 v93, v92
	v_mov_b32_e32 v95, v92
.LBB84_585:
	s_or_b64 exec, exec, s[2:3]
.LBB84_586:
	s_andn2_saveexec_b64 s[0:1], s[0:1]
	s_cbranch_execz .LBB84_588
; %bb.587:
	v_mov_b32_e32 v95, 34
	ds_write2_b64 v94, v[16:17], v[14:15] offset0:35 offset1:36
	ds_write2_b64 v94, v[12:13], v[10:11] offset0:37 offset1:38
	;; [unrolled: 1-line block ×4, first 2 shown]
.LBB84_588:
	s_or_b64 exec, exec, s[0:1]
	v_cmp_lt_i32_e32 vcc, 34, v95
	s_waitcnt lgkmcnt(0)
	s_barrier
	s_and_saveexec_b64 s[0:1], vcc
	s_cbranch_execz .LBB84_590
; %bb.589:
	ds_read2_b64 v[100:103], v94 offset0:35 offset1:36
	ds_read2_b64 v[104:107], v94 offset0:37 offset1:38
	v_mul_f64 v[18:19], v[90:91], v[18:19]
	ds_read2_b64 v[108:111], v94 offset0:39 offset1:40
	s_waitcnt lgkmcnt(0)
	v_fma_f64 v[16:17], -v[18:19], v[100:101], v[16:17]
	v_fma_f64 v[14:15], -v[18:19], v[102:103], v[14:15]
	ds_read2_b64 v[100:103], v94 offset0:41 offset1:42
	v_fma_f64 v[12:13], -v[18:19], v[104:105], v[12:13]
	v_fma_f64 v[10:11], -v[18:19], v[106:107], v[10:11]
	;; [unrolled: 1-line block ×4, first 2 shown]
	s_waitcnt lgkmcnt(0)
	v_fma_f64 v[0:1], -v[18:19], v[100:101], v[0:1]
	v_fma_f64 v[88:89], -v[18:19], v[102:103], v[88:89]
.LBB84_590:
	s_or_b64 exec, exec, s[0:1]
	v_lshl_add_u32 v90, v95, 3, v94
	s_barrier
	ds_write_b64 v90, v[16:17]
	s_waitcnt lgkmcnt(0)
	s_barrier
	ds_read_b64 v[90:91], v94 offset:280
	s_cmp_lt_i32 s18, 37
	v_mov_b32_e32 v92, 35
	s_cbranch_scc1 .LBB84_593
; %bb.591:
	v_add_u32_e32 v99, 0x120, v94
	s_mov_b32 s0, 36
	v_mov_b32_e32 v92, 35
.LBB84_592:                             ; =>This Inner Loop Header: Depth=1
	ds_read_b64 v[100:101], v99
	v_mov_b32_e32 v102, s0
	s_add_i32 s0, s0, 1
	v_add_u32_e32 v99, 8, v99
	s_cmp_lg_u32 s18, s0
	s_waitcnt lgkmcnt(0)
	v_cmp_lt_f64_e64 vcc, |v[90:91]|, |v[100:101]|
	v_cndmask_b32_e32 v91, v91, v101, vcc
	v_cndmask_b32_e32 v90, v90, v100, vcc
	;; [unrolled: 1-line block ×3, first 2 shown]
	s_cbranch_scc1 .LBB84_592
.LBB84_593:
	s_waitcnt lgkmcnt(0)
	v_cmp_eq_f64_e32 vcc, 0, v[90:91]
	s_and_saveexec_b64 s[0:1], vcc
	s_xor_b64 s[0:1], exec, s[0:1]
; %bb.594:
	v_cmp_ne_u32_e32 vcc, 0, v98
	v_cndmask_b32_e32 v98, 36, v98, vcc
; %bb.595:
	s_andn2_saveexec_b64 s[0:1], s[0:1]
; %bb.596:
	v_div_scale_f64 v[100:101], s[2:3], v[90:91], v[90:91], 1.0
	v_rcp_f64_e32 v[102:103], v[100:101]
	v_div_scale_f64 v[104:105], vcc, 1.0, v[90:91], 1.0
	v_fma_f64 v[106:107], -v[100:101], v[102:103], 1.0
	v_fmac_f64_e32 v[102:103], v[102:103], v[106:107]
	v_fma_f64 v[106:107], -v[100:101], v[102:103], 1.0
	v_fmac_f64_e32 v[102:103], v[102:103], v[106:107]
	v_mul_f64 v[106:107], v[104:105], v[102:103]
	v_fma_f64 v[100:101], -v[100:101], v[106:107], v[104:105]
	v_div_fmas_f64 v[100:101], v[100:101], v[102:103], v[106:107]
	v_div_fixup_f64 v[90:91], v[100:101], v[90:91], 1.0
; %bb.597:
	s_or_b64 exec, exec, s[0:1]
	v_cmp_ne_u32_e32 vcc, v95, v92
	s_and_saveexec_b64 s[0:1], vcc
	s_xor_b64 s[0:1], exec, s[0:1]
	s_cbranch_execz .LBB84_603
; %bb.598:
	v_cmp_eq_u32_e32 vcc, 35, v95
	s_and_saveexec_b64 s[2:3], vcc
	s_cbranch_execz .LBB84_602
; %bb.599:
	v_cmp_ne_u32_e32 vcc, 35, v92
	s_xor_b64 s[14:15], s[6:7], -1
	s_and_b64 s[16:17], s[14:15], vcc
	s_and_saveexec_b64 s[14:15], s[16:17]
	s_cbranch_execz .LBB84_601
; %bb.600:
	v_ashrrev_i32_e32 v93, 31, v92
	v_lshlrev_b64 v[100:101], 2, v[92:93]
	v_add_co_u32_e32 v100, vcc, v4, v100
	v_addc_co_u32_e32 v101, vcc, v5, v101, vcc
	flat_load_dword v93, v[100:101]
	flat_load_dword v95, v[4:5] offset:140
	s_waitcnt vmcnt(0) lgkmcnt(0)
	flat_store_dword v[4:5], v93 offset:140
	flat_store_dword v[100:101], v95
.LBB84_601:
	s_or_b64 exec, exec, s[14:15]
	v_mov_b32_e32 v93, v92
	v_mov_b32_e32 v95, v92
.LBB84_602:
	s_or_b64 exec, exec, s[2:3]
.LBB84_603:
	s_andn2_saveexec_b64 s[0:1], s[0:1]
	s_cbranch_execz .LBB84_605
; %bb.604:
	v_mov_b32_e32 v100, v14
	v_mov_b32_e32 v101, v15
	v_mov_b32_e32 v102, v12
	v_mov_b32_e32 v103, v13
	ds_write2_b64 v94, v[100:101], v[102:103] offset0:36 offset1:37
	v_mov_b32_e32 v100, v10
	v_mov_b32_e32 v101, v11
	;; [unrolled: 1-line block ×4, first 2 shown]
	ds_write2_b64 v94, v[100:101], v[102:103] offset0:38 offset1:39
	v_mov_b32_e32 v100, v6
	v_mov_b32_e32 v101, v7
	;; [unrolled: 1-line block ×5, first 2 shown]
	ds_write2_b64 v94, v[100:101], v[102:103] offset0:40 offset1:41
	ds_write_b64 v94, v[88:89] offset:336
.LBB84_605:
	s_or_b64 exec, exec, s[0:1]
	v_cmp_lt_i32_e32 vcc, 35, v95
	s_waitcnt lgkmcnt(0)
	s_barrier
	s_and_saveexec_b64 s[0:1], vcc
	s_cbranch_execz .LBB84_607
; %bb.606:
	ds_read2_b64 v[100:103], v94 offset0:36 offset1:37
	ds_read2_b64 v[104:107], v94 offset0:38 offset1:39
	v_mul_f64 v[16:17], v[90:91], v[16:17]
	ds_read2_b64 v[108:111], v94 offset0:40 offset1:41
	ds_read_b64 v[90:91], v94 offset:336
	s_waitcnt lgkmcnt(0)
	v_fma_f64 v[14:15], -v[16:17], v[100:101], v[14:15]
	v_fma_f64 v[12:13], -v[16:17], v[102:103], v[12:13]
	;; [unrolled: 1-line block ×7, first 2 shown]
.LBB84_607:
	s_or_b64 exec, exec, s[0:1]
	v_lshl_add_u32 v90, v95, 3, v94
	s_barrier
	ds_write_b64 v90, v[14:15]
	s_waitcnt lgkmcnt(0)
	s_barrier
	ds_read_b64 v[90:91], v94 offset:288
	s_cmp_lt_i32 s18, 38
	v_mov_b32_e32 v92, 36
	s_cbranch_scc1 .LBB84_610
; %bb.608:
	v_add_u32_e32 v99, 0x128, v94
	s_mov_b32 s0, 37
	v_mov_b32_e32 v92, 36
.LBB84_609:                             ; =>This Inner Loop Header: Depth=1
	ds_read_b64 v[100:101], v99
	v_mov_b32_e32 v102, s0
	s_add_i32 s0, s0, 1
	v_add_u32_e32 v99, 8, v99
	s_cmp_lg_u32 s18, s0
	s_waitcnt lgkmcnt(0)
	v_cmp_lt_f64_e64 vcc, |v[90:91]|, |v[100:101]|
	v_cndmask_b32_e32 v91, v91, v101, vcc
	v_cndmask_b32_e32 v90, v90, v100, vcc
	;; [unrolled: 1-line block ×3, first 2 shown]
	s_cbranch_scc1 .LBB84_609
.LBB84_610:
	s_waitcnt lgkmcnt(0)
	v_cmp_eq_f64_e32 vcc, 0, v[90:91]
	s_and_saveexec_b64 s[0:1], vcc
	s_xor_b64 s[0:1], exec, s[0:1]
; %bb.611:
	v_cmp_ne_u32_e32 vcc, 0, v98
	v_cndmask_b32_e32 v98, 37, v98, vcc
; %bb.612:
	s_andn2_saveexec_b64 s[0:1], s[0:1]
; %bb.613:
	v_div_scale_f64 v[100:101], s[2:3], v[90:91], v[90:91], 1.0
	v_rcp_f64_e32 v[102:103], v[100:101]
	v_div_scale_f64 v[104:105], vcc, 1.0, v[90:91], 1.0
	v_fma_f64 v[106:107], -v[100:101], v[102:103], 1.0
	v_fmac_f64_e32 v[102:103], v[102:103], v[106:107]
	v_fma_f64 v[106:107], -v[100:101], v[102:103], 1.0
	v_fmac_f64_e32 v[102:103], v[102:103], v[106:107]
	v_mul_f64 v[106:107], v[104:105], v[102:103]
	v_fma_f64 v[100:101], -v[100:101], v[106:107], v[104:105]
	v_div_fmas_f64 v[100:101], v[100:101], v[102:103], v[106:107]
	v_div_fixup_f64 v[90:91], v[100:101], v[90:91], 1.0
; %bb.614:
	s_or_b64 exec, exec, s[0:1]
	v_cmp_ne_u32_e32 vcc, v95, v92
	s_and_saveexec_b64 s[0:1], vcc
	s_xor_b64 s[0:1], exec, s[0:1]
	s_cbranch_execz .LBB84_620
; %bb.615:
	v_cmp_eq_u32_e32 vcc, 36, v95
	s_and_saveexec_b64 s[2:3], vcc
	s_cbranch_execz .LBB84_619
; %bb.616:
	v_cmp_ne_u32_e32 vcc, 36, v92
	s_xor_b64 s[14:15], s[6:7], -1
	s_and_b64 s[16:17], s[14:15], vcc
	s_and_saveexec_b64 s[14:15], s[16:17]
	s_cbranch_execz .LBB84_618
; %bb.617:
	v_ashrrev_i32_e32 v93, 31, v92
	v_lshlrev_b64 v[100:101], 2, v[92:93]
	v_add_co_u32_e32 v100, vcc, v4, v100
	v_addc_co_u32_e32 v101, vcc, v5, v101, vcc
	flat_load_dword v93, v[100:101]
	flat_load_dword v95, v[4:5] offset:144
	s_waitcnt vmcnt(0) lgkmcnt(0)
	flat_store_dword v[4:5], v93 offset:144
	flat_store_dword v[100:101], v95
.LBB84_618:
	s_or_b64 exec, exec, s[14:15]
	v_mov_b32_e32 v93, v92
	v_mov_b32_e32 v95, v92
.LBB84_619:
	s_or_b64 exec, exec, s[2:3]
.LBB84_620:
	s_andn2_saveexec_b64 s[0:1], s[0:1]
	s_cbranch_execz .LBB84_622
; %bb.621:
	v_mov_b32_e32 v95, 36
	ds_write2_b64 v94, v[12:13], v[10:11] offset0:37 offset1:38
	ds_write2_b64 v94, v[8:9], v[6:7] offset0:39 offset1:40
	;; [unrolled: 1-line block ×3, first 2 shown]
.LBB84_622:
	s_or_b64 exec, exec, s[0:1]
	v_cmp_lt_i32_e32 vcc, 36, v95
	s_waitcnt lgkmcnt(0)
	s_barrier
	s_and_saveexec_b64 s[0:1], vcc
	s_cbranch_execz .LBB84_624
; %bb.623:
	ds_read2_b64 v[100:103], v94 offset0:37 offset1:38
	ds_read2_b64 v[104:107], v94 offset0:39 offset1:40
	;; [unrolled: 1-line block ×3, first 2 shown]
	v_mul_f64 v[14:15], v[90:91], v[14:15]
	s_waitcnt lgkmcnt(0)
	v_fma_f64 v[12:13], -v[14:15], v[100:101], v[12:13]
	v_fma_f64 v[10:11], -v[14:15], v[102:103], v[10:11]
	v_fma_f64 v[8:9], -v[14:15], v[104:105], v[8:9]
	v_fma_f64 v[6:7], -v[14:15], v[106:107], v[6:7]
	v_fma_f64 v[0:1], -v[14:15], v[108:109], v[0:1]
	v_fma_f64 v[88:89], -v[14:15], v[110:111], v[88:89]
.LBB84_624:
	s_or_b64 exec, exec, s[0:1]
	v_lshl_add_u32 v90, v95, 3, v94
	s_barrier
	ds_write_b64 v90, v[12:13]
	s_waitcnt lgkmcnt(0)
	s_barrier
	ds_read_b64 v[90:91], v94 offset:296
	s_cmp_lt_i32 s18, 39
	v_mov_b32_e32 v92, 37
	s_cbranch_scc1 .LBB84_627
; %bb.625:
	v_add_u32_e32 v99, 0x130, v94
	s_mov_b32 s0, 38
	v_mov_b32_e32 v92, 37
.LBB84_626:                             ; =>This Inner Loop Header: Depth=1
	ds_read_b64 v[100:101], v99
	v_mov_b32_e32 v102, s0
	s_add_i32 s0, s0, 1
	v_add_u32_e32 v99, 8, v99
	s_cmp_lg_u32 s18, s0
	s_waitcnt lgkmcnt(0)
	v_cmp_lt_f64_e64 vcc, |v[90:91]|, |v[100:101]|
	v_cndmask_b32_e32 v91, v91, v101, vcc
	v_cndmask_b32_e32 v90, v90, v100, vcc
	;; [unrolled: 1-line block ×3, first 2 shown]
	s_cbranch_scc1 .LBB84_626
.LBB84_627:
	s_waitcnt lgkmcnt(0)
	v_cmp_eq_f64_e32 vcc, 0, v[90:91]
	s_and_saveexec_b64 s[0:1], vcc
	s_xor_b64 s[0:1], exec, s[0:1]
; %bb.628:
	v_cmp_ne_u32_e32 vcc, 0, v98
	v_cndmask_b32_e32 v98, 38, v98, vcc
; %bb.629:
	s_andn2_saveexec_b64 s[0:1], s[0:1]
; %bb.630:
	v_div_scale_f64 v[100:101], s[2:3], v[90:91], v[90:91], 1.0
	v_rcp_f64_e32 v[102:103], v[100:101]
	v_div_scale_f64 v[104:105], vcc, 1.0, v[90:91], 1.0
	v_fma_f64 v[106:107], -v[100:101], v[102:103], 1.0
	v_fmac_f64_e32 v[102:103], v[102:103], v[106:107]
	v_fma_f64 v[106:107], -v[100:101], v[102:103], 1.0
	v_fmac_f64_e32 v[102:103], v[102:103], v[106:107]
	v_mul_f64 v[106:107], v[104:105], v[102:103]
	v_fma_f64 v[100:101], -v[100:101], v[106:107], v[104:105]
	v_div_fmas_f64 v[100:101], v[100:101], v[102:103], v[106:107]
	v_div_fixup_f64 v[90:91], v[100:101], v[90:91], 1.0
; %bb.631:
	s_or_b64 exec, exec, s[0:1]
	v_cmp_ne_u32_e32 vcc, v95, v92
	s_and_saveexec_b64 s[0:1], vcc
	s_xor_b64 s[0:1], exec, s[0:1]
	s_cbranch_execz .LBB84_637
; %bb.632:
	v_cmp_eq_u32_e32 vcc, 37, v95
	s_and_saveexec_b64 s[2:3], vcc
	s_cbranch_execz .LBB84_636
; %bb.633:
	v_cmp_ne_u32_e32 vcc, 37, v92
	s_xor_b64 s[14:15], s[6:7], -1
	s_and_b64 s[16:17], s[14:15], vcc
	s_and_saveexec_b64 s[14:15], s[16:17]
	s_cbranch_execz .LBB84_635
; %bb.634:
	v_ashrrev_i32_e32 v93, 31, v92
	v_lshlrev_b64 v[100:101], 2, v[92:93]
	v_add_co_u32_e32 v100, vcc, v4, v100
	v_addc_co_u32_e32 v101, vcc, v5, v101, vcc
	flat_load_dword v93, v[100:101]
	flat_load_dword v95, v[4:5] offset:148
	s_waitcnt vmcnt(0) lgkmcnt(0)
	flat_store_dword v[4:5], v93 offset:148
	flat_store_dword v[100:101], v95
.LBB84_635:
	s_or_b64 exec, exec, s[14:15]
	v_mov_b32_e32 v93, v92
	v_mov_b32_e32 v95, v92
.LBB84_636:
	s_or_b64 exec, exec, s[2:3]
.LBB84_637:
	s_andn2_saveexec_b64 s[0:1], s[0:1]
	s_cbranch_execz .LBB84_639
; %bb.638:
	v_mov_b32_e32 v100, v10
	v_mov_b32_e32 v101, v11
	;; [unrolled: 1-line block ×4, first 2 shown]
	ds_write2_b64 v94, v[100:101], v[102:103] offset0:38 offset1:39
	v_mov_b32_e32 v100, v6
	v_mov_b32_e32 v101, v7
	;; [unrolled: 1-line block ×5, first 2 shown]
	ds_write2_b64 v94, v[100:101], v[102:103] offset0:40 offset1:41
	ds_write_b64 v94, v[88:89] offset:336
.LBB84_639:
	s_or_b64 exec, exec, s[0:1]
	v_cmp_lt_i32_e32 vcc, 37, v95
	s_waitcnt lgkmcnt(0)
	s_barrier
	s_and_saveexec_b64 s[0:1], vcc
	s_cbranch_execz .LBB84_641
; %bb.640:
	ds_read2_b64 v[100:103], v94 offset0:38 offset1:39
	ds_read2_b64 v[104:107], v94 offset0:40 offset1:41
	v_mul_f64 v[12:13], v[90:91], v[12:13]
	ds_read_b64 v[90:91], v94 offset:336
	s_waitcnt lgkmcnt(0)
	v_fma_f64 v[10:11], -v[12:13], v[100:101], v[10:11]
	v_fma_f64 v[8:9], -v[12:13], v[102:103], v[8:9]
	;; [unrolled: 1-line block ×5, first 2 shown]
.LBB84_641:
	s_or_b64 exec, exec, s[0:1]
	v_lshl_add_u32 v90, v95, 3, v94
	s_barrier
	ds_write_b64 v90, v[10:11]
	s_waitcnt lgkmcnt(0)
	s_barrier
	ds_read_b64 v[90:91], v94 offset:304
	s_cmp_lt_i32 s18, 40
	v_mov_b32_e32 v92, 38
	s_cbranch_scc1 .LBB84_644
; %bb.642:
	v_add_u32_e32 v99, 0x138, v94
	s_mov_b32 s0, 39
	v_mov_b32_e32 v92, 38
.LBB84_643:                             ; =>This Inner Loop Header: Depth=1
	ds_read_b64 v[100:101], v99
	v_mov_b32_e32 v102, s0
	s_add_i32 s0, s0, 1
	v_add_u32_e32 v99, 8, v99
	s_cmp_lg_u32 s18, s0
	s_waitcnt lgkmcnt(0)
	v_cmp_lt_f64_e64 vcc, |v[90:91]|, |v[100:101]|
	v_cndmask_b32_e32 v91, v91, v101, vcc
	v_cndmask_b32_e32 v90, v90, v100, vcc
	;; [unrolled: 1-line block ×3, first 2 shown]
	s_cbranch_scc1 .LBB84_643
.LBB84_644:
	s_waitcnt lgkmcnt(0)
	v_cmp_eq_f64_e32 vcc, 0, v[90:91]
	s_and_saveexec_b64 s[0:1], vcc
	s_xor_b64 s[0:1], exec, s[0:1]
; %bb.645:
	v_cmp_ne_u32_e32 vcc, 0, v98
	v_cndmask_b32_e32 v98, 39, v98, vcc
; %bb.646:
	s_andn2_saveexec_b64 s[0:1], s[0:1]
; %bb.647:
	v_div_scale_f64 v[100:101], s[2:3], v[90:91], v[90:91], 1.0
	v_rcp_f64_e32 v[102:103], v[100:101]
	v_div_scale_f64 v[104:105], vcc, 1.0, v[90:91], 1.0
	v_fma_f64 v[106:107], -v[100:101], v[102:103], 1.0
	v_fmac_f64_e32 v[102:103], v[102:103], v[106:107]
	v_fma_f64 v[106:107], -v[100:101], v[102:103], 1.0
	v_fmac_f64_e32 v[102:103], v[102:103], v[106:107]
	v_mul_f64 v[106:107], v[104:105], v[102:103]
	v_fma_f64 v[100:101], -v[100:101], v[106:107], v[104:105]
	v_div_fmas_f64 v[100:101], v[100:101], v[102:103], v[106:107]
	v_div_fixup_f64 v[90:91], v[100:101], v[90:91], 1.0
; %bb.648:
	s_or_b64 exec, exec, s[0:1]
	v_cmp_ne_u32_e32 vcc, v95, v92
	s_and_saveexec_b64 s[0:1], vcc
	s_xor_b64 s[0:1], exec, s[0:1]
	s_cbranch_execz .LBB84_654
; %bb.649:
	v_cmp_eq_u32_e32 vcc, 38, v95
	s_and_saveexec_b64 s[2:3], vcc
	s_cbranch_execz .LBB84_653
; %bb.650:
	v_cmp_ne_u32_e32 vcc, 38, v92
	s_xor_b64 s[14:15], s[6:7], -1
	s_and_b64 s[16:17], s[14:15], vcc
	s_and_saveexec_b64 s[14:15], s[16:17]
	s_cbranch_execz .LBB84_652
; %bb.651:
	v_ashrrev_i32_e32 v93, 31, v92
	v_lshlrev_b64 v[100:101], 2, v[92:93]
	v_add_co_u32_e32 v100, vcc, v4, v100
	v_addc_co_u32_e32 v101, vcc, v5, v101, vcc
	flat_load_dword v93, v[100:101]
	flat_load_dword v95, v[4:5] offset:152
	s_waitcnt vmcnt(0) lgkmcnt(0)
	flat_store_dword v[4:5], v93 offset:152
	flat_store_dword v[100:101], v95
.LBB84_652:
	s_or_b64 exec, exec, s[14:15]
	v_mov_b32_e32 v93, v92
	v_mov_b32_e32 v95, v92
.LBB84_653:
	s_or_b64 exec, exec, s[2:3]
.LBB84_654:
	s_andn2_saveexec_b64 s[0:1], s[0:1]
	s_cbranch_execz .LBB84_656
; %bb.655:
	v_mov_b32_e32 v95, 38
	ds_write2_b64 v94, v[8:9], v[6:7] offset0:39 offset1:40
	ds_write2_b64 v94, v[0:1], v[88:89] offset0:41 offset1:42
.LBB84_656:
	s_or_b64 exec, exec, s[0:1]
	v_cmp_lt_i32_e32 vcc, 38, v95
	s_waitcnt lgkmcnt(0)
	s_barrier
	s_and_saveexec_b64 s[0:1], vcc
	s_cbranch_execz .LBB84_658
; %bb.657:
	ds_read2_b64 v[100:103], v94 offset0:39 offset1:40
	ds_read2_b64 v[104:107], v94 offset0:41 offset1:42
	v_mul_f64 v[10:11], v[90:91], v[10:11]
	s_waitcnt lgkmcnt(0)
	v_fma_f64 v[8:9], -v[10:11], v[100:101], v[8:9]
	v_fma_f64 v[6:7], -v[10:11], v[102:103], v[6:7]
	;; [unrolled: 1-line block ×4, first 2 shown]
.LBB84_658:
	s_or_b64 exec, exec, s[0:1]
	v_lshl_add_u32 v90, v95, 3, v94
	s_barrier
	ds_write_b64 v90, v[8:9]
	s_waitcnt lgkmcnt(0)
	s_barrier
	ds_read_b64 v[90:91], v94 offset:312
	s_cmp_lt_i32 s18, 41
	v_mov_b32_e32 v92, 39
	s_cbranch_scc1 .LBB84_661
; %bb.659:
	v_add_u32_e32 v99, 0x140, v94
	s_mov_b32 s0, 40
	v_mov_b32_e32 v92, 39
.LBB84_660:                             ; =>This Inner Loop Header: Depth=1
	ds_read_b64 v[100:101], v99
	v_mov_b32_e32 v102, s0
	s_add_i32 s0, s0, 1
	v_add_u32_e32 v99, 8, v99
	s_cmp_lg_u32 s18, s0
	s_waitcnt lgkmcnt(0)
	v_cmp_lt_f64_e64 vcc, |v[90:91]|, |v[100:101]|
	v_cndmask_b32_e32 v91, v91, v101, vcc
	v_cndmask_b32_e32 v90, v90, v100, vcc
	v_cndmask_b32_e32 v92, v92, v102, vcc
	s_cbranch_scc1 .LBB84_660
.LBB84_661:
	s_waitcnt lgkmcnt(0)
	v_cmp_eq_f64_e32 vcc, 0, v[90:91]
	s_and_saveexec_b64 s[0:1], vcc
	s_xor_b64 s[0:1], exec, s[0:1]
; %bb.662:
	v_cmp_ne_u32_e32 vcc, 0, v98
	v_cndmask_b32_e32 v98, 40, v98, vcc
; %bb.663:
	s_andn2_saveexec_b64 s[0:1], s[0:1]
; %bb.664:
	v_div_scale_f64 v[100:101], s[2:3], v[90:91], v[90:91], 1.0
	v_rcp_f64_e32 v[102:103], v[100:101]
	v_div_scale_f64 v[104:105], vcc, 1.0, v[90:91], 1.0
	v_fma_f64 v[106:107], -v[100:101], v[102:103], 1.0
	v_fmac_f64_e32 v[102:103], v[102:103], v[106:107]
	v_fma_f64 v[106:107], -v[100:101], v[102:103], 1.0
	v_fmac_f64_e32 v[102:103], v[102:103], v[106:107]
	v_mul_f64 v[106:107], v[104:105], v[102:103]
	v_fma_f64 v[100:101], -v[100:101], v[106:107], v[104:105]
	v_div_fmas_f64 v[100:101], v[100:101], v[102:103], v[106:107]
	v_div_fixup_f64 v[90:91], v[100:101], v[90:91], 1.0
; %bb.665:
	s_or_b64 exec, exec, s[0:1]
	v_cmp_ne_u32_e32 vcc, v95, v92
	s_and_saveexec_b64 s[0:1], vcc
	s_xor_b64 s[0:1], exec, s[0:1]
	s_cbranch_execz .LBB84_671
; %bb.666:
	v_cmp_eq_u32_e32 vcc, 39, v95
	s_and_saveexec_b64 s[2:3], vcc
	s_cbranch_execz .LBB84_670
; %bb.667:
	v_cmp_ne_u32_e32 vcc, 39, v92
	s_xor_b64 s[14:15], s[6:7], -1
	s_and_b64 s[16:17], s[14:15], vcc
	s_and_saveexec_b64 s[14:15], s[16:17]
	s_cbranch_execz .LBB84_669
; %bb.668:
	v_ashrrev_i32_e32 v93, 31, v92
	v_lshlrev_b64 v[100:101], 2, v[92:93]
	v_add_co_u32_e32 v100, vcc, v4, v100
	v_addc_co_u32_e32 v101, vcc, v5, v101, vcc
	flat_load_dword v93, v[100:101]
	flat_load_dword v95, v[4:5] offset:156
	s_waitcnt vmcnt(0) lgkmcnt(0)
	flat_store_dword v[4:5], v93 offset:156
	flat_store_dword v[100:101], v95
.LBB84_669:
	s_or_b64 exec, exec, s[14:15]
	v_mov_b32_e32 v93, v92
	v_mov_b32_e32 v95, v92
.LBB84_670:
	s_or_b64 exec, exec, s[2:3]
.LBB84_671:
	s_andn2_saveexec_b64 s[0:1], s[0:1]
	s_cbranch_execz .LBB84_673
; %bb.672:
	v_mov_b32_e32 v100, v6
	v_mov_b32_e32 v101, v7
	;; [unrolled: 1-line block ×5, first 2 shown]
	ds_write2_b64 v94, v[100:101], v[102:103] offset0:40 offset1:41
	ds_write_b64 v94, v[88:89] offset:336
.LBB84_673:
	s_or_b64 exec, exec, s[0:1]
	v_cmp_lt_i32_e32 vcc, 39, v95
	s_waitcnt lgkmcnt(0)
	s_barrier
	s_and_saveexec_b64 s[0:1], vcc
	s_cbranch_execz .LBB84_675
; %bb.674:
	ds_read2_b64 v[100:103], v94 offset0:40 offset1:41
	ds_read_b64 v[104:105], v94 offset:336
	v_mul_f64 v[8:9], v[90:91], v[8:9]
	s_waitcnt lgkmcnt(0)
	v_fma_f64 v[6:7], -v[8:9], v[100:101], v[6:7]
	v_fma_f64 v[0:1], -v[8:9], v[102:103], v[0:1]
	;; [unrolled: 1-line block ×3, first 2 shown]
.LBB84_675:
	s_or_b64 exec, exec, s[0:1]
	v_lshl_add_u32 v90, v95, 3, v94
	s_barrier
	ds_write_b64 v90, v[6:7]
	s_waitcnt lgkmcnt(0)
	s_barrier
	ds_read_b64 v[90:91], v94 offset:320
	s_cmp_lt_i32 s18, 42
	v_mov_b32_e32 v92, 40
	s_cbranch_scc1 .LBB84_678
; %bb.676:
	v_add_u32_e32 v99, 0x148, v94
	s_mov_b32 s0, 41
	v_mov_b32_e32 v92, 40
.LBB84_677:                             ; =>This Inner Loop Header: Depth=1
	ds_read_b64 v[100:101], v99
	v_mov_b32_e32 v102, s0
	s_add_i32 s0, s0, 1
	v_add_u32_e32 v99, 8, v99
	s_cmp_lg_u32 s18, s0
	s_waitcnt lgkmcnt(0)
	v_cmp_lt_f64_e64 vcc, |v[90:91]|, |v[100:101]|
	v_cndmask_b32_e32 v91, v91, v101, vcc
	v_cndmask_b32_e32 v90, v90, v100, vcc
	;; [unrolled: 1-line block ×3, first 2 shown]
	s_cbranch_scc1 .LBB84_677
.LBB84_678:
	s_waitcnt lgkmcnt(0)
	v_cmp_eq_f64_e32 vcc, 0, v[90:91]
	s_and_saveexec_b64 s[0:1], vcc
	s_xor_b64 s[0:1], exec, s[0:1]
; %bb.679:
	v_cmp_ne_u32_e32 vcc, 0, v98
	v_cndmask_b32_e32 v98, 41, v98, vcc
; %bb.680:
	s_andn2_saveexec_b64 s[0:1], s[0:1]
; %bb.681:
	v_div_scale_f64 v[100:101], s[2:3], v[90:91], v[90:91], 1.0
	v_rcp_f64_e32 v[102:103], v[100:101]
	v_div_scale_f64 v[104:105], vcc, 1.0, v[90:91], 1.0
	v_fma_f64 v[106:107], -v[100:101], v[102:103], 1.0
	v_fmac_f64_e32 v[102:103], v[102:103], v[106:107]
	v_fma_f64 v[106:107], -v[100:101], v[102:103], 1.0
	v_fmac_f64_e32 v[102:103], v[102:103], v[106:107]
	v_mul_f64 v[106:107], v[104:105], v[102:103]
	v_fma_f64 v[100:101], -v[100:101], v[106:107], v[104:105]
	v_div_fmas_f64 v[100:101], v[100:101], v[102:103], v[106:107]
	v_div_fixup_f64 v[90:91], v[100:101], v[90:91], 1.0
; %bb.682:
	s_or_b64 exec, exec, s[0:1]
	v_cmp_ne_u32_e32 vcc, v95, v92
	s_and_saveexec_b64 s[0:1], vcc
	s_xor_b64 s[0:1], exec, s[0:1]
	s_cbranch_execz .LBB84_688
; %bb.683:
	v_cmp_eq_u32_e32 vcc, 40, v95
	s_and_saveexec_b64 s[2:3], vcc
	s_cbranch_execz .LBB84_687
; %bb.684:
	v_cmp_ne_u32_e32 vcc, 40, v92
	s_xor_b64 s[14:15], s[6:7], -1
	s_and_b64 s[16:17], s[14:15], vcc
	s_and_saveexec_b64 s[14:15], s[16:17]
	s_cbranch_execz .LBB84_686
; %bb.685:
	v_ashrrev_i32_e32 v93, 31, v92
	v_lshlrev_b64 v[100:101], 2, v[92:93]
	v_add_co_u32_e32 v100, vcc, v4, v100
	v_addc_co_u32_e32 v101, vcc, v5, v101, vcc
	flat_load_dword v93, v[100:101]
	flat_load_dword v95, v[4:5] offset:160
	s_waitcnt vmcnt(0) lgkmcnt(0)
	flat_store_dword v[4:5], v93 offset:160
	flat_store_dword v[100:101], v95
.LBB84_686:
	s_or_b64 exec, exec, s[14:15]
	v_mov_b32_e32 v93, v92
	v_mov_b32_e32 v95, v92
.LBB84_687:
	s_or_b64 exec, exec, s[2:3]
.LBB84_688:
	s_andn2_saveexec_b64 s[0:1], s[0:1]
	s_cbranch_execz .LBB84_690
; %bb.689:
	v_mov_b32_e32 v95, 40
	ds_write2_b64 v94, v[0:1], v[88:89] offset0:41 offset1:42
.LBB84_690:
	s_or_b64 exec, exec, s[0:1]
	v_cmp_lt_i32_e32 vcc, 40, v95
	s_waitcnt lgkmcnt(0)
	s_barrier
	s_and_saveexec_b64 s[0:1], vcc
	s_cbranch_execz .LBB84_692
; %bb.691:
	ds_read2_b64 v[100:103], v94 offset0:41 offset1:42
	v_mul_f64 v[6:7], v[90:91], v[6:7]
	s_waitcnt lgkmcnt(0)
	v_fma_f64 v[0:1], -v[6:7], v[100:101], v[0:1]
	v_fma_f64 v[88:89], -v[6:7], v[102:103], v[88:89]
.LBB84_692:
	s_or_b64 exec, exec, s[0:1]
	v_lshl_add_u32 v90, v95, 3, v94
	s_barrier
	ds_write_b64 v90, v[0:1]
	s_waitcnt lgkmcnt(0)
	s_barrier
	ds_read_b64 v[90:91], v94 offset:328
	s_cmp_lt_i32 s18, 43
	v_mov_b32_e32 v92, 41
	s_cbranch_scc1 .LBB84_695
; %bb.693:
	v_add_u32_e32 v99, 0x150, v94
	s_mov_b32 s0, 42
	v_mov_b32_e32 v92, 41
.LBB84_694:                             ; =>This Inner Loop Header: Depth=1
	ds_read_b64 v[100:101], v99
	v_mov_b32_e32 v102, s0
	s_add_i32 s0, s0, 1
	v_add_u32_e32 v99, 8, v99
	s_cmp_lg_u32 s18, s0
	s_waitcnt lgkmcnt(0)
	v_cmp_lt_f64_e64 vcc, |v[90:91]|, |v[100:101]|
	v_cndmask_b32_e32 v91, v91, v101, vcc
	v_cndmask_b32_e32 v90, v90, v100, vcc
	;; [unrolled: 1-line block ×3, first 2 shown]
	s_cbranch_scc1 .LBB84_694
.LBB84_695:
	s_waitcnt lgkmcnt(0)
	v_cmp_eq_f64_e32 vcc, 0, v[90:91]
	s_and_saveexec_b64 s[0:1], vcc
	s_xor_b64 s[0:1], exec, s[0:1]
; %bb.696:
	v_cmp_ne_u32_e32 vcc, 0, v98
	v_cndmask_b32_e32 v98, 42, v98, vcc
; %bb.697:
	s_andn2_saveexec_b64 s[0:1], s[0:1]
; %bb.698:
	v_div_scale_f64 v[100:101], s[2:3], v[90:91], v[90:91], 1.0
	v_rcp_f64_e32 v[102:103], v[100:101]
	v_div_scale_f64 v[104:105], vcc, 1.0, v[90:91], 1.0
	v_fma_f64 v[106:107], -v[100:101], v[102:103], 1.0
	v_fmac_f64_e32 v[102:103], v[102:103], v[106:107]
	v_fma_f64 v[106:107], -v[100:101], v[102:103], 1.0
	v_fmac_f64_e32 v[102:103], v[102:103], v[106:107]
	v_mul_f64 v[106:107], v[104:105], v[102:103]
	v_fma_f64 v[100:101], -v[100:101], v[106:107], v[104:105]
	v_div_fmas_f64 v[100:101], v[100:101], v[102:103], v[106:107]
	v_div_fixup_f64 v[90:91], v[100:101], v[90:91], 1.0
; %bb.699:
	s_or_b64 exec, exec, s[0:1]
	v_cmp_ne_u32_e32 vcc, v95, v92
	s_and_saveexec_b64 s[0:1], vcc
	s_xor_b64 s[0:1], exec, s[0:1]
	s_cbranch_execz .LBB84_705
; %bb.700:
	v_cmp_eq_u32_e32 vcc, 41, v95
	s_and_saveexec_b64 s[2:3], vcc
	s_cbranch_execz .LBB84_704
; %bb.701:
	v_cmp_ne_u32_e32 vcc, 41, v92
	s_xor_b64 s[14:15], s[6:7], -1
	s_and_b64 s[16:17], s[14:15], vcc
	s_and_saveexec_b64 s[14:15], s[16:17]
	s_cbranch_execz .LBB84_703
; %bb.702:
	v_ashrrev_i32_e32 v93, 31, v92
	v_lshlrev_b64 v[100:101], 2, v[92:93]
	v_add_co_u32_e32 v100, vcc, v4, v100
	v_addc_co_u32_e32 v101, vcc, v5, v101, vcc
	flat_load_dword v93, v[100:101]
	flat_load_dword v95, v[4:5] offset:164
	s_waitcnt vmcnt(0) lgkmcnt(0)
	flat_store_dword v[4:5], v93 offset:164
	flat_store_dword v[100:101], v95
.LBB84_703:
	s_or_b64 exec, exec, s[14:15]
	v_mov_b32_e32 v93, v92
	v_mov_b32_e32 v95, v92
.LBB84_704:
	s_or_b64 exec, exec, s[2:3]
.LBB84_705:
	s_andn2_saveexec_b64 s[0:1], s[0:1]
	s_cbranch_execz .LBB84_707
; %bb.706:
	v_mov_b32_e32 v95, 41
	ds_write_b64 v94, v[88:89] offset:336
.LBB84_707:
	s_or_b64 exec, exec, s[0:1]
	v_cmp_lt_i32_e32 vcc, 41, v95
	s_waitcnt lgkmcnt(0)
	s_barrier
	s_and_saveexec_b64 s[0:1], vcc
	s_cbranch_execz .LBB84_709
; %bb.708:
	ds_read_b64 v[100:101], v94 offset:336
	v_mul_f64 v[0:1], v[90:91], v[0:1]
	s_waitcnt lgkmcnt(0)
	v_fma_f64 v[88:89], -v[0:1], v[100:101], v[88:89]
.LBB84_709:
	s_or_b64 exec, exec, s[0:1]
	v_lshl_add_u32 v90, v95, 3, v94
	s_barrier
	ds_write_b64 v90, v[88:89]
	s_waitcnt lgkmcnt(0)
	s_barrier
	ds_read_b64 v[90:91], v94 offset:336
	s_cmp_lt_i32 s18, 44
	v_mov_b32_e32 v92, 42
	s_cbranch_scc1 .LBB84_712
; %bb.710:
	v_add_u32_e32 v94, 0x158, v94
	s_mov_b32 s0, 43
	v_mov_b32_e32 v92, 42
.LBB84_711:                             ; =>This Inner Loop Header: Depth=1
	ds_read_b64 v[100:101], v94
	v_mov_b32_e32 v99, s0
	s_add_i32 s0, s0, 1
	v_add_u32_e32 v94, 8, v94
	s_cmp_lg_u32 s18, s0
	s_waitcnt lgkmcnt(0)
	v_cmp_lt_f64_e64 vcc, |v[90:91]|, |v[100:101]|
	v_cndmask_b32_e32 v91, v91, v101, vcc
	v_cndmask_b32_e32 v90, v90, v100, vcc
	;; [unrolled: 1-line block ×3, first 2 shown]
	s_cbranch_scc1 .LBB84_711
.LBB84_712:
	s_waitcnt lgkmcnt(0)
	v_cmp_eq_f64_e32 vcc, 0, v[90:91]
	s_and_saveexec_b64 s[0:1], vcc
	s_xor_b64 s[0:1], exec, s[0:1]
; %bb.713:
	v_cmp_ne_u32_e32 vcc, 0, v98
	v_cndmask_b32_e32 v98, 43, v98, vcc
; %bb.714:
	s_andn2_saveexec_b64 s[0:1], s[0:1]
; %bb.715:
	v_div_scale_f64 v[100:101], s[2:3], v[90:91], v[90:91], 1.0
	v_rcp_f64_e32 v[102:103], v[100:101]
	v_div_scale_f64 v[104:105], vcc, 1.0, v[90:91], 1.0
	v_fma_f64 v[106:107], -v[100:101], v[102:103], 1.0
	v_fmac_f64_e32 v[102:103], v[102:103], v[106:107]
	v_fma_f64 v[106:107], -v[100:101], v[102:103], 1.0
	v_fmac_f64_e32 v[102:103], v[102:103], v[106:107]
	v_mul_f64 v[106:107], v[104:105], v[102:103]
	v_fma_f64 v[100:101], -v[100:101], v[106:107], v[104:105]
	v_div_fmas_f64 v[100:101], v[100:101], v[102:103], v[106:107]
	v_div_fixup_f64 v[90:91], v[100:101], v[90:91], 1.0
; %bb.716:
	s_or_b64 exec, exec, s[0:1]
	v_cmp_ne_u32_e32 vcc, v95, v92
	v_mov_b32_e32 v94, 42
	s_and_saveexec_b64 s[0:1], vcc
	s_cbranch_execz .LBB84_722
; %bb.717:
	v_cmp_eq_u32_e32 vcc, 42, v95
	s_and_saveexec_b64 s[2:3], vcc
	s_cbranch_execz .LBB84_721
; %bb.718:
	v_cmp_ne_u32_e32 vcc, 42, v92
	s_xor_b64 s[6:7], s[6:7], -1
	s_and_b64 s[14:15], s[6:7], vcc
	s_and_saveexec_b64 s[6:7], s[14:15]
	s_cbranch_execz .LBB84_720
; %bb.719:
	v_ashrrev_i32_e32 v93, 31, v92
	v_lshlrev_b64 v[94:95], 2, v[92:93]
	v_add_co_u32_e32 v94, vcc, v4, v94
	v_addc_co_u32_e32 v95, vcc, v5, v95, vcc
	flat_load_dword v93, v[94:95]
	flat_load_dword v99, v[4:5] offset:168
	s_waitcnt vmcnt(0) lgkmcnt(0)
	flat_store_dword v[4:5], v93 offset:168
	flat_store_dword v[94:95], v99
.LBB84_720:
	s_or_b64 exec, exec, s[6:7]
	v_mov_b32_e32 v93, v92
	v_mov_b32_e32 v95, v92
.LBB84_721:
	s_or_b64 exec, exec, s[2:3]
	v_mov_b32_e32 v94, v95
.LBB84_722:
	s_or_b64 exec, exec, s[0:1]
	s_load_dwordx8 s[0:7], s[4:5], 0x28
	v_cmp_gt_i32_e32 vcc, 43, v94
	v_ashrrev_i32_e32 v95, 31, v94
	s_waitcnt lgkmcnt(0)
	s_barrier
	s_barrier
	s_and_saveexec_b64 s[14:15], vcc
	s_cbranch_execz .LBB84_724
; %bb.723:
	v_mul_lo_u32 v92, v3, s4
	v_mul_lo_u32 v99, v2, s5
	v_mad_u64_u32 v[4:5], s[4:5], v2, s4, 0
	s_lshl_b64 s[2:3], s[2:3], 2
	v_add3_u32 v5, v5, v99, v92
	s_add_u32 s0, s2, s0
	v_lshlrev_b64 v[4:5], 2, v[4:5]
	s_addc_u32 s1, s3, s1
	v_mov_b32_e32 v92, s1
	v_add_co_u32_e32 v99, vcc, s0, v4
	v_addc_co_u32_e32 v92, vcc, v92, v5, vcc
	v_lshlrev_b64 v[4:5], 2, v[94:95]
	v_add_co_u32_e32 v4, vcc, v99, v4
	v_addc_co_u32_e32 v5, vcc, v92, v5, vcc
	v_add3_u32 v92, v93, s13, 1
	global_store_dword v[4:5], v92, off
.LBB84_724:
	s_or_b64 exec, exec, s[14:15]
	v_cmp_eq_u32_e32 vcc, 0, v94
	s_and_saveexec_b64 s[2:3], vcc
	s_cbranch_execz .LBB84_727
; %bb.725:
	v_lshlrev_b64 v[2:3], 2, v[2:3]
	v_mov_b32_e32 v4, s7
	v_add_co_u32_e32 v2, vcc, s6, v2
	v_addc_co_u32_e32 v3, vcc, v4, v3, vcc
	global_load_dword v4, v[2:3], off
	v_cmp_lt_i32_e64 s[0:1], 0, v98
	s_waitcnt vmcnt(0)
	v_cmp_eq_u32_e32 vcc, 0, v4
	s_and_b64 s[0:1], vcc, s[0:1]
	s_and_b64 exec, exec, s[0:1]
	s_cbranch_execz .LBB84_727
; %bb.726:
	v_add_u32_e32 v4, s13, v98
	global_store_dword v[2:3], v4, off
.LBB84_727:
	s_or_b64 exec, exec, s[2:3]
	v_mul_f64 v[2:3], v[90:91], v[88:89]
	v_cmp_lt_i32_e32 vcc, 42, v94
	v_lshlrev_b64 v[4:5], 3, v[94:95]
	v_cndmask_b32_e32 v3, v89, v3, vcc
	v_cndmask_b32_e32 v2, v88, v2, vcc
	v_add_co_u32_e32 v4, vcc, v96, v4
	v_addc_co_u32_e32 v5, vcc, v97, v5, vcc
	global_store_dwordx2 v[4:5], v[84:85], off
	v_mov_b32_e32 v84, s11
	v_add_co_u32_e32 v4, vcc, s10, v4
	v_addc_co_u32_e32 v5, vcc, v5, v84, vcc
	global_store_dwordx2 v[4:5], v[86:87], off
	v_add_u32_e32 v4, s12, v94
	v_ashrrev_i32_e32 v5, 31, v4
	v_lshlrev_b64 v[84:85], 3, v[4:5]
	v_add_co_u32_e32 v84, vcc, v96, v84
	v_add_u32_e32 v4, s8, v4
	v_addc_co_u32_e32 v85, vcc, v97, v85, vcc
	v_ashrrev_i32_e32 v5, 31, v4
	global_store_dwordx2 v[84:85], v[82:83], off
	v_lshlrev_b64 v[82:83], 3, v[4:5]
	v_add_co_u32_e32 v82, vcc, v96, v82
	v_add_u32_e32 v4, s8, v4
	v_addc_co_u32_e32 v83, vcc, v97, v83, vcc
	v_ashrrev_i32_e32 v5, 31, v4
	global_store_dwordx2 v[82:83], v[80:81], off
	;; [unrolled: 6-line block ×39, first 2 shown]
	v_lshlrev_b64 v[6:7], 3, v[4:5]
	v_add_co_u32_e32 v6, vcc, v96, v6
	v_addc_co_u32_e32 v7, vcc, v97, v7, vcc
	global_store_dwordx2 v[6:7], v[0:1], off
	v_add_u32_e32 v0, s8, v4
	v_ashrrev_i32_e32 v1, 31, v0
	v_lshlrev_b64 v[0:1], 3, v[0:1]
	v_add_co_u32_e32 v0, vcc, v96, v0
	v_addc_co_u32_e32 v1, vcc, v97, v1, vcc
	global_store_dwordx2 v[0:1], v[2:3], off
.LBB84_728:
	s_endpgm
	.section	.rodata,"a",@progbits
	.p2align	6, 0x0
	.amdhsa_kernel _ZN9rocsolver6v33100L18getf2_small_kernelILi43EdiiPKPdEEvT1_T3_lS5_lPS5_llPT2_S5_S5_S7_l
		.amdhsa_group_segment_fixed_size 0
		.amdhsa_private_segment_fixed_size 0
		.amdhsa_kernarg_size 352
		.amdhsa_user_sgpr_count 6
		.amdhsa_user_sgpr_private_segment_buffer 1
		.amdhsa_user_sgpr_dispatch_ptr 0
		.amdhsa_user_sgpr_queue_ptr 0
		.amdhsa_user_sgpr_kernarg_segment_ptr 1
		.amdhsa_user_sgpr_dispatch_id 0
		.amdhsa_user_sgpr_flat_scratch_init 0
		.amdhsa_user_sgpr_kernarg_preload_length 0
		.amdhsa_user_sgpr_kernarg_preload_offset 0
		.amdhsa_user_sgpr_private_segment_size 0
		.amdhsa_uses_dynamic_stack 0
		.amdhsa_system_sgpr_private_segment_wavefront_offset 0
		.amdhsa_system_sgpr_workgroup_id_x 1
		.amdhsa_system_sgpr_workgroup_id_y 1
		.amdhsa_system_sgpr_workgroup_id_z 0
		.amdhsa_system_sgpr_workgroup_info 0
		.amdhsa_system_vgpr_workitem_id 1
		.amdhsa_next_free_vgpr 150
		.amdhsa_next_free_sgpr 22
		.amdhsa_accum_offset 152
		.amdhsa_reserve_vcc 1
		.amdhsa_reserve_flat_scratch 0
		.amdhsa_float_round_mode_32 0
		.amdhsa_float_round_mode_16_64 0
		.amdhsa_float_denorm_mode_32 3
		.amdhsa_float_denorm_mode_16_64 3
		.amdhsa_dx10_clamp 1
		.amdhsa_ieee_mode 1
		.amdhsa_fp16_overflow 0
		.amdhsa_tg_split 0
		.amdhsa_exception_fp_ieee_invalid_op 0
		.amdhsa_exception_fp_denorm_src 0
		.amdhsa_exception_fp_ieee_div_zero 0
		.amdhsa_exception_fp_ieee_overflow 0
		.amdhsa_exception_fp_ieee_underflow 0
		.amdhsa_exception_fp_ieee_inexact 0
		.amdhsa_exception_int_div_zero 0
	.end_amdhsa_kernel
	.section	.text._ZN9rocsolver6v33100L18getf2_small_kernelILi43EdiiPKPdEEvT1_T3_lS5_lPS5_llPT2_S5_S5_S7_l,"axG",@progbits,_ZN9rocsolver6v33100L18getf2_small_kernelILi43EdiiPKPdEEvT1_T3_lS5_lPS5_llPT2_S5_S5_S7_l,comdat
.Lfunc_end84:
	.size	_ZN9rocsolver6v33100L18getf2_small_kernelILi43EdiiPKPdEEvT1_T3_lS5_lPS5_llPT2_S5_S5_S7_l, .Lfunc_end84-_ZN9rocsolver6v33100L18getf2_small_kernelILi43EdiiPKPdEEvT1_T3_lS5_lPS5_llPT2_S5_S5_S7_l
                                        ; -- End function
	.section	.AMDGPU.csdata,"",@progbits
; Kernel info:
; codeLenInByte = 38728
; NumSgprs: 26
; NumVgprs: 150
; NumAgprs: 0
; TotalNumVgprs: 150
; ScratchSize: 0
; MemoryBound: 0
; FloatMode: 240
; IeeeMode: 1
; LDSByteSize: 0 bytes/workgroup (compile time only)
; SGPRBlocks: 3
; VGPRBlocks: 18
; NumSGPRsForWavesPerEU: 26
; NumVGPRsForWavesPerEU: 150
; AccumOffset: 152
; Occupancy: 3
; WaveLimiterHint : 1
; COMPUTE_PGM_RSRC2:SCRATCH_EN: 0
; COMPUTE_PGM_RSRC2:USER_SGPR: 6
; COMPUTE_PGM_RSRC2:TRAP_HANDLER: 0
; COMPUTE_PGM_RSRC2:TGID_X_EN: 1
; COMPUTE_PGM_RSRC2:TGID_Y_EN: 1
; COMPUTE_PGM_RSRC2:TGID_Z_EN: 0
; COMPUTE_PGM_RSRC2:TIDIG_COMP_CNT: 1
; COMPUTE_PGM_RSRC3_GFX90A:ACCUM_OFFSET: 37
; COMPUTE_PGM_RSRC3_GFX90A:TG_SPLIT: 0
	.section	.text._ZN9rocsolver6v33100L23getf2_npvt_small_kernelILi43EdiiPKPdEEvT1_T3_lS5_lPT2_S5_S5_,"axG",@progbits,_ZN9rocsolver6v33100L23getf2_npvt_small_kernelILi43EdiiPKPdEEvT1_T3_lS5_lPT2_S5_S5_,comdat
	.globl	_ZN9rocsolver6v33100L23getf2_npvt_small_kernelILi43EdiiPKPdEEvT1_T3_lS5_lPT2_S5_S5_ ; -- Begin function _ZN9rocsolver6v33100L23getf2_npvt_small_kernelILi43EdiiPKPdEEvT1_T3_lS5_lPT2_S5_S5_
	.p2align	8
	.type	_ZN9rocsolver6v33100L23getf2_npvt_small_kernelILi43EdiiPKPdEEvT1_T3_lS5_lPT2_S5_S5_,@function
_ZN9rocsolver6v33100L23getf2_npvt_small_kernelILi43EdiiPKPdEEvT1_T3_lS5_lPT2_S5_S5_: ; @_ZN9rocsolver6v33100L23getf2_npvt_small_kernelILi43EdiiPKPdEEvT1_T3_lS5_lPT2_S5_S5_
; %bb.0:
	s_mov_b64 s[18:19], s[2:3]
	s_mov_b64 s[16:17], s[0:1]
	s_add_u32 s16, s16, s8
	s_load_dword s0, s[4:5], 0x44
	s_load_dwordx2 s[8:9], s[4:5], 0x30
	s_addc_u32 s17, s17, 0
	v_bfe_u32 v174, v0, 10, 10
	s_waitcnt lgkmcnt(0)
	s_lshr_b32 s6, s0, 16
	s_mul_i32 s7, s7, s6
	v_add_u32_e32 v2, s7, v174
	v_cmp_gt_i32_e32 vcc, s8, v2
	s_and_saveexec_b64 s[0:1], vcc
	s_cbranch_execz .LBB85_218
; %bb.1:
	s_load_dwordx4 s[12:15], s[4:5], 0x8
	s_load_dword s0, s[4:5], 0x18
	v_ashrrev_i32_e32 v3, 31, v2
	v_lshlrev_b64 v[4:5], 3, v[2:3]
	v_and_b32_e32 v178, 0x3ff, v0
	s_waitcnt lgkmcnt(0)
	v_mov_b32_e32 v1, s13
	v_add_co_u32_e32 v4, vcc, s12, v4
	v_addc_co_u32_e32 v5, vcc, v1, v5, vcc
	global_load_dwordx2 v[4:5], v[4:5], off
	s_add_i32 s1, s0, s0
	s_lshl_b64 s[2:3], s[14:15], 3
	v_add_u32_e32 v0, s1, v178
	v_mov_b32_e32 v25, s3
	v_ashrrev_i32_e32 v1, 31, v0
	v_add_u32_e32 v6, s0, v0
	v_lshlrev_b64 v[0:1], 3, v[0:1]
	v_ashrrev_i32_e32 v7, 31, v6
	v_add_u32_e32 v8, s0, v6
	v_lshlrev_b64 v[6:7], 3, v[6:7]
	;; [unrolled: 3-line block ×10, first 2 shown]
	v_add_u32_e32 v26, s0, v24
	v_ashrrev_i32_e32 v27, 31, v26
	v_add_u32_e32 v28, s0, v26
	v_ashrrev_i32_e32 v29, 31, v28
	v_add_u32_e32 v30, s0, v28
	v_ashrrev_i32_e32 v31, 31, v30
	v_add_u32_e32 v32, s0, v30
	v_ashrrev_i32_e32 v33, 31, v32
	v_add_u32_e32 v34, s0, v32
	v_ashrrev_i32_e32 v35, 31, v34
	v_add_u32_e32 v36, s0, v34
	v_ashrrev_i32_e32 v37, 31, v36
	v_add_u32_e32 v38, s0, v36
	v_ashrrev_i32_e32 v39, 31, v38
	v_add_u32_e32 v40, s0, v38
	v_ashrrev_i32_e32 v41, 31, v40
	v_add_u32_e32 v42, s0, v40
	v_ashrrev_i32_e32 v43, 31, v42
	v_add_u32_e32 v44, s0, v42
	v_ashrrev_i32_e32 v45, 31, v44
	v_add_u32_e32 v46, s0, v44
	v_ashrrev_i32_e32 v47, 31, v46
	v_add_u32_e32 v48, s0, v46
	v_ashrrev_i32_e32 v49, 31, v48
	v_add_u32_e32 v50, s0, v48
	v_ashrrev_i32_e32 v51, 31, v50
	v_add_u32_e32 v52, s0, v50
	v_ashrrev_i32_e32 v53, 31, v52
	v_add_u32_e32 v54, s0, v52
	v_ashrrev_i32_e32 v55, 31, v54
	v_add_u32_e32 v56, s0, v54
	v_ashrrev_i32_e32 v57, 31, v56
	v_add_u32_e32 v58, s0, v56
	v_ashrrev_i32_e32 v59, 31, v58
	v_add_u32_e32 v60, s0, v58
	v_ashrrev_i32_e32 v61, 31, v60
	v_add_u32_e32 v62, s0, v60
	v_ashrrev_i32_e32 v63, 31, v62
	v_add_u32_e32 v64, s0, v62
	v_ashrrev_i32_e32 v65, 31, v64
	v_add_u32_e32 v66, s0, v64
	v_ashrrev_i32_e32 v67, 31, v66
	v_add_u32_e32 v68, s0, v66
	v_ashrrev_i32_e32 v69, 31, v68
	v_add_u32_e32 v70, s0, v68
	s_waitcnt vmcnt(0)
	v_add_co_u32_e32 v84, vcc, s2, v4
	v_addc_co_u32_e32 v85, vcc, v5, v25, vcc
	v_add_co_u32_e32 v0, vcc, v84, v0
	v_addc_co_u32_e32 v1, vcc, v85, v1, vcc
	;; [unrolled: 2-line block ×10, first 2 shown]
	v_add_co_u32_e32 v20, vcc, v84, v22
	v_ashrrev_i32_e32 v25, 31, v24
	v_addc_co_u32_e32 v21, vcc, v85, v23, vcc
	v_lshlrev_b64 v[22:23], 3, v[24:25]
	v_add_co_u32_e32 v22, vcc, v84, v22
	v_addc_co_u32_e32 v23, vcc, v85, v23, vcc
	v_lshlrev_b64 v[24:25], 3, v[26:27]
	v_add_co_u32_e32 v24, vcc, v84, v24
	;; [unrolled: 3-line block ×23, first 2 shown]
	v_ashrrev_i32_e32 v71, 31, v70
	v_addc_co_u32_e32 v67, vcc, v85, v67, vcc
	v_lshlrev_b64 v[68:69], 3, v[70:71]
	v_add_u32_e32 v72, s0, v70
	v_add_co_u32_e32 v68, vcc, v84, v68
	v_ashrrev_i32_e32 v73, 31, v72
	v_addc_co_u32_e32 v69, vcc, v85, v69, vcc
	v_lshlrev_b64 v[70:71], 3, v[72:73]
	v_add_u32_e32 v74, s0, v72
	v_add_co_u32_e32 v70, vcc, v84, v70
	;; [unrolled: 5-line block ×7, first 2 shown]
	v_ashrrev_i32_e32 v83, 31, v82
	v_addc_co_u32_e32 v81, vcc, v85, v81, vcc
	v_lshlrev_b64 v[82:83], 3, v[82:83]
	v_add_co_u32_e32 v82, vcc, v84, v82
	v_addc_co_u32_e32 v83, vcc, v85, v83, vcc
	v_lshlrev_b32_e32 v86, 3, v178
	v_add_co_u32_e32 v84, vcc, v84, v86
	s_ashr_i32 s1, s0, 31
	v_addc_co_u32_e32 v85, vcc, 0, v85, vcc
	s_lshl_b64 s[0:1], s[0:1], 3
	v_mov_b32_e32 v87, s1
	v_add_co_u32_e32 v86, vcc, s0, v84
	v_addc_co_u32_e32 v87, vcc, v85, v87, vcc
	global_load_dwordx2 v[88:89], v[84:85], off
	global_load_dwordx2 v[130:131], v[86:87], off
	s_nop 0
	buffer_store_dword v0, off, s[16:19], 0 offset:16 ; 4-byte Folded Spill
	s_nop 0
	buffer_store_dword v1, off, s[16:19], 0 offset:20 ; 4-byte Folded Spill
	global_load_dwordx2 v[170:171], v[0:1], off
	global_load_dwordx2 v[128:129], v[4:5], off
	;; [unrolled: 1-line block ×41, first 2 shown]
	s_mulk_i32 s6, 0x158
	s_movk_i32 s0, 0x158
	s_add_i32 s1, s6, 0
	v_mad_u32_u24 v177, v174, s0, 0
	v_lshl_add_u32 v176, v174, 3, s1
	v_cmp_ne_u32_e64 s[2:3], 0, v178
	v_cmp_eq_u32_e64 s[0:1], 0, v178
	s_and_saveexec_b64 s[6:7], s[0:1]
	s_cbranch_execz .LBB85_4
; %bb.2:
	s_waitcnt vmcnt(44)
	ds_write_b64 v176, v[88:89]
	s_waitcnt vmcnt(40)
	ds_write2_b64 v177, v[130:131], v[170:171] offset0:1 offset1:2
	s_waitcnt vmcnt(38)
	ds_write2_b64 v177, v[128:129], v[168:169] offset0:3 offset1:4
	;; [unrolled: 2-line block ×21, first 2 shown]
	ds_read_b64 v[174:175], v176
	s_waitcnt lgkmcnt(0)
	v_cmp_neq_f64_e32 vcc, 0, v[174:175]
	s_and_b64 exec, exec, vcc
	s_cbranch_execz .LBB85_4
; %bb.3:
	v_div_scale_f64 v[180:181], s[10:11], v[174:175], v[174:175], 1.0
	v_rcp_f64_e32 v[182:183], v[180:181]
	v_div_scale_f64 v[184:185], vcc, 1.0, v[174:175], 1.0
	v_fma_f64 v[186:187], -v[180:181], v[182:183], 1.0
	v_fmac_f64_e32 v[182:183], v[182:183], v[186:187]
	v_fma_f64 v[186:187], -v[180:181], v[182:183], 1.0
	v_fmac_f64_e32 v[182:183], v[182:183], v[186:187]
	v_mul_f64 v[186:187], v[184:185], v[182:183]
	v_fma_f64 v[180:181], -v[180:181], v[186:187], v[184:185]
	v_div_fmas_f64 v[180:181], v[180:181], v[182:183], v[186:187]
	v_div_fixup_f64 v[174:175], v[180:181], v[174:175], 1.0
	ds_write_b64 v176, v[174:175]
.LBB85_4:
	s_or_b64 exec, exec, s[6:7]
	s_waitcnt lgkmcnt(0)
	s_barrier
	ds_read_b64 v[174:175], v176
	s_and_saveexec_b64 s[6:7], s[2:3]
	s_cbranch_execz .LBB85_6
; %bb.5:
	ds_read2_b64 v[180:183], v177 offset0:1 offset1:2
	ds_read2_b64 v[184:187], v177 offset0:3 offset1:4
	;; [unrolled: 1-line block ×3, first 2 shown]
	s_waitcnt vmcnt(44) lgkmcnt(3)
	v_mul_f64 v[88:89], v[174:175], v[88:89]
	s_waitcnt vmcnt(43) lgkmcnt(2)
	v_fma_f64 v[130:131], -v[88:89], v[180:181], v[130:131]
	s_waitcnt vmcnt(40)
	v_fma_f64 v[170:171], -v[88:89], v[182:183], v[170:171]
	ds_read2_b64 v[180:183], v177 offset0:7 offset1:8
	s_waitcnt vmcnt(39) lgkmcnt(2)
	v_fma_f64 v[128:129], -v[88:89], v[184:185], v[128:129]
	s_waitcnt vmcnt(38)
	v_fma_f64 v[168:169], -v[88:89], v[186:187], v[168:169]
	s_waitcnt vmcnt(37) lgkmcnt(1)
	v_fma_f64 v[126:127], -v[88:89], v[188:189], v[126:127]
	ds_read2_b64 v[184:187], v177 offset0:9 offset1:10
	s_waitcnt vmcnt(36)
	v_fma_f64 v[166:167], -v[88:89], v[190:191], v[166:167]
	ds_read2_b64 v[188:191], v177 offset0:11 offset1:12
	s_waitcnt vmcnt(35) lgkmcnt(2)
	v_fma_f64 v[124:125], -v[88:89], v[180:181], v[124:125]
	s_waitcnt vmcnt(34)
	v_fma_f64 v[164:165], -v[88:89], v[182:183], v[164:165]
	s_waitcnt vmcnt(33) lgkmcnt(1)
	v_fma_f64 v[122:123], -v[88:89], v[184:185], v[122:123]
	ds_read2_b64 v[180:183], v177 offset0:13 offset1:14
	s_waitcnt vmcnt(32)
	v_fma_f64 v[162:163], -v[88:89], v[186:187], v[162:163]
	ds_read2_b64 v[184:187], v177 offset0:15 offset1:16
	s_waitcnt vmcnt(31) lgkmcnt(2)
	v_fma_f64 v[120:121], -v[88:89], v[188:189], v[120:121]
	s_waitcnt vmcnt(30)
	v_fma_f64 v[160:161], -v[88:89], v[190:191], v[160:161]
	ds_read2_b64 v[188:191], v177 offset0:17 offset1:18
	s_waitcnt vmcnt(29) lgkmcnt(2)
	v_fma_f64 v[118:119], -v[88:89], v[180:181], v[118:119]
	;; [unrolled: 5-line block ×3, first 2 shown]
	s_waitcnt vmcnt(26)
	v_fma_f64 v[156:157], -v[88:89], v[186:187], v[156:157]
	s_waitcnt vmcnt(25) lgkmcnt(1)
	v_fma_f64 v[114:115], -v[88:89], v[188:189], v[114:115]
	ds_read2_b64 v[184:187], v177 offset0:21 offset1:22
	s_waitcnt vmcnt(24)
	v_fma_f64 v[154:155], -v[88:89], v[190:191], v[154:155]
	ds_read2_b64 v[188:191], v177 offset0:23 offset1:24
	s_waitcnt vmcnt(23) lgkmcnt(2)
	v_fma_f64 v[112:113], -v[88:89], v[180:181], v[112:113]
	s_waitcnt vmcnt(22)
	v_fma_f64 v[152:153], -v[88:89], v[182:183], v[152:153]
	s_waitcnt vmcnt(21) lgkmcnt(1)
	v_fma_f64 v[110:111], -v[88:89], v[184:185], v[110:111]
	ds_read2_b64 v[180:183], v177 offset0:25 offset1:26
	s_waitcnt vmcnt(20)
	v_fma_f64 v[150:151], -v[88:89], v[186:187], v[150:151]
	ds_read2_b64 v[184:187], v177 offset0:27 offset1:28
	s_waitcnt vmcnt(19) lgkmcnt(2)
	v_fma_f64 v[108:109], -v[88:89], v[188:189], v[108:109]
	s_waitcnt vmcnt(18)
	v_fma_f64 v[148:149], -v[88:89], v[190:191], v[148:149]
	ds_read2_b64 v[188:191], v177 offset0:29 offset1:30
	s_waitcnt vmcnt(17) lgkmcnt(2)
	v_fma_f64 v[106:107], -v[88:89], v[180:181], v[106:107]
	;; [unrolled: 5-line block ×3, first 2 shown]
	s_waitcnt vmcnt(14)
	v_fma_f64 v[144:145], -v[88:89], v[186:187], v[144:145]
	s_waitcnt vmcnt(13) lgkmcnt(1)
	v_fma_f64 v[102:103], -v[88:89], v[188:189], v[102:103]
	ds_read2_b64 v[184:187], v177 offset0:33 offset1:34
	s_waitcnt vmcnt(12)
	v_fma_f64 v[142:143], -v[88:89], v[190:191], v[142:143]
	ds_read2_b64 v[188:191], v177 offset0:35 offset1:36
	s_waitcnt vmcnt(11) lgkmcnt(2)
	v_fma_f64 v[100:101], -v[88:89], v[180:181], v[100:101]
	s_waitcnt vmcnt(10)
	v_fma_f64 v[140:141], -v[88:89], v[182:183], v[140:141]
	s_waitcnt vmcnt(9) lgkmcnt(1)
	v_fma_f64 v[98:99], -v[88:89], v[184:185], v[98:99]
	s_waitcnt vmcnt(8)
	v_fma_f64 v[138:139], -v[88:89], v[186:187], v[138:139]
	ds_read2_b64 v[180:183], v177 offset0:37 offset1:38
	ds_read2_b64 v[184:187], v177 offset0:39 offset1:40
	s_waitcnt vmcnt(7) lgkmcnt(2)
	v_fma_f64 v[96:97], -v[88:89], v[188:189], v[96:97]
	s_waitcnt vmcnt(6)
	v_fma_f64 v[136:137], -v[88:89], v[190:191], v[136:137]
	ds_read2_b64 v[188:191], v177 offset0:41 offset1:42
	s_waitcnt vmcnt(5) lgkmcnt(2)
	v_fma_f64 v[94:95], -v[88:89], v[180:181], v[94:95]
	s_waitcnt vmcnt(4)
	v_fma_f64 v[134:135], -v[88:89], v[182:183], v[134:135]
	s_waitcnt vmcnt(3) lgkmcnt(1)
	v_fma_f64 v[92:93], -v[88:89], v[184:185], v[92:93]
	s_waitcnt vmcnt(2)
	v_fma_f64 v[132:133], -v[88:89], v[186:187], v[132:133]
	;; [unrolled: 4-line block ×3, first 2 shown]
.LBB85_6:
	s_or_b64 exec, exec, s[6:7]
	v_cmp_eq_u32_e32 vcc, 1, v178
	s_waitcnt lgkmcnt(0)
	buffer_store_dword v174, off, s[16:19], 0 offset:24 ; 4-byte Folded Spill
	s_nop 0
	buffer_store_dword v175, off, s[16:19], 0 offset:28 ; 4-byte Folded Spill
	s_barrier
	s_and_saveexec_b64 s[2:3], vcc
	s_cbranch_execz .LBB85_9
; %bb.7:
	s_waitcnt vmcnt(42)
	v_mov_b32_e32 v174, v170
	v_mov_b32_e32 v175, v171
	s_waitcnt vmcnt(41)
	v_mov_b32_e32 v180, v128
	v_mov_b32_e32 v181, v129
	ds_write_b64 v176, v[130:131]
	ds_write2_b64 v177, v[174:175], v[180:181] offset0:2 offset1:3
	s_waitcnt vmcnt(40)
	v_mov_b32_e32 v174, v168
	v_mov_b32_e32 v175, v169
	s_waitcnt vmcnt(39)
	v_mov_b32_e32 v180, v126
	v_mov_b32_e32 v181, v127
	ds_write2_b64 v177, v[174:175], v[180:181] offset0:4 offset1:5
	s_waitcnt vmcnt(38)
	v_mov_b32_e32 v174, v166
	v_mov_b32_e32 v175, v167
	s_waitcnt vmcnt(37)
	v_mov_b32_e32 v180, v124
	v_mov_b32_e32 v181, v125
	;; [unrolled: 7-line block ×19, first 2 shown]
	ds_write2_b64 v177, v[174:175], v[180:181] offset0:40 offset1:41
	s_waitcnt vmcnt(2)
	ds_write_b64 v177, v[172:173] offset:336
	ds_read_b64 v[174:175], v176
	s_waitcnt lgkmcnt(0)
	v_cmp_neq_f64_e32 vcc, 0, v[174:175]
	s_and_b64 exec, exec, vcc
	s_cbranch_execz .LBB85_9
; %bb.8:
	v_div_scale_f64 v[180:181], s[6:7], v[174:175], v[174:175], 1.0
	v_rcp_f64_e32 v[182:183], v[180:181]
	v_div_scale_f64 v[184:185], vcc, 1.0, v[174:175], 1.0
	v_fma_f64 v[186:187], -v[180:181], v[182:183], 1.0
	v_fmac_f64_e32 v[182:183], v[182:183], v[186:187]
	v_fma_f64 v[186:187], -v[180:181], v[182:183], 1.0
	v_fmac_f64_e32 v[182:183], v[182:183], v[186:187]
	v_mul_f64 v[186:187], v[184:185], v[182:183]
	v_fma_f64 v[180:181], -v[180:181], v[186:187], v[184:185]
	v_div_fmas_f64 v[180:181], v[180:181], v[182:183], v[186:187]
	v_div_fixup_f64 v[174:175], v[180:181], v[174:175], 1.0
	ds_write_b64 v176, v[174:175]
.LBB85_9:
	s_or_b64 exec, exec, s[2:3]
	s_waitcnt lgkmcnt(0)
	s_barrier
	ds_read_b64 v[174:175], v176
	v_cmp_lt_u32_e32 vcc, 1, v178
	s_waitcnt lgkmcnt(0)
	buffer_store_dword v174, off, s[16:19], 0 ; 4-byte Folded Spill
	s_nop 0
	buffer_store_dword v175, off, s[16:19], 0 offset:4 ; 4-byte Folded Spill
	s_and_saveexec_b64 s[2:3], vcc
	s_cbranch_execz .LBB85_11
; %bb.10:
	ds_read2_b64 v[180:183], v177 offset0:2 offset1:3
	ds_read2_b64 v[184:187], v177 offset0:4 offset1:5
	buffer_load_dword v174, off, s[16:19], 0 ; 4-byte Folded Reload
	buffer_load_dword v175, off, s[16:19], 0 offset:4 ; 4-byte Folded Reload
	ds_read2_b64 v[188:191], v177 offset0:6 offset1:7
	s_waitcnt vmcnt(0)
	v_mul_f64 v[130:131], v[174:175], v[130:131]
	s_waitcnt lgkmcnt(2)
	v_fma_f64 v[170:171], -v[130:131], v[180:181], v[170:171]
	v_fma_f64 v[128:129], -v[130:131], v[182:183], v[128:129]
	ds_read2_b64 v[180:183], v177 offset0:8 offset1:9
	s_waitcnt lgkmcnt(2)
	v_fma_f64 v[168:169], -v[130:131], v[184:185], v[168:169]
	v_fma_f64 v[126:127], -v[130:131], v[186:187], v[126:127]
	ds_read2_b64 v[184:187], v177 offset0:10 offset1:11
	s_waitcnt lgkmcnt(2)
	v_fma_f64 v[166:167], -v[130:131], v[188:189], v[166:167]
	v_fma_f64 v[124:125], -v[130:131], v[190:191], v[124:125]
	ds_read2_b64 v[188:191], v177 offset0:12 offset1:13
	s_waitcnt lgkmcnt(2)
	v_fma_f64 v[164:165], -v[130:131], v[180:181], v[164:165]
	v_fma_f64 v[122:123], -v[130:131], v[182:183], v[122:123]
	s_waitcnt lgkmcnt(1)
	v_fma_f64 v[162:163], -v[130:131], v[184:185], v[162:163]
	ds_read2_b64 v[180:183], v177 offset0:14 offset1:15
	v_fma_f64 v[120:121], -v[130:131], v[186:187], v[120:121]
	ds_read2_b64 v[184:187], v177 offset0:16 offset1:17
	s_waitcnt lgkmcnt(2)
	v_fma_f64 v[160:161], -v[130:131], v[188:189], v[160:161]
	v_fma_f64 v[118:119], -v[130:131], v[190:191], v[118:119]
	s_waitcnt lgkmcnt(1)
	v_fma_f64 v[158:159], -v[130:131], v[180:181], v[158:159]
	ds_read2_b64 v[188:191], v177 offset0:18 offset1:19
	v_fma_f64 v[116:117], -v[130:131], v[182:183], v[116:117]
	ds_read2_b64 v[180:183], v177 offset0:20 offset1:21
	s_waitcnt lgkmcnt(2)
	v_fma_f64 v[156:157], -v[130:131], v[184:185], v[156:157]
	v_fma_f64 v[114:115], -v[130:131], v[186:187], v[114:115]
	ds_read2_b64 v[184:187], v177 offset0:22 offset1:23
	s_waitcnt lgkmcnt(2)
	v_fma_f64 v[154:155], -v[130:131], v[188:189], v[154:155]
	;; [unrolled: 4-line block ×3, first 2 shown]
	v_fma_f64 v[110:111], -v[130:131], v[182:183], v[110:111]
	s_waitcnt lgkmcnt(1)
	v_fma_f64 v[150:151], -v[130:131], v[184:185], v[150:151]
	ds_read2_b64 v[180:183], v177 offset0:26 offset1:27
	v_fma_f64 v[108:109], -v[130:131], v[186:187], v[108:109]
	ds_read2_b64 v[184:187], v177 offset0:28 offset1:29
	s_waitcnt lgkmcnt(2)
	v_fma_f64 v[148:149], -v[130:131], v[188:189], v[148:149]
	v_fma_f64 v[106:107], -v[130:131], v[190:191], v[106:107]
	s_waitcnt lgkmcnt(1)
	v_fma_f64 v[146:147], -v[130:131], v[180:181], v[146:147]
	ds_read2_b64 v[188:191], v177 offset0:30 offset1:31
	v_fma_f64 v[104:105], -v[130:131], v[182:183], v[104:105]
	ds_read2_b64 v[180:183], v177 offset0:32 offset1:33
	s_waitcnt lgkmcnt(2)
	v_fma_f64 v[144:145], -v[130:131], v[184:185], v[144:145]
	v_fma_f64 v[102:103], -v[130:131], v[186:187], v[102:103]
	ds_read2_b64 v[184:187], v177 offset0:34 offset1:35
	s_waitcnt lgkmcnt(2)
	v_fma_f64 v[142:143], -v[130:131], v[188:189], v[142:143]
	;; [unrolled: 4-line block ×3, first 2 shown]
	v_fma_f64 v[98:99], -v[130:131], v[182:183], v[98:99]
	s_waitcnt lgkmcnt(1)
	v_fma_f64 v[138:139], -v[130:131], v[184:185], v[138:139]
	v_fma_f64 v[96:97], -v[130:131], v[186:187], v[96:97]
	ds_read2_b64 v[180:183], v177 offset0:38 offset1:39
	ds_read2_b64 v[184:187], v177 offset0:40 offset1:41
	ds_read_b64 v[174:175], v177 offset:336
	s_waitcnt lgkmcnt(3)
	v_fma_f64 v[136:137], -v[130:131], v[188:189], v[136:137]
	v_fma_f64 v[94:95], -v[130:131], v[190:191], v[94:95]
	s_waitcnt lgkmcnt(2)
	v_fma_f64 v[134:135], -v[130:131], v[180:181], v[134:135]
	v_fma_f64 v[92:93], -v[130:131], v[182:183], v[92:93]
	s_waitcnt lgkmcnt(1)
	v_fma_f64 v[132:133], -v[130:131], v[184:185], v[132:133]
	v_fma_f64 v[90:91], -v[130:131], v[186:187], v[90:91]
	s_waitcnt lgkmcnt(0)
	v_fma_f64 v[172:173], -v[130:131], v[174:175], v[172:173]
.LBB85_11:
	s_or_b64 exec, exec, s[2:3]
	v_cmp_eq_u32_e32 vcc, 2, v178
	s_barrier
	s_and_saveexec_b64 s[2:3], vcc
	s_cbranch_execz .LBB85_14
; %bb.12:
	s_waitcnt vmcnt(44)
	ds_write_b64 v176, v[170:171]
	s_waitcnt vmcnt(42)
	ds_write2_b64 v177, v[128:129], v[168:169] offset0:3 offset1:4
	s_waitcnt vmcnt(40)
	ds_write2_b64 v177, v[126:127], v[166:167] offset0:5 offset1:6
	;; [unrolled: 2-line block ×20, first 2 shown]
	ds_read_b64 v[174:175], v176
	s_waitcnt lgkmcnt(0)
	v_cmp_neq_f64_e32 vcc, 0, v[174:175]
	s_and_b64 exec, exec, vcc
	s_cbranch_execz .LBB85_14
; %bb.13:
	v_div_scale_f64 v[180:181], s[6:7], v[174:175], v[174:175], 1.0
	v_rcp_f64_e32 v[182:183], v[180:181]
	v_div_scale_f64 v[184:185], vcc, 1.0, v[174:175], 1.0
	v_fma_f64 v[186:187], -v[180:181], v[182:183], 1.0
	v_fmac_f64_e32 v[182:183], v[182:183], v[186:187]
	v_fma_f64 v[186:187], -v[180:181], v[182:183], 1.0
	v_fmac_f64_e32 v[182:183], v[182:183], v[186:187]
	v_mul_f64 v[186:187], v[184:185], v[182:183]
	v_fma_f64 v[180:181], -v[180:181], v[186:187], v[184:185]
	v_div_fmas_f64 v[180:181], v[180:181], v[182:183], v[186:187]
	v_div_fixup_f64 v[174:175], v[180:181], v[174:175], 1.0
	ds_write_b64 v176, v[174:175]
.LBB85_14:
	s_or_b64 exec, exec, s[2:3]
	s_waitcnt lgkmcnt(0)
	s_barrier
	ds_read_b64 v[174:175], v176
	v_cmp_lt_u32_e32 vcc, 2, v178
	s_and_saveexec_b64 s[2:3], vcc
	s_cbranch_execz .LBB85_16
; %bb.15:
	ds_read2_b64 v[180:183], v177 offset0:3 offset1:4
	ds_read2_b64 v[184:187], v177 offset0:5 offset1:6
	s_waitcnt vmcnt(44) lgkmcnt(2)
	v_mul_f64 v[170:171], v[174:175], v[170:171]
	ds_read2_b64 v[188:191], v177 offset0:7 offset1:8
	s_waitcnt vmcnt(43) lgkmcnt(2)
	v_fma_f64 v[128:129], -v[170:171], v[180:181], v[128:129]
	s_waitcnt vmcnt(42)
	v_fma_f64 v[168:169], -v[170:171], v[182:183], v[168:169]
	ds_read2_b64 v[180:183], v177 offset0:9 offset1:10
	s_waitcnt vmcnt(41) lgkmcnt(2)
	v_fma_f64 v[126:127], -v[170:171], v[184:185], v[126:127]
	s_waitcnt vmcnt(40)
	v_fma_f64 v[166:167], -v[170:171], v[186:187], v[166:167]
	;; [unrolled: 5-line block ×4, first 2 shown]
	s_waitcnt vmcnt(35) lgkmcnt(1)
	v_fma_f64 v[120:121], -v[170:171], v[184:185], v[120:121]
	ds_read2_b64 v[180:183], v177 offset0:15 offset1:16
	s_waitcnt vmcnt(34)
	v_fma_f64 v[160:161], -v[170:171], v[186:187], v[160:161]
	ds_read2_b64 v[184:187], v177 offset0:17 offset1:18
	s_waitcnt vmcnt(33) lgkmcnt(2)
	v_fma_f64 v[118:119], -v[170:171], v[188:189], v[118:119]
	s_waitcnt vmcnt(32)
	v_fma_f64 v[158:159], -v[170:171], v[190:191], v[158:159]
	s_waitcnt vmcnt(31) lgkmcnt(1)
	v_fma_f64 v[116:117], -v[170:171], v[180:181], v[116:117]
	ds_read2_b64 v[188:191], v177 offset0:19 offset1:20
	s_waitcnt vmcnt(30)
	v_fma_f64 v[156:157], -v[170:171], v[182:183], v[156:157]
	ds_read2_b64 v[180:183], v177 offset0:21 offset1:22
	s_waitcnt vmcnt(29) lgkmcnt(2)
	v_fma_f64 v[114:115], -v[170:171], v[184:185], v[114:115]
	s_waitcnt vmcnt(28)
	v_fma_f64 v[154:155], -v[170:171], v[186:187], v[154:155]
	ds_read2_b64 v[184:187], v177 offset0:23 offset1:24
	s_waitcnt vmcnt(27) lgkmcnt(2)
	v_fma_f64 v[112:113], -v[170:171], v[188:189], v[112:113]
	;; [unrolled: 5-line block ×3, first 2 shown]
	s_waitcnt vmcnt(24)
	v_fma_f64 v[150:151], -v[170:171], v[182:183], v[150:151]
	s_waitcnt vmcnt(23) lgkmcnt(1)
	v_fma_f64 v[108:109], -v[170:171], v[184:185], v[108:109]
	ds_read2_b64 v[180:183], v177 offset0:27 offset1:28
	s_waitcnt vmcnt(22)
	v_fma_f64 v[148:149], -v[170:171], v[186:187], v[148:149]
	ds_read2_b64 v[184:187], v177 offset0:29 offset1:30
	s_waitcnt vmcnt(21) lgkmcnt(2)
	v_fma_f64 v[106:107], -v[170:171], v[188:189], v[106:107]
	s_waitcnt vmcnt(20)
	v_fma_f64 v[146:147], -v[170:171], v[190:191], v[146:147]
	s_waitcnt vmcnt(19) lgkmcnt(1)
	v_fma_f64 v[104:105], -v[170:171], v[180:181], v[104:105]
	ds_read2_b64 v[188:191], v177 offset0:31 offset1:32
	s_waitcnt vmcnt(18)
	v_fma_f64 v[144:145], -v[170:171], v[182:183], v[144:145]
	ds_read2_b64 v[180:183], v177 offset0:33 offset1:34
	s_waitcnt vmcnt(17) lgkmcnt(2)
	v_fma_f64 v[102:103], -v[170:171], v[184:185], v[102:103]
	s_waitcnt vmcnt(16)
	v_fma_f64 v[142:143], -v[170:171], v[186:187], v[142:143]
	ds_read2_b64 v[184:187], v177 offset0:35 offset1:36
	s_waitcnt vmcnt(15) lgkmcnt(2)
	v_fma_f64 v[100:101], -v[170:171], v[188:189], v[100:101]
	s_waitcnt vmcnt(14)
	v_fma_f64 v[140:141], -v[170:171], v[190:191], v[140:141]
	s_waitcnt vmcnt(13) lgkmcnt(1)
	v_fma_f64 v[98:99], -v[170:171], v[180:181], v[98:99]
	s_waitcnt vmcnt(12)
	v_fma_f64 v[138:139], -v[170:171], v[182:183], v[138:139]
	ds_read2_b64 v[180:183], v177 offset0:37 offset1:38
	s_waitcnt vmcnt(11) lgkmcnt(1)
	v_fma_f64 v[96:97], -v[170:171], v[184:185], v[96:97]
	ds_read2_b64 v[188:191], v177 offset0:39 offset1:40
	s_waitcnt vmcnt(10)
	v_fma_f64 v[136:137], -v[170:171], v[186:187], v[136:137]
	ds_read2_b64 v[184:187], v177 offset0:41 offset1:42
	s_waitcnt vmcnt(9) lgkmcnt(2)
	v_fma_f64 v[94:95], -v[170:171], v[180:181], v[94:95]
	s_waitcnt vmcnt(8)
	v_fma_f64 v[134:135], -v[170:171], v[182:183], v[134:135]
	s_waitcnt vmcnt(7) lgkmcnt(1)
	v_fma_f64 v[92:93], -v[170:171], v[188:189], v[92:93]
	s_waitcnt vmcnt(6)
	v_fma_f64 v[132:133], -v[170:171], v[190:191], v[132:133]
	;; [unrolled: 4-line block ×3, first 2 shown]
.LBB85_16:
	s_or_b64 exec, exec, s[2:3]
	v_cmp_eq_u32_e32 vcc, 3, v178
	s_waitcnt lgkmcnt(0)
	buffer_store_dword v174, off, s[16:19], 0 offset:32 ; 4-byte Folded Spill
	s_nop 0
	buffer_store_dword v175, off, s[16:19], 0 offset:36 ; 4-byte Folded Spill
	s_barrier
	s_and_saveexec_b64 s[2:3], vcc
	s_cbranch_execz .LBB85_19
; %bb.17:
	s_waitcnt vmcnt(44)
	v_mov_b32_e32 v174, v168
	v_mov_b32_e32 v175, v169
	s_waitcnt vmcnt(43)
	v_mov_b32_e32 v180, v126
	v_mov_b32_e32 v181, v127
	ds_write_b64 v176, v[128:129]
	ds_write2_b64 v177, v[174:175], v[180:181] offset0:4 offset1:5
	s_waitcnt vmcnt(42)
	v_mov_b32_e32 v174, v166
	v_mov_b32_e32 v175, v167
	s_waitcnt vmcnt(41)
	v_mov_b32_e32 v180, v124
	v_mov_b32_e32 v181, v125
	ds_write2_b64 v177, v[174:175], v[180:181] offset0:6 offset1:7
	s_waitcnt vmcnt(40)
	v_mov_b32_e32 v174, v164
	v_mov_b32_e32 v175, v165
	s_waitcnt vmcnt(39)
	v_mov_b32_e32 v180, v122
	v_mov_b32_e32 v181, v123
	ds_write2_b64 v177, v[174:175], v[180:181] offset0:8 offset1:9
	s_waitcnt vmcnt(38)
	v_mov_b32_e32 v174, v162
	v_mov_b32_e32 v175, v163
	s_waitcnt vmcnt(37)
	v_mov_b32_e32 v180, v120
	v_mov_b32_e32 v181, v121
	ds_write2_b64 v177, v[174:175], v[180:181] offset0:10 offset1:11
	s_waitcnt vmcnt(36)
	v_mov_b32_e32 v174, v160
	v_mov_b32_e32 v175, v161
	s_waitcnt vmcnt(35)
	v_mov_b32_e32 v180, v118
	v_mov_b32_e32 v181, v119
	ds_write2_b64 v177, v[174:175], v[180:181] offset0:12 offset1:13
	s_waitcnt vmcnt(34)
	v_mov_b32_e32 v174, v158
	v_mov_b32_e32 v175, v159
	s_waitcnt vmcnt(33)
	v_mov_b32_e32 v180, v116
	v_mov_b32_e32 v181, v117
	ds_write2_b64 v177, v[174:175], v[180:181] offset0:14 offset1:15
	s_waitcnt vmcnt(32)
	v_mov_b32_e32 v174, v156
	v_mov_b32_e32 v175, v157
	s_waitcnt vmcnt(31)
	v_mov_b32_e32 v180, v114
	v_mov_b32_e32 v181, v115
	ds_write2_b64 v177, v[174:175], v[180:181] offset0:16 offset1:17
	s_waitcnt vmcnt(30)
	v_mov_b32_e32 v174, v154
	v_mov_b32_e32 v175, v155
	s_waitcnt vmcnt(29)
	v_mov_b32_e32 v180, v112
	v_mov_b32_e32 v181, v113
	ds_write2_b64 v177, v[174:175], v[180:181] offset0:18 offset1:19
	s_waitcnt vmcnt(28)
	v_mov_b32_e32 v174, v152
	v_mov_b32_e32 v175, v153
	s_waitcnt vmcnt(27)
	v_mov_b32_e32 v180, v110
	v_mov_b32_e32 v181, v111
	ds_write2_b64 v177, v[174:175], v[180:181] offset0:20 offset1:21
	s_waitcnt vmcnt(26)
	v_mov_b32_e32 v174, v150
	v_mov_b32_e32 v175, v151
	s_waitcnt vmcnt(25)
	v_mov_b32_e32 v180, v108
	v_mov_b32_e32 v181, v109
	ds_write2_b64 v177, v[174:175], v[180:181] offset0:22 offset1:23
	s_waitcnt vmcnt(24)
	v_mov_b32_e32 v174, v148
	v_mov_b32_e32 v175, v149
	s_waitcnt vmcnt(23)
	v_mov_b32_e32 v180, v106
	v_mov_b32_e32 v181, v107
	ds_write2_b64 v177, v[174:175], v[180:181] offset0:24 offset1:25
	s_waitcnt vmcnt(22)
	v_mov_b32_e32 v174, v146
	v_mov_b32_e32 v175, v147
	s_waitcnt vmcnt(21)
	v_mov_b32_e32 v180, v104
	v_mov_b32_e32 v181, v105
	ds_write2_b64 v177, v[174:175], v[180:181] offset0:26 offset1:27
	s_waitcnt vmcnt(20)
	v_mov_b32_e32 v174, v144
	v_mov_b32_e32 v175, v145
	s_waitcnt vmcnt(19)
	v_mov_b32_e32 v180, v102
	v_mov_b32_e32 v181, v103
	ds_write2_b64 v177, v[174:175], v[180:181] offset0:28 offset1:29
	s_waitcnt vmcnt(18)
	v_mov_b32_e32 v174, v142
	v_mov_b32_e32 v175, v143
	s_waitcnt vmcnt(17)
	v_mov_b32_e32 v180, v100
	v_mov_b32_e32 v181, v101
	ds_write2_b64 v177, v[174:175], v[180:181] offset0:30 offset1:31
	s_waitcnt vmcnt(16)
	v_mov_b32_e32 v174, v140
	v_mov_b32_e32 v175, v141
	s_waitcnt vmcnt(15)
	v_mov_b32_e32 v180, v98
	v_mov_b32_e32 v181, v99
	ds_write2_b64 v177, v[174:175], v[180:181] offset0:32 offset1:33
	s_waitcnt vmcnt(14)
	v_mov_b32_e32 v174, v138
	v_mov_b32_e32 v175, v139
	s_waitcnt vmcnt(13)
	v_mov_b32_e32 v180, v96
	v_mov_b32_e32 v181, v97
	ds_write2_b64 v177, v[174:175], v[180:181] offset0:34 offset1:35
	s_waitcnt vmcnt(12)
	v_mov_b32_e32 v174, v136
	v_mov_b32_e32 v175, v137
	s_waitcnt vmcnt(11)
	v_mov_b32_e32 v180, v94
	v_mov_b32_e32 v181, v95
	ds_write2_b64 v177, v[174:175], v[180:181] offset0:36 offset1:37
	s_waitcnt vmcnt(10)
	v_mov_b32_e32 v174, v134
	v_mov_b32_e32 v175, v135
	s_waitcnt vmcnt(9)
	v_mov_b32_e32 v180, v92
	v_mov_b32_e32 v181, v93
	ds_write2_b64 v177, v[174:175], v[180:181] offset0:38 offset1:39
	s_waitcnt vmcnt(8)
	v_mov_b32_e32 v174, v132
	v_mov_b32_e32 v175, v133
	s_waitcnt vmcnt(7)
	v_mov_b32_e32 v180, v90
	v_mov_b32_e32 v181, v91
	ds_write2_b64 v177, v[174:175], v[180:181] offset0:40 offset1:41
	s_waitcnt vmcnt(6)
	ds_write_b64 v177, v[172:173] offset:336
	ds_read_b64 v[174:175], v176
	s_waitcnt lgkmcnt(0)
	v_cmp_neq_f64_e32 vcc, 0, v[174:175]
	s_and_b64 exec, exec, vcc
	s_cbranch_execz .LBB85_19
; %bb.18:
	v_div_scale_f64 v[180:181], s[6:7], v[174:175], v[174:175], 1.0
	v_rcp_f64_e32 v[182:183], v[180:181]
	v_div_scale_f64 v[184:185], vcc, 1.0, v[174:175], 1.0
	v_fma_f64 v[186:187], -v[180:181], v[182:183], 1.0
	v_fmac_f64_e32 v[182:183], v[182:183], v[186:187]
	v_fma_f64 v[186:187], -v[180:181], v[182:183], 1.0
	v_fmac_f64_e32 v[182:183], v[182:183], v[186:187]
	v_mul_f64 v[186:187], v[184:185], v[182:183]
	v_fma_f64 v[180:181], -v[180:181], v[186:187], v[184:185]
	v_div_fmas_f64 v[180:181], v[180:181], v[182:183], v[186:187]
	v_div_fixup_f64 v[174:175], v[180:181], v[174:175], 1.0
	ds_write_b64 v176, v[174:175]
.LBB85_19:
	s_or_b64 exec, exec, s[2:3]
	s_waitcnt lgkmcnt(0)
	s_barrier
	ds_read_b64 v[174:175], v176
	v_cmp_lt_u32_e32 vcc, 3, v178
	s_waitcnt lgkmcnt(0)
	buffer_store_dword v174, off, s[16:19], 0 offset:8 ; 4-byte Folded Spill
	s_nop 0
	buffer_store_dword v175, off, s[16:19], 0 offset:12 ; 4-byte Folded Spill
	s_and_saveexec_b64 s[2:3], vcc
	s_cbranch_execz .LBB85_21
; %bb.20:
	ds_read2_b64 v[182:185], v177 offset0:4 offset1:5
	ds_read2_b64 v[186:189], v177 offset0:6 offset1:7
	buffer_load_dword v174, off, s[16:19], 0 offset:8 ; 4-byte Folded Reload
	buffer_load_dword v175, off, s[16:19], 0 offset:12 ; 4-byte Folded Reload
	ds_read2_b64 v[190:193], v177 offset0:8 offset1:9
	s_waitcnt vmcnt(0)
	v_mul_f64 v[128:129], v[174:175], v[128:129]
	s_waitcnt lgkmcnt(2)
	v_fma_f64 v[168:169], -v[128:129], v[182:183], v[168:169]
	v_fma_f64 v[126:127], -v[128:129], v[184:185], v[126:127]
	ds_read2_b64 v[182:185], v177 offset0:10 offset1:11
	s_waitcnt lgkmcnt(2)
	v_fma_f64 v[166:167], -v[128:129], v[186:187], v[166:167]
	v_fma_f64 v[124:125], -v[128:129], v[188:189], v[124:125]
	s_waitcnt lgkmcnt(1)
	v_fma_f64 v[164:165], -v[128:129], v[190:191], v[164:165]
	ds_read2_b64 v[186:189], v177 offset0:12 offset1:13
	v_fma_f64 v[122:123], -v[128:129], v[192:193], v[122:123]
	ds_read2_b64 v[190:193], v177 offset0:14 offset1:15
	s_waitcnt lgkmcnt(2)
	v_fma_f64 v[162:163], -v[128:129], v[182:183], v[162:163]
	v_fma_f64 v[120:121], -v[128:129], v[184:185], v[120:121]
	ds_read2_b64 v[182:185], v177 offset0:16 offset1:17
	s_waitcnt lgkmcnt(2)
	v_fma_f64 v[160:161], -v[128:129], v[186:187], v[160:161]
	;; [unrolled: 4-line block ×3, first 2 shown]
	v_fma_f64 v[116:117], -v[128:129], v[192:193], v[116:117]
	s_waitcnt lgkmcnt(1)
	v_fma_f64 v[156:157], -v[128:129], v[182:183], v[156:157]
	ds_read2_b64 v[190:193], v177 offset0:20 offset1:21
	v_fma_f64 v[114:115], -v[128:129], v[184:185], v[114:115]
	ds_read2_b64 v[182:185], v177 offset0:22 offset1:23
	s_waitcnt lgkmcnt(2)
	v_fma_f64 v[154:155], -v[128:129], v[186:187], v[154:155]
	v_fma_f64 v[112:113], -v[128:129], v[188:189], v[112:113]
	s_waitcnt lgkmcnt(1)
	v_fma_f64 v[152:153], -v[128:129], v[190:191], v[152:153]
	ds_read2_b64 v[186:189], v177 offset0:24 offset1:25
	v_fma_f64 v[110:111], -v[128:129], v[192:193], v[110:111]
	ds_read2_b64 v[190:193], v177 offset0:26 offset1:27
	s_waitcnt lgkmcnt(2)
	v_fma_f64 v[150:151], -v[128:129], v[182:183], v[150:151]
	v_fma_f64 v[108:109], -v[128:129], v[184:185], v[108:109]
	ds_read2_b64 v[182:185], v177 offset0:28 offset1:29
	s_waitcnt lgkmcnt(2)
	v_fma_f64 v[148:149], -v[128:129], v[186:187], v[148:149]
	;; [unrolled: 4-line block ×3, first 2 shown]
	v_fma_f64 v[104:105], -v[128:129], v[192:193], v[104:105]
	s_waitcnt lgkmcnt(1)
	v_fma_f64 v[144:145], -v[128:129], v[182:183], v[144:145]
	ds_read2_b64 v[190:193], v177 offset0:32 offset1:33
	v_fma_f64 v[102:103], -v[128:129], v[184:185], v[102:103]
	ds_read2_b64 v[182:185], v177 offset0:34 offset1:35
	s_waitcnt lgkmcnt(2)
	v_fma_f64 v[142:143], -v[128:129], v[186:187], v[142:143]
	v_fma_f64 v[100:101], -v[128:129], v[188:189], v[100:101]
	s_waitcnt lgkmcnt(1)
	v_fma_f64 v[140:141], -v[128:129], v[190:191], v[140:141]
	ds_read2_b64 v[186:189], v177 offset0:36 offset1:37
	v_fma_f64 v[98:99], -v[128:129], v[192:193], v[98:99]
	s_waitcnt lgkmcnt(1)
	v_fma_f64 v[138:139], -v[128:129], v[182:183], v[138:139]
	v_fma_f64 v[96:97], -v[128:129], v[184:185], v[96:97]
	ds_read2_b64 v[182:185], v177 offset0:38 offset1:39
	ds_read2_b64 v[190:193], v177 offset0:40 offset1:41
	ds_read_b64 v[174:175], v177 offset:336
	s_waitcnt lgkmcnt(3)
	v_fma_f64 v[136:137], -v[128:129], v[186:187], v[136:137]
	v_fma_f64 v[94:95], -v[128:129], v[188:189], v[94:95]
	s_waitcnt lgkmcnt(2)
	v_fma_f64 v[134:135], -v[128:129], v[182:183], v[134:135]
	v_fma_f64 v[92:93], -v[128:129], v[184:185], v[92:93]
	s_waitcnt lgkmcnt(1)
	v_fma_f64 v[132:133], -v[128:129], v[190:191], v[132:133]
	v_fma_f64 v[90:91], -v[128:129], v[192:193], v[90:91]
	s_waitcnt lgkmcnt(0)
	v_fma_f64 v[172:173], -v[128:129], v[174:175], v[172:173]
.LBB85_21:
	s_or_b64 exec, exec, s[2:3]
	v_cmp_eq_u32_e32 vcc, 4, v178
	s_barrier
	s_and_saveexec_b64 s[2:3], vcc
	s_cbranch_execz .LBB85_24
; %bb.22:
	s_waitcnt vmcnt(46)
	ds_write_b64 v176, v[168:169]
	s_waitcnt vmcnt(44)
	ds_write2_b64 v177, v[126:127], v[166:167] offset0:5 offset1:6
	s_waitcnt vmcnt(42)
	ds_write2_b64 v177, v[124:125], v[164:165] offset0:7 offset1:8
	;; [unrolled: 2-line block ×19, first 2 shown]
	ds_read_b64 v[174:175], v176
	s_waitcnt lgkmcnt(0)
	v_cmp_neq_f64_e32 vcc, 0, v[174:175]
	s_and_b64 exec, exec, vcc
	s_cbranch_execz .LBB85_24
; %bb.23:
	v_div_scale_f64 v[180:181], s[6:7], v[174:175], v[174:175], 1.0
	v_rcp_f64_e32 v[182:183], v[180:181]
	v_div_scale_f64 v[184:185], vcc, 1.0, v[174:175], 1.0
	v_fma_f64 v[186:187], -v[180:181], v[182:183], 1.0
	v_fmac_f64_e32 v[182:183], v[182:183], v[186:187]
	v_fma_f64 v[186:187], -v[180:181], v[182:183], 1.0
	v_fmac_f64_e32 v[182:183], v[182:183], v[186:187]
	v_mul_f64 v[186:187], v[184:185], v[182:183]
	v_fma_f64 v[180:181], -v[180:181], v[186:187], v[184:185]
	v_div_fmas_f64 v[180:181], v[180:181], v[182:183], v[186:187]
	v_div_fixup_f64 v[174:175], v[180:181], v[174:175], 1.0
	ds_write_b64 v176, v[174:175]
.LBB85_24:
	s_or_b64 exec, exec, s[2:3]
	s_waitcnt lgkmcnt(0)
	s_barrier
	ds_read_b64 v[174:175], v176
	v_cmp_lt_u32_e32 vcc, 4, v178
	s_and_saveexec_b64 s[2:3], vcc
	s_cbranch_execz .LBB85_26
; %bb.25:
	ds_read2_b64 v[184:187], v177 offset0:5 offset1:6
	ds_read2_b64 v[188:191], v177 offset0:7 offset1:8
	s_waitcnt vmcnt(46) lgkmcnt(2)
	v_mul_f64 v[168:169], v[174:175], v[168:169]
	ds_read2_b64 v[192:195], v177 offset0:9 offset1:10
	s_waitcnt vmcnt(45) lgkmcnt(2)
	v_fma_f64 v[126:127], -v[168:169], v[184:185], v[126:127]
	s_waitcnt vmcnt(44)
	v_fma_f64 v[166:167], -v[168:169], v[186:187], v[166:167]
	ds_read2_b64 v[184:187], v177 offset0:11 offset1:12
	s_waitcnt vmcnt(43) lgkmcnt(2)
	v_fma_f64 v[124:125], -v[168:169], v[188:189], v[124:125]
	s_waitcnt vmcnt(42)
	v_fma_f64 v[164:165], -v[168:169], v[190:191], v[164:165]
	s_waitcnt vmcnt(41) lgkmcnt(1)
	v_fma_f64 v[122:123], -v[168:169], v[192:193], v[122:123]
	ds_read2_b64 v[188:191], v177 offset0:13 offset1:14
	s_waitcnt vmcnt(40)
	v_fma_f64 v[162:163], -v[168:169], v[194:195], v[162:163]
	ds_read2_b64 v[192:195], v177 offset0:15 offset1:16
	s_waitcnt vmcnt(39) lgkmcnt(2)
	v_fma_f64 v[120:121], -v[168:169], v[184:185], v[120:121]
	s_waitcnt vmcnt(38)
	v_fma_f64 v[160:161], -v[168:169], v[186:187], v[160:161]
	ds_read2_b64 v[184:187], v177 offset0:17 offset1:18
	s_waitcnt vmcnt(37) lgkmcnt(2)
	v_fma_f64 v[118:119], -v[168:169], v[188:189], v[118:119]
	;; [unrolled: 5-line block ×3, first 2 shown]
	s_waitcnt vmcnt(34)
	v_fma_f64 v[156:157], -v[168:169], v[194:195], v[156:157]
	s_waitcnt vmcnt(33) lgkmcnt(1)
	v_fma_f64 v[114:115], -v[168:169], v[184:185], v[114:115]
	ds_read2_b64 v[192:195], v177 offset0:21 offset1:22
	s_waitcnt vmcnt(32)
	v_fma_f64 v[154:155], -v[168:169], v[186:187], v[154:155]
	ds_read2_b64 v[184:187], v177 offset0:23 offset1:24
	s_waitcnt vmcnt(31) lgkmcnt(2)
	v_fma_f64 v[112:113], -v[168:169], v[188:189], v[112:113]
	s_waitcnt vmcnt(30)
	v_fma_f64 v[152:153], -v[168:169], v[190:191], v[152:153]
	s_waitcnt vmcnt(29) lgkmcnt(1)
	v_fma_f64 v[110:111], -v[168:169], v[192:193], v[110:111]
	ds_read2_b64 v[188:191], v177 offset0:25 offset1:26
	s_waitcnt vmcnt(28)
	v_fma_f64 v[150:151], -v[168:169], v[194:195], v[150:151]
	ds_read2_b64 v[192:195], v177 offset0:27 offset1:28
	s_waitcnt vmcnt(27) lgkmcnt(2)
	v_fma_f64 v[108:109], -v[168:169], v[184:185], v[108:109]
	s_waitcnt vmcnt(26)
	v_fma_f64 v[148:149], -v[168:169], v[186:187], v[148:149]
	ds_read2_b64 v[184:187], v177 offset0:29 offset1:30
	s_waitcnt vmcnt(25) lgkmcnt(2)
	v_fma_f64 v[106:107], -v[168:169], v[188:189], v[106:107]
	;; [unrolled: 5-line block ×3, first 2 shown]
	s_waitcnt vmcnt(22)
	v_fma_f64 v[144:145], -v[168:169], v[194:195], v[144:145]
	s_waitcnt vmcnt(21) lgkmcnt(1)
	v_fma_f64 v[102:103], -v[168:169], v[184:185], v[102:103]
	ds_read2_b64 v[192:195], v177 offset0:33 offset1:34
	s_waitcnt vmcnt(20)
	v_fma_f64 v[142:143], -v[168:169], v[186:187], v[142:143]
	ds_read2_b64 v[184:187], v177 offset0:35 offset1:36
	s_waitcnt vmcnt(19) lgkmcnt(2)
	v_fma_f64 v[100:101], -v[168:169], v[188:189], v[100:101]
	s_waitcnt vmcnt(18)
	v_fma_f64 v[140:141], -v[168:169], v[190:191], v[140:141]
	s_waitcnt vmcnt(17) lgkmcnt(1)
	v_fma_f64 v[98:99], -v[168:169], v[192:193], v[98:99]
	s_waitcnt vmcnt(16)
	v_fma_f64 v[138:139], -v[168:169], v[194:195], v[138:139]
	ds_read2_b64 v[188:191], v177 offset0:37 offset1:38
	ds_read2_b64 v[192:195], v177 offset0:39 offset1:40
	s_waitcnt vmcnt(15) lgkmcnt(2)
	v_fma_f64 v[96:97], -v[168:169], v[184:185], v[96:97]
	s_waitcnt vmcnt(14)
	v_fma_f64 v[136:137], -v[168:169], v[186:187], v[136:137]
	ds_read2_b64 v[184:187], v177 offset0:41 offset1:42
	s_waitcnt vmcnt(13) lgkmcnt(2)
	v_fma_f64 v[94:95], -v[168:169], v[188:189], v[94:95]
	s_waitcnt vmcnt(12)
	v_fma_f64 v[134:135], -v[168:169], v[190:191], v[134:135]
	s_waitcnt vmcnt(11) lgkmcnt(1)
	v_fma_f64 v[92:93], -v[168:169], v[192:193], v[92:93]
	s_waitcnt vmcnt(10)
	v_fma_f64 v[132:133], -v[168:169], v[194:195], v[132:133]
	;; [unrolled: 4-line block ×3, first 2 shown]
.LBB85_26:
	s_or_b64 exec, exec, s[2:3]
	v_cmp_eq_u32_e32 vcc, 5, v178
	s_waitcnt lgkmcnt(0)
	buffer_store_dword v174, off, s[16:19], 0 offset:40 ; 4-byte Folded Spill
	s_nop 0
	buffer_store_dword v175, off, s[16:19], 0 offset:44 ; 4-byte Folded Spill
	s_barrier
	s_and_saveexec_b64 s[2:3], vcc
	s_cbranch_execz .LBB85_29
; %bb.27:
	s_waitcnt vmcnt(46)
	v_mov_b32_e32 v174, v166
	v_mov_b32_e32 v175, v167
	s_waitcnt vmcnt(45)
	v_mov_b32_e32 v180, v124
	v_mov_b32_e32 v181, v125
	ds_write_b64 v176, v[126:127]
	ds_write2_b64 v177, v[174:175], v[180:181] offset0:6 offset1:7
	s_waitcnt vmcnt(44)
	v_mov_b32_e32 v174, v164
	v_mov_b32_e32 v175, v165
	s_waitcnt vmcnt(43)
	v_mov_b32_e32 v180, v122
	v_mov_b32_e32 v181, v123
	ds_write2_b64 v177, v[174:175], v[180:181] offset0:8 offset1:9
	s_waitcnt vmcnt(42)
	v_mov_b32_e32 v174, v162
	v_mov_b32_e32 v175, v163
	s_waitcnt vmcnt(41)
	v_mov_b32_e32 v180, v120
	v_mov_b32_e32 v181, v121
	;; [unrolled: 7-line block ×17, first 2 shown]
	ds_write2_b64 v177, v[174:175], v[180:181] offset0:40 offset1:41
	s_waitcnt vmcnt(10)
	ds_write_b64 v177, v[172:173] offset:336
	ds_read_b64 v[174:175], v176
	s_waitcnt lgkmcnt(0)
	v_cmp_neq_f64_e32 vcc, 0, v[174:175]
	s_and_b64 exec, exec, vcc
	s_cbranch_execz .LBB85_29
; %bb.28:
	v_div_scale_f64 v[180:181], s[6:7], v[174:175], v[174:175], 1.0
	v_rcp_f64_e32 v[182:183], v[180:181]
	v_div_scale_f64 v[184:185], vcc, 1.0, v[174:175], 1.0
	v_fma_f64 v[186:187], -v[180:181], v[182:183], 1.0
	v_fmac_f64_e32 v[182:183], v[182:183], v[186:187]
	v_fma_f64 v[186:187], -v[180:181], v[182:183], 1.0
	v_fmac_f64_e32 v[182:183], v[182:183], v[186:187]
	v_mul_f64 v[186:187], v[184:185], v[182:183]
	v_fma_f64 v[180:181], -v[180:181], v[186:187], v[184:185]
	v_div_fmas_f64 v[180:181], v[180:181], v[182:183], v[186:187]
	v_div_fixup_f64 v[174:175], v[180:181], v[174:175], 1.0
	ds_write_b64 v176, v[174:175]
.LBB85_29:
	s_or_b64 exec, exec, s[2:3]
	s_waitcnt lgkmcnt(0)
	s_barrier
	ds_read_b64 v[184:185], v176
	v_cmp_lt_u32_e32 vcc, 5, v178
	s_and_saveexec_b64 s[2:3], vcc
	s_cbranch_execz .LBB85_31
; %bb.30:
	ds_read2_b64 v[186:189], v177 offset0:6 offset1:7
	ds_read2_b64 v[190:193], v177 offset0:8 offset1:9
	;; [unrolled: 1-line block ×3, first 2 shown]
	s_waitcnt vmcnt(47) lgkmcnt(3)
	v_mul_f64 v[126:127], v[184:185], v[126:127]
	ds_read_b64 v[174:175], v177 offset:336
	s_waitcnt vmcnt(46) lgkmcnt(3)
	v_fma_f64 v[166:167], -v[126:127], v[186:187], v[166:167]
	s_waitcnt vmcnt(45)
	v_fma_f64 v[124:125], -v[126:127], v[188:189], v[124:125]
	ds_read2_b64 v[186:189], v177 offset0:12 offset1:13
	s_waitcnt vmcnt(44) lgkmcnt(3)
	v_fma_f64 v[164:165], -v[126:127], v[190:191], v[164:165]
	s_waitcnt vmcnt(43)
	v_fma_f64 v[122:123], -v[126:127], v[192:193], v[122:123]
	s_waitcnt vmcnt(42) lgkmcnt(2)
	v_fma_f64 v[162:163], -v[126:127], v[194:195], v[162:163]
	ds_read2_b64 v[190:193], v177 offset0:14 offset1:15
	s_waitcnt vmcnt(41)
	v_fma_f64 v[120:121], -v[126:127], v[196:197], v[120:121]
	ds_read2_b64 v[194:197], v177 offset0:16 offset1:17
	s_waitcnt vmcnt(40) lgkmcnt(2)
	v_fma_f64 v[160:161], -v[126:127], v[186:187], v[160:161]
	s_waitcnt vmcnt(39)
	v_fma_f64 v[118:119], -v[126:127], v[188:189], v[118:119]
	s_waitcnt vmcnt(38) lgkmcnt(1)
	v_fma_f64 v[158:159], -v[126:127], v[190:191], v[158:159]
	ds_read2_b64 v[186:189], v177 offset0:18 offset1:19
	s_waitcnt vmcnt(37)
	v_fma_f64 v[116:117], -v[126:127], v[192:193], v[116:117]
	ds_read2_b64 v[190:193], v177 offset0:20 offset1:21
	s_waitcnt vmcnt(36) lgkmcnt(2)
	v_fma_f64 v[156:157], -v[126:127], v[194:195], v[156:157]
	s_waitcnt vmcnt(35)
	v_fma_f64 v[114:115], -v[126:127], v[196:197], v[114:115]
	ds_read2_b64 v[194:197], v177 offset0:22 offset1:23
	s_waitcnt vmcnt(34) lgkmcnt(2)
	v_fma_f64 v[154:155], -v[126:127], v[186:187], v[154:155]
	;; [unrolled: 5-line block ×3, first 2 shown]
	s_waitcnt vmcnt(31)
	v_fma_f64 v[110:111], -v[126:127], v[192:193], v[110:111]
	s_waitcnt vmcnt(30) lgkmcnt(1)
	v_fma_f64 v[150:151], -v[126:127], v[194:195], v[150:151]
	ds_read2_b64 v[190:193], v177 offset0:26 offset1:27
	s_waitcnt vmcnt(29)
	v_fma_f64 v[108:109], -v[126:127], v[196:197], v[108:109]
	ds_read2_b64 v[194:197], v177 offset0:28 offset1:29
	s_waitcnt vmcnt(28) lgkmcnt(2)
	v_fma_f64 v[148:149], -v[126:127], v[186:187], v[148:149]
	s_waitcnt vmcnt(27)
	v_fma_f64 v[106:107], -v[126:127], v[188:189], v[106:107]
	s_waitcnt vmcnt(26) lgkmcnt(1)
	v_fma_f64 v[146:147], -v[126:127], v[190:191], v[146:147]
	ds_read2_b64 v[186:189], v177 offset0:30 offset1:31
	s_waitcnt vmcnt(25)
	v_fma_f64 v[104:105], -v[126:127], v[192:193], v[104:105]
	ds_read2_b64 v[190:193], v177 offset0:32 offset1:33
	s_waitcnt vmcnt(24) lgkmcnt(2)
	v_fma_f64 v[144:145], -v[126:127], v[194:195], v[144:145]
	s_waitcnt vmcnt(23)
	v_fma_f64 v[102:103], -v[126:127], v[196:197], v[102:103]
	ds_read2_b64 v[194:197], v177 offset0:34 offset1:35
	s_waitcnt vmcnt(22) lgkmcnt(2)
	v_fma_f64 v[142:143], -v[126:127], v[186:187], v[142:143]
	;; [unrolled: 5-line block ×3, first 2 shown]
	s_waitcnt vmcnt(19)
	v_fma_f64 v[98:99], -v[126:127], v[192:193], v[98:99]
	s_waitcnt vmcnt(18) lgkmcnt(1)
	v_fma_f64 v[138:139], -v[126:127], v[194:195], v[138:139]
	s_waitcnt vmcnt(17)
	v_fma_f64 v[96:97], -v[126:127], v[196:197], v[96:97]
	ds_read2_b64 v[190:193], v177 offset0:38 offset1:39
	ds_read2_b64 v[194:197], v177 offset0:40 offset1:41
	s_waitcnt vmcnt(16) lgkmcnt(2)
	v_fma_f64 v[136:137], -v[126:127], v[186:187], v[136:137]
	s_waitcnt vmcnt(15)
	v_fma_f64 v[94:95], -v[126:127], v[188:189], v[94:95]
	s_waitcnt vmcnt(10)
	v_fma_f64 v[172:173], -v[126:127], v[174:175], v[172:173]
	s_waitcnt lgkmcnt(1)
	v_fma_f64 v[134:135], -v[126:127], v[190:191], v[134:135]
	v_fma_f64 v[92:93], -v[126:127], v[192:193], v[92:93]
	s_waitcnt lgkmcnt(0)
	v_fma_f64 v[132:133], -v[126:127], v[194:195], v[132:133]
	v_fma_f64 v[90:91], -v[126:127], v[196:197], v[90:91]
.LBB85_31:
	s_or_b64 exec, exec, s[2:3]
	v_cmp_eq_u32_e32 vcc, 6, v178
	s_waitcnt lgkmcnt(0)
	s_barrier
	s_and_saveexec_b64 s[2:3], vcc
	s_cbranch_execz .LBB85_34
; %bb.32:
	s_waitcnt vmcnt(46)
	ds_write_b64 v176, v[166:167]
	s_waitcnt vmcnt(44)
	ds_write2_b64 v177, v[124:125], v[164:165] offset0:7 offset1:8
	s_waitcnt vmcnt(42)
	ds_write2_b64 v177, v[122:123], v[162:163] offset0:9 offset1:10
	;; [unrolled: 2-line block ×18, first 2 shown]
	ds_read_b64 v[174:175], v176
	s_waitcnt lgkmcnt(0)
	v_cmp_neq_f64_e32 vcc, 0, v[174:175]
	s_and_b64 exec, exec, vcc
	s_cbranch_execz .LBB85_34
; %bb.33:
	v_div_scale_f64 v[180:181], s[6:7], v[174:175], v[174:175], 1.0
	v_rcp_f64_e32 v[182:183], v[180:181]
	v_div_scale_f64 v[186:187], vcc, 1.0, v[174:175], 1.0
	v_fma_f64 v[188:189], -v[180:181], v[182:183], 1.0
	v_fmac_f64_e32 v[182:183], v[182:183], v[188:189]
	v_fma_f64 v[188:189], -v[180:181], v[182:183], 1.0
	v_fmac_f64_e32 v[182:183], v[182:183], v[188:189]
	v_mul_f64 v[188:189], v[186:187], v[182:183]
	v_fma_f64 v[180:181], -v[180:181], v[188:189], v[186:187]
	v_div_fmas_f64 v[180:181], v[180:181], v[182:183], v[188:189]
	v_div_fixup_f64 v[174:175], v[180:181], v[174:175], 1.0
	ds_write_b64 v176, v[174:175]
.LBB85_34:
	s_or_b64 exec, exec, s[2:3]
	s_waitcnt lgkmcnt(0)
	s_barrier
	ds_read_b64 v[174:175], v176
	v_cmp_lt_u32_e32 vcc, 6, v178
	s_and_saveexec_b64 s[2:3], vcc
	s_cbranch_execz .LBB85_36
; %bb.35:
	ds_read2_b64 v[188:191], v177 offset0:7 offset1:8
	ds_read2_b64 v[192:195], v177 offset0:9 offset1:10
	;; [unrolled: 1-line block ×3, first 2 shown]
	s_waitcnt vmcnt(46) lgkmcnt(3)
	v_mul_f64 v[166:167], v[174:175], v[166:167]
	s_waitcnt vmcnt(45) lgkmcnt(2)
	v_fma_f64 v[124:125], -v[166:167], v[188:189], v[124:125]
	s_waitcnt vmcnt(44)
	v_fma_f64 v[164:165], -v[166:167], v[190:191], v[164:165]
	ds_read2_b64 v[188:191], v177 offset0:13 offset1:14
	s_waitcnt vmcnt(43) lgkmcnt(2)
	v_fma_f64 v[122:123], -v[166:167], v[192:193], v[122:123]
	s_waitcnt vmcnt(42)
	v_fma_f64 v[162:163], -v[166:167], v[194:195], v[162:163]
	s_waitcnt vmcnt(41) lgkmcnt(1)
	v_fma_f64 v[120:121], -v[166:167], v[196:197], v[120:121]
	ds_read2_b64 v[192:195], v177 offset0:15 offset1:16
	s_waitcnt vmcnt(40)
	v_fma_f64 v[160:161], -v[166:167], v[198:199], v[160:161]
	ds_read2_b64 v[196:199], v177 offset0:17 offset1:18
	s_waitcnt vmcnt(39) lgkmcnt(2)
	v_fma_f64 v[118:119], -v[166:167], v[188:189], v[118:119]
	s_waitcnt vmcnt(38)
	v_fma_f64 v[158:159], -v[166:167], v[190:191], v[158:159]
	s_waitcnt vmcnt(37) lgkmcnt(1)
	v_fma_f64 v[116:117], -v[166:167], v[192:193], v[116:117]
	ds_read2_b64 v[188:191], v177 offset0:19 offset1:20
	s_waitcnt vmcnt(36)
	v_fma_f64 v[156:157], -v[166:167], v[194:195], v[156:157]
	ds_read2_b64 v[192:195], v177 offset0:21 offset1:22
	s_waitcnt vmcnt(35) lgkmcnt(2)
	v_fma_f64 v[114:115], -v[166:167], v[196:197], v[114:115]
	s_waitcnt vmcnt(34)
	v_fma_f64 v[154:155], -v[166:167], v[198:199], v[154:155]
	ds_read2_b64 v[196:199], v177 offset0:23 offset1:24
	s_waitcnt vmcnt(33) lgkmcnt(2)
	v_fma_f64 v[112:113], -v[166:167], v[188:189], v[112:113]
	;; [unrolled: 5-line block ×3, first 2 shown]
	s_waitcnt vmcnt(30)
	v_fma_f64 v[150:151], -v[166:167], v[194:195], v[150:151]
	s_waitcnt vmcnt(29) lgkmcnt(1)
	v_fma_f64 v[108:109], -v[166:167], v[196:197], v[108:109]
	ds_read2_b64 v[192:195], v177 offset0:27 offset1:28
	s_waitcnt vmcnt(28)
	v_fma_f64 v[148:149], -v[166:167], v[198:199], v[148:149]
	ds_read2_b64 v[196:199], v177 offset0:29 offset1:30
	s_waitcnt vmcnt(27) lgkmcnt(2)
	v_fma_f64 v[106:107], -v[166:167], v[188:189], v[106:107]
	s_waitcnt vmcnt(26)
	v_fma_f64 v[146:147], -v[166:167], v[190:191], v[146:147]
	s_waitcnt vmcnt(25) lgkmcnt(1)
	v_fma_f64 v[104:105], -v[166:167], v[192:193], v[104:105]
	ds_read2_b64 v[188:191], v177 offset0:31 offset1:32
	s_waitcnt vmcnt(24)
	v_fma_f64 v[144:145], -v[166:167], v[194:195], v[144:145]
	ds_read2_b64 v[192:195], v177 offset0:33 offset1:34
	s_waitcnt vmcnt(23) lgkmcnt(2)
	v_fma_f64 v[102:103], -v[166:167], v[196:197], v[102:103]
	s_waitcnt vmcnt(22)
	v_fma_f64 v[142:143], -v[166:167], v[198:199], v[142:143]
	ds_read2_b64 v[196:199], v177 offset0:35 offset1:36
	s_waitcnt vmcnt(21) lgkmcnt(2)
	v_fma_f64 v[100:101], -v[166:167], v[188:189], v[100:101]
	;; [unrolled: 5-line block ×3, first 2 shown]
	s_waitcnt vmcnt(18)
	v_fma_f64 v[138:139], -v[166:167], v[194:195], v[138:139]
	s_waitcnt vmcnt(17) lgkmcnt(1)
	v_fma_f64 v[96:97], -v[166:167], v[196:197], v[96:97]
	ds_read2_b64 v[192:195], v177 offset0:39 offset1:40
	s_waitcnt vmcnt(16)
	v_fma_f64 v[136:137], -v[166:167], v[198:199], v[136:137]
	ds_read2_b64 v[196:199], v177 offset0:41 offset1:42
	s_waitcnt vmcnt(15) lgkmcnt(2)
	v_fma_f64 v[94:95], -v[166:167], v[188:189], v[94:95]
	s_waitcnt vmcnt(14)
	v_fma_f64 v[134:135], -v[166:167], v[190:191], v[134:135]
	s_waitcnt vmcnt(13) lgkmcnt(1)
	v_fma_f64 v[92:93], -v[166:167], v[192:193], v[92:93]
	s_waitcnt vmcnt(12)
	v_fma_f64 v[132:133], -v[166:167], v[194:195], v[132:133]
	s_waitcnt vmcnt(11) lgkmcnt(0)
	v_fma_f64 v[90:91], -v[166:167], v[196:197], v[90:91]
	s_waitcnt vmcnt(10)
	v_fma_f64 v[172:173], -v[166:167], v[198:199], v[172:173]
.LBB85_36:
	s_or_b64 exec, exec, s[2:3]
	v_cmp_eq_u32_e32 vcc, 7, v178
	s_waitcnt lgkmcnt(0)
	buffer_store_dword v174, off, s[16:19], 0 offset:48 ; 4-byte Folded Spill
	s_nop 0
	buffer_store_dword v175, off, s[16:19], 0 offset:52 ; 4-byte Folded Spill
	s_barrier
	s_and_saveexec_b64 s[2:3], vcc
	s_cbranch_execz .LBB85_39
; %bb.37:
	s_waitcnt vmcnt(46)
	v_mov_b32_e32 v174, v164
	v_mov_b32_e32 v175, v165
	s_waitcnt vmcnt(45)
	v_mov_b32_e32 v180, v122
	v_mov_b32_e32 v181, v123
	ds_write_b64 v176, v[124:125]
	ds_write2_b64 v177, v[174:175], v[180:181] offset0:8 offset1:9
	s_waitcnt vmcnt(44)
	v_mov_b32_e32 v174, v162
	v_mov_b32_e32 v175, v163
	s_waitcnt vmcnt(43)
	v_mov_b32_e32 v180, v120
	v_mov_b32_e32 v181, v121
	ds_write2_b64 v177, v[174:175], v[180:181] offset0:10 offset1:11
	s_waitcnt vmcnt(42)
	v_mov_b32_e32 v174, v160
	v_mov_b32_e32 v175, v161
	s_waitcnt vmcnt(41)
	v_mov_b32_e32 v180, v118
	v_mov_b32_e32 v181, v119
	;; [unrolled: 7-line block ×16, first 2 shown]
	ds_write2_b64 v177, v[174:175], v[180:181] offset0:40 offset1:41
	s_waitcnt vmcnt(12)
	ds_write_b64 v177, v[172:173] offset:336
	ds_read_b64 v[174:175], v176
	s_waitcnt lgkmcnt(0)
	v_cmp_neq_f64_e32 vcc, 0, v[174:175]
	s_and_b64 exec, exec, vcc
	s_cbranch_execz .LBB85_39
; %bb.38:
	v_div_scale_f64 v[180:181], s[6:7], v[174:175], v[174:175], 1.0
	v_rcp_f64_e32 v[182:183], v[180:181]
	v_div_scale_f64 v[188:189], vcc, 1.0, v[174:175], 1.0
	v_fma_f64 v[190:191], -v[180:181], v[182:183], 1.0
	v_fmac_f64_e32 v[182:183], v[182:183], v[190:191]
	v_fma_f64 v[190:191], -v[180:181], v[182:183], 1.0
	v_fmac_f64_e32 v[182:183], v[182:183], v[190:191]
	v_mul_f64 v[190:191], v[188:189], v[182:183]
	v_fma_f64 v[180:181], -v[180:181], v[190:191], v[188:189]
	v_div_fmas_f64 v[180:181], v[180:181], v[182:183], v[190:191]
	v_div_fixup_f64 v[174:175], v[180:181], v[174:175], 1.0
	ds_write_b64 v176, v[174:175]
.LBB85_39:
	s_or_b64 exec, exec, s[2:3]
	s_waitcnt lgkmcnt(0)
	s_barrier
	ds_read_b64 v[188:189], v176
	v_cmp_lt_u32_e32 vcc, 7, v178
	s_and_saveexec_b64 s[2:3], vcc
	s_cbranch_execz .LBB85_41
; %bb.40:
	ds_read2_b64 v[190:193], v177 offset0:8 offset1:9
	ds_read2_b64 v[194:197], v177 offset0:10 offset1:11
	s_waitcnt vmcnt(47) lgkmcnt(2)
	v_mul_f64 v[124:125], v[188:189], v[124:125]
	ds_read2_b64 v[198:201], v177 offset0:12 offset1:13
	ds_read_b64 v[174:175], v177 offset:336
	s_waitcnt vmcnt(46) lgkmcnt(3)
	v_fma_f64 v[164:165], -v[124:125], v[190:191], v[164:165]
	s_waitcnt vmcnt(45)
	v_fma_f64 v[122:123], -v[124:125], v[192:193], v[122:123]
	ds_read2_b64 v[190:193], v177 offset0:14 offset1:15
	s_waitcnt vmcnt(44) lgkmcnt(3)
	v_fma_f64 v[162:163], -v[124:125], v[194:195], v[162:163]
	s_waitcnt vmcnt(43)
	v_fma_f64 v[120:121], -v[124:125], v[196:197], v[120:121]
	ds_read2_b64 v[194:197], v177 offset0:16 offset1:17
	s_waitcnt vmcnt(42) lgkmcnt(3)
	v_fma_f64 v[160:161], -v[124:125], v[198:199], v[160:161]
	s_waitcnt vmcnt(41)
	v_fma_f64 v[118:119], -v[124:125], v[200:201], v[118:119]
	ds_read2_b64 v[198:201], v177 offset0:18 offset1:19
	s_waitcnt vmcnt(40) lgkmcnt(2)
	v_fma_f64 v[158:159], -v[124:125], v[190:191], v[158:159]
	s_waitcnt vmcnt(39)
	v_fma_f64 v[116:117], -v[124:125], v[192:193], v[116:117]
	s_waitcnt vmcnt(38) lgkmcnt(1)
	v_fma_f64 v[156:157], -v[124:125], v[194:195], v[156:157]
	ds_read2_b64 v[190:193], v177 offset0:20 offset1:21
	s_waitcnt vmcnt(37)
	v_fma_f64 v[114:115], -v[124:125], v[196:197], v[114:115]
	ds_read2_b64 v[194:197], v177 offset0:22 offset1:23
	s_waitcnt vmcnt(36) lgkmcnt(2)
	v_fma_f64 v[154:155], -v[124:125], v[198:199], v[154:155]
	s_waitcnt vmcnt(35)
	v_fma_f64 v[112:113], -v[124:125], v[200:201], v[112:113]
	s_waitcnt vmcnt(34) lgkmcnt(1)
	v_fma_f64 v[152:153], -v[124:125], v[190:191], v[152:153]
	ds_read2_b64 v[198:201], v177 offset0:24 offset1:25
	s_waitcnt vmcnt(33)
	v_fma_f64 v[110:111], -v[124:125], v[192:193], v[110:111]
	ds_read2_b64 v[190:193], v177 offset0:26 offset1:27
	s_waitcnt vmcnt(32) lgkmcnt(2)
	v_fma_f64 v[150:151], -v[124:125], v[194:195], v[150:151]
	s_waitcnt vmcnt(31)
	v_fma_f64 v[108:109], -v[124:125], v[196:197], v[108:109]
	ds_read2_b64 v[194:197], v177 offset0:28 offset1:29
	s_waitcnt vmcnt(30) lgkmcnt(2)
	v_fma_f64 v[148:149], -v[124:125], v[198:199], v[148:149]
	;; [unrolled: 5-line block ×3, first 2 shown]
	s_waitcnt vmcnt(27)
	v_fma_f64 v[104:105], -v[124:125], v[192:193], v[104:105]
	s_waitcnt vmcnt(26) lgkmcnt(1)
	v_fma_f64 v[144:145], -v[124:125], v[194:195], v[144:145]
	ds_read2_b64 v[190:193], v177 offset0:32 offset1:33
	s_waitcnt vmcnt(25)
	v_fma_f64 v[102:103], -v[124:125], v[196:197], v[102:103]
	ds_read2_b64 v[194:197], v177 offset0:34 offset1:35
	s_waitcnt vmcnt(24) lgkmcnt(2)
	v_fma_f64 v[142:143], -v[124:125], v[198:199], v[142:143]
	s_waitcnt vmcnt(23)
	v_fma_f64 v[100:101], -v[124:125], v[200:201], v[100:101]
	s_waitcnt vmcnt(22) lgkmcnt(1)
	v_fma_f64 v[140:141], -v[124:125], v[190:191], v[140:141]
	ds_read2_b64 v[198:201], v177 offset0:36 offset1:37
	s_waitcnt vmcnt(21)
	v_fma_f64 v[98:99], -v[124:125], v[192:193], v[98:99]
	ds_read2_b64 v[190:193], v177 offset0:38 offset1:39
	s_waitcnt vmcnt(20) lgkmcnt(2)
	v_fma_f64 v[138:139], -v[124:125], v[194:195], v[138:139]
	s_waitcnt vmcnt(19)
	v_fma_f64 v[96:97], -v[124:125], v[196:197], v[96:97]
	ds_read2_b64 v[194:197], v177 offset0:40 offset1:41
	s_waitcnt vmcnt(18) lgkmcnt(2)
	v_fma_f64 v[136:137], -v[124:125], v[198:199], v[136:137]
	s_waitcnt vmcnt(17)
	v_fma_f64 v[94:95], -v[124:125], v[200:201], v[94:95]
	s_waitcnt vmcnt(16) lgkmcnt(1)
	v_fma_f64 v[134:135], -v[124:125], v[190:191], v[134:135]
	s_waitcnt vmcnt(15)
	v_fma_f64 v[92:93], -v[124:125], v[192:193], v[92:93]
	s_waitcnt vmcnt(14) lgkmcnt(0)
	v_fma_f64 v[132:133], -v[124:125], v[194:195], v[132:133]
	s_waitcnt vmcnt(13)
	v_fma_f64 v[90:91], -v[124:125], v[196:197], v[90:91]
	s_waitcnt vmcnt(12)
	v_fma_f64 v[172:173], -v[124:125], v[174:175], v[172:173]
.LBB85_41:
	s_or_b64 exec, exec, s[2:3]
	v_cmp_eq_u32_e32 vcc, 8, v178
	s_waitcnt lgkmcnt(0)
	s_barrier
	s_and_saveexec_b64 s[2:3], vcc
	s_cbranch_execz .LBB85_44
; %bb.42:
	s_waitcnt vmcnt(46)
	ds_write_b64 v176, v[164:165]
	s_waitcnt vmcnt(44)
	ds_write2_b64 v177, v[122:123], v[162:163] offset0:9 offset1:10
	s_waitcnt vmcnt(42)
	ds_write2_b64 v177, v[120:121], v[160:161] offset0:11 offset1:12
	;; [unrolled: 2-line block ×17, first 2 shown]
	ds_read_b64 v[174:175], v176
	s_waitcnt lgkmcnt(0)
	v_cmp_neq_f64_e32 vcc, 0, v[174:175]
	s_and_b64 exec, exec, vcc
	s_cbranch_execz .LBB85_44
; %bb.43:
	v_div_scale_f64 v[180:181], s[6:7], v[174:175], v[174:175], 1.0
	v_rcp_f64_e32 v[182:183], v[180:181]
	v_div_scale_f64 v[190:191], vcc, 1.0, v[174:175], 1.0
	v_fma_f64 v[192:193], -v[180:181], v[182:183], 1.0
	v_fmac_f64_e32 v[182:183], v[182:183], v[192:193]
	v_fma_f64 v[192:193], -v[180:181], v[182:183], 1.0
	v_fmac_f64_e32 v[182:183], v[182:183], v[192:193]
	v_mul_f64 v[192:193], v[190:191], v[182:183]
	v_fma_f64 v[180:181], -v[180:181], v[192:193], v[190:191]
	v_div_fmas_f64 v[180:181], v[180:181], v[182:183], v[192:193]
	v_div_fixup_f64 v[174:175], v[180:181], v[174:175], 1.0
	ds_write_b64 v176, v[174:175]
.LBB85_44:
	s_or_b64 exec, exec, s[2:3]
	s_waitcnt lgkmcnt(0)
	s_barrier
	ds_read_b64 v[190:191], v176
	v_cmp_lt_u32_e32 vcc, 8, v178
	s_and_saveexec_b64 s[2:3], vcc
	s_cbranch_execz .LBB85_46
; %bb.45:
	ds_read2_b64 v[192:195], v177 offset0:9 offset1:10
	ds_read2_b64 v[196:199], v177 offset0:11 offset1:12
	s_waitcnt vmcnt(46) lgkmcnt(2)
	v_mul_f64 v[164:165], v[190:191], v[164:165]
	ds_read2_b64 v[200:203], v177 offset0:13 offset1:14
	s_waitcnt vmcnt(45) lgkmcnt(2)
	v_fma_f64 v[122:123], -v[164:165], v[192:193], v[122:123]
	s_waitcnt vmcnt(44)
	v_fma_f64 v[162:163], -v[164:165], v[194:195], v[162:163]
	ds_read2_b64 v[192:195], v177 offset0:15 offset1:16
	s_waitcnt vmcnt(43) lgkmcnt(2)
	v_fma_f64 v[120:121], -v[164:165], v[196:197], v[120:121]
	s_waitcnt vmcnt(42)
	v_fma_f64 v[160:161], -v[164:165], v[198:199], v[160:161]
	;; [unrolled: 5-line block ×4, first 2 shown]
	s_waitcnt vmcnt(37) lgkmcnt(1)
	v_fma_f64 v[114:115], -v[164:165], v[196:197], v[114:115]
	ds_read2_b64 v[192:195], v177 offset0:21 offset1:22
	s_waitcnt vmcnt(36)
	v_fma_f64 v[154:155], -v[164:165], v[198:199], v[154:155]
	ds_read2_b64 v[196:199], v177 offset0:23 offset1:24
	s_waitcnt vmcnt(35) lgkmcnt(2)
	v_fma_f64 v[112:113], -v[164:165], v[200:201], v[112:113]
	s_waitcnt vmcnt(34)
	v_fma_f64 v[152:153], -v[164:165], v[202:203], v[152:153]
	s_waitcnt vmcnt(33) lgkmcnt(1)
	v_fma_f64 v[110:111], -v[164:165], v[192:193], v[110:111]
	ds_read2_b64 v[200:203], v177 offset0:25 offset1:26
	s_waitcnt vmcnt(32)
	v_fma_f64 v[150:151], -v[164:165], v[194:195], v[150:151]
	ds_read2_b64 v[192:195], v177 offset0:27 offset1:28
	s_waitcnt vmcnt(31) lgkmcnt(2)
	v_fma_f64 v[108:109], -v[164:165], v[196:197], v[108:109]
	s_waitcnt vmcnt(30)
	v_fma_f64 v[148:149], -v[164:165], v[198:199], v[148:149]
	ds_read2_b64 v[196:199], v177 offset0:29 offset1:30
	s_waitcnt vmcnt(29) lgkmcnt(2)
	v_fma_f64 v[106:107], -v[164:165], v[200:201], v[106:107]
	;; [unrolled: 5-line block ×3, first 2 shown]
	s_waitcnt vmcnt(26)
	v_fma_f64 v[144:145], -v[164:165], v[194:195], v[144:145]
	s_waitcnt vmcnt(25) lgkmcnt(1)
	v_fma_f64 v[102:103], -v[164:165], v[196:197], v[102:103]
	ds_read2_b64 v[192:195], v177 offset0:33 offset1:34
	s_waitcnt vmcnt(24)
	v_fma_f64 v[142:143], -v[164:165], v[198:199], v[142:143]
	ds_read2_b64 v[196:199], v177 offset0:35 offset1:36
	s_waitcnt vmcnt(23) lgkmcnt(2)
	v_fma_f64 v[100:101], -v[164:165], v[200:201], v[100:101]
	s_waitcnt vmcnt(22)
	v_fma_f64 v[140:141], -v[164:165], v[202:203], v[140:141]
	s_waitcnt vmcnt(21) lgkmcnt(1)
	v_fma_f64 v[98:99], -v[164:165], v[192:193], v[98:99]
	s_waitcnt vmcnt(20)
	v_fma_f64 v[138:139], -v[164:165], v[194:195], v[138:139]
	ds_read2_b64 v[192:195], v177 offset0:37 offset1:38
	ds_read2_b64 v[200:203], v177 offset0:39 offset1:40
	s_waitcnt vmcnt(19) lgkmcnt(2)
	v_fma_f64 v[96:97], -v[164:165], v[196:197], v[96:97]
	s_waitcnt vmcnt(18)
	v_fma_f64 v[136:137], -v[164:165], v[198:199], v[136:137]
	ds_read2_b64 v[196:199], v177 offset0:41 offset1:42
	s_waitcnt vmcnt(17) lgkmcnt(2)
	v_fma_f64 v[94:95], -v[164:165], v[192:193], v[94:95]
	s_waitcnt vmcnt(16)
	v_fma_f64 v[134:135], -v[164:165], v[194:195], v[134:135]
	s_waitcnt vmcnt(15) lgkmcnt(1)
	v_fma_f64 v[92:93], -v[164:165], v[200:201], v[92:93]
	s_waitcnt vmcnt(14)
	v_fma_f64 v[132:133], -v[164:165], v[202:203], v[132:133]
	;; [unrolled: 4-line block ×3, first 2 shown]
.LBB85_46:
	s_or_b64 exec, exec, s[2:3]
	v_cmp_eq_u32_e32 vcc, 9, v178
	s_waitcnt lgkmcnt(0)
	s_barrier
	s_and_saveexec_b64 s[2:3], vcc
	s_cbranch_execz .LBB85_49
; %bb.47:
	s_waitcnt vmcnt(44)
	v_mov_b32_e32 v174, v162
	v_mov_b32_e32 v175, v163
	s_waitcnt vmcnt(43)
	v_mov_b32_e32 v180, v120
	v_mov_b32_e32 v181, v121
	ds_write_b64 v176, v[122:123]
	ds_write2_b64 v177, v[174:175], v[180:181] offset0:10 offset1:11
	s_waitcnt vmcnt(42)
	v_mov_b32_e32 v174, v160
	v_mov_b32_e32 v175, v161
	s_waitcnt vmcnt(41)
	v_mov_b32_e32 v180, v118
	v_mov_b32_e32 v181, v119
	ds_write2_b64 v177, v[174:175], v[180:181] offset0:12 offset1:13
	s_waitcnt vmcnt(40)
	v_mov_b32_e32 v174, v158
	v_mov_b32_e32 v175, v159
	s_waitcnt vmcnt(39)
	v_mov_b32_e32 v180, v116
	v_mov_b32_e32 v181, v117
	;; [unrolled: 7-line block ×15, first 2 shown]
	ds_write2_b64 v177, v[174:175], v[180:181] offset0:40 offset1:41
	s_waitcnt vmcnt(12)
	ds_write_b64 v177, v[172:173] offset:336
	ds_read_b64 v[174:175], v176
	s_waitcnt lgkmcnt(0)
	v_cmp_neq_f64_e32 vcc, 0, v[174:175]
	s_and_b64 exec, exec, vcc
	s_cbranch_execz .LBB85_49
; %bb.48:
	v_div_scale_f64 v[180:181], s[6:7], v[174:175], v[174:175], 1.0
	v_rcp_f64_e32 v[182:183], v[180:181]
	v_div_scale_f64 v[192:193], vcc, 1.0, v[174:175], 1.0
	v_fma_f64 v[194:195], -v[180:181], v[182:183], 1.0
	v_fmac_f64_e32 v[182:183], v[182:183], v[194:195]
	v_fma_f64 v[194:195], -v[180:181], v[182:183], 1.0
	v_fmac_f64_e32 v[182:183], v[182:183], v[194:195]
	v_mul_f64 v[194:195], v[192:193], v[182:183]
	v_fma_f64 v[180:181], -v[180:181], v[194:195], v[192:193]
	v_div_fmas_f64 v[180:181], v[180:181], v[182:183], v[194:195]
	v_div_fixup_f64 v[174:175], v[180:181], v[174:175], 1.0
	ds_write_b64 v176, v[174:175]
.LBB85_49:
	s_or_b64 exec, exec, s[2:3]
	s_waitcnt lgkmcnt(0)
	s_barrier
	ds_read_b64 v[192:193], v176
	v_cmp_lt_u32_e32 vcc, 9, v178
	s_and_saveexec_b64 s[2:3], vcc
	s_cbranch_execz .LBB85_51
; %bb.50:
	ds_read2_b64 v[194:197], v177 offset0:10 offset1:11
	ds_read2_b64 v[198:201], v177 offset0:12 offset1:13
	s_waitcnt vmcnt(45) lgkmcnt(2)
	v_mul_f64 v[122:123], v[192:193], v[122:123]
	ds_read2_b64 v[202:205], v177 offset0:14 offset1:15
	ds_read_b64 v[174:175], v177 offset:336
	s_waitcnt vmcnt(44) lgkmcnt(3)
	v_fma_f64 v[162:163], -v[122:123], v[194:195], v[162:163]
	s_waitcnt vmcnt(43)
	v_fma_f64 v[120:121], -v[122:123], v[196:197], v[120:121]
	ds_read2_b64 v[194:197], v177 offset0:16 offset1:17
	s_waitcnt vmcnt(42) lgkmcnt(3)
	v_fma_f64 v[160:161], -v[122:123], v[198:199], v[160:161]
	s_waitcnt vmcnt(41)
	v_fma_f64 v[118:119], -v[122:123], v[200:201], v[118:119]
	s_waitcnt vmcnt(40) lgkmcnt(2)
	v_fma_f64 v[158:159], -v[122:123], v[202:203], v[158:159]
	ds_read2_b64 v[198:201], v177 offset0:18 offset1:19
	s_waitcnt vmcnt(39)
	v_fma_f64 v[116:117], -v[122:123], v[204:205], v[116:117]
	ds_read2_b64 v[202:205], v177 offset0:20 offset1:21
	s_waitcnt vmcnt(38) lgkmcnt(2)
	v_fma_f64 v[156:157], -v[122:123], v[194:195], v[156:157]
	s_waitcnt vmcnt(37)
	v_fma_f64 v[114:115], -v[122:123], v[196:197], v[114:115]
	ds_read2_b64 v[194:197], v177 offset0:22 offset1:23
	s_waitcnt vmcnt(36) lgkmcnt(2)
	v_fma_f64 v[154:155], -v[122:123], v[198:199], v[154:155]
	;; [unrolled: 5-line block ×3, first 2 shown]
	s_waitcnt vmcnt(33)
	v_fma_f64 v[110:111], -v[122:123], v[204:205], v[110:111]
	s_waitcnt vmcnt(32) lgkmcnt(1)
	v_fma_f64 v[150:151], -v[122:123], v[194:195], v[150:151]
	ds_read2_b64 v[202:205], v177 offset0:26 offset1:27
	s_waitcnt vmcnt(31)
	v_fma_f64 v[108:109], -v[122:123], v[196:197], v[108:109]
	ds_read2_b64 v[194:197], v177 offset0:28 offset1:29
	s_waitcnt vmcnt(30) lgkmcnt(2)
	v_fma_f64 v[148:149], -v[122:123], v[198:199], v[148:149]
	s_waitcnt vmcnt(29)
	v_fma_f64 v[106:107], -v[122:123], v[200:201], v[106:107]
	s_waitcnt vmcnt(28) lgkmcnt(1)
	v_fma_f64 v[146:147], -v[122:123], v[202:203], v[146:147]
	ds_read2_b64 v[198:201], v177 offset0:30 offset1:31
	s_waitcnt vmcnt(27)
	v_fma_f64 v[104:105], -v[122:123], v[204:205], v[104:105]
	ds_read2_b64 v[202:205], v177 offset0:32 offset1:33
	s_waitcnt vmcnt(26) lgkmcnt(2)
	v_fma_f64 v[144:145], -v[122:123], v[194:195], v[144:145]
	s_waitcnt vmcnt(25)
	v_fma_f64 v[102:103], -v[122:123], v[196:197], v[102:103]
	ds_read2_b64 v[194:197], v177 offset0:34 offset1:35
	s_waitcnt vmcnt(24) lgkmcnt(2)
	v_fma_f64 v[142:143], -v[122:123], v[198:199], v[142:143]
	;; [unrolled: 5-line block ×3, first 2 shown]
	s_waitcnt vmcnt(21)
	v_fma_f64 v[98:99], -v[122:123], v[204:205], v[98:99]
	s_waitcnt vmcnt(20) lgkmcnt(1)
	v_fma_f64 v[138:139], -v[122:123], v[194:195], v[138:139]
	s_waitcnt vmcnt(19)
	v_fma_f64 v[96:97], -v[122:123], v[196:197], v[96:97]
	ds_read2_b64 v[194:197], v177 offset0:38 offset1:39
	ds_read2_b64 v[202:205], v177 offset0:40 offset1:41
	s_waitcnt vmcnt(18) lgkmcnt(2)
	v_fma_f64 v[136:137], -v[122:123], v[198:199], v[136:137]
	s_waitcnt vmcnt(17)
	v_fma_f64 v[94:95], -v[122:123], v[200:201], v[94:95]
	s_waitcnt vmcnt(12)
	v_fma_f64 v[172:173], -v[122:123], v[174:175], v[172:173]
	s_waitcnt lgkmcnt(1)
	v_fma_f64 v[134:135], -v[122:123], v[194:195], v[134:135]
	v_fma_f64 v[92:93], -v[122:123], v[196:197], v[92:93]
	s_waitcnt lgkmcnt(0)
	v_fma_f64 v[132:133], -v[122:123], v[202:203], v[132:133]
	v_fma_f64 v[90:91], -v[122:123], v[204:205], v[90:91]
.LBB85_51:
	s_or_b64 exec, exec, s[2:3]
	v_cmp_eq_u32_e32 vcc, 10, v178
	s_waitcnt lgkmcnt(0)
	s_barrier
	s_and_saveexec_b64 s[2:3], vcc
	s_cbranch_execz .LBB85_54
; %bb.52:
	s_waitcnt vmcnt(44)
	ds_write_b64 v176, v[162:163]
	s_waitcnt vmcnt(42)
	ds_write2_b64 v177, v[120:121], v[160:161] offset0:11 offset1:12
	s_waitcnt vmcnt(40)
	ds_write2_b64 v177, v[118:119], v[158:159] offset0:13 offset1:14
	;; [unrolled: 2-line block ×16, first 2 shown]
	ds_read_b64 v[174:175], v176
	s_waitcnt lgkmcnt(0)
	v_cmp_neq_f64_e32 vcc, 0, v[174:175]
	s_and_b64 exec, exec, vcc
	s_cbranch_execz .LBB85_54
; %bb.53:
	v_div_scale_f64 v[180:181], s[6:7], v[174:175], v[174:175], 1.0
	v_rcp_f64_e32 v[182:183], v[180:181]
	v_div_scale_f64 v[194:195], vcc, 1.0, v[174:175], 1.0
	v_fma_f64 v[196:197], -v[180:181], v[182:183], 1.0
	v_fmac_f64_e32 v[182:183], v[182:183], v[196:197]
	v_fma_f64 v[196:197], -v[180:181], v[182:183], 1.0
	v_fmac_f64_e32 v[182:183], v[182:183], v[196:197]
	v_mul_f64 v[196:197], v[194:195], v[182:183]
	v_fma_f64 v[180:181], -v[180:181], v[196:197], v[194:195]
	v_div_fmas_f64 v[180:181], v[180:181], v[182:183], v[196:197]
	v_div_fixup_f64 v[174:175], v[180:181], v[174:175], 1.0
	ds_write_b64 v176, v[174:175]
.LBB85_54:
	s_or_b64 exec, exec, s[2:3]
	s_waitcnt lgkmcnt(0)
	s_barrier
	ds_read_b64 v[194:195], v176
	v_cmp_lt_u32_e32 vcc, 10, v178
	s_and_saveexec_b64 s[2:3], vcc
	s_cbranch_execz .LBB85_56
; %bb.55:
	ds_read2_b64 v[196:199], v177 offset0:11 offset1:12
	ds_read2_b64 v[200:203], v177 offset0:13 offset1:14
	s_waitcnt vmcnt(44) lgkmcnt(2)
	v_mul_f64 v[162:163], v[194:195], v[162:163]
	ds_read2_b64 v[204:207], v177 offset0:15 offset1:16
	s_waitcnt vmcnt(43) lgkmcnt(2)
	v_fma_f64 v[120:121], -v[162:163], v[196:197], v[120:121]
	s_waitcnt vmcnt(42)
	v_fma_f64 v[160:161], -v[162:163], v[198:199], v[160:161]
	ds_read2_b64 v[196:199], v177 offset0:17 offset1:18
	s_waitcnt vmcnt(41) lgkmcnt(2)
	v_fma_f64 v[118:119], -v[162:163], v[200:201], v[118:119]
	s_waitcnt vmcnt(40)
	v_fma_f64 v[158:159], -v[162:163], v[202:203], v[158:159]
	s_waitcnt vmcnt(39) lgkmcnt(1)
	v_fma_f64 v[116:117], -v[162:163], v[204:205], v[116:117]
	ds_read2_b64 v[200:203], v177 offset0:19 offset1:20
	s_waitcnt vmcnt(38)
	v_fma_f64 v[156:157], -v[162:163], v[206:207], v[156:157]
	ds_read2_b64 v[204:207], v177 offset0:21 offset1:22
	s_waitcnt vmcnt(37) lgkmcnt(2)
	v_fma_f64 v[114:115], -v[162:163], v[196:197], v[114:115]
	s_waitcnt vmcnt(36)
	v_fma_f64 v[154:155], -v[162:163], v[198:199], v[154:155]
	ds_read2_b64 v[196:199], v177 offset0:23 offset1:24
	s_waitcnt vmcnt(35) lgkmcnt(2)
	v_fma_f64 v[112:113], -v[162:163], v[200:201], v[112:113]
	;; [unrolled: 5-line block ×3, first 2 shown]
	s_waitcnt vmcnt(32)
	v_fma_f64 v[150:151], -v[162:163], v[206:207], v[150:151]
	s_waitcnt vmcnt(31) lgkmcnt(1)
	v_fma_f64 v[108:109], -v[162:163], v[196:197], v[108:109]
	ds_read2_b64 v[204:207], v177 offset0:27 offset1:28
	s_waitcnt vmcnt(30)
	v_fma_f64 v[148:149], -v[162:163], v[198:199], v[148:149]
	ds_read2_b64 v[196:199], v177 offset0:29 offset1:30
	s_waitcnt vmcnt(29) lgkmcnt(2)
	v_fma_f64 v[106:107], -v[162:163], v[200:201], v[106:107]
	s_waitcnt vmcnt(28)
	v_fma_f64 v[146:147], -v[162:163], v[202:203], v[146:147]
	s_waitcnt vmcnt(27) lgkmcnt(1)
	v_fma_f64 v[104:105], -v[162:163], v[204:205], v[104:105]
	ds_read2_b64 v[200:203], v177 offset0:31 offset1:32
	s_waitcnt vmcnt(26)
	v_fma_f64 v[144:145], -v[162:163], v[206:207], v[144:145]
	ds_read2_b64 v[204:207], v177 offset0:33 offset1:34
	s_waitcnt vmcnt(25) lgkmcnt(2)
	v_fma_f64 v[102:103], -v[162:163], v[196:197], v[102:103]
	s_waitcnt vmcnt(24)
	v_fma_f64 v[142:143], -v[162:163], v[198:199], v[142:143]
	ds_read2_b64 v[196:199], v177 offset0:35 offset1:36
	s_waitcnt vmcnt(23) lgkmcnt(2)
	v_fma_f64 v[100:101], -v[162:163], v[200:201], v[100:101]
	;; [unrolled: 5-line block ×3, first 2 shown]
	s_waitcnt vmcnt(20)
	v_fma_f64 v[138:139], -v[162:163], v[206:207], v[138:139]
	s_waitcnt vmcnt(19) lgkmcnt(1)
	v_fma_f64 v[96:97], -v[162:163], v[196:197], v[96:97]
	ds_read2_b64 v[204:207], v177 offset0:39 offset1:40
	s_waitcnt vmcnt(18)
	v_fma_f64 v[136:137], -v[162:163], v[198:199], v[136:137]
	ds_read2_b64 v[196:199], v177 offset0:41 offset1:42
	s_waitcnt vmcnt(17) lgkmcnt(2)
	v_fma_f64 v[94:95], -v[162:163], v[200:201], v[94:95]
	s_waitcnt vmcnt(16)
	v_fma_f64 v[134:135], -v[162:163], v[202:203], v[134:135]
	s_waitcnt vmcnt(15) lgkmcnt(1)
	v_fma_f64 v[92:93], -v[162:163], v[204:205], v[92:93]
	s_waitcnt vmcnt(14)
	v_fma_f64 v[132:133], -v[162:163], v[206:207], v[132:133]
	;; [unrolled: 4-line block ×3, first 2 shown]
.LBB85_56:
	s_or_b64 exec, exec, s[2:3]
	v_cmp_eq_u32_e32 vcc, 11, v178
	s_waitcnt lgkmcnt(0)
	s_barrier
	s_and_saveexec_b64 s[2:3], vcc
	s_cbranch_execz .LBB85_59
; %bb.57:
	s_waitcnt vmcnt(42)
	v_mov_b32_e32 v174, v160
	v_mov_b32_e32 v175, v161
	s_waitcnt vmcnt(41)
	v_mov_b32_e32 v180, v118
	v_mov_b32_e32 v181, v119
	ds_write_b64 v176, v[120:121]
	ds_write2_b64 v177, v[174:175], v[180:181] offset0:12 offset1:13
	s_waitcnt vmcnt(40)
	v_mov_b32_e32 v174, v158
	v_mov_b32_e32 v175, v159
	s_waitcnt vmcnt(39)
	v_mov_b32_e32 v180, v116
	v_mov_b32_e32 v181, v117
	ds_write2_b64 v177, v[174:175], v[180:181] offset0:14 offset1:15
	s_waitcnt vmcnt(38)
	v_mov_b32_e32 v174, v156
	v_mov_b32_e32 v175, v157
	s_waitcnt vmcnt(37)
	v_mov_b32_e32 v180, v114
	v_mov_b32_e32 v181, v115
	;; [unrolled: 7-line block ×14, first 2 shown]
	ds_write2_b64 v177, v[174:175], v[180:181] offset0:40 offset1:41
	s_waitcnt vmcnt(12)
	ds_write_b64 v177, v[172:173] offset:336
	ds_read_b64 v[174:175], v176
	s_waitcnt lgkmcnt(0)
	v_cmp_neq_f64_e32 vcc, 0, v[174:175]
	s_and_b64 exec, exec, vcc
	s_cbranch_execz .LBB85_59
; %bb.58:
	v_div_scale_f64 v[180:181], s[6:7], v[174:175], v[174:175], 1.0
	v_rcp_f64_e32 v[182:183], v[180:181]
	v_div_scale_f64 v[196:197], vcc, 1.0, v[174:175], 1.0
	v_fma_f64 v[198:199], -v[180:181], v[182:183], 1.0
	v_fmac_f64_e32 v[182:183], v[182:183], v[198:199]
	v_fma_f64 v[198:199], -v[180:181], v[182:183], 1.0
	v_fmac_f64_e32 v[182:183], v[182:183], v[198:199]
	v_mul_f64 v[198:199], v[196:197], v[182:183]
	v_fma_f64 v[180:181], -v[180:181], v[198:199], v[196:197]
	v_div_fmas_f64 v[180:181], v[180:181], v[182:183], v[198:199]
	v_div_fixup_f64 v[174:175], v[180:181], v[174:175], 1.0
	ds_write_b64 v176, v[174:175]
.LBB85_59:
	s_or_b64 exec, exec, s[2:3]
	s_waitcnt lgkmcnt(0)
	s_barrier
	ds_read_b64 v[196:197], v176
	v_cmp_lt_u32_e32 vcc, 11, v178
	s_and_saveexec_b64 s[2:3], vcc
	s_cbranch_execz .LBB85_61
; %bb.60:
	ds_read2_b64 v[198:201], v177 offset0:12 offset1:13
	ds_read2_b64 v[202:205], v177 offset0:14 offset1:15
	;; [unrolled: 1-line block ×3, first 2 shown]
	s_waitcnt vmcnt(43) lgkmcnt(3)
	v_mul_f64 v[120:121], v[196:197], v[120:121]
	ds_read_b64 v[174:175], v177 offset:336
	s_waitcnt vmcnt(42) lgkmcnt(3)
	v_fma_f64 v[160:161], -v[120:121], v[198:199], v[160:161]
	s_waitcnt vmcnt(41)
	v_fma_f64 v[118:119], -v[120:121], v[200:201], v[118:119]
	ds_read2_b64 v[198:201], v177 offset0:18 offset1:19
	s_waitcnt vmcnt(40) lgkmcnt(3)
	v_fma_f64 v[158:159], -v[120:121], v[202:203], v[158:159]
	s_waitcnt vmcnt(39)
	v_fma_f64 v[116:117], -v[120:121], v[204:205], v[116:117]
	s_waitcnt vmcnt(38) lgkmcnt(2)
	v_fma_f64 v[156:157], -v[120:121], v[206:207], v[156:157]
	ds_read2_b64 v[202:205], v177 offset0:20 offset1:21
	s_waitcnt vmcnt(37)
	v_fma_f64 v[114:115], -v[120:121], v[208:209], v[114:115]
	ds_read2_b64 v[206:209], v177 offset0:22 offset1:23
	s_waitcnt vmcnt(36) lgkmcnt(2)
	v_fma_f64 v[154:155], -v[120:121], v[198:199], v[154:155]
	s_waitcnt vmcnt(35)
	v_fma_f64 v[112:113], -v[120:121], v[200:201], v[112:113]
	s_waitcnt vmcnt(34) lgkmcnt(1)
	v_fma_f64 v[152:153], -v[120:121], v[202:203], v[152:153]
	ds_read2_b64 v[198:201], v177 offset0:24 offset1:25
	s_waitcnt vmcnt(33)
	v_fma_f64 v[110:111], -v[120:121], v[204:205], v[110:111]
	ds_read2_b64 v[202:205], v177 offset0:26 offset1:27
	s_waitcnt vmcnt(32) lgkmcnt(2)
	v_fma_f64 v[150:151], -v[120:121], v[206:207], v[150:151]
	s_waitcnt vmcnt(31)
	v_fma_f64 v[108:109], -v[120:121], v[208:209], v[108:109]
	ds_read2_b64 v[206:209], v177 offset0:28 offset1:29
	s_waitcnt vmcnt(30) lgkmcnt(2)
	v_fma_f64 v[148:149], -v[120:121], v[198:199], v[148:149]
	;; [unrolled: 5-line block ×3, first 2 shown]
	s_waitcnt vmcnt(27)
	v_fma_f64 v[104:105], -v[120:121], v[204:205], v[104:105]
	s_waitcnt vmcnt(26) lgkmcnt(1)
	v_fma_f64 v[144:145], -v[120:121], v[206:207], v[144:145]
	ds_read2_b64 v[202:205], v177 offset0:32 offset1:33
	s_waitcnt vmcnt(25)
	v_fma_f64 v[102:103], -v[120:121], v[208:209], v[102:103]
	ds_read2_b64 v[206:209], v177 offset0:34 offset1:35
	s_waitcnt vmcnt(24) lgkmcnt(2)
	v_fma_f64 v[142:143], -v[120:121], v[198:199], v[142:143]
	s_waitcnt vmcnt(23)
	v_fma_f64 v[100:101], -v[120:121], v[200:201], v[100:101]
	s_waitcnt vmcnt(22) lgkmcnt(1)
	v_fma_f64 v[140:141], -v[120:121], v[202:203], v[140:141]
	ds_read2_b64 v[198:201], v177 offset0:36 offset1:37
	s_waitcnt vmcnt(21)
	v_fma_f64 v[98:99], -v[120:121], v[204:205], v[98:99]
	ds_read2_b64 v[202:205], v177 offset0:38 offset1:39
	s_waitcnt vmcnt(20) lgkmcnt(2)
	v_fma_f64 v[138:139], -v[120:121], v[206:207], v[138:139]
	s_waitcnt vmcnt(19)
	v_fma_f64 v[96:97], -v[120:121], v[208:209], v[96:97]
	ds_read2_b64 v[206:209], v177 offset0:40 offset1:41
	s_waitcnt vmcnt(18) lgkmcnt(2)
	v_fma_f64 v[136:137], -v[120:121], v[198:199], v[136:137]
	s_waitcnt vmcnt(17)
	v_fma_f64 v[94:95], -v[120:121], v[200:201], v[94:95]
	s_waitcnt vmcnt(16) lgkmcnt(1)
	v_fma_f64 v[134:135], -v[120:121], v[202:203], v[134:135]
	s_waitcnt vmcnt(15)
	v_fma_f64 v[92:93], -v[120:121], v[204:205], v[92:93]
	;; [unrolled: 4-line block ×3, first 2 shown]
	s_waitcnt vmcnt(12)
	v_fma_f64 v[172:173], -v[120:121], v[174:175], v[172:173]
.LBB85_61:
	s_or_b64 exec, exec, s[2:3]
	v_cmp_eq_u32_e32 vcc, 12, v178
	s_waitcnt lgkmcnt(0)
	s_barrier
	s_and_saveexec_b64 s[2:3], vcc
	s_cbranch_execz .LBB85_64
; %bb.62:
	s_waitcnt vmcnt(42)
	ds_write_b64 v176, v[160:161]
	s_waitcnt vmcnt(40)
	ds_write2_b64 v177, v[118:119], v[158:159] offset0:13 offset1:14
	s_waitcnt vmcnt(38)
	ds_write2_b64 v177, v[116:117], v[156:157] offset0:15 offset1:16
	;; [unrolled: 2-line block ×15, first 2 shown]
	ds_read_b64 v[174:175], v176
	s_waitcnt lgkmcnt(0)
	v_cmp_neq_f64_e32 vcc, 0, v[174:175]
	s_and_b64 exec, exec, vcc
	s_cbranch_execz .LBB85_64
; %bb.63:
	v_div_scale_f64 v[180:181], s[6:7], v[174:175], v[174:175], 1.0
	v_rcp_f64_e32 v[182:183], v[180:181]
	v_div_scale_f64 v[198:199], vcc, 1.0, v[174:175], 1.0
	v_fma_f64 v[200:201], -v[180:181], v[182:183], 1.0
	v_fmac_f64_e32 v[182:183], v[182:183], v[200:201]
	v_fma_f64 v[200:201], -v[180:181], v[182:183], 1.0
	v_fmac_f64_e32 v[182:183], v[182:183], v[200:201]
	v_mul_f64 v[200:201], v[198:199], v[182:183]
	v_fma_f64 v[180:181], -v[180:181], v[200:201], v[198:199]
	v_div_fmas_f64 v[180:181], v[180:181], v[182:183], v[200:201]
	v_div_fixup_f64 v[174:175], v[180:181], v[174:175], 1.0
	ds_write_b64 v176, v[174:175]
.LBB85_64:
	s_or_b64 exec, exec, s[2:3]
	s_waitcnt lgkmcnt(0)
	s_barrier
	ds_read_b64 v[198:199], v176
	v_cmp_lt_u32_e32 vcc, 12, v178
	s_and_saveexec_b64 s[2:3], vcc
	s_cbranch_execz .LBB85_66
; %bb.65:
	ds_read2_b64 v[200:203], v177 offset0:13 offset1:14
	ds_read2_b64 v[204:207], v177 offset0:15 offset1:16
	;; [unrolled: 1-line block ×3, first 2 shown]
	s_waitcnt vmcnt(42) lgkmcnt(3)
	v_mul_f64 v[160:161], v[198:199], v[160:161]
	s_waitcnt vmcnt(41) lgkmcnt(2)
	v_fma_f64 v[118:119], -v[160:161], v[200:201], v[118:119]
	s_waitcnt vmcnt(40)
	v_fma_f64 v[158:159], -v[160:161], v[202:203], v[158:159]
	ds_read2_b64 v[200:203], v177 offset0:19 offset1:20
	s_waitcnt vmcnt(39) lgkmcnt(2)
	v_fma_f64 v[116:117], -v[160:161], v[204:205], v[116:117]
	s_waitcnt vmcnt(38)
	v_fma_f64 v[156:157], -v[160:161], v[206:207], v[156:157]
	s_waitcnt vmcnt(37) lgkmcnt(1)
	v_fma_f64 v[114:115], -v[160:161], v[208:209], v[114:115]
	ds_read2_b64 v[204:207], v177 offset0:21 offset1:22
	s_waitcnt vmcnt(36)
	v_fma_f64 v[154:155], -v[160:161], v[210:211], v[154:155]
	ds_read2_b64 v[208:211], v177 offset0:23 offset1:24
	s_waitcnt vmcnt(35) lgkmcnt(2)
	v_fma_f64 v[112:113], -v[160:161], v[200:201], v[112:113]
	s_waitcnt vmcnt(34)
	v_fma_f64 v[152:153], -v[160:161], v[202:203], v[152:153]
	s_waitcnt vmcnt(33) lgkmcnt(1)
	v_fma_f64 v[110:111], -v[160:161], v[204:205], v[110:111]
	ds_read2_b64 v[200:203], v177 offset0:25 offset1:26
	s_waitcnt vmcnt(32)
	v_fma_f64 v[150:151], -v[160:161], v[206:207], v[150:151]
	ds_read2_b64 v[204:207], v177 offset0:27 offset1:28
	s_waitcnt vmcnt(31) lgkmcnt(2)
	v_fma_f64 v[108:109], -v[160:161], v[208:209], v[108:109]
	s_waitcnt vmcnt(30)
	v_fma_f64 v[148:149], -v[160:161], v[210:211], v[148:149]
	ds_read2_b64 v[208:211], v177 offset0:29 offset1:30
	s_waitcnt vmcnt(29) lgkmcnt(2)
	v_fma_f64 v[106:107], -v[160:161], v[200:201], v[106:107]
	;; [unrolled: 5-line block ×3, first 2 shown]
	s_waitcnt vmcnt(26)
	v_fma_f64 v[144:145], -v[160:161], v[206:207], v[144:145]
	s_waitcnt vmcnt(25) lgkmcnt(1)
	v_fma_f64 v[102:103], -v[160:161], v[208:209], v[102:103]
	ds_read2_b64 v[204:207], v177 offset0:33 offset1:34
	s_waitcnt vmcnt(24)
	v_fma_f64 v[142:143], -v[160:161], v[210:211], v[142:143]
	ds_read2_b64 v[208:211], v177 offset0:35 offset1:36
	s_waitcnt vmcnt(23) lgkmcnt(2)
	v_fma_f64 v[100:101], -v[160:161], v[200:201], v[100:101]
	s_waitcnt vmcnt(22)
	v_fma_f64 v[140:141], -v[160:161], v[202:203], v[140:141]
	s_waitcnt vmcnt(21) lgkmcnt(1)
	v_fma_f64 v[98:99], -v[160:161], v[204:205], v[98:99]
	s_waitcnt vmcnt(20)
	v_fma_f64 v[138:139], -v[160:161], v[206:207], v[138:139]
	ds_read2_b64 v[200:203], v177 offset0:37 offset1:38
	ds_read2_b64 v[204:207], v177 offset0:39 offset1:40
	s_waitcnt vmcnt(19) lgkmcnt(2)
	v_fma_f64 v[96:97], -v[160:161], v[208:209], v[96:97]
	s_waitcnt vmcnt(18)
	v_fma_f64 v[136:137], -v[160:161], v[210:211], v[136:137]
	ds_read2_b64 v[208:211], v177 offset0:41 offset1:42
	s_waitcnt vmcnt(17) lgkmcnt(2)
	v_fma_f64 v[94:95], -v[160:161], v[200:201], v[94:95]
	s_waitcnt vmcnt(16)
	v_fma_f64 v[134:135], -v[160:161], v[202:203], v[134:135]
	s_waitcnt vmcnt(15) lgkmcnt(1)
	v_fma_f64 v[92:93], -v[160:161], v[204:205], v[92:93]
	s_waitcnt vmcnt(14)
	v_fma_f64 v[132:133], -v[160:161], v[206:207], v[132:133]
	;; [unrolled: 4-line block ×3, first 2 shown]
.LBB85_66:
	s_or_b64 exec, exec, s[2:3]
	v_cmp_eq_u32_e32 vcc, 13, v178
	s_waitcnt lgkmcnt(0)
	s_barrier
	s_and_saveexec_b64 s[2:3], vcc
	s_cbranch_execz .LBB85_69
; %bb.67:
	s_waitcnt vmcnt(40)
	v_mov_b32_e32 v174, v158
	v_mov_b32_e32 v175, v159
	s_waitcnt vmcnt(39)
	v_mov_b32_e32 v180, v116
	v_mov_b32_e32 v181, v117
	ds_write_b64 v176, v[118:119]
	ds_write2_b64 v177, v[174:175], v[180:181] offset0:14 offset1:15
	s_waitcnt vmcnt(38)
	v_mov_b32_e32 v174, v156
	v_mov_b32_e32 v175, v157
	s_waitcnt vmcnt(37)
	v_mov_b32_e32 v180, v114
	v_mov_b32_e32 v181, v115
	ds_write2_b64 v177, v[174:175], v[180:181] offset0:16 offset1:17
	s_waitcnt vmcnt(36)
	v_mov_b32_e32 v174, v154
	v_mov_b32_e32 v175, v155
	s_waitcnt vmcnt(35)
	v_mov_b32_e32 v180, v112
	v_mov_b32_e32 v181, v113
	;; [unrolled: 7-line block ×13, first 2 shown]
	ds_write2_b64 v177, v[174:175], v[180:181] offset0:40 offset1:41
	s_waitcnt vmcnt(12)
	ds_write_b64 v177, v[172:173] offset:336
	ds_read_b64 v[174:175], v176
	s_waitcnt lgkmcnt(0)
	v_cmp_neq_f64_e32 vcc, 0, v[174:175]
	s_and_b64 exec, exec, vcc
	s_cbranch_execz .LBB85_69
; %bb.68:
	v_div_scale_f64 v[180:181], s[6:7], v[174:175], v[174:175], 1.0
	v_rcp_f64_e32 v[182:183], v[180:181]
	v_div_scale_f64 v[200:201], vcc, 1.0, v[174:175], 1.0
	v_fma_f64 v[202:203], -v[180:181], v[182:183], 1.0
	v_fmac_f64_e32 v[182:183], v[182:183], v[202:203]
	v_fma_f64 v[202:203], -v[180:181], v[182:183], 1.0
	v_fmac_f64_e32 v[182:183], v[182:183], v[202:203]
	v_mul_f64 v[202:203], v[200:201], v[182:183]
	v_fma_f64 v[180:181], -v[180:181], v[202:203], v[200:201]
	v_div_fmas_f64 v[180:181], v[180:181], v[182:183], v[202:203]
	v_div_fixup_f64 v[174:175], v[180:181], v[174:175], 1.0
	ds_write_b64 v176, v[174:175]
.LBB85_69:
	s_or_b64 exec, exec, s[2:3]
	s_waitcnt lgkmcnt(0)
	s_barrier
	ds_read_b64 v[200:201], v176
	v_cmp_lt_u32_e32 vcc, 13, v178
	s_and_saveexec_b64 s[2:3], vcc
	s_cbranch_execz .LBB85_71
; %bb.70:
	ds_read2_b64 v[202:205], v177 offset0:14 offset1:15
	ds_read2_b64 v[206:209], v177 offset0:16 offset1:17
	s_waitcnt vmcnt(41) lgkmcnt(2)
	v_mul_f64 v[118:119], v[200:201], v[118:119]
	ds_read2_b64 v[210:213], v177 offset0:18 offset1:19
	ds_read_b64 v[174:175], v177 offset:336
	s_waitcnt vmcnt(40) lgkmcnt(3)
	v_fma_f64 v[158:159], -v[118:119], v[202:203], v[158:159]
	s_waitcnt vmcnt(39)
	v_fma_f64 v[116:117], -v[118:119], v[204:205], v[116:117]
	ds_read2_b64 v[202:205], v177 offset0:20 offset1:21
	s_waitcnt vmcnt(38) lgkmcnt(3)
	v_fma_f64 v[156:157], -v[118:119], v[206:207], v[156:157]
	s_waitcnt vmcnt(37)
	v_fma_f64 v[114:115], -v[118:119], v[208:209], v[114:115]
	ds_read2_b64 v[206:209], v177 offset0:22 offset1:23
	;; [unrolled: 5-line block ×3, first 2 shown]
	s_waitcnt vmcnt(34) lgkmcnt(2)
	v_fma_f64 v[152:153], -v[118:119], v[202:203], v[152:153]
	s_waitcnt vmcnt(33)
	v_fma_f64 v[110:111], -v[118:119], v[204:205], v[110:111]
	s_waitcnt vmcnt(32) lgkmcnt(1)
	v_fma_f64 v[150:151], -v[118:119], v[206:207], v[150:151]
	ds_read2_b64 v[202:205], v177 offset0:26 offset1:27
	s_waitcnt vmcnt(31)
	v_fma_f64 v[108:109], -v[118:119], v[208:209], v[108:109]
	ds_read2_b64 v[206:209], v177 offset0:28 offset1:29
	s_waitcnt vmcnt(30) lgkmcnt(2)
	v_fma_f64 v[148:149], -v[118:119], v[210:211], v[148:149]
	s_waitcnt vmcnt(29)
	v_fma_f64 v[106:107], -v[118:119], v[212:213], v[106:107]
	s_waitcnt vmcnt(28) lgkmcnt(1)
	v_fma_f64 v[146:147], -v[118:119], v[202:203], v[146:147]
	ds_read2_b64 v[210:213], v177 offset0:30 offset1:31
	s_waitcnt vmcnt(27)
	v_fma_f64 v[104:105], -v[118:119], v[204:205], v[104:105]
	ds_read2_b64 v[202:205], v177 offset0:32 offset1:33
	s_waitcnt vmcnt(26) lgkmcnt(2)
	v_fma_f64 v[144:145], -v[118:119], v[206:207], v[144:145]
	s_waitcnt vmcnt(25)
	v_fma_f64 v[102:103], -v[118:119], v[208:209], v[102:103]
	ds_read2_b64 v[206:209], v177 offset0:34 offset1:35
	s_waitcnt vmcnt(24) lgkmcnt(2)
	v_fma_f64 v[142:143], -v[118:119], v[210:211], v[142:143]
	;; [unrolled: 5-line block ×3, first 2 shown]
	s_waitcnt vmcnt(21)
	v_fma_f64 v[98:99], -v[118:119], v[204:205], v[98:99]
	s_waitcnt vmcnt(20) lgkmcnt(1)
	v_fma_f64 v[138:139], -v[118:119], v[206:207], v[138:139]
	s_waitcnt vmcnt(19)
	v_fma_f64 v[96:97], -v[118:119], v[208:209], v[96:97]
	ds_read2_b64 v[202:205], v177 offset0:38 offset1:39
	ds_read2_b64 v[206:209], v177 offset0:40 offset1:41
	s_waitcnt vmcnt(18) lgkmcnt(2)
	v_fma_f64 v[136:137], -v[118:119], v[210:211], v[136:137]
	s_waitcnt vmcnt(17)
	v_fma_f64 v[94:95], -v[118:119], v[212:213], v[94:95]
	s_waitcnt vmcnt(12)
	v_fma_f64 v[172:173], -v[118:119], v[174:175], v[172:173]
	s_waitcnt lgkmcnt(1)
	v_fma_f64 v[134:135], -v[118:119], v[202:203], v[134:135]
	v_fma_f64 v[92:93], -v[118:119], v[204:205], v[92:93]
	s_waitcnt lgkmcnt(0)
	v_fma_f64 v[132:133], -v[118:119], v[206:207], v[132:133]
	v_fma_f64 v[90:91], -v[118:119], v[208:209], v[90:91]
.LBB85_71:
	s_or_b64 exec, exec, s[2:3]
	v_cmp_eq_u32_e32 vcc, 14, v178
	s_waitcnt lgkmcnt(0)
	s_barrier
	s_and_saveexec_b64 s[2:3], vcc
	s_cbranch_execz .LBB85_74
; %bb.72:
	s_waitcnt vmcnt(40)
	ds_write_b64 v176, v[158:159]
	s_waitcnt vmcnt(38)
	ds_write2_b64 v177, v[116:117], v[156:157] offset0:15 offset1:16
	s_waitcnt vmcnt(36)
	ds_write2_b64 v177, v[114:115], v[154:155] offset0:17 offset1:18
	;; [unrolled: 2-line block ×14, first 2 shown]
	ds_read_b64 v[174:175], v176
	s_waitcnt lgkmcnt(0)
	v_cmp_neq_f64_e32 vcc, 0, v[174:175]
	s_and_b64 exec, exec, vcc
	s_cbranch_execz .LBB85_74
; %bb.73:
	v_div_scale_f64 v[180:181], s[6:7], v[174:175], v[174:175], 1.0
	v_rcp_f64_e32 v[182:183], v[180:181]
	v_div_scale_f64 v[202:203], vcc, 1.0, v[174:175], 1.0
	v_fma_f64 v[204:205], -v[180:181], v[182:183], 1.0
	v_fmac_f64_e32 v[182:183], v[182:183], v[204:205]
	v_fma_f64 v[204:205], -v[180:181], v[182:183], 1.0
	v_fmac_f64_e32 v[182:183], v[182:183], v[204:205]
	v_mul_f64 v[204:205], v[202:203], v[182:183]
	v_fma_f64 v[180:181], -v[180:181], v[204:205], v[202:203]
	v_div_fmas_f64 v[180:181], v[180:181], v[182:183], v[204:205]
	v_div_fixup_f64 v[174:175], v[180:181], v[174:175], 1.0
	ds_write_b64 v176, v[174:175]
.LBB85_74:
	s_or_b64 exec, exec, s[2:3]
	s_waitcnt lgkmcnt(0)
	s_barrier
	ds_read_b64 v[202:203], v176
	v_cmp_lt_u32_e32 vcc, 14, v178
	s_and_saveexec_b64 s[2:3], vcc
	s_cbranch_execz .LBB85_76
; %bb.75:
	ds_read2_b64 v[204:207], v177 offset0:15 offset1:16
	ds_read2_b64 v[208:211], v177 offset0:17 offset1:18
	s_waitcnt vmcnt(40) lgkmcnt(2)
	v_mul_f64 v[158:159], v[202:203], v[158:159]
	ds_read2_b64 v[212:215], v177 offset0:19 offset1:20
	s_waitcnt vmcnt(39) lgkmcnt(2)
	v_fma_f64 v[116:117], -v[158:159], v[204:205], v[116:117]
	s_waitcnt vmcnt(38)
	v_fma_f64 v[156:157], -v[158:159], v[206:207], v[156:157]
	ds_read2_b64 v[204:207], v177 offset0:21 offset1:22
	s_waitcnt vmcnt(37) lgkmcnt(2)
	v_fma_f64 v[114:115], -v[158:159], v[208:209], v[114:115]
	s_waitcnt vmcnt(36)
	v_fma_f64 v[154:155], -v[158:159], v[210:211], v[154:155]
	;; [unrolled: 5-line block ×4, first 2 shown]
	s_waitcnt vmcnt(31) lgkmcnt(1)
	v_fma_f64 v[108:109], -v[158:159], v[208:209], v[108:109]
	ds_read2_b64 v[204:207], v177 offset0:27 offset1:28
	s_waitcnt vmcnt(30)
	v_fma_f64 v[148:149], -v[158:159], v[210:211], v[148:149]
	ds_read2_b64 v[208:211], v177 offset0:29 offset1:30
	s_waitcnt vmcnt(29) lgkmcnt(2)
	v_fma_f64 v[106:107], -v[158:159], v[212:213], v[106:107]
	s_waitcnt vmcnt(28)
	v_fma_f64 v[146:147], -v[158:159], v[214:215], v[146:147]
	s_waitcnt vmcnt(27) lgkmcnt(1)
	v_fma_f64 v[104:105], -v[158:159], v[204:205], v[104:105]
	ds_read2_b64 v[212:215], v177 offset0:31 offset1:32
	s_waitcnt vmcnt(26)
	v_fma_f64 v[144:145], -v[158:159], v[206:207], v[144:145]
	ds_read2_b64 v[204:207], v177 offset0:33 offset1:34
	s_waitcnt vmcnt(25) lgkmcnt(2)
	v_fma_f64 v[102:103], -v[158:159], v[208:209], v[102:103]
	s_waitcnt vmcnt(24)
	v_fma_f64 v[142:143], -v[158:159], v[210:211], v[142:143]
	ds_read2_b64 v[208:211], v177 offset0:35 offset1:36
	s_waitcnt vmcnt(23) lgkmcnt(2)
	v_fma_f64 v[100:101], -v[158:159], v[212:213], v[100:101]
	s_waitcnt vmcnt(22)
	v_fma_f64 v[140:141], -v[158:159], v[214:215], v[140:141]
	s_waitcnt vmcnt(21) lgkmcnt(1)
	v_fma_f64 v[98:99], -v[158:159], v[204:205], v[98:99]
	s_waitcnt vmcnt(20)
	v_fma_f64 v[138:139], -v[158:159], v[206:207], v[138:139]
	ds_read2_b64 v[204:207], v177 offset0:37 offset1:38
	s_waitcnt vmcnt(19) lgkmcnt(1)
	v_fma_f64 v[96:97], -v[158:159], v[208:209], v[96:97]
	ds_read2_b64 v[212:215], v177 offset0:39 offset1:40
	s_waitcnt vmcnt(18)
	v_fma_f64 v[136:137], -v[158:159], v[210:211], v[136:137]
	ds_read2_b64 v[208:211], v177 offset0:41 offset1:42
	s_waitcnt vmcnt(17) lgkmcnt(2)
	v_fma_f64 v[94:95], -v[158:159], v[204:205], v[94:95]
	s_waitcnt vmcnt(16)
	v_fma_f64 v[134:135], -v[158:159], v[206:207], v[134:135]
	s_waitcnt vmcnt(15) lgkmcnt(1)
	v_fma_f64 v[92:93], -v[158:159], v[212:213], v[92:93]
	s_waitcnt vmcnt(14)
	v_fma_f64 v[132:133], -v[158:159], v[214:215], v[132:133]
	;; [unrolled: 4-line block ×3, first 2 shown]
.LBB85_76:
	s_or_b64 exec, exec, s[2:3]
	v_cmp_eq_u32_e32 vcc, 15, v178
	s_waitcnt lgkmcnt(0)
	s_barrier
	s_and_saveexec_b64 s[2:3], vcc
	s_cbranch_execz .LBB85_79
; %bb.77:
	s_waitcnt vmcnt(38)
	v_mov_b32_e32 v174, v156
	v_mov_b32_e32 v175, v157
	s_waitcnt vmcnt(37)
	v_mov_b32_e32 v180, v114
	v_mov_b32_e32 v181, v115
	ds_write_b64 v176, v[116:117]
	ds_write2_b64 v177, v[174:175], v[180:181] offset0:16 offset1:17
	s_waitcnt vmcnt(36)
	v_mov_b32_e32 v174, v154
	v_mov_b32_e32 v175, v155
	s_waitcnt vmcnt(35)
	v_mov_b32_e32 v180, v112
	v_mov_b32_e32 v181, v113
	ds_write2_b64 v177, v[174:175], v[180:181] offset0:18 offset1:19
	s_waitcnt vmcnt(34)
	v_mov_b32_e32 v174, v152
	v_mov_b32_e32 v175, v153
	s_waitcnt vmcnt(33)
	v_mov_b32_e32 v180, v110
	v_mov_b32_e32 v181, v111
	;; [unrolled: 7-line block ×12, first 2 shown]
	ds_write2_b64 v177, v[174:175], v[180:181] offset0:40 offset1:41
	s_waitcnt vmcnt(12)
	ds_write_b64 v177, v[172:173] offset:336
	ds_read_b64 v[174:175], v176
	s_waitcnt lgkmcnt(0)
	v_cmp_neq_f64_e32 vcc, 0, v[174:175]
	s_and_b64 exec, exec, vcc
	s_cbranch_execz .LBB85_79
; %bb.78:
	v_div_scale_f64 v[180:181], s[6:7], v[174:175], v[174:175], 1.0
	v_rcp_f64_e32 v[182:183], v[180:181]
	v_div_scale_f64 v[204:205], vcc, 1.0, v[174:175], 1.0
	v_fma_f64 v[206:207], -v[180:181], v[182:183], 1.0
	v_fmac_f64_e32 v[182:183], v[182:183], v[206:207]
	v_fma_f64 v[206:207], -v[180:181], v[182:183], 1.0
	v_fmac_f64_e32 v[182:183], v[182:183], v[206:207]
	v_mul_f64 v[206:207], v[204:205], v[182:183]
	v_fma_f64 v[180:181], -v[180:181], v[206:207], v[204:205]
	v_div_fmas_f64 v[180:181], v[180:181], v[182:183], v[206:207]
	v_div_fixup_f64 v[174:175], v[180:181], v[174:175], 1.0
	ds_write_b64 v176, v[174:175]
.LBB85_79:
	s_or_b64 exec, exec, s[2:3]
	s_waitcnt lgkmcnt(0)
	s_barrier
	ds_read_b64 v[204:205], v176
	v_cmp_lt_u32_e32 vcc, 15, v178
	s_and_saveexec_b64 s[2:3], vcc
	s_cbranch_execz .LBB85_81
; %bb.80:
	ds_read2_b64 v[206:209], v177 offset0:16 offset1:17
	ds_read2_b64 v[210:213], v177 offset0:18 offset1:19
	s_waitcnt vmcnt(39) lgkmcnt(2)
	v_mul_f64 v[116:117], v[204:205], v[116:117]
	ds_read2_b64 v[214:217], v177 offset0:20 offset1:21
	ds_read_b64 v[174:175], v177 offset:336
	s_waitcnt vmcnt(38) lgkmcnt(3)
	v_fma_f64 v[156:157], -v[116:117], v[206:207], v[156:157]
	s_waitcnt vmcnt(37)
	v_fma_f64 v[114:115], -v[116:117], v[208:209], v[114:115]
	ds_read2_b64 v[206:209], v177 offset0:22 offset1:23
	s_waitcnt vmcnt(36) lgkmcnt(3)
	v_fma_f64 v[154:155], -v[116:117], v[210:211], v[154:155]
	s_waitcnt vmcnt(35)
	v_fma_f64 v[112:113], -v[116:117], v[212:213], v[112:113]
	s_waitcnt vmcnt(34) lgkmcnt(2)
	v_fma_f64 v[152:153], -v[116:117], v[214:215], v[152:153]
	ds_read2_b64 v[210:213], v177 offset0:24 offset1:25
	s_waitcnt vmcnt(33)
	v_fma_f64 v[110:111], -v[116:117], v[216:217], v[110:111]
	ds_read2_b64 v[214:217], v177 offset0:26 offset1:27
	s_waitcnt vmcnt(32) lgkmcnt(2)
	v_fma_f64 v[150:151], -v[116:117], v[206:207], v[150:151]
	s_waitcnt vmcnt(31)
	v_fma_f64 v[108:109], -v[116:117], v[208:209], v[108:109]
	ds_read2_b64 v[206:209], v177 offset0:28 offset1:29
	s_waitcnt vmcnt(30) lgkmcnt(2)
	v_fma_f64 v[148:149], -v[116:117], v[210:211], v[148:149]
	s_waitcnt vmcnt(29)
	v_fma_f64 v[106:107], -v[116:117], v[212:213], v[106:107]
	ds_read2_b64 v[210:213], v177 offset0:30 offset1:31
	s_waitcnt vmcnt(28) lgkmcnt(2)
	v_fma_f64 v[146:147], -v[116:117], v[214:215], v[146:147]
	s_waitcnt vmcnt(27)
	v_fma_f64 v[104:105], -v[116:117], v[216:217], v[104:105]
	s_waitcnt vmcnt(26) lgkmcnt(1)
	v_fma_f64 v[144:145], -v[116:117], v[206:207], v[144:145]
	ds_read2_b64 v[214:217], v177 offset0:32 offset1:33
	s_waitcnt vmcnt(25)
	v_fma_f64 v[102:103], -v[116:117], v[208:209], v[102:103]
	ds_read2_b64 v[206:209], v177 offset0:34 offset1:35
	s_waitcnt vmcnt(24) lgkmcnt(2)
	v_fma_f64 v[142:143], -v[116:117], v[210:211], v[142:143]
	s_waitcnt vmcnt(23)
	v_fma_f64 v[100:101], -v[116:117], v[212:213], v[100:101]
	s_waitcnt vmcnt(22) lgkmcnt(1)
	v_fma_f64 v[140:141], -v[116:117], v[214:215], v[140:141]
	ds_read2_b64 v[210:213], v177 offset0:36 offset1:37
	s_waitcnt vmcnt(21)
	v_fma_f64 v[98:99], -v[116:117], v[216:217], v[98:99]
	s_waitcnt vmcnt(20) lgkmcnt(1)
	v_fma_f64 v[138:139], -v[116:117], v[206:207], v[138:139]
	s_waitcnt vmcnt(19)
	v_fma_f64 v[96:97], -v[116:117], v[208:209], v[96:97]
	ds_read2_b64 v[206:209], v177 offset0:38 offset1:39
	ds_read2_b64 v[214:217], v177 offset0:40 offset1:41
	s_waitcnt vmcnt(18) lgkmcnt(2)
	v_fma_f64 v[136:137], -v[116:117], v[210:211], v[136:137]
	s_waitcnt vmcnt(17)
	v_fma_f64 v[94:95], -v[116:117], v[212:213], v[94:95]
	s_waitcnt vmcnt(12)
	v_fma_f64 v[172:173], -v[116:117], v[174:175], v[172:173]
	s_waitcnt lgkmcnt(1)
	v_fma_f64 v[134:135], -v[116:117], v[206:207], v[134:135]
	v_fma_f64 v[92:93], -v[116:117], v[208:209], v[92:93]
	s_waitcnt lgkmcnt(0)
	v_fma_f64 v[132:133], -v[116:117], v[214:215], v[132:133]
	v_fma_f64 v[90:91], -v[116:117], v[216:217], v[90:91]
.LBB85_81:
	s_or_b64 exec, exec, s[2:3]
	v_cmp_eq_u32_e32 vcc, 16, v178
	s_waitcnt lgkmcnt(0)
	s_barrier
	s_and_saveexec_b64 s[2:3], vcc
	s_cbranch_execz .LBB85_84
; %bb.82:
	s_waitcnt vmcnt(38)
	ds_write_b64 v176, v[156:157]
	s_waitcnt vmcnt(36)
	ds_write2_b64 v177, v[114:115], v[154:155] offset0:17 offset1:18
	s_waitcnt vmcnt(34)
	ds_write2_b64 v177, v[112:113], v[152:153] offset0:19 offset1:20
	;; [unrolled: 2-line block ×13, first 2 shown]
	ds_read_b64 v[174:175], v176
	s_waitcnt lgkmcnt(0)
	v_cmp_neq_f64_e32 vcc, 0, v[174:175]
	s_and_b64 exec, exec, vcc
	s_cbranch_execz .LBB85_84
; %bb.83:
	v_div_scale_f64 v[180:181], s[6:7], v[174:175], v[174:175], 1.0
	v_rcp_f64_e32 v[182:183], v[180:181]
	v_div_scale_f64 v[206:207], vcc, 1.0, v[174:175], 1.0
	v_fma_f64 v[208:209], -v[180:181], v[182:183], 1.0
	v_fmac_f64_e32 v[182:183], v[182:183], v[208:209]
	v_fma_f64 v[208:209], -v[180:181], v[182:183], 1.0
	v_fmac_f64_e32 v[182:183], v[182:183], v[208:209]
	v_mul_f64 v[208:209], v[206:207], v[182:183]
	v_fma_f64 v[180:181], -v[180:181], v[208:209], v[206:207]
	v_div_fmas_f64 v[180:181], v[180:181], v[182:183], v[208:209]
	v_div_fixup_f64 v[174:175], v[180:181], v[174:175], 1.0
	ds_write_b64 v176, v[174:175]
.LBB85_84:
	s_or_b64 exec, exec, s[2:3]
	s_waitcnt lgkmcnt(0)
	s_barrier
	ds_read_b64 v[0:1], v176
	v_cmp_lt_u32_e32 vcc, 16, v178
	s_and_saveexec_b64 s[2:3], vcc
	s_cbranch_execz .LBB85_86
; %bb.85:
	ds_read2_b64 v[208:211], v177 offset0:17 offset1:18
	ds_read2_b64 v[212:215], v177 offset0:19 offset1:20
	s_waitcnt vmcnt(38) lgkmcnt(2)
	v_mul_f64 v[156:157], v[0:1], v[156:157]
	ds_read2_b64 v[216:219], v177 offset0:21 offset1:22
	s_waitcnt vmcnt(37) lgkmcnt(2)
	v_fma_f64 v[114:115], -v[156:157], v[208:209], v[114:115]
	s_waitcnt vmcnt(36)
	v_fma_f64 v[154:155], -v[156:157], v[210:211], v[154:155]
	ds_read2_b64 v[208:211], v177 offset0:23 offset1:24
	s_waitcnt vmcnt(35) lgkmcnt(2)
	v_fma_f64 v[112:113], -v[156:157], v[212:213], v[112:113]
	s_waitcnt vmcnt(34)
	v_fma_f64 v[152:153], -v[156:157], v[214:215], v[152:153]
	s_waitcnt vmcnt(33) lgkmcnt(1)
	v_fma_f64 v[110:111], -v[156:157], v[216:217], v[110:111]
	ds_read2_b64 v[212:215], v177 offset0:25 offset1:26
	s_waitcnt vmcnt(32)
	v_fma_f64 v[150:151], -v[156:157], v[218:219], v[150:151]
	ds_read2_b64 v[216:219], v177 offset0:27 offset1:28
	s_waitcnt vmcnt(31) lgkmcnt(2)
	v_fma_f64 v[108:109], -v[156:157], v[208:209], v[108:109]
	s_waitcnt vmcnt(30)
	v_fma_f64 v[148:149], -v[156:157], v[210:211], v[148:149]
	ds_read2_b64 v[208:211], v177 offset0:29 offset1:30
	s_waitcnt vmcnt(29) lgkmcnt(2)
	v_fma_f64 v[106:107], -v[156:157], v[212:213], v[106:107]
	;; [unrolled: 5-line block ×3, first 2 shown]
	s_waitcnt vmcnt(26)
	v_fma_f64 v[144:145], -v[156:157], v[218:219], v[144:145]
	s_waitcnt vmcnt(25) lgkmcnt(1)
	v_fma_f64 v[102:103], -v[156:157], v[208:209], v[102:103]
	ds_read2_b64 v[216:219], v177 offset0:33 offset1:34
	s_waitcnt vmcnt(24)
	v_fma_f64 v[142:143], -v[156:157], v[210:211], v[142:143]
	ds_read2_b64 v[208:211], v177 offset0:35 offset1:36
	s_waitcnt vmcnt(23) lgkmcnt(2)
	v_fma_f64 v[100:101], -v[156:157], v[212:213], v[100:101]
	s_waitcnt vmcnt(22)
	v_fma_f64 v[140:141], -v[156:157], v[214:215], v[140:141]
	s_waitcnt vmcnt(21) lgkmcnt(1)
	v_fma_f64 v[98:99], -v[156:157], v[216:217], v[98:99]
	s_waitcnt vmcnt(20)
	v_fma_f64 v[138:139], -v[156:157], v[218:219], v[138:139]
	ds_read2_b64 v[212:215], v177 offset0:37 offset1:38
	ds_read2_b64 v[216:219], v177 offset0:39 offset1:40
	s_waitcnt vmcnt(19) lgkmcnt(2)
	v_fma_f64 v[96:97], -v[156:157], v[208:209], v[96:97]
	s_waitcnt vmcnt(18)
	v_fma_f64 v[136:137], -v[156:157], v[210:211], v[136:137]
	ds_read2_b64 v[208:211], v177 offset0:41 offset1:42
	s_waitcnt vmcnt(17) lgkmcnt(2)
	v_fma_f64 v[94:95], -v[156:157], v[212:213], v[94:95]
	s_waitcnt vmcnt(16)
	v_fma_f64 v[134:135], -v[156:157], v[214:215], v[134:135]
	s_waitcnt vmcnt(15) lgkmcnt(1)
	v_fma_f64 v[92:93], -v[156:157], v[216:217], v[92:93]
	s_waitcnt vmcnt(14)
	v_fma_f64 v[132:133], -v[156:157], v[218:219], v[132:133]
	;; [unrolled: 4-line block ×3, first 2 shown]
.LBB85_86:
	s_or_b64 exec, exec, s[2:3]
	v_cmp_eq_u32_e32 vcc, 17, v178
	s_waitcnt lgkmcnt(0)
	s_barrier
	s_and_saveexec_b64 s[2:3], vcc
	s_cbranch_execz .LBB85_89
; %bb.87:
	s_waitcnt vmcnt(36)
	v_mov_b32_e32 v174, v154
	v_mov_b32_e32 v175, v155
	s_waitcnt vmcnt(35)
	v_mov_b32_e32 v180, v112
	v_mov_b32_e32 v181, v113
	ds_write_b64 v176, v[114:115]
	ds_write2_b64 v177, v[174:175], v[180:181] offset0:18 offset1:19
	s_waitcnt vmcnt(34)
	v_mov_b32_e32 v174, v152
	v_mov_b32_e32 v175, v153
	s_waitcnt vmcnt(33)
	v_mov_b32_e32 v180, v110
	v_mov_b32_e32 v181, v111
	ds_write2_b64 v177, v[174:175], v[180:181] offset0:20 offset1:21
	s_waitcnt vmcnt(32)
	v_mov_b32_e32 v174, v150
	v_mov_b32_e32 v175, v151
	s_waitcnt vmcnt(31)
	v_mov_b32_e32 v180, v108
	v_mov_b32_e32 v181, v109
	ds_write2_b64 v177, v[174:175], v[180:181] offset0:22 offset1:23
	s_waitcnt vmcnt(30)
	v_mov_b32_e32 v174, v148
	v_mov_b32_e32 v175, v149
	s_waitcnt vmcnt(29)
	v_mov_b32_e32 v180, v106
	v_mov_b32_e32 v181, v107
	ds_write2_b64 v177, v[174:175], v[180:181] offset0:24 offset1:25
	s_waitcnt vmcnt(28)
	v_mov_b32_e32 v174, v146
	v_mov_b32_e32 v175, v147
	s_waitcnt vmcnt(27)
	v_mov_b32_e32 v180, v104
	v_mov_b32_e32 v181, v105
	ds_write2_b64 v177, v[174:175], v[180:181] offset0:26 offset1:27
	s_waitcnt vmcnt(26)
	v_mov_b32_e32 v174, v144
	v_mov_b32_e32 v175, v145
	s_waitcnt vmcnt(25)
	v_mov_b32_e32 v180, v102
	v_mov_b32_e32 v181, v103
	ds_write2_b64 v177, v[174:175], v[180:181] offset0:28 offset1:29
	s_waitcnt vmcnt(24)
	v_mov_b32_e32 v174, v142
	v_mov_b32_e32 v175, v143
	s_waitcnt vmcnt(23)
	v_mov_b32_e32 v180, v100
	v_mov_b32_e32 v181, v101
	ds_write2_b64 v177, v[174:175], v[180:181] offset0:30 offset1:31
	s_waitcnt vmcnt(22)
	v_mov_b32_e32 v174, v140
	v_mov_b32_e32 v175, v141
	s_waitcnt vmcnt(21)
	v_mov_b32_e32 v180, v98
	v_mov_b32_e32 v181, v99
	ds_write2_b64 v177, v[174:175], v[180:181] offset0:32 offset1:33
	s_waitcnt vmcnt(20)
	v_mov_b32_e32 v174, v138
	v_mov_b32_e32 v175, v139
	s_waitcnt vmcnt(19)
	v_mov_b32_e32 v180, v96
	v_mov_b32_e32 v181, v97
	ds_write2_b64 v177, v[174:175], v[180:181] offset0:34 offset1:35
	s_waitcnt vmcnt(18)
	v_mov_b32_e32 v174, v136
	v_mov_b32_e32 v175, v137
	s_waitcnt vmcnt(17)
	v_mov_b32_e32 v180, v94
	v_mov_b32_e32 v181, v95
	ds_write2_b64 v177, v[174:175], v[180:181] offset0:36 offset1:37
	s_waitcnt vmcnt(16)
	v_mov_b32_e32 v174, v134
	v_mov_b32_e32 v175, v135
	s_waitcnt vmcnt(15)
	v_mov_b32_e32 v180, v92
	v_mov_b32_e32 v181, v93
	ds_write2_b64 v177, v[174:175], v[180:181] offset0:38 offset1:39
	s_waitcnt vmcnt(14)
	v_mov_b32_e32 v174, v132
	v_mov_b32_e32 v175, v133
	s_waitcnt vmcnt(13)
	v_mov_b32_e32 v180, v90
	v_mov_b32_e32 v181, v91
	ds_write2_b64 v177, v[174:175], v[180:181] offset0:40 offset1:41
	s_waitcnt vmcnt(12)
	ds_write_b64 v177, v[172:173] offset:336
	ds_read_b64 v[174:175], v176
	s_waitcnt lgkmcnt(0)
	v_cmp_neq_f64_e32 vcc, 0, v[174:175]
	s_and_b64 exec, exec, vcc
	s_cbranch_execz .LBB85_89
; %bb.88:
	v_div_scale_f64 v[180:181], s[6:7], v[174:175], v[174:175], 1.0
	v_rcp_f64_e32 v[182:183], v[180:181]
	v_div_scale_f64 v[208:209], vcc, 1.0, v[174:175], 1.0
	v_fma_f64 v[210:211], -v[180:181], v[182:183], 1.0
	v_fmac_f64_e32 v[182:183], v[182:183], v[210:211]
	v_fma_f64 v[210:211], -v[180:181], v[182:183], 1.0
	v_fmac_f64_e32 v[182:183], v[182:183], v[210:211]
	v_mul_f64 v[210:211], v[208:209], v[182:183]
	v_fma_f64 v[180:181], -v[180:181], v[210:211], v[208:209]
	v_div_fmas_f64 v[180:181], v[180:181], v[182:183], v[210:211]
	v_div_fixup_f64 v[174:175], v[180:181], v[174:175], 1.0
	ds_write_b64 v176, v[174:175]
.LBB85_89:
	s_or_b64 exec, exec, s[2:3]
	s_waitcnt lgkmcnt(0)
	s_barrier
	ds_read_b64 v[208:209], v176
	v_cmp_lt_u32_e32 vcc, 17, v178
	s_and_saveexec_b64 s[2:3], vcc
	s_cbranch_execz .LBB85_91
; %bb.90:
	ds_read2_b64 v[210:213], v177 offset0:18 offset1:19
	ds_read2_b64 v[214:217], v177 offset0:20 offset1:21
	;; [unrolled: 1-line block ×3, first 2 shown]
	s_waitcnt vmcnt(37) lgkmcnt(3)
	v_mul_f64 v[114:115], v[208:209], v[114:115]
	ds_read_b64 v[174:175], v177 offset:336
	s_waitcnt vmcnt(36) lgkmcnt(3)
	v_fma_f64 v[154:155], -v[114:115], v[210:211], v[154:155]
	s_waitcnt vmcnt(35)
	v_fma_f64 v[112:113], -v[114:115], v[212:213], v[112:113]
	ds_read2_b64 v[210:213], v177 offset0:24 offset1:25
	s_waitcnt vmcnt(34) lgkmcnt(3)
	v_fma_f64 v[152:153], -v[114:115], v[214:215], v[152:153]
	s_waitcnt vmcnt(33)
	v_fma_f64 v[110:111], -v[114:115], v[216:217], v[110:111]
	s_waitcnt vmcnt(32) lgkmcnt(2)
	v_fma_f64 v[150:151], -v[114:115], v[218:219], v[150:151]
	ds_read2_b64 v[214:217], v177 offset0:26 offset1:27
	s_waitcnt vmcnt(31)
	v_fma_f64 v[108:109], -v[114:115], v[220:221], v[108:109]
	ds_read2_b64 v[218:221], v177 offset0:28 offset1:29
	s_waitcnt vmcnt(30) lgkmcnt(2)
	v_fma_f64 v[148:149], -v[114:115], v[210:211], v[148:149]
	s_waitcnt vmcnt(29)
	v_fma_f64 v[106:107], -v[114:115], v[212:213], v[106:107]
	s_waitcnt vmcnt(28) lgkmcnt(1)
	v_fma_f64 v[146:147], -v[114:115], v[214:215], v[146:147]
	ds_read2_b64 v[210:213], v177 offset0:30 offset1:31
	s_waitcnt vmcnt(27)
	v_fma_f64 v[104:105], -v[114:115], v[216:217], v[104:105]
	ds_read2_b64 v[214:217], v177 offset0:32 offset1:33
	s_waitcnt vmcnt(26) lgkmcnt(2)
	v_fma_f64 v[144:145], -v[114:115], v[218:219], v[144:145]
	s_waitcnt vmcnt(25)
	v_fma_f64 v[102:103], -v[114:115], v[220:221], v[102:103]
	ds_read2_b64 v[218:221], v177 offset0:34 offset1:35
	s_waitcnt vmcnt(24) lgkmcnt(2)
	v_fma_f64 v[142:143], -v[114:115], v[210:211], v[142:143]
	;; [unrolled: 5-line block ×3, first 2 shown]
	s_waitcnt vmcnt(21)
	v_fma_f64 v[98:99], -v[114:115], v[216:217], v[98:99]
	s_waitcnt vmcnt(20) lgkmcnt(1)
	v_fma_f64 v[138:139], -v[114:115], v[218:219], v[138:139]
	s_waitcnt vmcnt(19)
	v_fma_f64 v[96:97], -v[114:115], v[220:221], v[96:97]
	ds_read2_b64 v[214:217], v177 offset0:38 offset1:39
	ds_read2_b64 v[218:221], v177 offset0:40 offset1:41
	s_waitcnt vmcnt(18) lgkmcnt(2)
	v_fma_f64 v[136:137], -v[114:115], v[210:211], v[136:137]
	s_waitcnt vmcnt(17)
	v_fma_f64 v[94:95], -v[114:115], v[212:213], v[94:95]
	s_waitcnt vmcnt(12)
	v_fma_f64 v[172:173], -v[114:115], v[174:175], v[172:173]
	s_waitcnt lgkmcnt(1)
	v_fma_f64 v[134:135], -v[114:115], v[214:215], v[134:135]
	v_fma_f64 v[92:93], -v[114:115], v[216:217], v[92:93]
	s_waitcnt lgkmcnt(0)
	v_fma_f64 v[132:133], -v[114:115], v[218:219], v[132:133]
	v_fma_f64 v[90:91], -v[114:115], v[220:221], v[90:91]
.LBB85_91:
	s_or_b64 exec, exec, s[2:3]
	v_cmp_eq_u32_e32 vcc, 18, v178
	s_waitcnt lgkmcnt(0)
	s_barrier
	s_and_saveexec_b64 s[2:3], vcc
	s_cbranch_execz .LBB85_94
; %bb.92:
	s_waitcnt vmcnt(36)
	ds_write_b64 v176, v[154:155]
	s_waitcnt vmcnt(34)
	ds_write2_b64 v177, v[112:113], v[152:153] offset0:19 offset1:20
	s_waitcnt vmcnt(32)
	ds_write2_b64 v177, v[110:111], v[150:151] offset0:21 offset1:22
	;; [unrolled: 2-line block ×12, first 2 shown]
	ds_read_b64 v[174:175], v176
	s_waitcnt lgkmcnt(0)
	v_cmp_neq_f64_e32 vcc, 0, v[174:175]
	s_and_b64 exec, exec, vcc
	s_cbranch_execz .LBB85_94
; %bb.93:
	v_div_scale_f64 v[180:181], s[6:7], v[174:175], v[174:175], 1.0
	v_rcp_f64_e32 v[182:183], v[180:181]
	v_div_scale_f64 v[210:211], vcc, 1.0, v[174:175], 1.0
	v_fma_f64 v[212:213], -v[180:181], v[182:183], 1.0
	v_fmac_f64_e32 v[182:183], v[182:183], v[212:213]
	v_fma_f64 v[212:213], -v[180:181], v[182:183], 1.0
	v_fmac_f64_e32 v[182:183], v[182:183], v[212:213]
	v_mul_f64 v[212:213], v[210:211], v[182:183]
	v_fma_f64 v[180:181], -v[180:181], v[212:213], v[210:211]
	v_div_fmas_f64 v[180:181], v[180:181], v[182:183], v[212:213]
	v_div_fixup_f64 v[174:175], v[180:181], v[174:175], 1.0
	ds_write_b64 v176, v[174:175]
.LBB85_94:
	s_or_b64 exec, exec, s[2:3]
	s_waitcnt lgkmcnt(0)
	s_barrier
	ds_read_b64 v[210:211], v176
	v_cmp_lt_u32_e32 vcc, 18, v178
	s_and_saveexec_b64 s[2:3], vcc
	s_cbranch_execz .LBB85_96
; %bb.95:
	ds_read2_b64 v[212:215], v177 offset0:19 offset1:20
	ds_read2_b64 v[216:219], v177 offset0:21 offset1:22
	;; [unrolled: 1-line block ×3, first 2 shown]
	s_waitcnt vmcnt(36) lgkmcnt(3)
	v_mul_f64 v[154:155], v[210:211], v[154:155]
	s_waitcnt vmcnt(35) lgkmcnt(2)
	v_fma_f64 v[112:113], -v[154:155], v[212:213], v[112:113]
	s_waitcnt vmcnt(34)
	v_fma_f64 v[152:153], -v[154:155], v[214:215], v[152:153]
	ds_read2_b64 v[212:215], v177 offset0:25 offset1:26
	s_waitcnt vmcnt(33) lgkmcnt(2)
	v_fma_f64 v[110:111], -v[154:155], v[216:217], v[110:111]
	s_waitcnt vmcnt(32)
	v_fma_f64 v[150:151], -v[154:155], v[218:219], v[150:151]
	s_waitcnt vmcnt(31) lgkmcnt(1)
	v_fma_f64 v[108:109], -v[154:155], v[220:221], v[108:109]
	ds_read2_b64 v[216:219], v177 offset0:27 offset1:28
	s_waitcnt vmcnt(30)
	v_fma_f64 v[148:149], -v[154:155], v[222:223], v[148:149]
	ds_read2_b64 v[220:223], v177 offset0:29 offset1:30
	s_waitcnt vmcnt(29) lgkmcnt(2)
	v_fma_f64 v[106:107], -v[154:155], v[212:213], v[106:107]
	s_waitcnt vmcnt(28)
	v_fma_f64 v[146:147], -v[154:155], v[214:215], v[146:147]
	s_waitcnt vmcnt(27) lgkmcnt(1)
	v_fma_f64 v[104:105], -v[154:155], v[216:217], v[104:105]
	ds_read2_b64 v[212:215], v177 offset0:31 offset1:32
	s_waitcnt vmcnt(26)
	v_fma_f64 v[144:145], -v[154:155], v[218:219], v[144:145]
	ds_read2_b64 v[216:219], v177 offset0:33 offset1:34
	s_waitcnt vmcnt(25) lgkmcnt(2)
	v_fma_f64 v[102:103], -v[154:155], v[220:221], v[102:103]
	s_waitcnt vmcnt(24)
	v_fma_f64 v[142:143], -v[154:155], v[222:223], v[142:143]
	ds_read2_b64 v[220:223], v177 offset0:35 offset1:36
	s_waitcnt vmcnt(23) lgkmcnt(2)
	v_fma_f64 v[100:101], -v[154:155], v[212:213], v[100:101]
	;; [unrolled: 5-line block ×3, first 2 shown]
	s_waitcnt vmcnt(20)
	v_fma_f64 v[138:139], -v[154:155], v[218:219], v[138:139]
	s_waitcnt vmcnt(19) lgkmcnt(1)
	v_fma_f64 v[96:97], -v[154:155], v[220:221], v[96:97]
	ds_read2_b64 v[216:219], v177 offset0:39 offset1:40
	s_waitcnt vmcnt(18)
	v_fma_f64 v[136:137], -v[154:155], v[222:223], v[136:137]
	ds_read2_b64 v[220:223], v177 offset0:41 offset1:42
	s_waitcnt vmcnt(17) lgkmcnt(2)
	v_fma_f64 v[94:95], -v[154:155], v[212:213], v[94:95]
	s_waitcnt vmcnt(16)
	v_fma_f64 v[134:135], -v[154:155], v[214:215], v[134:135]
	s_waitcnt vmcnt(15) lgkmcnt(1)
	v_fma_f64 v[92:93], -v[154:155], v[216:217], v[92:93]
	s_waitcnt vmcnt(14)
	v_fma_f64 v[132:133], -v[154:155], v[218:219], v[132:133]
	;; [unrolled: 4-line block ×3, first 2 shown]
.LBB85_96:
	s_or_b64 exec, exec, s[2:3]
	v_cmp_eq_u32_e32 vcc, 19, v178
	s_waitcnt lgkmcnt(0)
	s_barrier
	s_and_saveexec_b64 s[2:3], vcc
	s_cbranch_execz .LBB85_99
; %bb.97:
	s_waitcnt vmcnt(34)
	v_mov_b32_e32 v174, v152
	v_mov_b32_e32 v175, v153
	s_waitcnt vmcnt(33)
	v_mov_b32_e32 v180, v110
	v_mov_b32_e32 v181, v111
	ds_write_b64 v176, v[112:113]
	ds_write2_b64 v177, v[174:175], v[180:181] offset0:20 offset1:21
	s_waitcnt vmcnt(32)
	v_mov_b32_e32 v174, v150
	v_mov_b32_e32 v175, v151
	s_waitcnt vmcnt(31)
	v_mov_b32_e32 v180, v108
	v_mov_b32_e32 v181, v109
	ds_write2_b64 v177, v[174:175], v[180:181] offset0:22 offset1:23
	s_waitcnt vmcnt(30)
	v_mov_b32_e32 v174, v148
	v_mov_b32_e32 v175, v149
	s_waitcnt vmcnt(29)
	v_mov_b32_e32 v180, v106
	v_mov_b32_e32 v181, v107
	;; [unrolled: 7-line block ×10, first 2 shown]
	ds_write2_b64 v177, v[174:175], v[180:181] offset0:40 offset1:41
	s_waitcnt vmcnt(12)
	ds_write_b64 v177, v[172:173] offset:336
	ds_read_b64 v[174:175], v176
	s_waitcnt lgkmcnt(0)
	v_cmp_neq_f64_e32 vcc, 0, v[174:175]
	s_and_b64 exec, exec, vcc
	s_cbranch_execz .LBB85_99
; %bb.98:
	v_div_scale_f64 v[180:181], s[6:7], v[174:175], v[174:175], 1.0
	v_rcp_f64_e32 v[182:183], v[180:181]
	v_div_scale_f64 v[212:213], vcc, 1.0, v[174:175], 1.0
	v_fma_f64 v[214:215], -v[180:181], v[182:183], 1.0
	v_fmac_f64_e32 v[182:183], v[182:183], v[214:215]
	v_fma_f64 v[214:215], -v[180:181], v[182:183], 1.0
	v_fmac_f64_e32 v[182:183], v[182:183], v[214:215]
	v_mul_f64 v[214:215], v[212:213], v[182:183]
	v_fma_f64 v[180:181], -v[180:181], v[214:215], v[212:213]
	v_div_fmas_f64 v[180:181], v[180:181], v[182:183], v[214:215]
	v_div_fixup_f64 v[174:175], v[180:181], v[174:175], 1.0
	ds_write_b64 v176, v[174:175]
.LBB85_99:
	s_or_b64 exec, exec, s[2:3]
	s_waitcnt lgkmcnt(0)
	s_barrier
	ds_read_b64 v[212:213], v176
	v_cmp_lt_u32_e32 vcc, 19, v178
	s_and_saveexec_b64 s[2:3], vcc
	s_cbranch_execz .LBB85_101
; %bb.100:
	ds_read2_b64 v[214:217], v177 offset0:20 offset1:21
	ds_read2_b64 v[218:221], v177 offset0:22 offset1:23
	s_waitcnt vmcnt(35) lgkmcnt(2)
	v_mul_f64 v[112:113], v[212:213], v[112:113]
	ds_read2_b64 v[222:225], v177 offset0:24 offset1:25
	ds_read_b64 v[174:175], v177 offset:336
	s_waitcnt vmcnt(34) lgkmcnt(3)
	v_fma_f64 v[152:153], -v[112:113], v[214:215], v[152:153]
	s_waitcnt vmcnt(33)
	v_fma_f64 v[110:111], -v[112:113], v[216:217], v[110:111]
	ds_read2_b64 v[214:217], v177 offset0:26 offset1:27
	s_waitcnt vmcnt(32) lgkmcnt(3)
	v_fma_f64 v[150:151], -v[112:113], v[218:219], v[150:151]
	s_waitcnt vmcnt(31)
	v_fma_f64 v[108:109], -v[112:113], v[220:221], v[108:109]
	ds_read2_b64 v[218:221], v177 offset0:28 offset1:29
	;; [unrolled: 5-line block ×3, first 2 shown]
	s_waitcnt vmcnt(28) lgkmcnt(2)
	v_fma_f64 v[146:147], -v[112:113], v[214:215], v[146:147]
	s_waitcnt vmcnt(27)
	v_fma_f64 v[104:105], -v[112:113], v[216:217], v[104:105]
	s_waitcnt vmcnt(26) lgkmcnt(1)
	v_fma_f64 v[144:145], -v[112:113], v[218:219], v[144:145]
	ds_read2_b64 v[214:217], v177 offset0:32 offset1:33
	s_waitcnt vmcnt(25)
	v_fma_f64 v[102:103], -v[112:113], v[220:221], v[102:103]
	ds_read2_b64 v[218:221], v177 offset0:34 offset1:35
	s_waitcnt vmcnt(24) lgkmcnt(2)
	v_fma_f64 v[142:143], -v[112:113], v[222:223], v[142:143]
	s_waitcnt vmcnt(23)
	v_fma_f64 v[100:101], -v[112:113], v[224:225], v[100:101]
	s_waitcnt vmcnt(22) lgkmcnt(1)
	v_fma_f64 v[140:141], -v[112:113], v[214:215], v[140:141]
	ds_read2_b64 v[222:225], v177 offset0:36 offset1:37
	s_waitcnt vmcnt(21)
	v_fma_f64 v[98:99], -v[112:113], v[216:217], v[98:99]
	ds_read2_b64 v[214:217], v177 offset0:38 offset1:39
	s_waitcnt vmcnt(20) lgkmcnt(2)
	v_fma_f64 v[138:139], -v[112:113], v[218:219], v[138:139]
	s_waitcnt vmcnt(19)
	v_fma_f64 v[96:97], -v[112:113], v[220:221], v[96:97]
	ds_read2_b64 v[218:221], v177 offset0:40 offset1:41
	s_waitcnt vmcnt(18) lgkmcnt(2)
	v_fma_f64 v[136:137], -v[112:113], v[222:223], v[136:137]
	s_waitcnt vmcnt(17)
	v_fma_f64 v[94:95], -v[112:113], v[224:225], v[94:95]
	s_waitcnt vmcnt(16) lgkmcnt(1)
	v_fma_f64 v[134:135], -v[112:113], v[214:215], v[134:135]
	s_waitcnt vmcnt(15)
	v_fma_f64 v[92:93], -v[112:113], v[216:217], v[92:93]
	;; [unrolled: 4-line block ×3, first 2 shown]
	s_waitcnt vmcnt(12)
	v_fma_f64 v[172:173], -v[112:113], v[174:175], v[172:173]
.LBB85_101:
	s_or_b64 exec, exec, s[2:3]
	v_cmp_eq_u32_e32 vcc, 20, v178
	s_waitcnt lgkmcnt(0)
	s_barrier
	s_and_saveexec_b64 s[2:3], vcc
	s_cbranch_execz .LBB85_104
; %bb.102:
	s_waitcnt vmcnt(34)
	ds_write_b64 v176, v[152:153]
	s_waitcnt vmcnt(32)
	ds_write2_b64 v177, v[110:111], v[150:151] offset0:21 offset1:22
	s_waitcnt vmcnt(30)
	ds_write2_b64 v177, v[108:109], v[148:149] offset0:23 offset1:24
	;; [unrolled: 2-line block ×11, first 2 shown]
	ds_read_b64 v[174:175], v176
	s_waitcnt lgkmcnt(0)
	v_cmp_neq_f64_e32 vcc, 0, v[174:175]
	s_and_b64 exec, exec, vcc
	s_cbranch_execz .LBB85_104
; %bb.103:
	v_div_scale_f64 v[180:181], s[6:7], v[174:175], v[174:175], 1.0
	v_rcp_f64_e32 v[182:183], v[180:181]
	v_div_scale_f64 v[214:215], vcc, 1.0, v[174:175], 1.0
	v_fma_f64 v[216:217], -v[180:181], v[182:183], 1.0
	v_fmac_f64_e32 v[182:183], v[182:183], v[216:217]
	v_fma_f64 v[216:217], -v[180:181], v[182:183], 1.0
	v_fmac_f64_e32 v[182:183], v[182:183], v[216:217]
	v_mul_f64 v[216:217], v[214:215], v[182:183]
	v_fma_f64 v[180:181], -v[180:181], v[216:217], v[214:215]
	v_div_fmas_f64 v[180:181], v[180:181], v[182:183], v[216:217]
	v_div_fixup_f64 v[174:175], v[180:181], v[174:175], 1.0
	ds_write_b64 v176, v[174:175]
.LBB85_104:
	s_or_b64 exec, exec, s[2:3]
	s_waitcnt lgkmcnt(0)
	s_barrier
	ds_read_b64 v[214:215], v176
	v_cmp_lt_u32_e32 vcc, 20, v178
	s_and_saveexec_b64 s[2:3], vcc
	s_cbranch_execz .LBB85_106
; %bb.105:
	ds_read2_b64 v[216:219], v177 offset0:21 offset1:22
	ds_read2_b64 v[220:223], v177 offset0:23 offset1:24
	s_waitcnt vmcnt(34) lgkmcnt(2)
	v_mul_f64 v[152:153], v[214:215], v[152:153]
	ds_read2_b64 v[224:227], v177 offset0:25 offset1:26
	s_waitcnt vmcnt(33) lgkmcnt(2)
	v_fma_f64 v[110:111], -v[152:153], v[216:217], v[110:111]
	s_waitcnt vmcnt(32)
	v_fma_f64 v[150:151], -v[152:153], v[218:219], v[150:151]
	ds_read2_b64 v[216:219], v177 offset0:27 offset1:28
	s_waitcnt vmcnt(31) lgkmcnt(2)
	v_fma_f64 v[108:109], -v[152:153], v[220:221], v[108:109]
	s_waitcnt vmcnt(30)
	v_fma_f64 v[148:149], -v[152:153], v[222:223], v[148:149]
	;; [unrolled: 5-line block ×4, first 2 shown]
	s_waitcnt vmcnt(25) lgkmcnt(1)
	v_fma_f64 v[102:103], -v[152:153], v[220:221], v[102:103]
	ds_read2_b64 v[216:219], v177 offset0:33 offset1:34
	s_waitcnt vmcnt(24)
	v_fma_f64 v[142:143], -v[152:153], v[222:223], v[142:143]
	ds_read2_b64 v[220:223], v177 offset0:35 offset1:36
	s_waitcnt vmcnt(23) lgkmcnt(2)
	v_fma_f64 v[100:101], -v[152:153], v[224:225], v[100:101]
	s_waitcnt vmcnt(22)
	v_fma_f64 v[140:141], -v[152:153], v[226:227], v[140:141]
	s_waitcnt vmcnt(21) lgkmcnt(1)
	v_fma_f64 v[98:99], -v[152:153], v[216:217], v[98:99]
	s_waitcnt vmcnt(20)
	v_fma_f64 v[138:139], -v[152:153], v[218:219], v[138:139]
	ds_read2_b64 v[216:219], v177 offset0:37 offset1:38
	ds_read2_b64 v[224:227], v177 offset0:39 offset1:40
	s_waitcnt vmcnt(19) lgkmcnt(2)
	v_fma_f64 v[96:97], -v[152:153], v[220:221], v[96:97]
	s_waitcnt vmcnt(18)
	v_fma_f64 v[136:137], -v[152:153], v[222:223], v[136:137]
	ds_read2_b64 v[220:223], v177 offset0:41 offset1:42
	s_waitcnt vmcnt(17) lgkmcnt(2)
	v_fma_f64 v[94:95], -v[152:153], v[216:217], v[94:95]
	s_waitcnt vmcnt(16)
	v_fma_f64 v[134:135], -v[152:153], v[218:219], v[134:135]
	s_waitcnt vmcnt(15) lgkmcnt(1)
	v_fma_f64 v[92:93], -v[152:153], v[224:225], v[92:93]
	s_waitcnt vmcnt(14)
	v_fma_f64 v[132:133], -v[152:153], v[226:227], v[132:133]
	;; [unrolled: 4-line block ×3, first 2 shown]
.LBB85_106:
	s_or_b64 exec, exec, s[2:3]
	v_cmp_eq_u32_e32 vcc, 21, v178
	s_waitcnt lgkmcnt(0)
	s_barrier
	s_and_saveexec_b64 s[2:3], vcc
	s_cbranch_execz .LBB85_109
; %bb.107:
	s_waitcnt vmcnt(32)
	v_mov_b32_e32 v174, v150
	v_mov_b32_e32 v175, v151
	s_waitcnt vmcnt(31)
	v_mov_b32_e32 v180, v108
	v_mov_b32_e32 v181, v109
	ds_write_b64 v176, v[110:111]
	ds_write2_b64 v177, v[174:175], v[180:181] offset0:22 offset1:23
	s_waitcnt vmcnt(30)
	v_mov_b32_e32 v174, v148
	v_mov_b32_e32 v175, v149
	s_waitcnt vmcnt(29)
	v_mov_b32_e32 v180, v106
	v_mov_b32_e32 v181, v107
	ds_write2_b64 v177, v[174:175], v[180:181] offset0:24 offset1:25
	s_waitcnt vmcnt(28)
	v_mov_b32_e32 v174, v146
	v_mov_b32_e32 v175, v147
	s_waitcnt vmcnt(27)
	v_mov_b32_e32 v180, v104
	v_mov_b32_e32 v181, v105
	;; [unrolled: 7-line block ×9, first 2 shown]
	ds_write2_b64 v177, v[174:175], v[180:181] offset0:40 offset1:41
	s_waitcnt vmcnt(12)
	ds_write_b64 v177, v[172:173] offset:336
	ds_read_b64 v[174:175], v176
	s_waitcnt lgkmcnt(0)
	v_cmp_neq_f64_e32 vcc, 0, v[174:175]
	s_and_b64 exec, exec, vcc
	s_cbranch_execz .LBB85_109
; %bb.108:
	v_div_scale_f64 v[180:181], s[6:7], v[174:175], v[174:175], 1.0
	v_rcp_f64_e32 v[182:183], v[180:181]
	v_div_scale_f64 v[216:217], vcc, 1.0, v[174:175], 1.0
	v_fma_f64 v[218:219], -v[180:181], v[182:183], 1.0
	v_fmac_f64_e32 v[182:183], v[182:183], v[218:219]
	v_fma_f64 v[218:219], -v[180:181], v[182:183], 1.0
	v_fmac_f64_e32 v[182:183], v[182:183], v[218:219]
	v_mul_f64 v[218:219], v[216:217], v[182:183]
	v_fma_f64 v[180:181], -v[180:181], v[218:219], v[216:217]
	v_div_fmas_f64 v[180:181], v[180:181], v[182:183], v[218:219]
	v_div_fixup_f64 v[174:175], v[180:181], v[174:175], 1.0
	ds_write_b64 v176, v[174:175]
.LBB85_109:
	s_or_b64 exec, exec, s[2:3]
	s_waitcnt lgkmcnt(0)
	s_barrier
	ds_read_b64 v[216:217], v176
	v_cmp_lt_u32_e32 vcc, 21, v178
	s_and_saveexec_b64 s[2:3], vcc
	s_cbranch_execz .LBB85_111
; %bb.110:
	ds_read2_b64 v[218:221], v177 offset0:22 offset1:23
	ds_read2_b64 v[222:225], v177 offset0:24 offset1:25
	s_waitcnt vmcnt(33) lgkmcnt(2)
	v_mul_f64 v[110:111], v[216:217], v[110:111]
	ds_read2_b64 v[226:229], v177 offset0:26 offset1:27
	ds_read_b64 v[174:175], v177 offset:336
	s_waitcnt vmcnt(32) lgkmcnt(3)
	v_fma_f64 v[150:151], -v[110:111], v[218:219], v[150:151]
	s_waitcnt vmcnt(31)
	v_fma_f64 v[108:109], -v[110:111], v[220:221], v[108:109]
	ds_read2_b64 v[218:221], v177 offset0:28 offset1:29
	s_waitcnt vmcnt(30) lgkmcnt(3)
	v_fma_f64 v[148:149], -v[110:111], v[222:223], v[148:149]
	s_waitcnt vmcnt(29)
	v_fma_f64 v[106:107], -v[110:111], v[224:225], v[106:107]
	s_waitcnt vmcnt(28) lgkmcnt(2)
	v_fma_f64 v[146:147], -v[110:111], v[226:227], v[146:147]
	ds_read2_b64 v[222:225], v177 offset0:30 offset1:31
	s_waitcnt vmcnt(27)
	v_fma_f64 v[104:105], -v[110:111], v[228:229], v[104:105]
	ds_read2_b64 v[226:229], v177 offset0:32 offset1:33
	s_waitcnt vmcnt(26) lgkmcnt(2)
	v_fma_f64 v[144:145], -v[110:111], v[218:219], v[144:145]
	s_waitcnt vmcnt(25)
	v_fma_f64 v[102:103], -v[110:111], v[220:221], v[102:103]
	ds_read2_b64 v[218:221], v177 offset0:34 offset1:35
	s_waitcnt vmcnt(24) lgkmcnt(2)
	v_fma_f64 v[142:143], -v[110:111], v[222:223], v[142:143]
	;; [unrolled: 5-line block ×3, first 2 shown]
	s_waitcnt vmcnt(21)
	v_fma_f64 v[98:99], -v[110:111], v[228:229], v[98:99]
	s_waitcnt vmcnt(20) lgkmcnt(1)
	v_fma_f64 v[138:139], -v[110:111], v[218:219], v[138:139]
	s_waitcnt vmcnt(19)
	v_fma_f64 v[96:97], -v[110:111], v[220:221], v[96:97]
	ds_read2_b64 v[218:221], v177 offset0:38 offset1:39
	ds_read2_b64 v[226:229], v177 offset0:40 offset1:41
	s_waitcnt vmcnt(18) lgkmcnt(2)
	v_fma_f64 v[136:137], -v[110:111], v[222:223], v[136:137]
	s_waitcnt vmcnt(17)
	v_fma_f64 v[94:95], -v[110:111], v[224:225], v[94:95]
	s_waitcnt vmcnt(12)
	v_fma_f64 v[172:173], -v[110:111], v[174:175], v[172:173]
	s_waitcnt lgkmcnt(1)
	v_fma_f64 v[134:135], -v[110:111], v[218:219], v[134:135]
	v_fma_f64 v[92:93], -v[110:111], v[220:221], v[92:93]
	s_waitcnt lgkmcnt(0)
	v_fma_f64 v[132:133], -v[110:111], v[226:227], v[132:133]
	v_fma_f64 v[90:91], -v[110:111], v[228:229], v[90:91]
.LBB85_111:
	s_or_b64 exec, exec, s[2:3]
	v_cmp_eq_u32_e32 vcc, 22, v178
	s_waitcnt lgkmcnt(0)
	s_barrier
	s_and_saveexec_b64 s[2:3], vcc
	s_cbranch_execz .LBB85_114
; %bb.112:
	s_waitcnt vmcnt(32)
	ds_write_b64 v176, v[150:151]
	s_waitcnt vmcnt(30)
	ds_write2_b64 v177, v[108:109], v[148:149] offset0:23 offset1:24
	s_waitcnt vmcnt(28)
	ds_write2_b64 v177, v[106:107], v[146:147] offset0:25 offset1:26
	;; [unrolled: 2-line block ×10, first 2 shown]
	ds_read_b64 v[174:175], v176
	s_waitcnt lgkmcnt(0)
	v_cmp_neq_f64_e32 vcc, 0, v[174:175]
	s_and_b64 exec, exec, vcc
	s_cbranch_execz .LBB85_114
; %bb.113:
	v_div_scale_f64 v[180:181], s[6:7], v[174:175], v[174:175], 1.0
	v_rcp_f64_e32 v[182:183], v[180:181]
	v_div_scale_f64 v[218:219], vcc, 1.0, v[174:175], 1.0
	v_fma_f64 v[220:221], -v[180:181], v[182:183], 1.0
	v_fmac_f64_e32 v[182:183], v[182:183], v[220:221]
	v_fma_f64 v[220:221], -v[180:181], v[182:183], 1.0
	v_fmac_f64_e32 v[182:183], v[182:183], v[220:221]
	v_mul_f64 v[220:221], v[218:219], v[182:183]
	v_fma_f64 v[180:181], -v[180:181], v[220:221], v[218:219]
	v_div_fmas_f64 v[180:181], v[180:181], v[182:183], v[220:221]
	v_div_fixup_f64 v[174:175], v[180:181], v[174:175], 1.0
	ds_write_b64 v176, v[174:175]
.LBB85_114:
	s_or_b64 exec, exec, s[2:3]
	s_waitcnt lgkmcnt(0)
	s_barrier
	ds_read_b64 v[218:219], v176
	v_cmp_lt_u32_e32 vcc, 22, v178
	s_and_saveexec_b64 s[2:3], vcc
	s_cbranch_execz .LBB85_116
; %bb.115:
	ds_read2_b64 v[220:223], v177 offset0:23 offset1:24
	ds_read2_b64 v[224:227], v177 offset0:25 offset1:26
	s_waitcnt vmcnt(32) lgkmcnt(2)
	v_mul_f64 v[150:151], v[218:219], v[150:151]
	ds_read2_b64 v[228:231], v177 offset0:27 offset1:28
	s_waitcnt vmcnt(31) lgkmcnt(2)
	v_fma_f64 v[108:109], -v[150:151], v[220:221], v[108:109]
	s_waitcnt vmcnt(30)
	v_fma_f64 v[148:149], -v[150:151], v[222:223], v[148:149]
	ds_read2_b64 v[220:223], v177 offset0:29 offset1:30
	s_waitcnt vmcnt(29) lgkmcnt(2)
	v_fma_f64 v[106:107], -v[150:151], v[224:225], v[106:107]
	s_waitcnt vmcnt(28)
	v_fma_f64 v[146:147], -v[150:151], v[226:227], v[146:147]
	s_waitcnt vmcnt(27) lgkmcnt(1)
	v_fma_f64 v[104:105], -v[150:151], v[228:229], v[104:105]
	ds_read2_b64 v[224:227], v177 offset0:31 offset1:32
	s_waitcnt vmcnt(26)
	v_fma_f64 v[144:145], -v[150:151], v[230:231], v[144:145]
	ds_read2_b64 v[228:231], v177 offset0:33 offset1:34
	s_waitcnt vmcnt(25) lgkmcnt(2)
	v_fma_f64 v[102:103], -v[150:151], v[220:221], v[102:103]
	s_waitcnt vmcnt(24)
	v_fma_f64 v[142:143], -v[150:151], v[222:223], v[142:143]
	ds_read2_b64 v[220:223], v177 offset0:35 offset1:36
	s_waitcnt vmcnt(23) lgkmcnt(2)
	v_fma_f64 v[100:101], -v[150:151], v[224:225], v[100:101]
	;; [unrolled: 5-line block ×3, first 2 shown]
	s_waitcnt vmcnt(20)
	v_fma_f64 v[138:139], -v[150:151], v[230:231], v[138:139]
	s_waitcnt vmcnt(19) lgkmcnt(1)
	v_fma_f64 v[96:97], -v[150:151], v[220:221], v[96:97]
	ds_read2_b64 v[228:231], v177 offset0:39 offset1:40
	s_waitcnt vmcnt(18)
	v_fma_f64 v[136:137], -v[150:151], v[222:223], v[136:137]
	ds_read2_b64 v[220:223], v177 offset0:41 offset1:42
	s_waitcnt vmcnt(17) lgkmcnt(2)
	v_fma_f64 v[94:95], -v[150:151], v[224:225], v[94:95]
	s_waitcnt vmcnt(16)
	v_fma_f64 v[134:135], -v[150:151], v[226:227], v[134:135]
	s_waitcnt vmcnt(15) lgkmcnt(1)
	v_fma_f64 v[92:93], -v[150:151], v[228:229], v[92:93]
	s_waitcnt vmcnt(14)
	v_fma_f64 v[132:133], -v[150:151], v[230:231], v[132:133]
	;; [unrolled: 4-line block ×3, first 2 shown]
.LBB85_116:
	s_or_b64 exec, exec, s[2:3]
	v_cmp_eq_u32_e32 vcc, 23, v178
	s_waitcnt lgkmcnt(0)
	s_barrier
	s_and_saveexec_b64 s[2:3], vcc
	s_cbranch_execz .LBB85_119
; %bb.117:
	s_waitcnt vmcnt(30)
	v_mov_b32_e32 v174, v148
	v_mov_b32_e32 v175, v149
	s_waitcnt vmcnt(29)
	v_mov_b32_e32 v180, v106
	v_mov_b32_e32 v181, v107
	ds_write_b64 v176, v[108:109]
	ds_write2_b64 v177, v[174:175], v[180:181] offset0:24 offset1:25
	s_waitcnt vmcnt(28)
	v_mov_b32_e32 v174, v146
	v_mov_b32_e32 v175, v147
	s_waitcnt vmcnt(27)
	v_mov_b32_e32 v180, v104
	v_mov_b32_e32 v181, v105
	ds_write2_b64 v177, v[174:175], v[180:181] offset0:26 offset1:27
	s_waitcnt vmcnt(26)
	v_mov_b32_e32 v174, v144
	v_mov_b32_e32 v175, v145
	s_waitcnt vmcnt(25)
	v_mov_b32_e32 v180, v102
	v_mov_b32_e32 v181, v103
	ds_write2_b64 v177, v[174:175], v[180:181] offset0:28 offset1:29
	s_waitcnt vmcnt(24)
	v_mov_b32_e32 v174, v142
	v_mov_b32_e32 v175, v143
	s_waitcnt vmcnt(23)
	v_mov_b32_e32 v180, v100
	v_mov_b32_e32 v181, v101
	ds_write2_b64 v177, v[174:175], v[180:181] offset0:30 offset1:31
	s_waitcnt vmcnt(22)
	v_mov_b32_e32 v174, v140
	v_mov_b32_e32 v175, v141
	s_waitcnt vmcnt(21)
	v_mov_b32_e32 v180, v98
	v_mov_b32_e32 v181, v99
	ds_write2_b64 v177, v[174:175], v[180:181] offset0:32 offset1:33
	s_waitcnt vmcnt(20)
	v_mov_b32_e32 v174, v138
	v_mov_b32_e32 v175, v139
	s_waitcnt vmcnt(19)
	v_mov_b32_e32 v180, v96
	v_mov_b32_e32 v181, v97
	ds_write2_b64 v177, v[174:175], v[180:181] offset0:34 offset1:35
	s_waitcnt vmcnt(18)
	v_mov_b32_e32 v174, v136
	v_mov_b32_e32 v175, v137
	s_waitcnt vmcnt(17)
	v_mov_b32_e32 v180, v94
	v_mov_b32_e32 v181, v95
	ds_write2_b64 v177, v[174:175], v[180:181] offset0:36 offset1:37
	s_waitcnt vmcnt(16)
	v_mov_b32_e32 v174, v134
	v_mov_b32_e32 v175, v135
	s_waitcnt vmcnt(15)
	v_mov_b32_e32 v180, v92
	v_mov_b32_e32 v181, v93
	ds_write2_b64 v177, v[174:175], v[180:181] offset0:38 offset1:39
	s_waitcnt vmcnt(14)
	v_mov_b32_e32 v174, v132
	v_mov_b32_e32 v175, v133
	s_waitcnt vmcnt(13)
	v_mov_b32_e32 v180, v90
	v_mov_b32_e32 v181, v91
	ds_write2_b64 v177, v[174:175], v[180:181] offset0:40 offset1:41
	s_waitcnt vmcnt(12)
	ds_write_b64 v177, v[172:173] offset:336
	ds_read_b64 v[174:175], v176
	s_waitcnt lgkmcnt(0)
	v_cmp_neq_f64_e32 vcc, 0, v[174:175]
	s_and_b64 exec, exec, vcc
	s_cbranch_execz .LBB85_119
; %bb.118:
	v_div_scale_f64 v[180:181], s[6:7], v[174:175], v[174:175], 1.0
	v_rcp_f64_e32 v[182:183], v[180:181]
	v_div_scale_f64 v[220:221], vcc, 1.0, v[174:175], 1.0
	v_fma_f64 v[222:223], -v[180:181], v[182:183], 1.0
	v_fmac_f64_e32 v[182:183], v[182:183], v[222:223]
	v_fma_f64 v[222:223], -v[180:181], v[182:183], 1.0
	v_fmac_f64_e32 v[182:183], v[182:183], v[222:223]
	v_mul_f64 v[222:223], v[220:221], v[182:183]
	v_fma_f64 v[180:181], -v[180:181], v[222:223], v[220:221]
	v_div_fmas_f64 v[180:181], v[180:181], v[182:183], v[222:223]
	v_div_fixup_f64 v[174:175], v[180:181], v[174:175], 1.0
	ds_write_b64 v176, v[174:175]
.LBB85_119:
	s_or_b64 exec, exec, s[2:3]
	s_waitcnt lgkmcnt(0)
	s_barrier
	ds_read_b64 v[220:221], v176
	v_cmp_lt_u32_e32 vcc, 23, v178
	s_and_saveexec_b64 s[2:3], vcc
	s_cbranch_execz .LBB85_121
; %bb.120:
	ds_read2_b64 v[222:225], v177 offset0:24 offset1:25
	ds_read2_b64 v[226:229], v177 offset0:26 offset1:27
	ds_read2_b64 v[230:233], v177 offset0:28 offset1:29
	s_waitcnt vmcnt(31) lgkmcnt(3)
	v_mul_f64 v[108:109], v[220:221], v[108:109]
	ds_read_b64 v[174:175], v177 offset:336
	s_waitcnt vmcnt(30) lgkmcnt(3)
	v_fma_f64 v[148:149], -v[108:109], v[222:223], v[148:149]
	s_waitcnt vmcnt(29)
	v_fma_f64 v[106:107], -v[108:109], v[224:225], v[106:107]
	ds_read2_b64 v[222:225], v177 offset0:30 offset1:31
	s_waitcnt vmcnt(28) lgkmcnt(3)
	v_fma_f64 v[146:147], -v[108:109], v[226:227], v[146:147]
	s_waitcnt vmcnt(27)
	v_fma_f64 v[104:105], -v[108:109], v[228:229], v[104:105]
	s_waitcnt vmcnt(26) lgkmcnt(2)
	v_fma_f64 v[144:145], -v[108:109], v[230:231], v[144:145]
	ds_read2_b64 v[226:229], v177 offset0:32 offset1:33
	s_waitcnt vmcnt(25)
	v_fma_f64 v[102:103], -v[108:109], v[232:233], v[102:103]
	ds_read2_b64 v[230:233], v177 offset0:34 offset1:35
	s_waitcnt vmcnt(24) lgkmcnt(2)
	v_fma_f64 v[142:143], -v[108:109], v[222:223], v[142:143]
	s_waitcnt vmcnt(23)
	v_fma_f64 v[100:101], -v[108:109], v[224:225], v[100:101]
	s_waitcnt vmcnt(22) lgkmcnt(1)
	v_fma_f64 v[140:141], -v[108:109], v[226:227], v[140:141]
	ds_read2_b64 v[222:225], v177 offset0:36 offset1:37
	s_waitcnt vmcnt(21)
	v_fma_f64 v[98:99], -v[108:109], v[228:229], v[98:99]
	ds_read2_b64 v[226:229], v177 offset0:38 offset1:39
	s_waitcnt vmcnt(20) lgkmcnt(2)
	v_fma_f64 v[138:139], -v[108:109], v[230:231], v[138:139]
	s_waitcnt vmcnt(19)
	v_fma_f64 v[96:97], -v[108:109], v[232:233], v[96:97]
	ds_read2_b64 v[230:233], v177 offset0:40 offset1:41
	s_waitcnt vmcnt(18) lgkmcnt(2)
	v_fma_f64 v[136:137], -v[108:109], v[222:223], v[136:137]
	s_waitcnt vmcnt(17)
	v_fma_f64 v[94:95], -v[108:109], v[224:225], v[94:95]
	s_waitcnt vmcnt(16) lgkmcnt(1)
	v_fma_f64 v[134:135], -v[108:109], v[226:227], v[134:135]
	s_waitcnt vmcnt(15)
	v_fma_f64 v[92:93], -v[108:109], v[228:229], v[92:93]
	;; [unrolled: 4-line block ×3, first 2 shown]
	s_waitcnt vmcnt(12)
	v_fma_f64 v[172:173], -v[108:109], v[174:175], v[172:173]
.LBB85_121:
	s_or_b64 exec, exec, s[2:3]
	v_cmp_eq_u32_e32 vcc, 24, v178
	s_waitcnt lgkmcnt(0)
	s_barrier
	s_and_saveexec_b64 s[2:3], vcc
	s_cbranch_execz .LBB85_124
; %bb.122:
	s_waitcnt vmcnt(30)
	ds_write_b64 v176, v[148:149]
	s_waitcnt vmcnt(28)
	ds_write2_b64 v177, v[106:107], v[146:147] offset0:25 offset1:26
	s_waitcnt vmcnt(26)
	ds_write2_b64 v177, v[104:105], v[144:145] offset0:27 offset1:28
	;; [unrolled: 2-line block ×9, first 2 shown]
	ds_read_b64 v[174:175], v176
	s_waitcnt lgkmcnt(0)
	v_cmp_neq_f64_e32 vcc, 0, v[174:175]
	s_and_b64 exec, exec, vcc
	s_cbranch_execz .LBB85_124
; %bb.123:
	v_div_scale_f64 v[180:181], s[6:7], v[174:175], v[174:175], 1.0
	v_rcp_f64_e32 v[182:183], v[180:181]
	v_div_scale_f64 v[222:223], vcc, 1.0, v[174:175], 1.0
	v_fma_f64 v[224:225], -v[180:181], v[182:183], 1.0
	v_fmac_f64_e32 v[182:183], v[182:183], v[224:225]
	v_fma_f64 v[224:225], -v[180:181], v[182:183], 1.0
	v_fmac_f64_e32 v[182:183], v[182:183], v[224:225]
	v_mul_f64 v[224:225], v[222:223], v[182:183]
	v_fma_f64 v[180:181], -v[180:181], v[224:225], v[222:223]
	v_div_fmas_f64 v[180:181], v[180:181], v[182:183], v[224:225]
	v_div_fixup_f64 v[174:175], v[180:181], v[174:175], 1.0
	ds_write_b64 v176, v[174:175]
.LBB85_124:
	s_or_b64 exec, exec, s[2:3]
	s_waitcnt lgkmcnt(0)
	s_barrier
	ds_read_b64 v[222:223], v176
	v_cmp_lt_u32_e32 vcc, 24, v178
	s_and_saveexec_b64 s[2:3], vcc
	s_cbranch_execz .LBB85_126
; %bb.125:
	ds_read2_b64 v[224:227], v177 offset0:25 offset1:26
	ds_read2_b64 v[228:231], v177 offset0:27 offset1:28
	;; [unrolled: 1-line block ×3, first 2 shown]
	s_waitcnt vmcnt(30) lgkmcnt(3)
	v_mul_f64 v[148:149], v[222:223], v[148:149]
	s_waitcnt vmcnt(29) lgkmcnt(2)
	v_fma_f64 v[106:107], -v[148:149], v[224:225], v[106:107]
	s_waitcnt vmcnt(28)
	v_fma_f64 v[146:147], -v[148:149], v[226:227], v[146:147]
	ds_read2_b64 v[224:227], v177 offset0:31 offset1:32
	s_waitcnt vmcnt(27) lgkmcnt(2)
	v_fma_f64 v[104:105], -v[148:149], v[228:229], v[104:105]
	s_waitcnt vmcnt(26)
	v_fma_f64 v[144:145], -v[148:149], v[230:231], v[144:145]
	s_waitcnt vmcnt(25) lgkmcnt(1)
	v_fma_f64 v[102:103], -v[148:149], v[232:233], v[102:103]
	ds_read2_b64 v[228:231], v177 offset0:33 offset1:34
	s_waitcnt vmcnt(24)
	v_fma_f64 v[142:143], -v[148:149], v[234:235], v[142:143]
	ds_read2_b64 v[232:235], v177 offset0:35 offset1:36
	s_waitcnt vmcnt(23) lgkmcnt(2)
	v_fma_f64 v[100:101], -v[148:149], v[224:225], v[100:101]
	s_waitcnt vmcnt(22)
	v_fma_f64 v[140:141], -v[148:149], v[226:227], v[140:141]
	s_waitcnt vmcnt(21) lgkmcnt(1)
	v_fma_f64 v[98:99], -v[148:149], v[228:229], v[98:99]
	s_waitcnt vmcnt(20)
	v_fma_f64 v[138:139], -v[148:149], v[230:231], v[138:139]
	ds_read2_b64 v[224:227], v177 offset0:37 offset1:38
	ds_read2_b64 v[228:231], v177 offset0:39 offset1:40
	s_waitcnt vmcnt(19) lgkmcnt(2)
	v_fma_f64 v[96:97], -v[148:149], v[232:233], v[96:97]
	s_waitcnt vmcnt(18)
	v_fma_f64 v[136:137], -v[148:149], v[234:235], v[136:137]
	ds_read2_b64 v[232:235], v177 offset0:41 offset1:42
	s_waitcnt vmcnt(17) lgkmcnt(2)
	v_fma_f64 v[94:95], -v[148:149], v[224:225], v[94:95]
	s_waitcnt vmcnt(16)
	v_fma_f64 v[134:135], -v[148:149], v[226:227], v[134:135]
	s_waitcnt vmcnt(15) lgkmcnt(1)
	v_fma_f64 v[92:93], -v[148:149], v[228:229], v[92:93]
	s_waitcnt vmcnt(14)
	v_fma_f64 v[132:133], -v[148:149], v[230:231], v[132:133]
	;; [unrolled: 4-line block ×3, first 2 shown]
.LBB85_126:
	s_or_b64 exec, exec, s[2:3]
	v_cmp_eq_u32_e32 vcc, 25, v178
	s_waitcnt lgkmcnt(0)
	s_barrier
	s_and_saveexec_b64 s[2:3], vcc
	s_cbranch_execz .LBB85_129
; %bb.127:
	s_waitcnt vmcnt(28)
	v_mov_b32_e32 v174, v146
	v_mov_b32_e32 v175, v147
	s_waitcnt vmcnt(27)
	v_mov_b32_e32 v180, v104
	v_mov_b32_e32 v181, v105
	ds_write_b64 v176, v[106:107]
	ds_write2_b64 v177, v[174:175], v[180:181] offset0:26 offset1:27
	s_waitcnt vmcnt(26)
	v_mov_b32_e32 v174, v144
	v_mov_b32_e32 v175, v145
	s_waitcnt vmcnt(25)
	v_mov_b32_e32 v180, v102
	v_mov_b32_e32 v181, v103
	ds_write2_b64 v177, v[174:175], v[180:181] offset0:28 offset1:29
	s_waitcnt vmcnt(24)
	v_mov_b32_e32 v174, v142
	v_mov_b32_e32 v175, v143
	s_waitcnt vmcnt(23)
	v_mov_b32_e32 v180, v100
	v_mov_b32_e32 v181, v101
	;; [unrolled: 7-line block ×7, first 2 shown]
	ds_write2_b64 v177, v[174:175], v[180:181] offset0:40 offset1:41
	s_waitcnt vmcnt(12)
	ds_write_b64 v177, v[172:173] offset:336
	ds_read_b64 v[174:175], v176
	s_waitcnt lgkmcnt(0)
	v_cmp_neq_f64_e32 vcc, 0, v[174:175]
	s_and_b64 exec, exec, vcc
	s_cbranch_execz .LBB85_129
; %bb.128:
	v_div_scale_f64 v[180:181], s[6:7], v[174:175], v[174:175], 1.0
	v_rcp_f64_e32 v[182:183], v[180:181]
	v_div_scale_f64 v[224:225], vcc, 1.0, v[174:175], 1.0
	v_fma_f64 v[226:227], -v[180:181], v[182:183], 1.0
	v_fmac_f64_e32 v[182:183], v[182:183], v[226:227]
	v_fma_f64 v[226:227], -v[180:181], v[182:183], 1.0
	v_fmac_f64_e32 v[182:183], v[182:183], v[226:227]
	v_mul_f64 v[226:227], v[224:225], v[182:183]
	v_fma_f64 v[180:181], -v[180:181], v[226:227], v[224:225]
	v_div_fmas_f64 v[180:181], v[180:181], v[182:183], v[226:227]
	v_div_fixup_f64 v[174:175], v[180:181], v[174:175], 1.0
	ds_write_b64 v176, v[174:175]
.LBB85_129:
	s_or_b64 exec, exec, s[2:3]
	s_waitcnt lgkmcnt(0)
	s_barrier
	ds_read_b64 v[224:225], v176
	v_cmp_lt_u32_e32 vcc, 25, v178
	s_and_saveexec_b64 s[2:3], vcc
	s_cbranch_execz .LBB85_131
; %bb.130:
	ds_read2_b64 v[226:229], v177 offset0:26 offset1:27
	ds_read2_b64 v[230:233], v177 offset0:28 offset1:29
	s_waitcnt vmcnt(29) lgkmcnt(2)
	v_mul_f64 v[106:107], v[224:225], v[106:107]
	ds_read2_b64 v[234:237], v177 offset0:30 offset1:31
	ds_read_b64 v[174:175], v177 offset:336
	s_waitcnt vmcnt(28) lgkmcnt(3)
	v_fma_f64 v[146:147], -v[106:107], v[226:227], v[146:147]
	s_waitcnt vmcnt(27)
	v_fma_f64 v[104:105], -v[106:107], v[228:229], v[104:105]
	ds_read2_b64 v[226:229], v177 offset0:32 offset1:33
	s_waitcnt vmcnt(26) lgkmcnt(3)
	v_fma_f64 v[144:145], -v[106:107], v[230:231], v[144:145]
	s_waitcnt vmcnt(25)
	v_fma_f64 v[102:103], -v[106:107], v[232:233], v[102:103]
	ds_read2_b64 v[230:233], v177 offset0:34 offset1:35
	;; [unrolled: 5-line block ×3, first 2 shown]
	s_waitcnt vmcnt(22) lgkmcnt(2)
	v_fma_f64 v[140:141], -v[106:107], v[226:227], v[140:141]
	s_waitcnt vmcnt(21)
	v_fma_f64 v[98:99], -v[106:107], v[228:229], v[98:99]
	s_waitcnt vmcnt(20) lgkmcnt(1)
	v_fma_f64 v[138:139], -v[106:107], v[230:231], v[138:139]
	s_waitcnt vmcnt(19)
	v_fma_f64 v[96:97], -v[106:107], v[232:233], v[96:97]
	ds_read2_b64 v[226:229], v177 offset0:38 offset1:39
	ds_read2_b64 v[230:233], v177 offset0:40 offset1:41
	s_waitcnt vmcnt(18) lgkmcnt(2)
	v_fma_f64 v[136:137], -v[106:107], v[234:235], v[136:137]
	s_waitcnt vmcnt(17)
	v_fma_f64 v[94:95], -v[106:107], v[236:237], v[94:95]
	s_waitcnt vmcnt(12)
	v_fma_f64 v[172:173], -v[106:107], v[174:175], v[172:173]
	s_waitcnt lgkmcnt(1)
	v_fma_f64 v[134:135], -v[106:107], v[226:227], v[134:135]
	v_fma_f64 v[92:93], -v[106:107], v[228:229], v[92:93]
	s_waitcnt lgkmcnt(0)
	v_fma_f64 v[132:133], -v[106:107], v[230:231], v[132:133]
	v_fma_f64 v[90:91], -v[106:107], v[232:233], v[90:91]
.LBB85_131:
	s_or_b64 exec, exec, s[2:3]
	v_cmp_eq_u32_e32 vcc, 26, v178
	s_waitcnt lgkmcnt(0)
	s_barrier
	s_and_saveexec_b64 s[2:3], vcc
	s_cbranch_execz .LBB85_134
; %bb.132:
	s_waitcnt vmcnt(28)
	ds_write_b64 v176, v[146:147]
	s_waitcnt vmcnt(26)
	ds_write2_b64 v177, v[104:105], v[144:145] offset0:27 offset1:28
	s_waitcnt vmcnt(24)
	ds_write2_b64 v177, v[102:103], v[142:143] offset0:29 offset1:30
	;; [unrolled: 2-line block ×8, first 2 shown]
	ds_read_b64 v[174:175], v176
	s_waitcnt lgkmcnt(0)
	v_cmp_neq_f64_e32 vcc, 0, v[174:175]
	s_and_b64 exec, exec, vcc
	s_cbranch_execz .LBB85_134
; %bb.133:
	v_div_scale_f64 v[180:181], s[6:7], v[174:175], v[174:175], 1.0
	v_rcp_f64_e32 v[182:183], v[180:181]
	v_div_scale_f64 v[226:227], vcc, 1.0, v[174:175], 1.0
	v_fma_f64 v[228:229], -v[180:181], v[182:183], 1.0
	v_fmac_f64_e32 v[182:183], v[182:183], v[228:229]
	v_fma_f64 v[228:229], -v[180:181], v[182:183], 1.0
	v_fmac_f64_e32 v[182:183], v[182:183], v[228:229]
	v_mul_f64 v[228:229], v[226:227], v[182:183]
	v_fma_f64 v[180:181], -v[180:181], v[228:229], v[226:227]
	v_div_fmas_f64 v[180:181], v[180:181], v[182:183], v[228:229]
	v_div_fixup_f64 v[174:175], v[180:181], v[174:175], 1.0
	ds_write_b64 v176, v[174:175]
.LBB85_134:
	s_or_b64 exec, exec, s[2:3]
	s_waitcnt lgkmcnt(0)
	s_barrier
	ds_read_b64 v[226:227], v176
	v_cmp_lt_u32_e32 vcc, 26, v178
	s_and_saveexec_b64 s[2:3], vcc
	s_cbranch_execz .LBB85_136
; %bb.135:
	ds_read2_b64 v[228:231], v177 offset0:27 offset1:28
	ds_read2_b64 v[232:235], v177 offset0:29 offset1:30
	s_waitcnt vmcnt(28) lgkmcnt(2)
	v_mul_f64 v[146:147], v[226:227], v[146:147]
	ds_read2_b64 v[236:239], v177 offset0:31 offset1:32
	s_waitcnt vmcnt(27) lgkmcnt(2)
	v_fma_f64 v[104:105], -v[146:147], v[228:229], v[104:105]
	s_waitcnt vmcnt(26)
	v_fma_f64 v[144:145], -v[146:147], v[230:231], v[144:145]
	ds_read2_b64 v[228:231], v177 offset0:33 offset1:34
	s_waitcnt vmcnt(25) lgkmcnt(2)
	v_fma_f64 v[102:103], -v[146:147], v[232:233], v[102:103]
	s_waitcnt vmcnt(24)
	v_fma_f64 v[142:143], -v[146:147], v[234:235], v[142:143]
	;; [unrolled: 5-line block ×3, first 2 shown]
	s_waitcnt vmcnt(21) lgkmcnt(1)
	v_fma_f64 v[98:99], -v[146:147], v[228:229], v[98:99]
	s_waitcnt vmcnt(20)
	v_fma_f64 v[138:139], -v[146:147], v[230:231], v[138:139]
	ds_read2_b64 v[228:231], v177 offset0:37 offset1:38
	s_waitcnt vmcnt(19) lgkmcnt(1)
	v_fma_f64 v[96:97], -v[146:147], v[232:233], v[96:97]
	ds_read2_b64 v[236:239], v177 offset0:39 offset1:40
	s_waitcnt vmcnt(18)
	v_fma_f64 v[136:137], -v[146:147], v[234:235], v[136:137]
	ds_read2_b64 v[232:235], v177 offset0:41 offset1:42
	s_waitcnt vmcnt(17) lgkmcnt(2)
	v_fma_f64 v[94:95], -v[146:147], v[228:229], v[94:95]
	s_waitcnt vmcnt(16)
	v_fma_f64 v[134:135], -v[146:147], v[230:231], v[134:135]
	s_waitcnt vmcnt(15) lgkmcnt(1)
	v_fma_f64 v[92:93], -v[146:147], v[236:237], v[92:93]
	s_waitcnt vmcnt(14)
	v_fma_f64 v[132:133], -v[146:147], v[238:239], v[132:133]
	;; [unrolled: 4-line block ×3, first 2 shown]
.LBB85_136:
	s_or_b64 exec, exec, s[2:3]
	v_cmp_eq_u32_e32 vcc, 27, v178
	s_waitcnt lgkmcnt(0)
	s_barrier
	s_and_saveexec_b64 s[2:3], vcc
	s_cbranch_execz .LBB85_139
; %bb.137:
	s_waitcnt vmcnt(26)
	v_mov_b32_e32 v174, v144
	v_mov_b32_e32 v175, v145
	s_waitcnt vmcnt(25)
	v_mov_b32_e32 v180, v102
	v_mov_b32_e32 v181, v103
	ds_write_b64 v176, v[104:105]
	ds_write2_b64 v177, v[174:175], v[180:181] offset0:28 offset1:29
	s_waitcnt vmcnt(24)
	v_mov_b32_e32 v174, v142
	v_mov_b32_e32 v175, v143
	s_waitcnt vmcnt(23)
	v_mov_b32_e32 v180, v100
	v_mov_b32_e32 v181, v101
	ds_write2_b64 v177, v[174:175], v[180:181] offset0:30 offset1:31
	s_waitcnt vmcnt(22)
	v_mov_b32_e32 v174, v140
	v_mov_b32_e32 v175, v141
	s_waitcnt vmcnt(21)
	v_mov_b32_e32 v180, v98
	v_mov_b32_e32 v181, v99
	;; [unrolled: 7-line block ×6, first 2 shown]
	ds_write2_b64 v177, v[174:175], v[180:181] offset0:40 offset1:41
	s_waitcnt vmcnt(12)
	ds_write_b64 v177, v[172:173] offset:336
	ds_read_b64 v[174:175], v176
	s_waitcnt lgkmcnt(0)
	v_cmp_neq_f64_e32 vcc, 0, v[174:175]
	s_and_b64 exec, exec, vcc
	s_cbranch_execz .LBB85_139
; %bb.138:
	v_div_scale_f64 v[180:181], s[6:7], v[174:175], v[174:175], 1.0
	v_rcp_f64_e32 v[182:183], v[180:181]
	v_div_scale_f64 v[228:229], vcc, 1.0, v[174:175], 1.0
	v_fma_f64 v[230:231], -v[180:181], v[182:183], 1.0
	v_fmac_f64_e32 v[182:183], v[182:183], v[230:231]
	v_fma_f64 v[230:231], -v[180:181], v[182:183], 1.0
	v_fmac_f64_e32 v[182:183], v[182:183], v[230:231]
	v_mul_f64 v[230:231], v[228:229], v[182:183]
	v_fma_f64 v[180:181], -v[180:181], v[230:231], v[228:229]
	v_div_fmas_f64 v[180:181], v[180:181], v[182:183], v[230:231]
	v_div_fixup_f64 v[174:175], v[180:181], v[174:175], 1.0
	ds_write_b64 v176, v[174:175]
.LBB85_139:
	s_or_b64 exec, exec, s[2:3]
	s_waitcnt lgkmcnt(0)
	s_barrier
	ds_read_b64 v[228:229], v176
	v_cmp_lt_u32_e32 vcc, 27, v178
	s_and_saveexec_b64 s[2:3], vcc
	s_cbranch_execz .LBB85_141
; %bb.140:
	ds_read2_b64 v[230:233], v177 offset0:28 offset1:29
	ds_read2_b64 v[234:237], v177 offset0:30 offset1:31
	s_waitcnt vmcnt(27) lgkmcnt(2)
	v_mul_f64 v[104:105], v[228:229], v[104:105]
	ds_read2_b64 v[238:241], v177 offset0:32 offset1:33
	ds_read_b64 v[174:175], v177 offset:336
	s_waitcnt vmcnt(26) lgkmcnt(3)
	v_fma_f64 v[144:145], -v[104:105], v[230:231], v[144:145]
	s_waitcnt vmcnt(25)
	v_fma_f64 v[102:103], -v[104:105], v[232:233], v[102:103]
	ds_read2_b64 v[230:233], v177 offset0:34 offset1:35
	s_waitcnt vmcnt(24) lgkmcnt(3)
	v_fma_f64 v[142:143], -v[104:105], v[234:235], v[142:143]
	s_waitcnt vmcnt(23)
	v_fma_f64 v[100:101], -v[104:105], v[236:237], v[100:101]
	s_waitcnt vmcnt(22) lgkmcnt(2)
	v_fma_f64 v[140:141], -v[104:105], v[238:239], v[140:141]
	ds_read2_b64 v[234:237], v177 offset0:36 offset1:37
	s_waitcnt vmcnt(21)
	v_fma_f64 v[98:99], -v[104:105], v[240:241], v[98:99]
	s_waitcnt vmcnt(20) lgkmcnt(1)
	v_fma_f64 v[138:139], -v[104:105], v[230:231], v[138:139]
	s_waitcnt vmcnt(19)
	v_fma_f64 v[96:97], -v[104:105], v[232:233], v[96:97]
	ds_read2_b64 v[230:233], v177 offset0:38 offset1:39
	ds_read2_b64 v[238:241], v177 offset0:40 offset1:41
	s_waitcnt vmcnt(18) lgkmcnt(2)
	v_fma_f64 v[136:137], -v[104:105], v[234:235], v[136:137]
	s_waitcnt vmcnt(17)
	v_fma_f64 v[94:95], -v[104:105], v[236:237], v[94:95]
	s_waitcnt vmcnt(12)
	v_fma_f64 v[172:173], -v[104:105], v[174:175], v[172:173]
	s_waitcnt lgkmcnt(1)
	v_fma_f64 v[134:135], -v[104:105], v[230:231], v[134:135]
	v_fma_f64 v[92:93], -v[104:105], v[232:233], v[92:93]
	s_waitcnt lgkmcnt(0)
	v_fma_f64 v[132:133], -v[104:105], v[238:239], v[132:133]
	v_fma_f64 v[90:91], -v[104:105], v[240:241], v[90:91]
.LBB85_141:
	s_or_b64 exec, exec, s[2:3]
	v_cmp_eq_u32_e32 vcc, 28, v178
	s_waitcnt lgkmcnt(0)
	s_barrier
	s_and_saveexec_b64 s[2:3], vcc
	s_cbranch_execz .LBB85_144
; %bb.142:
	s_waitcnt vmcnt(26)
	ds_write_b64 v176, v[144:145]
	s_waitcnt vmcnt(24)
	ds_write2_b64 v177, v[102:103], v[142:143] offset0:29 offset1:30
	s_waitcnt vmcnt(22)
	ds_write2_b64 v177, v[100:101], v[140:141] offset0:31 offset1:32
	;; [unrolled: 2-line block ×7, first 2 shown]
	ds_read_b64 v[174:175], v176
	s_waitcnt lgkmcnt(0)
	v_cmp_neq_f64_e32 vcc, 0, v[174:175]
	s_and_b64 exec, exec, vcc
	s_cbranch_execz .LBB85_144
; %bb.143:
	v_div_scale_f64 v[180:181], s[6:7], v[174:175], v[174:175], 1.0
	v_rcp_f64_e32 v[182:183], v[180:181]
	v_div_scale_f64 v[230:231], vcc, 1.0, v[174:175], 1.0
	v_fma_f64 v[232:233], -v[180:181], v[182:183], 1.0
	v_fmac_f64_e32 v[182:183], v[182:183], v[232:233]
	v_fma_f64 v[232:233], -v[180:181], v[182:183], 1.0
	v_fmac_f64_e32 v[182:183], v[182:183], v[232:233]
	v_mul_f64 v[232:233], v[230:231], v[182:183]
	v_fma_f64 v[180:181], -v[180:181], v[232:233], v[230:231]
	v_div_fmas_f64 v[180:181], v[180:181], v[182:183], v[232:233]
	v_div_fixup_f64 v[174:175], v[180:181], v[174:175], 1.0
	ds_write_b64 v176, v[174:175]
.LBB85_144:
	s_or_b64 exec, exec, s[2:3]
	s_waitcnt lgkmcnt(0)
	s_barrier
	ds_read_b64 v[230:231], v176
	v_cmp_lt_u32_e32 vcc, 28, v178
	s_and_saveexec_b64 s[2:3], vcc
	s_cbranch_execz .LBB85_146
; %bb.145:
	ds_read2_b64 v[232:235], v177 offset0:29 offset1:30
	ds_read2_b64 v[236:239], v177 offset0:31 offset1:32
	s_waitcnt vmcnt(26) lgkmcnt(2)
	v_mul_f64 v[144:145], v[230:231], v[144:145]
	ds_read2_b64 v[240:243], v177 offset0:33 offset1:34
	s_waitcnt vmcnt(25) lgkmcnt(2)
	v_fma_f64 v[102:103], -v[144:145], v[232:233], v[102:103]
	s_waitcnt vmcnt(24)
	v_fma_f64 v[142:143], -v[144:145], v[234:235], v[142:143]
	ds_read2_b64 v[232:235], v177 offset0:35 offset1:36
	s_waitcnt vmcnt(23) lgkmcnt(2)
	v_fma_f64 v[100:101], -v[144:145], v[236:237], v[100:101]
	s_waitcnt vmcnt(22)
	v_fma_f64 v[140:141], -v[144:145], v[238:239], v[140:141]
	s_waitcnt vmcnt(21) lgkmcnt(1)
	v_fma_f64 v[98:99], -v[144:145], v[240:241], v[98:99]
	s_waitcnt vmcnt(20)
	v_fma_f64 v[138:139], -v[144:145], v[242:243], v[138:139]
	ds_read2_b64 v[236:239], v177 offset0:37 offset1:38
	ds_read2_b64 v[240:243], v177 offset0:39 offset1:40
	s_waitcnt vmcnt(19) lgkmcnt(2)
	v_fma_f64 v[96:97], -v[144:145], v[232:233], v[96:97]
	s_waitcnt vmcnt(18)
	v_fma_f64 v[136:137], -v[144:145], v[234:235], v[136:137]
	ds_read2_b64 v[232:235], v177 offset0:41 offset1:42
	s_waitcnt vmcnt(17) lgkmcnt(2)
	v_fma_f64 v[94:95], -v[144:145], v[236:237], v[94:95]
	s_waitcnt vmcnt(16)
	v_fma_f64 v[134:135], -v[144:145], v[238:239], v[134:135]
	s_waitcnt vmcnt(15) lgkmcnt(1)
	v_fma_f64 v[92:93], -v[144:145], v[240:241], v[92:93]
	s_waitcnt vmcnt(14)
	v_fma_f64 v[132:133], -v[144:145], v[242:243], v[132:133]
	;; [unrolled: 4-line block ×3, first 2 shown]
.LBB85_146:
	s_or_b64 exec, exec, s[2:3]
	v_cmp_eq_u32_e32 vcc, 29, v178
	s_waitcnt lgkmcnt(0)
	s_barrier
	s_and_saveexec_b64 s[2:3], vcc
	s_cbranch_execz .LBB85_149
; %bb.147:
	s_waitcnt vmcnt(24)
	v_mov_b32_e32 v174, v142
	v_mov_b32_e32 v175, v143
	s_waitcnt vmcnt(23)
	v_mov_b32_e32 v180, v100
	v_mov_b32_e32 v181, v101
	ds_write_b64 v176, v[102:103]
	ds_write2_b64 v177, v[174:175], v[180:181] offset0:30 offset1:31
	s_waitcnt vmcnt(22)
	v_mov_b32_e32 v174, v140
	v_mov_b32_e32 v175, v141
	s_waitcnt vmcnt(21)
	v_mov_b32_e32 v180, v98
	v_mov_b32_e32 v181, v99
	ds_write2_b64 v177, v[174:175], v[180:181] offset0:32 offset1:33
	s_waitcnt vmcnt(20)
	v_mov_b32_e32 v174, v138
	v_mov_b32_e32 v175, v139
	s_waitcnt vmcnt(19)
	v_mov_b32_e32 v180, v96
	v_mov_b32_e32 v181, v97
	ds_write2_b64 v177, v[174:175], v[180:181] offset0:34 offset1:35
	s_waitcnt vmcnt(18)
	v_mov_b32_e32 v174, v136
	v_mov_b32_e32 v175, v137
	s_waitcnt vmcnt(17)
	v_mov_b32_e32 v180, v94
	v_mov_b32_e32 v181, v95
	ds_write2_b64 v177, v[174:175], v[180:181] offset0:36 offset1:37
	s_waitcnt vmcnt(16)
	v_mov_b32_e32 v174, v134
	v_mov_b32_e32 v175, v135
	s_waitcnt vmcnt(15)
	v_mov_b32_e32 v180, v92
	v_mov_b32_e32 v181, v93
	ds_write2_b64 v177, v[174:175], v[180:181] offset0:38 offset1:39
	s_waitcnt vmcnt(14)
	v_mov_b32_e32 v174, v132
	v_mov_b32_e32 v175, v133
	s_waitcnt vmcnt(13)
	v_mov_b32_e32 v180, v90
	v_mov_b32_e32 v181, v91
	ds_write2_b64 v177, v[174:175], v[180:181] offset0:40 offset1:41
	s_waitcnt vmcnt(12)
	ds_write_b64 v177, v[172:173] offset:336
	ds_read_b64 v[174:175], v176
	s_waitcnt lgkmcnt(0)
	v_cmp_neq_f64_e32 vcc, 0, v[174:175]
	s_and_b64 exec, exec, vcc
	s_cbranch_execz .LBB85_149
; %bb.148:
	v_div_scale_f64 v[180:181], s[6:7], v[174:175], v[174:175], 1.0
	v_rcp_f64_e32 v[182:183], v[180:181]
	v_div_scale_f64 v[232:233], vcc, 1.0, v[174:175], 1.0
	v_fma_f64 v[234:235], -v[180:181], v[182:183], 1.0
	v_fmac_f64_e32 v[182:183], v[182:183], v[234:235]
	v_fma_f64 v[234:235], -v[180:181], v[182:183], 1.0
	v_fmac_f64_e32 v[182:183], v[182:183], v[234:235]
	v_mul_f64 v[234:235], v[232:233], v[182:183]
	v_fma_f64 v[180:181], -v[180:181], v[234:235], v[232:233]
	v_div_fmas_f64 v[180:181], v[180:181], v[182:183], v[234:235]
	v_div_fixup_f64 v[174:175], v[180:181], v[174:175], 1.0
	ds_write_b64 v176, v[174:175]
.LBB85_149:
	s_or_b64 exec, exec, s[2:3]
	s_waitcnt lgkmcnt(0)
	s_barrier
	ds_read_b64 v[232:233], v176
	v_cmp_lt_u32_e32 vcc, 29, v178
	s_and_saveexec_b64 s[2:3], vcc
	s_cbranch_execz .LBB85_151
; %bb.150:
	ds_read2_b64 v[234:237], v177 offset0:30 offset1:31
	ds_read2_b64 v[238:241], v177 offset0:32 offset1:33
	ds_read2_b64 v[242:245], v177 offset0:34 offset1:35
	s_waitcnt vmcnt(25) lgkmcnt(3)
	v_mul_f64 v[102:103], v[232:233], v[102:103]
	ds_read_b64 v[174:175], v177 offset:336
	s_waitcnt vmcnt(24) lgkmcnt(3)
	v_fma_f64 v[142:143], -v[102:103], v[234:235], v[142:143]
	s_waitcnt vmcnt(23)
	v_fma_f64 v[100:101], -v[102:103], v[236:237], v[100:101]
	ds_read2_b64 v[234:237], v177 offset0:36 offset1:37
	s_waitcnt vmcnt(22) lgkmcnt(3)
	v_fma_f64 v[140:141], -v[102:103], v[238:239], v[140:141]
	s_waitcnt vmcnt(21)
	v_fma_f64 v[98:99], -v[102:103], v[240:241], v[98:99]
	s_waitcnt vmcnt(20) lgkmcnt(2)
	v_fma_f64 v[138:139], -v[102:103], v[242:243], v[138:139]
	s_waitcnt vmcnt(19)
	v_fma_f64 v[96:97], -v[102:103], v[244:245], v[96:97]
	ds_read2_b64 v[238:241], v177 offset0:38 offset1:39
	ds_read2_b64 v[242:245], v177 offset0:40 offset1:41
	s_waitcnt vmcnt(18) lgkmcnt(2)
	v_fma_f64 v[136:137], -v[102:103], v[234:235], v[136:137]
	s_waitcnt vmcnt(17)
	v_fma_f64 v[94:95], -v[102:103], v[236:237], v[94:95]
	s_waitcnt vmcnt(12)
	v_fma_f64 v[172:173], -v[102:103], v[174:175], v[172:173]
	s_waitcnt lgkmcnt(1)
	v_fma_f64 v[134:135], -v[102:103], v[238:239], v[134:135]
	v_fma_f64 v[92:93], -v[102:103], v[240:241], v[92:93]
	s_waitcnt lgkmcnt(0)
	v_fma_f64 v[132:133], -v[102:103], v[242:243], v[132:133]
	v_fma_f64 v[90:91], -v[102:103], v[244:245], v[90:91]
.LBB85_151:
	s_or_b64 exec, exec, s[2:3]
	v_cmp_eq_u32_e32 vcc, 30, v178
	s_waitcnt lgkmcnt(0)
	s_barrier
	s_and_saveexec_b64 s[2:3], vcc
	s_cbranch_execz .LBB85_154
; %bb.152:
	s_waitcnt vmcnt(24)
	ds_write_b64 v176, v[142:143]
	s_waitcnt vmcnt(22)
	ds_write2_b64 v177, v[100:101], v[140:141] offset0:31 offset1:32
	s_waitcnt vmcnt(20)
	ds_write2_b64 v177, v[98:99], v[138:139] offset0:33 offset1:34
	;; [unrolled: 2-line block ×6, first 2 shown]
	ds_read_b64 v[174:175], v176
	s_waitcnt lgkmcnt(0)
	v_cmp_neq_f64_e32 vcc, 0, v[174:175]
	s_and_b64 exec, exec, vcc
	s_cbranch_execz .LBB85_154
; %bb.153:
	v_div_scale_f64 v[180:181], s[6:7], v[174:175], v[174:175], 1.0
	v_rcp_f64_e32 v[182:183], v[180:181]
	v_div_scale_f64 v[234:235], vcc, 1.0, v[174:175], 1.0
	v_fma_f64 v[236:237], -v[180:181], v[182:183], 1.0
	v_fmac_f64_e32 v[182:183], v[182:183], v[236:237]
	v_fma_f64 v[236:237], -v[180:181], v[182:183], 1.0
	v_fmac_f64_e32 v[182:183], v[182:183], v[236:237]
	v_mul_f64 v[236:237], v[234:235], v[182:183]
	v_fma_f64 v[180:181], -v[180:181], v[236:237], v[234:235]
	v_div_fmas_f64 v[180:181], v[180:181], v[182:183], v[236:237]
	v_div_fixup_f64 v[174:175], v[180:181], v[174:175], 1.0
	ds_write_b64 v176, v[174:175]
.LBB85_154:
	s_or_b64 exec, exec, s[2:3]
	s_waitcnt lgkmcnt(0)
	s_barrier
	ds_read_b64 v[234:235], v176
	v_cmp_lt_u32_e32 vcc, 30, v178
	s_and_saveexec_b64 s[2:3], vcc
	s_cbranch_execz .LBB85_156
; %bb.155:
	ds_read2_b64 v[236:239], v177 offset0:31 offset1:32
	ds_read2_b64 v[240:243], v177 offset0:33 offset1:34
	ds_read2_b64 v[244:247], v177 offset0:35 offset1:36
	s_waitcnt vmcnt(24) lgkmcnt(3)
	v_mul_f64 v[142:143], v[234:235], v[142:143]
	s_waitcnt vmcnt(23) lgkmcnt(2)
	v_fma_f64 v[100:101], -v[142:143], v[236:237], v[100:101]
	s_waitcnt vmcnt(22)
	v_fma_f64 v[140:141], -v[142:143], v[238:239], v[140:141]
	ds_read2_b64 v[236:239], v177 offset0:37 offset1:38
	s_waitcnt vmcnt(21) lgkmcnt(2)
	v_fma_f64 v[98:99], -v[142:143], v[240:241], v[98:99]
	s_waitcnt vmcnt(20)
	v_fma_f64 v[138:139], -v[142:143], v[242:243], v[138:139]
	s_waitcnt vmcnt(19) lgkmcnt(1)
	v_fma_f64 v[96:97], -v[142:143], v[244:245], v[96:97]
	ds_read2_b64 v[240:243], v177 offset0:39 offset1:40
	s_waitcnt vmcnt(18)
	v_fma_f64 v[136:137], -v[142:143], v[246:247], v[136:137]
	ds_read2_b64 v[244:247], v177 offset0:41 offset1:42
	s_waitcnt vmcnt(17) lgkmcnt(2)
	v_fma_f64 v[94:95], -v[142:143], v[236:237], v[94:95]
	s_waitcnt vmcnt(16)
	v_fma_f64 v[134:135], -v[142:143], v[238:239], v[134:135]
	s_waitcnt vmcnt(15) lgkmcnt(1)
	v_fma_f64 v[92:93], -v[142:143], v[240:241], v[92:93]
	s_waitcnt vmcnt(14)
	v_fma_f64 v[132:133], -v[142:143], v[242:243], v[132:133]
	;; [unrolled: 4-line block ×3, first 2 shown]
.LBB85_156:
	s_or_b64 exec, exec, s[2:3]
	v_cmp_eq_u32_e32 vcc, 31, v178
	s_waitcnt lgkmcnt(0)
	s_barrier
	s_and_saveexec_b64 s[2:3], vcc
	s_cbranch_execz .LBB85_159
; %bb.157:
	s_waitcnt vmcnt(22)
	v_mov_b32_e32 v174, v140
	v_mov_b32_e32 v175, v141
	s_waitcnt vmcnt(21)
	v_mov_b32_e32 v180, v98
	v_mov_b32_e32 v181, v99
	ds_write_b64 v176, v[100:101]
	ds_write2_b64 v177, v[174:175], v[180:181] offset0:32 offset1:33
	s_waitcnt vmcnt(20)
	v_mov_b32_e32 v174, v138
	v_mov_b32_e32 v175, v139
	s_waitcnt vmcnt(19)
	v_mov_b32_e32 v180, v96
	v_mov_b32_e32 v181, v97
	ds_write2_b64 v177, v[174:175], v[180:181] offset0:34 offset1:35
	s_waitcnt vmcnt(18)
	v_mov_b32_e32 v174, v136
	v_mov_b32_e32 v175, v137
	s_waitcnt vmcnt(17)
	v_mov_b32_e32 v180, v94
	v_mov_b32_e32 v181, v95
	;; [unrolled: 7-line block ×4, first 2 shown]
	ds_write2_b64 v177, v[174:175], v[180:181] offset0:40 offset1:41
	s_waitcnt vmcnt(12)
	ds_write_b64 v177, v[172:173] offset:336
	ds_read_b64 v[174:175], v176
	s_waitcnt lgkmcnt(0)
	v_cmp_neq_f64_e32 vcc, 0, v[174:175]
	s_and_b64 exec, exec, vcc
	s_cbranch_execz .LBB85_159
; %bb.158:
	v_div_scale_f64 v[180:181], s[6:7], v[174:175], v[174:175], 1.0
	v_rcp_f64_e32 v[182:183], v[180:181]
	v_div_scale_f64 v[236:237], vcc, 1.0, v[174:175], 1.0
	v_fma_f64 v[238:239], -v[180:181], v[182:183], 1.0
	v_fmac_f64_e32 v[182:183], v[182:183], v[238:239]
	v_fma_f64 v[238:239], -v[180:181], v[182:183], 1.0
	v_fmac_f64_e32 v[182:183], v[182:183], v[238:239]
	v_mul_f64 v[238:239], v[236:237], v[182:183]
	v_fma_f64 v[180:181], -v[180:181], v[238:239], v[236:237]
	v_div_fmas_f64 v[180:181], v[180:181], v[182:183], v[238:239]
	v_div_fixup_f64 v[174:175], v[180:181], v[174:175], 1.0
	ds_write_b64 v176, v[174:175]
.LBB85_159:
	s_or_b64 exec, exec, s[2:3]
	s_waitcnt lgkmcnt(0)
	s_barrier
	ds_read_b64 v[236:237], v176
	v_cmp_lt_u32_e32 vcc, 31, v178
	s_and_saveexec_b64 s[2:3], vcc
	s_cbranch_execz .LBB85_161
; %bb.160:
	ds_read2_b64 v[238:241], v177 offset0:32 offset1:33
	ds_read2_b64 v[242:245], v177 offset0:34 offset1:35
	s_waitcnt vmcnt(23) lgkmcnt(2)
	v_mul_f64 v[100:101], v[236:237], v[100:101]
	ds_read2_b64 v[246:249], v177 offset0:36 offset1:37
	ds_read_b64 v[174:175], v177 offset:336
	s_waitcnt vmcnt(22) lgkmcnt(3)
	v_fma_f64 v[140:141], -v[100:101], v[238:239], v[140:141]
	s_waitcnt vmcnt(21)
	v_fma_f64 v[98:99], -v[100:101], v[240:241], v[98:99]
	ds_read2_b64 v[238:241], v177 offset0:38 offset1:39
	s_waitcnt vmcnt(20) lgkmcnt(3)
	v_fma_f64 v[138:139], -v[100:101], v[242:243], v[138:139]
	s_waitcnt vmcnt(19)
	v_fma_f64 v[96:97], -v[100:101], v[244:245], v[96:97]
	ds_read2_b64 v[242:245], v177 offset0:40 offset1:41
	s_waitcnt vmcnt(18) lgkmcnt(3)
	v_fma_f64 v[136:137], -v[100:101], v[246:247], v[136:137]
	s_waitcnt vmcnt(17)
	v_fma_f64 v[94:95], -v[100:101], v[248:249], v[94:95]
	s_waitcnt vmcnt(16) lgkmcnt(1)
	v_fma_f64 v[134:135], -v[100:101], v[238:239], v[134:135]
	s_waitcnt vmcnt(15)
	v_fma_f64 v[92:93], -v[100:101], v[240:241], v[92:93]
	s_waitcnt vmcnt(14) lgkmcnt(0)
	v_fma_f64 v[132:133], -v[100:101], v[242:243], v[132:133]
	s_waitcnt vmcnt(13)
	v_fma_f64 v[90:91], -v[100:101], v[244:245], v[90:91]
	s_waitcnt vmcnt(12)
	v_fma_f64 v[172:173], -v[100:101], v[174:175], v[172:173]
.LBB85_161:
	s_or_b64 exec, exec, s[2:3]
	v_cmp_eq_u32_e32 vcc, 32, v178
	s_waitcnt lgkmcnt(0)
	s_barrier
	s_and_saveexec_b64 s[2:3], vcc
	s_cbranch_execz .LBB85_164
; %bb.162:
	s_waitcnt vmcnt(22)
	ds_write_b64 v176, v[140:141]
	s_waitcnt vmcnt(20)
	ds_write2_b64 v177, v[98:99], v[138:139] offset0:33 offset1:34
	s_waitcnt vmcnt(18)
	ds_write2_b64 v177, v[96:97], v[136:137] offset0:35 offset1:36
	s_waitcnt vmcnt(16)
	ds_write2_b64 v177, v[94:95], v[134:135] offset0:37 offset1:38
	s_waitcnt vmcnt(14)
	ds_write2_b64 v177, v[92:93], v[132:133] offset0:39 offset1:40
	s_waitcnt vmcnt(12)
	ds_write2_b64 v177, v[90:91], v[172:173] offset0:41 offset1:42
	ds_read_b64 v[174:175], v176
	s_waitcnt lgkmcnt(0)
	v_cmp_neq_f64_e32 vcc, 0, v[174:175]
	s_and_b64 exec, exec, vcc
	s_cbranch_execz .LBB85_164
; %bb.163:
	v_div_scale_f64 v[180:181], s[6:7], v[174:175], v[174:175], 1.0
	v_rcp_f64_e32 v[182:183], v[180:181]
	v_div_scale_f64 v[238:239], vcc, 1.0, v[174:175], 1.0
	v_fma_f64 v[240:241], -v[180:181], v[182:183], 1.0
	v_fmac_f64_e32 v[182:183], v[182:183], v[240:241]
	v_fma_f64 v[240:241], -v[180:181], v[182:183], 1.0
	v_fmac_f64_e32 v[182:183], v[182:183], v[240:241]
	v_mul_f64 v[240:241], v[238:239], v[182:183]
	v_fma_f64 v[180:181], -v[180:181], v[240:241], v[238:239]
	v_div_fmas_f64 v[180:181], v[180:181], v[182:183], v[240:241]
	v_div_fixup_f64 v[174:175], v[180:181], v[174:175], 1.0
	ds_write_b64 v176, v[174:175]
.LBB85_164:
	s_or_b64 exec, exec, s[2:3]
	s_waitcnt lgkmcnt(0)
	s_barrier
	ds_read_b64 v[238:239], v176
	v_cmp_lt_u32_e32 vcc, 32, v178
	s_and_saveexec_b64 s[2:3], vcc
	s_cbranch_execz .LBB85_166
; %bb.165:
	ds_read2_b64 v[240:243], v177 offset0:33 offset1:34
	ds_read2_b64 v[244:247], v177 offset0:35 offset1:36
	s_waitcnt vmcnt(22) lgkmcnt(2)
	v_mul_f64 v[140:141], v[238:239], v[140:141]
	ds_read2_b64 v[248:251], v177 offset0:39 offset1:40
	s_waitcnt vmcnt(21) lgkmcnt(2)
	v_fma_f64 v[98:99], -v[140:141], v[240:241], v[98:99]
	s_waitcnt vmcnt(20)
	v_fma_f64 v[138:139], -v[140:141], v[242:243], v[138:139]
	ds_read2_b64 v[240:243], v177 offset0:37 offset1:38
	s_waitcnt vmcnt(19) lgkmcnt(2)
	v_fma_f64 v[96:97], -v[140:141], v[244:245], v[96:97]
	s_waitcnt vmcnt(18)
	v_fma_f64 v[136:137], -v[140:141], v[246:247], v[136:137]
	ds_read2_b64 v[244:247], v177 offset0:41 offset1:42
	s_waitcnt vmcnt(15) lgkmcnt(2)
	v_fma_f64 v[92:93], -v[140:141], v[248:249], v[92:93]
	s_waitcnt lgkmcnt(1)
	v_fma_f64 v[94:95], -v[140:141], v[240:241], v[94:95]
	v_fma_f64 v[134:135], -v[140:141], v[242:243], v[134:135]
	s_waitcnt vmcnt(14)
	v_fma_f64 v[132:133], -v[140:141], v[250:251], v[132:133]
	s_waitcnt vmcnt(13) lgkmcnt(0)
	v_fma_f64 v[90:91], -v[140:141], v[244:245], v[90:91]
	s_waitcnt vmcnt(12)
	v_fma_f64 v[172:173], -v[140:141], v[246:247], v[172:173]
.LBB85_166:
	s_or_b64 exec, exec, s[2:3]
	v_cmp_eq_u32_e32 vcc, 33, v178
	s_waitcnt lgkmcnt(0)
	s_barrier
	s_and_saveexec_b64 s[2:3], vcc
	s_cbranch_execz .LBB85_169
; %bb.167:
	s_waitcnt vmcnt(20)
	v_mov_b32_e32 v174, v138
	v_mov_b32_e32 v175, v139
	s_waitcnt vmcnt(19)
	v_mov_b32_e32 v180, v96
	v_mov_b32_e32 v181, v97
	ds_write_b64 v176, v[98:99]
	ds_write2_b64 v177, v[174:175], v[180:181] offset0:34 offset1:35
	s_waitcnt vmcnt(18)
	v_mov_b32_e32 v174, v136
	v_mov_b32_e32 v175, v137
	s_waitcnt vmcnt(17)
	v_mov_b32_e32 v180, v94
	v_mov_b32_e32 v181, v95
	ds_write2_b64 v177, v[174:175], v[180:181] offset0:36 offset1:37
	s_waitcnt vmcnt(16)
	v_mov_b32_e32 v174, v134
	v_mov_b32_e32 v175, v135
	s_waitcnt vmcnt(15)
	v_mov_b32_e32 v180, v92
	v_mov_b32_e32 v181, v93
	;; [unrolled: 7-line block ×3, first 2 shown]
	ds_write2_b64 v177, v[174:175], v[180:181] offset0:40 offset1:41
	s_waitcnt vmcnt(12)
	ds_write_b64 v177, v[172:173] offset:336
	ds_read_b64 v[174:175], v176
	s_waitcnt lgkmcnt(0)
	v_cmp_neq_f64_e32 vcc, 0, v[174:175]
	s_and_b64 exec, exec, vcc
	s_cbranch_execz .LBB85_169
; %bb.168:
	v_div_scale_f64 v[180:181], s[6:7], v[174:175], v[174:175], 1.0
	v_rcp_f64_e32 v[182:183], v[180:181]
	v_div_scale_f64 v[240:241], vcc, 1.0, v[174:175], 1.0
	v_fma_f64 v[242:243], -v[180:181], v[182:183], 1.0
	v_fmac_f64_e32 v[182:183], v[182:183], v[242:243]
	v_fma_f64 v[242:243], -v[180:181], v[182:183], 1.0
	v_fmac_f64_e32 v[182:183], v[182:183], v[242:243]
	v_mul_f64 v[242:243], v[240:241], v[182:183]
	v_fma_f64 v[180:181], -v[180:181], v[242:243], v[240:241]
	v_div_fmas_f64 v[180:181], v[180:181], v[182:183], v[242:243]
	v_div_fixup_f64 v[174:175], v[180:181], v[174:175], 1.0
	ds_write_b64 v176, v[174:175]
.LBB85_169:
	s_or_b64 exec, exec, s[2:3]
	s_waitcnt lgkmcnt(0)
	s_barrier
	ds_read_b64 v[240:241], v176
	v_cmp_lt_u32_e32 vcc, 33, v178
	s_and_saveexec_b64 s[2:3], vcc
	s_cbranch_execz .LBB85_171
; %bb.170:
	ds_read2_b64 v[242:245], v177 offset0:34 offset1:35
	ds_read2_b64 v[246:249], v177 offset0:36 offset1:37
	s_waitcnt vmcnt(21) lgkmcnt(2)
	v_mul_f64 v[98:99], v[240:241], v[98:99]
	ds_read_b64 v[174:175], v177 offset:336
	ds_read2_b64 v[250:253], v177 offset0:40 offset1:41
	s_waitcnt vmcnt(20) lgkmcnt(3)
	v_fma_f64 v[138:139], -v[98:99], v[242:243], v[138:139]
	s_waitcnt vmcnt(19)
	v_fma_f64 v[96:97], -v[98:99], v[244:245], v[96:97]
	ds_read2_b64 v[242:245], v177 offset0:38 offset1:39
	s_waitcnt vmcnt(18) lgkmcnt(3)
	v_fma_f64 v[136:137], -v[98:99], v[246:247], v[136:137]
	s_waitcnt vmcnt(17)
	v_fma_f64 v[94:95], -v[98:99], v[248:249], v[94:95]
	s_waitcnt vmcnt(14) lgkmcnt(1)
	v_fma_f64 v[132:133], -v[98:99], v[250:251], v[132:133]
	s_waitcnt vmcnt(13)
	v_fma_f64 v[90:91], -v[98:99], v[252:253], v[90:91]
	s_waitcnt lgkmcnt(0)
	v_fma_f64 v[134:135], -v[98:99], v[242:243], v[134:135]
	v_fma_f64 v[92:93], -v[98:99], v[244:245], v[92:93]
	s_waitcnt vmcnt(12)
	v_fma_f64 v[172:173], -v[98:99], v[174:175], v[172:173]
.LBB85_171:
	s_or_b64 exec, exec, s[2:3]
	v_cmp_eq_u32_e32 vcc, 34, v178
	s_waitcnt lgkmcnt(0)
	s_barrier
	s_and_saveexec_b64 s[2:3], vcc
	s_cbranch_execz .LBB85_174
; %bb.172:
	s_waitcnt vmcnt(20)
	ds_write_b64 v176, v[138:139]
	s_waitcnt vmcnt(18)
	ds_write2_b64 v177, v[96:97], v[136:137] offset0:35 offset1:36
	s_waitcnt vmcnt(16)
	ds_write2_b64 v177, v[94:95], v[134:135] offset0:37 offset1:38
	;; [unrolled: 2-line block ×4, first 2 shown]
	ds_read_b64 v[174:175], v176
	s_waitcnt lgkmcnt(0)
	v_cmp_neq_f64_e32 vcc, 0, v[174:175]
	s_and_b64 exec, exec, vcc
	s_cbranch_execz .LBB85_174
; %bb.173:
	v_div_scale_f64 v[180:181], s[6:7], v[174:175], v[174:175], 1.0
	v_rcp_f64_e32 v[182:183], v[180:181]
	v_div_scale_f64 v[242:243], vcc, 1.0, v[174:175], 1.0
	v_fma_f64 v[244:245], -v[180:181], v[182:183], 1.0
	v_fmac_f64_e32 v[182:183], v[182:183], v[244:245]
	v_fma_f64 v[244:245], -v[180:181], v[182:183], 1.0
	v_fmac_f64_e32 v[182:183], v[182:183], v[244:245]
	v_mul_f64 v[244:245], v[242:243], v[182:183]
	v_fma_f64 v[180:181], -v[180:181], v[244:245], v[242:243]
	v_div_fmas_f64 v[180:181], v[180:181], v[182:183], v[244:245]
	v_div_fixup_f64 v[174:175], v[180:181], v[174:175], 1.0
	ds_write_b64 v176, v[174:175]
.LBB85_174:
	s_or_b64 exec, exec, s[2:3]
	s_waitcnt lgkmcnt(0)
	s_barrier
	ds_read_b64 v[242:243], v176
	v_cmp_lt_u32_e32 vcc, 34, v178
	s_and_saveexec_b64 s[2:3], vcc
	s_cbranch_execz .LBB85_176
; %bb.175:
	ds_read2_b64 v[244:247], v177 offset0:35 offset1:36
	s_waitcnt vmcnt(20) lgkmcnt(1)
	v_mul_f64 v[138:139], v[242:243], v[138:139]
	s_waitcnt vmcnt(19) lgkmcnt(0)
	v_fma_f64 v[96:97], -v[138:139], v[244:245], v[96:97]
	s_waitcnt vmcnt(18)
	v_fma_f64 v[136:137], -v[138:139], v[246:247], v[136:137]
	ds_read2_b64 v[244:247], v177 offset0:37 offset1:38
	s_waitcnt vmcnt(17) lgkmcnt(0)
	v_fma_f64 v[94:95], -v[138:139], v[244:245], v[94:95]
	s_waitcnt vmcnt(16)
	v_fma_f64 v[134:135], -v[138:139], v[246:247], v[134:135]
	ds_read2_b64 v[244:247], v177 offset0:39 offset1:40
	;; [unrolled: 5-line block ×3, first 2 shown]
	s_waitcnt vmcnt(13) lgkmcnt(0)
	v_fma_f64 v[90:91], -v[138:139], v[244:245], v[90:91]
	s_waitcnt vmcnt(12)
	v_fma_f64 v[172:173], -v[138:139], v[246:247], v[172:173]
.LBB85_176:
	s_or_b64 exec, exec, s[2:3]
	v_cmp_eq_u32_e32 vcc, 35, v178
	s_waitcnt lgkmcnt(0)
	s_barrier
	s_and_saveexec_b64 s[2:3], vcc
	s_cbranch_execz .LBB85_179
; %bb.177:
	s_waitcnt vmcnt(18)
	v_mov_b32_e32 v174, v136
	v_mov_b32_e32 v175, v137
	s_waitcnt vmcnt(17)
	v_mov_b32_e32 v180, v94
	v_mov_b32_e32 v181, v95
	ds_write_b64 v176, v[96:97]
	ds_write2_b64 v177, v[174:175], v[180:181] offset0:36 offset1:37
	s_waitcnt vmcnt(16)
	v_mov_b32_e32 v174, v134
	v_mov_b32_e32 v175, v135
	s_waitcnt vmcnt(15)
	v_mov_b32_e32 v180, v92
	v_mov_b32_e32 v181, v93
	ds_write2_b64 v177, v[174:175], v[180:181] offset0:38 offset1:39
	s_waitcnt vmcnt(14)
	v_mov_b32_e32 v174, v132
	v_mov_b32_e32 v175, v133
	s_waitcnt vmcnt(13)
	v_mov_b32_e32 v180, v90
	v_mov_b32_e32 v181, v91
	ds_write2_b64 v177, v[174:175], v[180:181] offset0:40 offset1:41
	s_waitcnt vmcnt(12)
	ds_write_b64 v177, v[172:173] offset:336
	ds_read_b64 v[174:175], v176
	s_waitcnt lgkmcnt(0)
	v_cmp_neq_f64_e32 vcc, 0, v[174:175]
	s_and_b64 exec, exec, vcc
	s_cbranch_execz .LBB85_179
; %bb.178:
	v_div_scale_f64 v[180:181], s[6:7], v[174:175], v[174:175], 1.0
	v_rcp_f64_e32 v[182:183], v[180:181]
	v_div_scale_f64 v[244:245], vcc, 1.0, v[174:175], 1.0
	v_fma_f64 v[246:247], -v[180:181], v[182:183], 1.0
	v_fmac_f64_e32 v[182:183], v[182:183], v[246:247]
	v_fma_f64 v[246:247], -v[180:181], v[182:183], 1.0
	v_fmac_f64_e32 v[182:183], v[182:183], v[246:247]
	v_mul_f64 v[246:247], v[244:245], v[182:183]
	v_fma_f64 v[180:181], -v[180:181], v[246:247], v[244:245]
	v_div_fmas_f64 v[180:181], v[180:181], v[182:183], v[246:247]
	v_div_fixup_f64 v[174:175], v[180:181], v[174:175], 1.0
	ds_write_b64 v176, v[174:175]
.LBB85_179:
	s_or_b64 exec, exec, s[2:3]
	s_waitcnt lgkmcnt(0)
	s_barrier
	ds_read_b64 v[244:245], v176
	v_cmp_lt_u32_e32 vcc, 35, v178
	s_and_saveexec_b64 s[2:3], vcc
	s_cbranch_execz .LBB85_181
; %bb.180:
	ds_read2_b64 v[246:249], v177 offset0:36 offset1:37
	ds_read_b64 v[174:175], v177 offset:336
	s_waitcnt vmcnt(19) lgkmcnt(2)
	v_mul_f64 v[96:97], v[244:245], v[96:97]
	s_waitcnt vmcnt(18) lgkmcnt(1)
	v_fma_f64 v[136:137], -v[96:97], v[246:247], v[136:137]
	s_waitcnt vmcnt(17)
	v_fma_f64 v[94:95], -v[96:97], v[248:249], v[94:95]
	ds_read2_b64 v[246:249], v177 offset0:38 offset1:39
	s_waitcnt vmcnt(12) lgkmcnt(1)
	v_fma_f64 v[172:173], -v[96:97], v[174:175], v[172:173]
	s_waitcnt lgkmcnt(0)
	v_fma_f64 v[134:135], -v[96:97], v[246:247], v[134:135]
	v_fma_f64 v[92:93], -v[96:97], v[248:249], v[92:93]
	ds_read2_b64 v[246:249], v177 offset0:40 offset1:41
	s_waitcnt lgkmcnt(0)
	v_fma_f64 v[132:133], -v[96:97], v[246:247], v[132:133]
	v_fma_f64 v[90:91], -v[96:97], v[248:249], v[90:91]
.LBB85_181:
	s_or_b64 exec, exec, s[2:3]
	v_cmp_eq_u32_e32 vcc, 36, v178
	s_waitcnt lgkmcnt(0)
	s_barrier
	s_and_saveexec_b64 s[2:3], vcc
	s_cbranch_execz .LBB85_184
; %bb.182:
	s_waitcnt vmcnt(18)
	ds_write_b64 v176, v[136:137]
	s_waitcnt vmcnt(16)
	ds_write2_b64 v177, v[94:95], v[134:135] offset0:37 offset1:38
	s_waitcnt vmcnt(14)
	ds_write2_b64 v177, v[92:93], v[132:133] offset0:39 offset1:40
	;; [unrolled: 2-line block ×3, first 2 shown]
	ds_read_b64 v[174:175], v176
	s_waitcnt lgkmcnt(0)
	v_cmp_neq_f64_e32 vcc, 0, v[174:175]
	s_and_b64 exec, exec, vcc
	s_cbranch_execz .LBB85_184
; %bb.183:
	v_div_scale_f64 v[180:181], s[6:7], v[174:175], v[174:175], 1.0
	v_rcp_f64_e32 v[182:183], v[180:181]
	v_div_scale_f64 v[246:247], vcc, 1.0, v[174:175], 1.0
	v_fma_f64 v[248:249], -v[180:181], v[182:183], 1.0
	v_fmac_f64_e32 v[182:183], v[182:183], v[248:249]
	v_fma_f64 v[248:249], -v[180:181], v[182:183], 1.0
	v_fmac_f64_e32 v[182:183], v[182:183], v[248:249]
	v_mul_f64 v[248:249], v[246:247], v[182:183]
	v_fma_f64 v[180:181], -v[180:181], v[248:249], v[246:247]
	v_div_fmas_f64 v[180:181], v[180:181], v[182:183], v[248:249]
	v_div_fixup_f64 v[174:175], v[180:181], v[174:175], 1.0
	ds_write_b64 v176, v[174:175]
.LBB85_184:
	s_or_b64 exec, exec, s[2:3]
	s_waitcnt lgkmcnt(0)
	s_barrier
	ds_read_b64 v[246:247], v176
	v_cmp_lt_u32_e32 vcc, 36, v178
	s_and_saveexec_b64 s[2:3], vcc
	s_cbranch_execz .LBB85_186
; %bb.185:
	ds_read2_b64 v[248:251], v177 offset0:37 offset1:38
	s_waitcnt vmcnt(18) lgkmcnt(1)
	v_mul_f64 v[136:137], v[246:247], v[136:137]
	s_waitcnt vmcnt(17) lgkmcnt(0)
	v_fma_f64 v[94:95], -v[136:137], v[248:249], v[94:95]
	s_waitcnt vmcnt(16)
	v_fma_f64 v[134:135], -v[136:137], v[250:251], v[134:135]
	ds_read2_b64 v[248:251], v177 offset0:39 offset1:40
	s_waitcnt vmcnt(15) lgkmcnt(0)
	v_fma_f64 v[92:93], -v[136:137], v[248:249], v[92:93]
	s_waitcnt vmcnt(14)
	v_fma_f64 v[132:133], -v[136:137], v[250:251], v[132:133]
	ds_read2_b64 v[248:251], v177 offset0:41 offset1:42
	s_waitcnt vmcnt(13) lgkmcnt(0)
	v_fma_f64 v[90:91], -v[136:137], v[248:249], v[90:91]
	s_waitcnt vmcnt(12)
	v_fma_f64 v[172:173], -v[136:137], v[250:251], v[172:173]
.LBB85_186:
	s_or_b64 exec, exec, s[2:3]
	v_cmp_eq_u32_e32 vcc, 37, v178
	s_waitcnt lgkmcnt(0)
	s_barrier
	s_and_saveexec_b64 s[2:3], vcc
	s_cbranch_execz .LBB85_189
; %bb.187:
	s_waitcnt vmcnt(16)
	v_mov_b32_e32 v174, v134
	v_mov_b32_e32 v175, v135
	s_waitcnt vmcnt(15)
	v_mov_b32_e32 v180, v92
	v_mov_b32_e32 v181, v93
	ds_write_b64 v176, v[94:95]
	ds_write2_b64 v177, v[174:175], v[180:181] offset0:38 offset1:39
	s_waitcnt vmcnt(14)
	v_mov_b32_e32 v174, v132
	v_mov_b32_e32 v175, v133
	s_waitcnt vmcnt(13)
	v_mov_b32_e32 v180, v90
	v_mov_b32_e32 v181, v91
	ds_write2_b64 v177, v[174:175], v[180:181] offset0:40 offset1:41
	s_waitcnt vmcnt(12)
	ds_write_b64 v177, v[172:173] offset:336
	ds_read_b64 v[174:175], v176
	s_waitcnt lgkmcnt(0)
	v_cmp_neq_f64_e32 vcc, 0, v[174:175]
	s_and_b64 exec, exec, vcc
	s_cbranch_execz .LBB85_189
; %bb.188:
	v_div_scale_f64 v[180:181], s[6:7], v[174:175], v[174:175], 1.0
	v_rcp_f64_e32 v[182:183], v[180:181]
	v_div_scale_f64 v[248:249], vcc, 1.0, v[174:175], 1.0
	v_fma_f64 v[250:251], -v[180:181], v[182:183], 1.0
	v_fmac_f64_e32 v[182:183], v[182:183], v[250:251]
	v_fma_f64 v[250:251], -v[180:181], v[182:183], 1.0
	v_fmac_f64_e32 v[182:183], v[182:183], v[250:251]
	v_mul_f64 v[250:251], v[248:249], v[182:183]
	v_fma_f64 v[180:181], -v[180:181], v[250:251], v[248:249]
	v_div_fmas_f64 v[180:181], v[180:181], v[182:183], v[250:251]
	v_div_fixup_f64 v[174:175], v[180:181], v[174:175], 1.0
	ds_write_b64 v176, v[174:175]
.LBB85_189:
	s_or_b64 exec, exec, s[2:3]
	s_waitcnt lgkmcnt(0)
	s_barrier
	ds_read_b64 v[248:249], v176
	v_cmp_lt_u32_e32 vcc, 37, v178
	s_and_saveexec_b64 s[2:3], vcc
	s_cbranch_execz .LBB85_191
; %bb.190:
	ds_read2_b64 v[250:253], v177 offset0:38 offset1:39
	ds_read_b64 v[174:175], v177 offset:336
	s_waitcnt vmcnt(17) lgkmcnt(2)
	v_mul_f64 v[94:95], v[248:249], v[94:95]
	s_waitcnt vmcnt(16) lgkmcnt(1)
	v_fma_f64 v[134:135], -v[94:95], v[250:251], v[134:135]
	s_waitcnt vmcnt(15)
	v_fma_f64 v[92:93], -v[94:95], v[252:253], v[92:93]
	ds_read2_b64 v[250:253], v177 offset0:40 offset1:41
	s_waitcnt vmcnt(12) lgkmcnt(1)
	v_fma_f64 v[172:173], -v[94:95], v[174:175], v[172:173]
	s_waitcnt lgkmcnt(0)
	v_fma_f64 v[132:133], -v[94:95], v[250:251], v[132:133]
	v_fma_f64 v[90:91], -v[94:95], v[252:253], v[90:91]
.LBB85_191:
	s_or_b64 exec, exec, s[2:3]
	v_cmp_eq_u32_e32 vcc, 38, v178
	s_waitcnt lgkmcnt(0)
	s_barrier
	s_and_saveexec_b64 s[2:3], vcc
	s_cbranch_execz .LBB85_194
; %bb.192:
	s_waitcnt vmcnt(16)
	ds_write_b64 v176, v[134:135]
	s_waitcnt vmcnt(14)
	ds_write2_b64 v177, v[92:93], v[132:133] offset0:39 offset1:40
	s_waitcnt vmcnt(12)
	ds_write2_b64 v177, v[90:91], v[172:173] offset0:41 offset1:42
	ds_read_b64 v[174:175], v176
	s_waitcnt lgkmcnt(0)
	v_cmp_neq_f64_e32 vcc, 0, v[174:175]
	s_and_b64 exec, exec, vcc
	s_cbranch_execz .LBB85_194
; %bb.193:
	v_div_scale_f64 v[180:181], s[6:7], v[174:175], v[174:175], 1.0
	v_rcp_f64_e32 v[182:183], v[180:181]
	v_div_scale_f64 v[250:251], vcc, 1.0, v[174:175], 1.0
	v_fma_f64 v[252:253], -v[180:181], v[182:183], 1.0
	v_fmac_f64_e32 v[182:183], v[182:183], v[252:253]
	v_fma_f64 v[252:253], -v[180:181], v[182:183], 1.0
	v_fmac_f64_e32 v[182:183], v[182:183], v[252:253]
	v_mul_f64 v[252:253], v[250:251], v[182:183]
	v_fma_f64 v[180:181], -v[180:181], v[252:253], v[250:251]
	v_div_fmas_f64 v[180:181], v[180:181], v[182:183], v[252:253]
	v_div_fixup_f64 v[174:175], v[180:181], v[174:175], 1.0
	ds_write_b64 v176, v[174:175]
.LBB85_194:
	s_or_b64 exec, exec, s[2:3]
	s_waitcnt lgkmcnt(0)
	s_barrier
	ds_read_b64 v[250:251], v176
	v_cmp_lt_u32_e32 vcc, 38, v178
	s_and_saveexec_b64 s[2:3], vcc
	s_cbranch_execz .LBB85_196
; %bb.195:
	ds_read2_b64 v[252:255], v177 offset0:39 offset1:40
	s_waitcnt vmcnt(16) lgkmcnt(1)
	v_mul_f64 v[134:135], v[250:251], v[134:135]
	s_waitcnt vmcnt(15) lgkmcnt(0)
	v_fma_f64 v[92:93], -v[134:135], v[252:253], v[92:93]
	s_waitcnt vmcnt(14)
	v_fma_f64 v[132:133], -v[134:135], v[254:255], v[132:133]
	ds_read2_b64 v[252:255], v177 offset0:41 offset1:42
	s_waitcnt vmcnt(13) lgkmcnt(0)
	v_fma_f64 v[90:91], -v[134:135], v[252:253], v[90:91]
	s_waitcnt vmcnt(12)
	v_fma_f64 v[172:173], -v[134:135], v[254:255], v[172:173]
.LBB85_196:
	s_or_b64 exec, exec, s[2:3]
	v_cmp_eq_u32_e32 vcc, 39, v178
	s_waitcnt lgkmcnt(0)
	s_barrier
	s_and_saveexec_b64 s[2:3], vcc
	s_cbranch_execz .LBB85_199
; %bb.197:
	s_waitcnt vmcnt(14)
	v_mov_b32_e32 v174, v132
	v_mov_b32_e32 v175, v133
	s_waitcnt vmcnt(13)
	v_mov_b32_e32 v180, v90
	v_mov_b32_e32 v181, v91
	ds_write_b64 v176, v[92:93]
	ds_write2_b64 v177, v[174:175], v[180:181] offset0:40 offset1:41
	s_waitcnt vmcnt(12)
	ds_write_b64 v177, v[172:173] offset:336
	ds_read_b64 v[174:175], v176
	s_waitcnt lgkmcnt(0)
	v_cmp_neq_f64_e32 vcc, 0, v[174:175]
	s_and_b64 exec, exec, vcc
	s_cbranch_execz .LBB85_199
; %bb.198:
	v_div_scale_f64 v[180:181], s[6:7], v[174:175], v[174:175], 1.0
	v_rcp_f64_e32 v[182:183], v[180:181]
	v_div_scale_f64 v[252:253], vcc, 1.0, v[174:175], 1.0
	v_fma_f64 v[254:255], -v[180:181], v[182:183], 1.0
	v_fmac_f64_e32 v[182:183], v[182:183], v[254:255]
	v_fma_f64 v[254:255], -v[180:181], v[182:183], 1.0
	v_fmac_f64_e32 v[182:183], v[182:183], v[254:255]
	v_mul_f64 v[254:255], v[252:253], v[182:183]
	v_fma_f64 v[180:181], -v[180:181], v[254:255], v[252:253]
	v_div_fmas_f64 v[180:181], v[180:181], v[182:183], v[254:255]
	v_div_fixup_f64 v[174:175], v[180:181], v[174:175], 1.0
	ds_write_b64 v176, v[174:175]
.LBB85_199:
	s_or_b64 exec, exec, s[2:3]
	s_waitcnt lgkmcnt(0)
	s_barrier
	ds_read_b64 v[252:253], v176
	v_cmp_lt_u32_e32 vcc, 39, v178
	s_and_saveexec_b64 s[2:3], vcc
	s_cbranch_execz .LBB85_201
; %bb.200:
	ds_read2_b64 v[180:183], v177 offset0:40 offset1:41
	ds_read_b64 v[174:175], v177 offset:336
	s_waitcnt vmcnt(15) lgkmcnt(2)
	v_mul_f64 v[92:93], v[252:253], v[92:93]
	s_waitcnt vmcnt(14) lgkmcnt(1)
	v_fma_f64 v[132:133], -v[92:93], v[180:181], v[132:133]
	s_waitcnt vmcnt(13)
	v_fma_f64 v[90:91], -v[92:93], v[182:183], v[90:91]
	s_waitcnt vmcnt(12) lgkmcnt(0)
	v_fma_f64 v[172:173], -v[92:93], v[174:175], v[172:173]
.LBB85_201:
	s_or_b64 exec, exec, s[2:3]
	v_cmp_eq_u32_e32 vcc, 40, v178
	s_waitcnt lgkmcnt(0)
	s_barrier
	s_and_saveexec_b64 s[2:3], vcc
	s_cbranch_execz .LBB85_204
; %bb.202:
	s_waitcnt vmcnt(14)
	ds_write_b64 v176, v[132:133]
	s_waitcnt vmcnt(12)
	ds_write2_b64 v177, v[90:91], v[172:173] offset0:41 offset1:42
	ds_read_b64 v[174:175], v176
	s_waitcnt lgkmcnt(0)
	v_cmp_neq_f64_e32 vcc, 0, v[174:175]
	s_and_b64 exec, exec, vcc
	s_cbranch_execz .LBB85_204
; %bb.203:
	v_div_scale_f64 v[180:181], s[6:7], v[174:175], v[174:175], 1.0
	v_rcp_f64_e32 v[182:183], v[180:181]
	v_pk_mov_b32 v[186:187], v[184:185], v[184:185] op_sel:[0,1]
	v_div_scale_f64 v[254:255], vcc, 1.0, v[174:175], 1.0
	v_fma_f64 v[184:185], -v[180:181], v[182:183], 1.0
	v_fmac_f64_e32 v[182:183], v[182:183], v[184:185]
	v_fma_f64 v[184:185], -v[180:181], v[182:183], 1.0
	v_fmac_f64_e32 v[182:183], v[182:183], v[184:185]
	v_mul_f64 v[184:185], v[254:255], v[182:183]
	v_fma_f64 v[180:181], -v[180:181], v[184:185], v[254:255]
	v_div_fmas_f64 v[180:181], v[180:181], v[182:183], v[184:185]
	v_pk_mov_b32 v[184:185], v[186:187], v[186:187] op_sel:[0,1]
	v_div_fixup_f64 v[174:175], v[180:181], v[174:175], 1.0
	ds_write_b64 v176, v[174:175]
.LBB85_204:
	s_or_b64 exec, exec, s[2:3]
	s_waitcnt lgkmcnt(0)
	s_barrier
	ds_read_b64 v[254:255], v176
	v_cmp_lt_u32_e32 vcc, 40, v178
	s_and_saveexec_b64 s[2:3], vcc
	s_cbranch_execz .LBB85_206
; %bb.205:
	ds_read2_b64 v[180:183], v177 offset0:41 offset1:42
	s_waitcnt vmcnt(14) lgkmcnt(1)
	v_mul_f64 v[132:133], v[254:255], v[132:133]
	s_waitcnt vmcnt(13) lgkmcnt(0)
	v_fma_f64 v[90:91], -v[132:133], v[180:181], v[90:91]
	s_waitcnt vmcnt(12)
	v_fma_f64 v[172:173], -v[132:133], v[182:183], v[172:173]
.LBB85_206:
	s_or_b64 exec, exec, s[2:3]
	v_cmp_eq_u32_e32 vcc, 41, v178
	s_waitcnt lgkmcnt(0)
	s_barrier
	s_and_saveexec_b64 s[2:3], vcc
	s_cbranch_execz .LBB85_209
; %bb.207:
	s_waitcnt vmcnt(13)
	ds_write_b64 v176, v[90:91]
	s_waitcnt vmcnt(12)
	ds_write_b64 v177, v[172:173] offset:336
	ds_read_b64 v[174:175], v176
	s_waitcnt lgkmcnt(0)
	v_cmp_neq_f64_e32 vcc, 0, v[174:175]
	s_and_b64 exec, exec, vcc
	s_cbranch_execz .LBB85_209
; %bb.208:
	v_div_scale_f64 v[180:181], s[6:7], v[174:175], v[174:175], 1.0
	v_rcp_f64_e32 v[182:183], v[180:181]
	v_pk_mov_b32 v[206:207], v[204:205], v[204:205] op_sel:[0,1]
	v_pk_mov_b32 v[204:205], v[202:203], v[202:203] op_sel:[0,1]
	;; [unrolled: 1-line block ×3, first 2 shown]
	v_fma_f64 v[186:187], -v[180:181], v[182:183], 1.0
	v_fmac_f64_e32 v[182:183], v[182:183], v[186:187]
	v_fma_f64 v[186:187], -v[180:181], v[182:183], 1.0
	v_pk_mov_b32 v[200:201], v[2:3], v[2:3] op_sel:[0,1]
	v_pk_mov_b32 v[2:3], v[196:197], v[196:197] op_sel:[0,1]
	;; [unrolled: 1-line block ×7, first 2 shown]
	v_div_scale_f64 v[184:185], vcc, 1.0, v[174:175], 1.0
	v_fmac_f64_e32 v[182:183], v[182:183], v[186:187]
	v_mul_f64 v[186:187], v[184:185], v[182:183]
	v_fma_f64 v[180:181], -v[180:181], v[186:187], v[184:185]
	s_nop 0
	v_div_fmas_f64 v[180:181], v[180:181], v[182:183], v[186:187]
	v_pk_mov_b32 v[184:185], v[188:189], v[188:189] op_sel:[0,1]
	v_pk_mov_b32 v[188:189], v[190:191], v[190:191] op_sel:[0,1]
	;; [unrolled: 1-line block ×10, first 2 shown]
	v_div_fixup_f64 v[174:175], v[180:181], v[174:175], 1.0
	ds_write_b64 v176, v[174:175]
.LBB85_209:
	s_or_b64 exec, exec, s[2:3]
	s_waitcnt lgkmcnt(0)
	s_barrier
	ds_read_b64 v[174:175], v176
	v_cmp_lt_u32_e32 vcc, 41, v178
	s_and_saveexec_b64 s[2:3], vcc
	s_cbranch_execz .LBB85_211
; %bb.210:
	ds_read_b64 v[180:181], v177 offset:336
	s_waitcnt vmcnt(13) lgkmcnt(1)
	v_mul_f64 v[90:91], v[174:175], v[90:91]
	s_waitcnt vmcnt(12) lgkmcnt(0)
	v_fma_f64 v[172:173], -v[90:91], v[180:181], v[172:173]
.LBB85_211:
	s_or_b64 exec, exec, s[2:3]
	v_cmp_eq_u32_e32 vcc, 42, v178
	s_waitcnt lgkmcnt(0)
	s_barrier
	s_and_saveexec_b64 s[2:3], vcc
	s_cbranch_execz .LBB85_214
; %bb.212:
	s_waitcnt vmcnt(12)
	v_cmp_neq_f64_e32 vcc, 0, v[172:173]
	ds_write_b64 v176, v[172:173]
	s_and_b64 exec, exec, vcc
	s_cbranch_execz .LBB85_214
; %bb.213:
	v_div_scale_f64 v[180:181], s[6:7], v[172:173], v[172:173], 1.0
	v_rcp_f64_e32 v[182:183], v[180:181]
	v_pk_mov_b32 v[206:207], v[204:205], v[204:205] op_sel:[0,1]
	v_pk_mov_b32 v[204:205], v[202:203], v[202:203] op_sel:[0,1]
	;; [unrolled: 1-line block ×3, first 2 shown]
	v_fma_f64 v[186:187], -v[180:181], v[182:183], 1.0
	v_fmac_f64_e32 v[182:183], v[182:183], v[186:187]
	v_fma_f64 v[186:187], -v[180:181], v[182:183], 1.0
	v_pk_mov_b32 v[200:201], v[198:199], v[198:199] op_sel:[0,1]
	v_pk_mov_b32 v[198:199], v[2:3], v[2:3] op_sel:[0,1]
	;; [unrolled: 1-line block ×8, first 2 shown]
	v_div_scale_f64 v[184:185], vcc, 1.0, v[172:173], 1.0
	v_fmac_f64_e32 v[182:183], v[182:183], v[186:187]
	v_mul_f64 v[186:187], v[184:185], v[182:183]
	v_fma_f64 v[180:181], -v[180:181], v[186:187], v[184:185]
	s_nop 0
	v_div_fmas_f64 v[180:181], v[180:181], v[182:183], v[186:187]
	v_pk_mov_b32 v[184:185], v[188:189], v[188:189] op_sel:[0,1]
	v_pk_mov_b32 v[188:189], v[190:191], v[190:191] op_sel:[0,1]
	;; [unrolled: 1-line block ×11, first 2 shown]
	v_div_fixup_f64 v[180:181], v[180:181], v[172:173], 1.0
	ds_write_b64 v176, v[180:181]
.LBB85_214:
	s_or_b64 exec, exec, s[2:3]
	s_waitcnt lgkmcnt(0)
	s_barrier
	ds_read_b64 v[176:177], v176
	s_waitcnt lgkmcnt(0)
	s_barrier
	s_and_saveexec_b64 s[2:3], s[0:1]
	s_cbranch_execz .LBB85_217
; %bb.215:
	buffer_load_dword v180, off, s[16:19], 0 offset:24 ; 4-byte Folded Reload
	buffer_load_dword v181, off, s[16:19], 0 offset:28 ; 4-byte Folded Reload
	s_load_dwordx2 s[4:5], s[4:5], 0x28
	v_lshlrev_b64 v[2:3], 2, v[2:3]
	s_waitcnt vmcnt(0)
	v_cmp_eq_f64_e32 vcc, 0, v[180:181]
	buffer_load_dword v180, off, s[16:19], 0 ; 4-byte Folded Reload
	buffer_load_dword v181, off, s[16:19], 0 offset:4 ; 4-byte Folded Reload
	v_cndmask_b32_e64 v179, 0, 1, vcc
	s_waitcnt vmcnt(0)
	v_cmp_neq_f64_e64 s[0:1], 0, v[180:181]
	buffer_load_dword v180, off, s[16:19], 0 offset:32 ; 4-byte Folded Reload
	buffer_load_dword v181, off, s[16:19], 0 offset:36 ; 4-byte Folded Reload
	s_or_b64 vcc, s[0:1], vcc
	v_cndmask_b32_e32 v179, 2, v179, vcc
	v_cmp_eq_u32_e64 s[0:1], 0, v179
	s_waitcnt vmcnt(0)
	v_cmp_eq_f64_e32 vcc, 0, v[180:181]
	buffer_load_dword v180, off, s[16:19], 0 offset:8 ; 4-byte Folded Reload
	buffer_load_dword v181, off, s[16:19], 0 offset:12 ; 4-byte Folded Reload
	s_and_b64 s[0:1], vcc, s[0:1]
	v_cndmask_b32_e64 v179, v179, 3, s[0:1]
	v_cmp_eq_u32_e64 s[0:1], 0, v179
	s_waitcnt vmcnt(0)
	v_cmp_eq_f64_e32 vcc, 0, v[180:181]
	buffer_load_dword v180, off, s[16:19], 0 offset:40 ; 4-byte Folded Reload
	buffer_load_dword v181, off, s[16:19], 0 offset:44 ; 4-byte Folded Reload
	s_and_b64 s[0:1], vcc, s[0:1]
	v_cndmask_b32_e64 v179, v179, 4, s[0:1]
	v_cmp_eq_u32_e64 s[0:1], 0, v179
	s_waitcnt vmcnt(0)
	v_cmp_eq_f64_e32 vcc, 0, v[180:181]
	buffer_load_dword v180, off, s[16:19], 0 offset:48 ; 4-byte Folded Reload
	buffer_load_dword v181, off, s[16:19], 0 offset:52 ; 4-byte Folded Reload
	s_and_b64 s[0:1], vcc, s[0:1]
	v_cndmask_b32_e64 v179, v179, 5, s[0:1]
	v_cmp_eq_f64_e32 vcc, 0, v[184:185]
	v_cmp_eq_u32_e64 s[0:1], 0, v179
	s_and_b64 s[0:1], vcc, s[0:1]
	v_cndmask_b32_e64 v179, v179, 6, s[0:1]
	v_cmp_eq_u32_e64 s[0:1], 0, v179
	s_waitcnt vmcnt(0)
	v_cmp_eq_f64_e32 vcc, 0, v[180:181]
	s_and_b64 s[0:1], vcc, s[0:1]
	v_cndmask_b32_e64 v179, v179, 7, s[0:1]
	v_cmp_eq_f64_e32 vcc, 0, v[188:189]
	v_cmp_eq_u32_e64 s[0:1], 0, v179
	s_and_b64 s[0:1], vcc, s[0:1]
	v_cndmask_b32_e64 v179, v179, 8, s[0:1]
	v_cmp_eq_f64_e32 vcc, 0, v[190:191]
	v_cmp_eq_u32_e64 s[0:1], 0, v179
	;; [unrolled: 4-line block ×16, first 2 shown]
	s_and_b64 s[0:1], vcc, s[0:1]
	v_cndmask_b32_e64 v179, v179, 23, s[0:1]
	s_waitcnt lgkmcnt(0)
	v_mov_b32_e32 v180, s5
	v_add_co_u32_e64 v2, s[0:1], s4, v2
	v_addc_co_u32_e64 v3, s[0:1], v180, v3, s[0:1]
	global_load_dword v180, v[2:3], off
	v_cmp_eq_f64_e32 vcc, 0, v[220:221]
	v_cmp_eq_u32_e64 s[0:1], 0, v179
	s_and_b64 s[0:1], vcc, s[0:1]
	v_cndmask_b32_e64 v179, v179, 24, s[0:1]
	v_cmp_eq_f64_e32 vcc, 0, v[222:223]
	v_cmp_eq_u32_e64 s[0:1], 0, v179
	s_and_b64 s[0:1], vcc, s[0:1]
	v_cndmask_b32_e64 v179, v179, 25, s[0:1]
	;; [unrolled: 4-line block ×20, first 2 shown]
	s_waitcnt vmcnt(0)
	v_cmp_eq_u32_e32 vcc, 0, v180
	v_cmp_ne_u32_e64 s[0:1], 0, v174
	s_and_b64 s[0:1], vcc, s[0:1]
	s_and_b64 exec, exec, s[0:1]
	s_cbranch_execz .LBB85_217
; %bb.216:
	v_add_u32_e32 v174, s9, v174
	global_store_dword v[2:3], v174, off
.LBB85_217:
	s_or_b64 exec, exec, s[2:3]
	s_waitcnt vmcnt(56)
	global_store_dwordx2 v[84:85], v[88:89], off
	s_waitcnt vmcnt(56)
	global_store_dwordx2 v[86:87], v[130:131], off
	buffer_load_dword v0, off, s[16:19], 0 offset:16 ; 4-byte Folded Reload
	buffer_load_dword v1, off, s[16:19], 0 offset:20 ; 4-byte Folded Reload
	s_waitcnt vmcnt(16)
	v_mul_f64 v[2:3], v[176:177], v[172:173]
	v_cmp_lt_u32_e32 vcc, 42, v178
	v_cndmask_b32_e32 v3, v173, v3, vcc
	v_cndmask_b32_e32 v2, v172, v2, vcc
	s_waitcnt vmcnt(0)
	global_store_dwordx2 v[0:1], v[170:171], off
	global_store_dwordx2 v[4:5], v[128:129], off
	;; [unrolled: 1-line block ×41, first 2 shown]
.LBB85_218:
	s_endpgm
	.section	.rodata,"a",@progbits
	.p2align	6, 0x0
	.amdhsa_kernel _ZN9rocsolver6v33100L23getf2_npvt_small_kernelILi43EdiiPKPdEEvT1_T3_lS5_lPT2_S5_S5_
		.amdhsa_group_segment_fixed_size 0
		.amdhsa_private_segment_fixed_size 60
		.amdhsa_kernarg_size 312
		.amdhsa_user_sgpr_count 6
		.amdhsa_user_sgpr_private_segment_buffer 1
		.amdhsa_user_sgpr_dispatch_ptr 0
		.amdhsa_user_sgpr_queue_ptr 0
		.amdhsa_user_sgpr_kernarg_segment_ptr 1
		.amdhsa_user_sgpr_dispatch_id 0
		.amdhsa_user_sgpr_flat_scratch_init 0
		.amdhsa_user_sgpr_kernarg_preload_length 0
		.amdhsa_user_sgpr_kernarg_preload_offset 0
		.amdhsa_user_sgpr_private_segment_size 0
		.amdhsa_uses_dynamic_stack 0
		.amdhsa_system_sgpr_private_segment_wavefront_offset 1
		.amdhsa_system_sgpr_workgroup_id_x 1
		.amdhsa_system_sgpr_workgroup_id_y 1
		.amdhsa_system_sgpr_workgroup_id_z 0
		.amdhsa_system_sgpr_workgroup_info 0
		.amdhsa_system_vgpr_workitem_id 1
		.amdhsa_next_free_vgpr 256
		.amdhsa_next_free_sgpr 20
		.amdhsa_accum_offset 256
		.amdhsa_reserve_vcc 1
		.amdhsa_reserve_flat_scratch 0
		.amdhsa_float_round_mode_32 0
		.amdhsa_float_round_mode_16_64 0
		.amdhsa_float_denorm_mode_32 3
		.amdhsa_float_denorm_mode_16_64 3
		.amdhsa_dx10_clamp 1
		.amdhsa_ieee_mode 1
		.amdhsa_fp16_overflow 0
		.amdhsa_tg_split 0
		.amdhsa_exception_fp_ieee_invalid_op 0
		.amdhsa_exception_fp_denorm_src 0
		.amdhsa_exception_fp_ieee_div_zero 0
		.amdhsa_exception_fp_ieee_overflow 0
		.amdhsa_exception_fp_ieee_underflow 0
		.amdhsa_exception_fp_ieee_inexact 0
		.amdhsa_exception_int_div_zero 0
	.end_amdhsa_kernel
	.section	.text._ZN9rocsolver6v33100L23getf2_npvt_small_kernelILi43EdiiPKPdEEvT1_T3_lS5_lPT2_S5_S5_,"axG",@progbits,_ZN9rocsolver6v33100L23getf2_npvt_small_kernelILi43EdiiPKPdEEvT1_T3_lS5_lPT2_S5_S5_,comdat
.Lfunc_end85:
	.size	_ZN9rocsolver6v33100L23getf2_npvt_small_kernelILi43EdiiPKPdEEvT1_T3_lS5_lPT2_S5_S5_, .Lfunc_end85-_ZN9rocsolver6v33100L23getf2_npvt_small_kernelILi43EdiiPKPdEEvT1_T3_lS5_lPT2_S5_S5_
                                        ; -- End function
	.section	.AMDGPU.csdata,"",@progbits
; Kernel info:
; codeLenInByte = 35708
; NumSgprs: 24
; NumVgprs: 256
; NumAgprs: 0
; TotalNumVgprs: 256
; ScratchSize: 60
; MemoryBound: 0
; FloatMode: 240
; IeeeMode: 1
; LDSByteSize: 0 bytes/workgroup (compile time only)
; SGPRBlocks: 2
; VGPRBlocks: 31
; NumSGPRsForWavesPerEU: 24
; NumVGPRsForWavesPerEU: 256
; AccumOffset: 256
; Occupancy: 2
; WaveLimiterHint : 1
; COMPUTE_PGM_RSRC2:SCRATCH_EN: 1
; COMPUTE_PGM_RSRC2:USER_SGPR: 6
; COMPUTE_PGM_RSRC2:TRAP_HANDLER: 0
; COMPUTE_PGM_RSRC2:TGID_X_EN: 1
; COMPUTE_PGM_RSRC2:TGID_Y_EN: 1
; COMPUTE_PGM_RSRC2:TGID_Z_EN: 0
; COMPUTE_PGM_RSRC2:TIDIG_COMP_CNT: 1
; COMPUTE_PGM_RSRC3_GFX90A:ACCUM_OFFSET: 63
; COMPUTE_PGM_RSRC3_GFX90A:TG_SPLIT: 0
	.section	.text._ZN9rocsolver6v33100L18getf2_small_kernelILi44EdiiPKPdEEvT1_T3_lS5_lPS5_llPT2_S5_S5_S7_l,"axG",@progbits,_ZN9rocsolver6v33100L18getf2_small_kernelILi44EdiiPKPdEEvT1_T3_lS5_lPS5_llPT2_S5_S5_S7_l,comdat
	.globl	_ZN9rocsolver6v33100L18getf2_small_kernelILi44EdiiPKPdEEvT1_T3_lS5_lPS5_llPT2_S5_S5_S7_l ; -- Begin function _ZN9rocsolver6v33100L18getf2_small_kernelILi44EdiiPKPdEEvT1_T3_lS5_lPS5_llPT2_S5_S5_S7_l
	.p2align	8
	.type	_ZN9rocsolver6v33100L18getf2_small_kernelILi44EdiiPKPdEEvT1_T3_lS5_lPS5_llPT2_S5_S5_S7_l,@function
_ZN9rocsolver6v33100L18getf2_small_kernelILi44EdiiPKPdEEvT1_T3_lS5_lPS5_llPT2_S5_S5_S7_l: ; @_ZN9rocsolver6v33100L18getf2_small_kernelILi44EdiiPKPdEEvT1_T3_lS5_lPS5_llPT2_S5_S5_S7_l
; %bb.0:
	s_load_dword s0, s[4:5], 0x6c
	s_load_dwordx2 s[12:13], s[4:5], 0x48
	v_bfe_u32 v92, v0, 10, 10
	s_waitcnt lgkmcnt(0)
	s_lshr_b32 s0, s0, 16
	s_mul_i32 s7, s7, s0
	v_add_u32_e32 v2, s7, v92
	v_cmp_gt_i32_e32 vcc, s12, v2
	s_and_saveexec_b64 s[0:1], vcc
	s_cbranch_execz .LBB86_745
; %bb.1:
	s_load_dwordx4 s[0:3], s[4:5], 0x8
	s_load_dwordx4 s[8:11], s[4:5], 0x50
	v_ashrrev_i32_e32 v3, 31, v2
	v_lshlrev_b64 v[4:5], 3, v[2:3]
	s_waitcnt lgkmcnt(0)
	v_mov_b32_e32 v1, s1
	v_add_co_u32_e32 v4, vcc, s0, v4
	v_addc_co_u32_e32 v5, vcc, v1, v5, vcc
	global_load_dwordx2 v[6:7], v[4:5], off
	s_cmp_eq_u64 s[8:9], 0
	s_cselect_b64 s[6:7], -1, 0
	s_and_b64 vcc, exec, s[6:7]
	v_pk_mov_b32 v[4:5], 0, 0
	s_cbranch_vccnz .LBB86_3
; %bb.2:
	v_mul_lo_u32 v1, v3, s10
	v_mul_lo_u32 v8, v2, s11
	v_mad_u64_u32 v[4:5], s[0:1], v2, s10, 0
	v_add3_u32 v5, v5, v8, v1
	v_lshlrev_b64 v[4:5], 2, v[4:5]
	v_mov_b32_e32 v1, s9
	v_add_co_u32_e32 v4, vcc, s8, v4
	v_addc_co_u32_e32 v5, vcc, v1, v5, vcc
.LBB86_3:
	s_load_dword s8, s[4:5], 0x18
	s_load_dword s18, s[4:5], 0x0
	s_lshl_b64 s[0:1], s[2:3], 3
	v_and_b32_e32 v100, 0x3ff, v0
	v_mov_b32_e32 v1, s1
	s_waitcnt lgkmcnt(0)
	s_add_i32 s12, s8, s8
	s_waitcnt vmcnt(0)
	v_add_co_u32_e32 v98, vcc, s0, v6
	v_add_u32_e32 v0, s12, v100
	v_addc_co_u32_e32 v99, vcc, v7, v1, vcc
	v_ashrrev_i32_e32 v1, 31, v0
	v_lshlrev_b64 v[6:7], 3, v[0:1]
	v_add_u32_e32 v0, s8, v0
	v_add_co_u32_e32 v6, vcc, v98, v6
	v_ashrrev_i32_e32 v1, 31, v0
	v_addc_co_u32_e32 v7, vcc, v99, v7, vcc
	v_lshlrev_b64 v[8:9], 3, v[0:1]
	v_add_u32_e32 v0, s8, v0
	v_add_co_u32_e32 v8, vcc, v98, v8
	v_ashrrev_i32_e32 v1, 31, v0
	v_addc_co_u32_e32 v9, vcc, v99, v9, vcc
	;; [unrolled: 5-line block ×41, first 2 shown]
	v_lshlrev_b64 v[0:1], 3, v[0:1]
	v_add_co_u32_e32 v152, vcc, v98, v0
	v_addc_co_u32_e32 v153, vcc, v99, v1, vcc
	v_lshlrev_b32_e32 v93, 3, v100
	v_add_co_u32_e32 v0, vcc, v98, v93
	s_ashr_i32 s9, s8, 31
	v_addc_co_u32_e32 v1, vcc, 0, v99, vcc
	s_lshl_b64 s[10:11], s[8:9], 3
	v_mov_b32_e32 v33, s11
	v_add_co_u32_e32 v32, vcc, s10, v0
	v_addc_co_u32_e32 v33, vcc, v1, v33, vcc
	global_load_dwordx2 v[86:87], v[0:1], off
	global_load_dwordx2 v[88:89], v[32:33], off
	;; [unrolled: 1-line block ×15, first 2 shown]
                                        ; kill: killed $vgpr8 killed $vgpr9
                                        ; kill: killed $vgpr12 killed $vgpr13
                                        ; kill: killed $vgpr16 killed $vgpr17
                                        ; kill: killed $vgpr20 killed $vgpr21
                                        ; kill: killed $vgpr24 killed $vgpr25
                                        ; kill: killed $vgpr28 killed $vgpr29
                                        ; kill: killed $vgpr0 killed $vgpr1
                                        ; kill: killed $vgpr6 killed $vgpr7
                                        ; kill: killed $vgpr32 killed $vgpr33
                                        ; kill: killed $vgpr10 killed $vgpr11
                                        ; kill: killed $vgpr14 killed $vgpr15
                                        ; kill: killed $vgpr18 killed $vgpr19
                                        ; kill: killed $vgpr22 killed $vgpr23
                                        ; kill: killed $vgpr26 killed $vgpr27
                                        ; kill: killed $vgpr30 killed $vgpr31
	global_load_dwordx2 v[60:61], v[90:91], off
	global_load_dwordx2 v[56:57], v[94:95], off
	;; [unrolled: 1-line block ×15, first 2 shown]
                                        ; kill: killed $vgpr106 killed $vgpr107
                                        ; kill: killed $vgpr110 killed $vgpr111
                                        ; kill: killed $vgpr114 killed $vgpr115
                                        ; kill: killed $vgpr118 killed $vgpr119
                                        ; kill: killed $vgpr122 killed $vgpr123
                                        ; kill: killed $vgpr90 killed $vgpr91
                                        ; kill: killed $vgpr96 killed $vgpr97
                                        ; kill: killed $vgpr104 killed $vgpr105
                                        ; kill: killed $vgpr108 killed $vgpr109
                                        ; kill: killed $vgpr112 killed $vgpr113
                                        ; kill: killed $vgpr116 killed $vgpr117
                                        ; kill: killed $vgpr120 killed $vgpr121
                                        ; kill: killed $vgpr124 killed $vgpr125
                                        ; kill: killed $vgpr94 killed $vgpr95
                                        ; kill: killed $vgpr102 killed $vgpr103
	global_load_dwordx2 v[30:31], v[126:127], off
	global_load_dwordx2 v[26:27], v[128:129], off
	;; [unrolled: 1-line block ×14, first 2 shown]
	s_max_i32 s0, s18, 44
	v_mul_lo_u32 v94, s0, v92
	v_lshl_add_u32 v96, v94, 3, 0
	v_add_u32_e32 v92, v96, v93
	s_cmp_lt_i32 s18, 2
	v_lshlrev_b32_e32 v101, 3, v94
	s_waitcnt vmcnt(43)
	ds_write_b64 v92, v[86:87]
	s_waitcnt lgkmcnt(0)
	s_barrier
	ds_read_b64 v[92:93], v96
	v_mov_b32_e32 v94, 0
	s_cbranch_scc1 .LBB86_6
; %bb.4:
	v_add3_u32 v95, v101, 0, 8
	s_mov_b32 s0, 1
	v_mov_b32_e32 v94, 0
.LBB86_5:                               ; =>This Inner Loop Header: Depth=1
	ds_read_b64 v[102:103], v95
	v_mov_b32_e32 v97, s0
	s_add_i32 s0, s0, 1
	v_add_u32_e32 v95, 8, v95
	s_cmp_eq_u32 s18, s0
	s_waitcnt lgkmcnt(0)
	v_cmp_lt_f64_e64 vcc, |v[92:93]|, |v[102:103]|
	v_cndmask_b32_e32 v93, v93, v103, vcc
	v_cndmask_b32_e32 v92, v92, v102, vcc
	;; [unrolled: 1-line block ×3, first 2 shown]
	s_cbranch_scc0 .LBB86_5
.LBB86_6:
	v_cmp_ne_u32_e32 vcc, v100, v94
                                        ; implicit-def: $vgpr97
	s_and_saveexec_b64 s[0:1], vcc
	s_xor_b64 s[0:1], exec, s[0:1]
	s_cbranch_execz .LBB86_12
; %bb.7:
	v_cmp_eq_u32_e32 vcc, 0, v100
	s_and_saveexec_b64 s[2:3], vcc
	s_cbranch_execz .LBB86_11
; %bb.8:
	v_cmp_ne_u32_e32 vcc, 0, v94
	s_xor_b64 s[14:15], s[6:7], -1
	s_and_b64 s[16:17], s[14:15], vcc
	s_and_saveexec_b64 s[14:15], s[16:17]
	s_cbranch_execz .LBB86_10
; %bb.9:
	v_ashrrev_i32_e32 v95, 31, v94
	v_lshlrev_b64 v[102:103], 2, v[94:95]
	v_add_co_u32_e32 v102, vcc, v4, v102
	v_addc_co_u32_e32 v103, vcc, v5, v103, vcc
	flat_load_dword v95, v[102:103]
	flat_load_dword v97, v[4:5]
	s_waitcnt vmcnt(0) lgkmcnt(0)
	flat_store_dword v[4:5], v95
	flat_store_dword v[102:103], v97
.LBB86_10:
	s_or_b64 exec, exec, s[14:15]
	v_mov_b32_e32 v100, v94
.LBB86_11:
	s_or_b64 exec, exec, s[2:3]
	v_mov_b32_e32 v97, v100
                                        ; implicit-def: $vgpr100
.LBB86_12:
	s_or_saveexec_b64 s[0:1], s[0:1]
	v_mov_b32_e32 v95, v97
	s_xor_b64 exec, exec, s[0:1]
	s_cbranch_execz .LBB86_14
; %bb.13:
	v_mov_b32_e32 v97, 0
	v_mov_b32_e32 v95, v100
	s_waitcnt vmcnt(0)
	ds_write2_b64 v96, v[88:89], v[84:85] offset0:1 offset1:2
	ds_write2_b64 v96, v[82:83], v[80:81] offset0:3 offset1:4
	;; [unrolled: 1-line block ×21, first 2 shown]
	ds_write_b64 v96, v[90:91] offset:344
.LBB86_14:
	s_or_b64 exec, exec, s[0:1]
	s_waitcnt lgkmcnt(0)
	v_cmp_eq_f64_e64 s[0:1], 0, v[92:93]
	v_cmp_lt_i32_e32 vcc, 0, v97
	s_barrier
	s_and_saveexec_b64 s[2:3], vcc
	s_cbranch_execz .LBB86_16
; %bb.15:
	v_div_scale_f64 v[102:103], s[14:15], v[92:93], v[92:93], 1.0
	v_rcp_f64_e32 v[104:105], v[102:103]
	v_div_scale_f64 v[106:107], vcc, 1.0, v[92:93], 1.0
	ds_read2_b64 v[110:113], v96 offset0:5 offset1:6
	v_fma_f64 v[108:109], -v[102:103], v[104:105], 1.0
	v_fmac_f64_e32 v[104:105], v[104:105], v[108:109]
	v_fma_f64 v[108:109], -v[102:103], v[104:105], 1.0
	v_fmac_f64_e32 v[104:105], v[104:105], v[108:109]
	v_mul_f64 v[108:109], v[106:107], v[104:105]
	v_fma_f64 v[102:103], -v[102:103], v[108:109], v[106:107]
	v_div_fmas_f64 v[102:103], v[102:103], v[104:105], v[108:109]
	v_div_fixup_f64 v[106:107], v[102:103], v[92:93], 1.0
	ds_read2_b64 v[102:105], v96 offset0:1 offset1:2
	v_cndmask_b32_e64 v93, v107, v93, s[0:1]
	v_cndmask_b32_e64 v92, v106, v92, s[0:1]
	ds_read2_b64 v[106:109], v96 offset0:3 offset1:4
	v_mul_f64 v[86:87], v[92:93], v[86:87]
	s_waitcnt vmcnt(0) lgkmcnt(0)
	v_fma_f64 v[88:89], -v[86:87], v[102:103], v[88:89]
	v_fma_f64 v[84:85], -v[86:87], v[104:105], v[84:85]
	ds_read2_b64 v[102:105], v96 offset0:7 offset1:8
	v_fma_f64 v[82:83], -v[86:87], v[106:107], v[82:83]
	v_fma_f64 v[80:81], -v[86:87], v[108:109], v[80:81]
	;; [unrolled: 1-line block ×3, first 2 shown]
	ds_read2_b64 v[106:109], v96 offset0:9 offset1:10
	v_fma_f64 v[76:77], -v[86:87], v[112:113], v[76:77]
	ds_read2_b64 v[110:113], v96 offset0:11 offset1:12
	s_waitcnt lgkmcnt(2)
	v_fma_f64 v[74:75], -v[86:87], v[102:103], v[74:75]
	v_fma_f64 v[72:73], -v[86:87], v[104:105], v[72:73]
	s_waitcnt lgkmcnt(1)
	v_fma_f64 v[70:71], -v[86:87], v[106:107], v[70:71]
	ds_read2_b64 v[102:105], v96 offset0:13 offset1:14
	v_fma_f64 v[68:69], -v[86:87], v[108:109], v[68:69]
	ds_read2_b64 v[106:109], v96 offset0:15 offset1:16
	s_waitcnt lgkmcnt(2)
	v_fma_f64 v[66:67], -v[86:87], v[110:111], v[66:67]
	v_fma_f64 v[64:65], -v[86:87], v[112:113], v[64:65]
	ds_read2_b64 v[110:113], v96 offset0:17 offset1:18
	s_waitcnt lgkmcnt(2)
	v_fma_f64 v[62:63], -v[86:87], v[102:103], v[62:63]
	;; [unrolled: 4-line block ×3, first 2 shown]
	v_fma_f64 v[56:57], -v[86:87], v[108:109], v[56:57]
	s_waitcnt lgkmcnt(1)
	v_fma_f64 v[54:55], -v[86:87], v[110:111], v[54:55]
	ds_read2_b64 v[106:109], v96 offset0:21 offset1:22
	v_fma_f64 v[52:53], -v[86:87], v[112:113], v[52:53]
	ds_read2_b64 v[110:113], v96 offset0:23 offset1:24
	s_waitcnt lgkmcnt(2)
	v_fma_f64 v[50:51], -v[86:87], v[102:103], v[50:51]
	v_fma_f64 v[48:49], -v[86:87], v[104:105], v[48:49]
	s_waitcnt lgkmcnt(1)
	v_fma_f64 v[46:47], -v[86:87], v[106:107], v[46:47]
	ds_read2_b64 v[102:105], v96 offset0:25 offset1:26
	v_fma_f64 v[44:45], -v[86:87], v[108:109], v[44:45]
	ds_read2_b64 v[106:109], v96 offset0:27 offset1:28
	s_waitcnt lgkmcnt(2)
	v_fma_f64 v[42:43], -v[86:87], v[110:111], v[42:43]
	v_fma_f64 v[40:41], -v[86:87], v[112:113], v[40:41]
	ds_read2_b64 v[110:113], v96 offset0:29 offset1:30
	s_waitcnt lgkmcnt(2)
	v_fma_f64 v[38:39], -v[86:87], v[102:103], v[38:39]
	;; [unrolled: 4-line block ×3, first 2 shown]
	v_fma_f64 v[32:33], -v[86:87], v[108:109], v[32:33]
	s_waitcnt lgkmcnt(1)
	v_fma_f64 v[28:29], -v[86:87], v[110:111], v[28:29]
	ds_read2_b64 v[106:109], v96 offset0:33 offset1:34
	v_fma_f64 v[30:31], -v[86:87], v[112:113], v[30:31]
	ds_read2_b64 v[110:113], v96 offset0:35 offset1:36
	s_waitcnt lgkmcnt(2)
	v_fma_f64 v[26:27], -v[86:87], v[102:103], v[26:27]
	v_fma_f64 v[24:25], -v[86:87], v[104:105], v[24:25]
	s_waitcnt lgkmcnt(1)
	v_fma_f64 v[22:23], -v[86:87], v[106:107], v[22:23]
	ds_read2_b64 v[102:105], v96 offset0:37 offset1:38
	v_fma_f64 v[20:21], -v[86:87], v[108:109], v[20:21]
	ds_read2_b64 v[106:109], v96 offset0:39 offset1:40
	s_waitcnt lgkmcnt(2)
	v_fma_f64 v[18:19], -v[86:87], v[110:111], v[18:19]
	v_fma_f64 v[16:17], -v[86:87], v[112:113], v[16:17]
	ds_read2_b64 v[110:113], v96 offset0:41 offset1:42
	ds_read_b64 v[92:93], v96 offset:344
	s_waitcnt lgkmcnt(3)
	v_fma_f64 v[14:15], -v[86:87], v[102:103], v[14:15]
	v_fma_f64 v[12:13], -v[86:87], v[104:105], v[12:13]
	s_waitcnt lgkmcnt(2)
	v_fma_f64 v[10:11], -v[86:87], v[106:107], v[10:11]
	v_fma_f64 v[8:9], -v[86:87], v[108:109], v[8:9]
	;; [unrolled: 3-line block ×3, first 2 shown]
	s_waitcnt lgkmcnt(0)
	v_fma_f64 v[90:91], -v[86:87], v[92:93], v[90:91]
.LBB86_16:
	s_or_b64 exec, exec, s[2:3]
	v_lshl_add_u32 v92, v97, 3, v96
	s_barrier
	s_waitcnt vmcnt(0)
	ds_write_b64 v92, v[88:89]
	s_waitcnt lgkmcnt(0)
	s_barrier
	ds_read_b64 v[92:93], v96 offset:8
	s_cmp_lt_i32 s18, 3
	v_mov_b32_e32 v94, 1
	s_cbranch_scc1 .LBB86_19
; %bb.17:
	v_add3_u32 v100, v101, 0, 16
	s_mov_b32 s2, 2
	v_mov_b32_e32 v94, 1
.LBB86_18:                              ; =>This Inner Loop Header: Depth=1
	ds_read_b64 v[102:103], v100
	v_mov_b32_e32 v104, s2
	s_add_i32 s2, s2, 1
	v_add_u32_e32 v100, 8, v100
	s_cmp_lg_u32 s18, s2
	s_waitcnt lgkmcnt(0)
	v_cmp_lt_f64_e64 vcc, |v[92:93]|, |v[102:103]|
	v_cndmask_b32_e32 v93, v93, v103, vcc
	v_cndmask_b32_e32 v92, v92, v102, vcc
	;; [unrolled: 1-line block ×3, first 2 shown]
	s_cbranch_scc1 .LBB86_18
.LBB86_19:
	v_cmp_ne_u32_e32 vcc, v97, v94
	s_and_saveexec_b64 s[2:3], vcc
	s_xor_b64 s[2:3], exec, s[2:3]
	s_cbranch_execz .LBB86_25
; %bb.20:
	v_cmp_eq_u32_e32 vcc, 1, v97
	s_and_saveexec_b64 s[14:15], vcc
	s_cbranch_execz .LBB86_24
; %bb.21:
	v_cmp_ne_u32_e32 vcc, 1, v94
	s_xor_b64 s[16:17], s[6:7], -1
	s_and_b64 s[20:21], s[16:17], vcc
	s_and_saveexec_b64 s[16:17], s[20:21]
	s_cbranch_execz .LBB86_23
; %bb.22:
	v_ashrrev_i32_e32 v95, 31, v94
	v_lshlrev_b64 v[102:103], 2, v[94:95]
	v_add_co_u32_e32 v102, vcc, v4, v102
	v_addc_co_u32_e32 v103, vcc, v5, v103, vcc
	flat_load_dword v95, v[102:103]
	flat_load_dword v97, v[4:5] offset:4
	s_waitcnt vmcnt(0) lgkmcnt(0)
	flat_store_dword v[4:5], v95 offset:4
	flat_store_dword v[102:103], v97
.LBB86_23:
	s_or_b64 exec, exec, s[16:17]
	v_mov_b32_e32 v95, v94
	v_mov_b32_e32 v97, v94
.LBB86_24:
	s_or_b64 exec, exec, s[14:15]
.LBB86_25:
	s_andn2_saveexec_b64 s[2:3], s[2:3]
	s_cbranch_execz .LBB86_27
; %bb.26:
	v_mov_b32_e32 v102, v84
	v_mov_b32_e32 v103, v85
	v_mov_b32_e32 v104, v82
	v_mov_b32_e32 v105, v83
	ds_write2_b64 v96, v[102:103], v[104:105] offset0:2 offset1:3
	v_mov_b32_e32 v102, v80
	v_mov_b32_e32 v103, v81
	v_mov_b32_e32 v104, v78
	v_mov_b32_e32 v105, v79
	ds_write2_b64 v96, v[102:103], v[104:105] offset0:4 offset1:5
	;; [unrolled: 5-line block ×20, first 2 shown]
	v_mov_b32_e32 v102, v0
	v_mov_b32_e32 v103, v1
	;; [unrolled: 1-line block ×3, first 2 shown]
	ds_write2_b64 v96, v[102:103], v[90:91] offset0:42 offset1:43
.LBB86_27:
	s_or_b64 exec, exec, s[2:3]
	s_waitcnt lgkmcnt(0)
	v_cmp_neq_f64_e64 s[2:3], 0, v[92:93]
	v_cmp_lt_i32_e32 vcc, 1, v97
	s_barrier
	s_and_saveexec_b64 s[14:15], vcc
	s_cbranch_execz .LBB86_29
; %bb.28:
	v_div_scale_f64 v[102:103], s[16:17], v[92:93], v[92:93], 1.0
	v_rcp_f64_e32 v[104:105], v[102:103]
	v_div_scale_f64 v[106:107], vcc, 1.0, v[92:93], 1.0
	ds_read2_b64 v[110:113], v96 offset0:6 offset1:7
	v_fma_f64 v[108:109], -v[102:103], v[104:105], 1.0
	v_fmac_f64_e32 v[104:105], v[104:105], v[108:109]
	v_fma_f64 v[108:109], -v[102:103], v[104:105], 1.0
	v_fmac_f64_e32 v[104:105], v[104:105], v[108:109]
	v_mul_f64 v[108:109], v[106:107], v[104:105]
	v_fma_f64 v[102:103], -v[102:103], v[108:109], v[106:107]
	v_div_fmas_f64 v[102:103], v[102:103], v[104:105], v[108:109]
	v_div_fixup_f64 v[106:107], v[102:103], v[92:93], 1.0
	ds_read2_b64 v[102:105], v96 offset0:2 offset1:3
	v_cndmask_b32_e64 v93, v93, v107, s[2:3]
	v_cndmask_b32_e64 v92, v92, v106, s[2:3]
	ds_read2_b64 v[106:109], v96 offset0:4 offset1:5
	v_mul_f64 v[88:89], v[92:93], v[88:89]
	s_waitcnt lgkmcnt(0)
	v_fma_f64 v[84:85], -v[88:89], v[102:103], v[84:85]
	v_fma_f64 v[82:83], -v[88:89], v[104:105], v[82:83]
	ds_read2_b64 v[102:105], v96 offset0:8 offset1:9
	v_fma_f64 v[80:81], -v[88:89], v[106:107], v[80:81]
	v_fma_f64 v[78:79], -v[88:89], v[108:109], v[78:79]
	;; [unrolled: 1-line block ×3, first 2 shown]
	ds_read2_b64 v[106:109], v96 offset0:10 offset1:11
	v_fma_f64 v[74:75], -v[88:89], v[112:113], v[74:75]
	ds_read2_b64 v[110:113], v96 offset0:12 offset1:13
	s_waitcnt lgkmcnt(0)
	v_fma_f64 v[72:73], -v[88:89], v[102:103], v[72:73]
	v_fma_f64 v[70:71], -v[88:89], v[104:105], v[70:71]
	;; [unrolled: 1-line block ×3, first 2 shown]
	ds_read2_b64 v[102:105], v96 offset0:14 offset1:15
	v_fma_f64 v[66:67], -v[88:89], v[108:109], v[66:67]
	ds_read2_b64 v[106:109], v96 offset0:16 offset1:17
	v_fma_f64 v[64:65], -v[88:89], v[110:111], v[64:65]
	v_fma_f64 v[62:63], -v[88:89], v[112:113], v[62:63]
	ds_read2_b64 v[110:113], v96 offset0:18 offset1:19
	s_waitcnt lgkmcnt(0)
	v_fma_f64 v[58:59], -v[88:89], v[102:103], v[58:59]
	v_fma_f64 v[60:61], -v[88:89], v[104:105], v[60:61]
	ds_read2_b64 v[102:105], v96 offset0:20 offset1:21
	v_fma_f64 v[56:57], -v[88:89], v[106:107], v[56:57]
	v_fma_f64 v[54:55], -v[88:89], v[108:109], v[54:55]
	;; [unrolled: 1-line block ×3, first 2 shown]
	ds_read2_b64 v[106:109], v96 offset0:22 offset1:23
	v_fma_f64 v[50:51], -v[88:89], v[112:113], v[50:51]
	ds_read2_b64 v[110:113], v96 offset0:24 offset1:25
	s_waitcnt lgkmcnt(0)
	v_fma_f64 v[48:49], -v[88:89], v[102:103], v[48:49]
	v_fma_f64 v[46:47], -v[88:89], v[104:105], v[46:47]
	;; [unrolled: 1-line block ×3, first 2 shown]
	ds_read2_b64 v[102:105], v96 offset0:26 offset1:27
	v_fma_f64 v[42:43], -v[88:89], v[108:109], v[42:43]
	ds_read2_b64 v[106:109], v96 offset0:28 offset1:29
	v_fma_f64 v[40:41], -v[88:89], v[110:111], v[40:41]
	v_fma_f64 v[38:39], -v[88:89], v[112:113], v[38:39]
	ds_read2_b64 v[110:113], v96 offset0:30 offset1:31
	s_waitcnt lgkmcnt(0)
	v_fma_f64 v[36:37], -v[88:89], v[102:103], v[36:37]
	v_fma_f64 v[34:35], -v[88:89], v[104:105], v[34:35]
	ds_read2_b64 v[102:105], v96 offset0:32 offset1:33
	v_fma_f64 v[32:33], -v[88:89], v[106:107], v[32:33]
	v_fma_f64 v[28:29], -v[88:89], v[108:109], v[28:29]
	;; [unrolled: 1-line block ×3, first 2 shown]
	ds_read2_b64 v[106:109], v96 offset0:34 offset1:35
	v_fma_f64 v[26:27], -v[88:89], v[112:113], v[26:27]
	ds_read2_b64 v[110:113], v96 offset0:36 offset1:37
	s_waitcnt lgkmcnt(0)
	v_fma_f64 v[24:25], -v[88:89], v[102:103], v[24:25]
	v_fma_f64 v[22:23], -v[88:89], v[104:105], v[22:23]
	;; [unrolled: 1-line block ×4, first 2 shown]
	ds_read2_b64 v[102:105], v96 offset0:38 offset1:39
	ds_read2_b64 v[106:109], v96 offset0:40 offset1:41
	v_fma_f64 v[16:17], -v[88:89], v[110:111], v[16:17]
	v_fma_f64 v[14:15], -v[88:89], v[112:113], v[14:15]
	ds_read2_b64 v[110:113], v96 offset0:42 offset1:43
	s_waitcnt lgkmcnt(0)
	v_fma_f64 v[12:13], -v[88:89], v[102:103], v[12:13]
	v_fma_f64 v[10:11], -v[88:89], v[104:105], v[10:11]
	;; [unrolled: 1-line block ×6, first 2 shown]
.LBB86_29:
	s_or_b64 exec, exec, s[14:15]
	v_lshl_add_u32 v92, v97, 3, v96
	s_barrier
	ds_write_b64 v92, v[84:85]
	s_waitcnt lgkmcnt(0)
	s_barrier
	ds_read_b64 v[92:93], v96 offset:16
	s_mov_b32 s9, 3
	s_cmp_lt_i32 s18, 4
	v_mov_b32_e32 v94, 2
	s_cbranch_scc1 .LBB86_32
; %bb.30:
	v_add3_u32 v100, v101, 0, 24
	v_mov_b32_e32 v94, 2
.LBB86_31:                              ; =>This Inner Loop Header: Depth=1
	ds_read_b64 v[102:103], v100
	v_mov_b32_e32 v104, s9
	s_add_i32 s9, s9, 1
	v_add_u32_e32 v100, 8, v100
	s_cmp_lg_u32 s18, s9
	s_waitcnt lgkmcnt(0)
	v_cmp_lt_f64_e64 vcc, |v[92:93]|, |v[102:103]|
	v_cndmask_b32_e32 v93, v93, v103, vcc
	v_cndmask_b32_e32 v92, v92, v102, vcc
	;; [unrolled: 1-line block ×3, first 2 shown]
	s_cbranch_scc1 .LBB86_31
.LBB86_32:
	v_cndmask_b32_e64 v100, 2, 1, s[0:1]
	v_cndmask_b32_e64 v102, 0, 1, s[0:1]
	;; [unrolled: 1-line block ×3, first 2 shown]
	s_waitcnt lgkmcnt(0)
	v_cmp_eq_f64_e32 vcc, 0, v[92:93]
	s_and_saveexec_b64 s[0:1], vcc
	s_xor_b64 s[0:1], exec, s[0:1]
; %bb.33:
	v_cmp_ne_u32_e32 vcc, 0, v100
	v_cndmask_b32_e32 v100, 3, v100, vcc
; %bb.34:
	s_andn2_saveexec_b64 s[0:1], s[0:1]
; %bb.35:
	v_div_scale_f64 v[102:103], s[2:3], v[92:93], v[92:93], 1.0
	v_rcp_f64_e32 v[104:105], v[102:103]
	v_div_scale_f64 v[106:107], vcc, 1.0, v[92:93], 1.0
	v_fma_f64 v[108:109], -v[102:103], v[104:105], 1.0
	v_fmac_f64_e32 v[104:105], v[104:105], v[108:109]
	v_fma_f64 v[108:109], -v[102:103], v[104:105], 1.0
	v_fmac_f64_e32 v[104:105], v[104:105], v[108:109]
	v_mul_f64 v[108:109], v[106:107], v[104:105]
	v_fma_f64 v[102:103], -v[102:103], v[108:109], v[106:107]
	v_div_fmas_f64 v[102:103], v[102:103], v[104:105], v[108:109]
	v_div_fixup_f64 v[92:93], v[102:103], v[92:93], 1.0
; %bb.36:
	s_or_b64 exec, exec, s[0:1]
	v_cmp_ne_u32_e32 vcc, v97, v94
	s_and_saveexec_b64 s[0:1], vcc
	s_xor_b64 s[0:1], exec, s[0:1]
	s_cbranch_execz .LBB86_42
; %bb.37:
	v_cmp_eq_u32_e32 vcc, 2, v97
	s_and_saveexec_b64 s[2:3], vcc
	s_cbranch_execz .LBB86_41
; %bb.38:
	v_cmp_ne_u32_e32 vcc, 2, v94
	s_xor_b64 s[14:15], s[6:7], -1
	s_and_b64 s[16:17], s[14:15], vcc
	s_and_saveexec_b64 s[14:15], s[16:17]
	s_cbranch_execz .LBB86_40
; %bb.39:
	v_ashrrev_i32_e32 v95, 31, v94
	v_lshlrev_b64 v[102:103], 2, v[94:95]
	v_add_co_u32_e32 v102, vcc, v4, v102
	v_addc_co_u32_e32 v103, vcc, v5, v103, vcc
	flat_load_dword v95, v[102:103]
	flat_load_dword v97, v[4:5] offset:8
	s_waitcnt vmcnt(0) lgkmcnt(0)
	flat_store_dword v[4:5], v95 offset:8
	flat_store_dword v[102:103], v97
.LBB86_40:
	s_or_b64 exec, exec, s[14:15]
	v_mov_b32_e32 v95, v94
	v_mov_b32_e32 v97, v94
.LBB86_41:
	s_or_b64 exec, exec, s[2:3]
.LBB86_42:
	s_andn2_saveexec_b64 s[0:1], s[0:1]
	s_cbranch_execz .LBB86_44
; %bb.43:
	v_mov_b32_e32 v97, 2
	ds_write2_b64 v96, v[82:83], v[80:81] offset0:3 offset1:4
	ds_write2_b64 v96, v[78:79], v[76:77] offset0:5 offset1:6
	;; [unrolled: 1-line block ×20, first 2 shown]
	ds_write_b64 v96, v[90:91] offset:344
.LBB86_44:
	s_or_b64 exec, exec, s[0:1]
	v_cmp_lt_i32_e32 vcc, 2, v97
	s_waitcnt lgkmcnt(0)
	s_barrier
	s_and_saveexec_b64 s[0:1], vcc
	s_cbranch_execz .LBB86_46
; %bb.45:
	ds_read2_b64 v[102:105], v96 offset0:3 offset1:4
	ds_read2_b64 v[106:109], v96 offset0:5 offset1:6
	v_mul_f64 v[84:85], v[92:93], v[84:85]
	ds_read2_b64 v[110:113], v96 offset0:7 offset1:8
	ds_read_b64 v[92:93], v96 offset:344
	s_waitcnt lgkmcnt(0)
	v_fma_f64 v[82:83], -v[84:85], v[102:103], v[82:83]
	v_fma_f64 v[80:81], -v[84:85], v[104:105], v[80:81]
	ds_read2_b64 v[102:105], v96 offset0:9 offset1:10
	v_fma_f64 v[78:79], -v[84:85], v[106:107], v[78:79]
	v_fma_f64 v[76:77], -v[84:85], v[108:109], v[76:77]
	ds_read2_b64 v[106:109], v96 offset0:11 offset1:12
	;; [unrolled: 3-line block ×3, first 2 shown]
	s_waitcnt lgkmcnt(0)
	v_fma_f64 v[70:71], -v[84:85], v[102:103], v[70:71]
	v_fma_f64 v[68:69], -v[84:85], v[104:105], v[68:69]
	;; [unrolled: 1-line block ×3, first 2 shown]
	ds_read2_b64 v[102:105], v96 offset0:15 offset1:16
	v_fma_f64 v[64:65], -v[84:85], v[108:109], v[64:65]
	ds_read2_b64 v[106:109], v96 offset0:17 offset1:18
	v_fma_f64 v[62:63], -v[84:85], v[110:111], v[62:63]
	v_fma_f64 v[58:59], -v[84:85], v[112:113], v[58:59]
	s_waitcnt lgkmcnt(0)
	v_fma_f64 v[60:61], -v[84:85], v[102:103], v[60:61]
	ds_read2_b64 v[110:113], v96 offset0:19 offset1:20
	v_fma_f64 v[56:57], -v[84:85], v[104:105], v[56:57]
	ds_read2_b64 v[102:105], v96 offset0:21 offset1:22
	v_fma_f64 v[54:55], -v[84:85], v[106:107], v[54:55]
	v_fma_f64 v[52:53], -v[84:85], v[108:109], v[52:53]
	ds_read2_b64 v[106:109], v96 offset0:23 offset1:24
	s_waitcnt lgkmcnt(0)
	v_fma_f64 v[50:51], -v[84:85], v[110:111], v[50:51]
	v_fma_f64 v[48:49], -v[84:85], v[112:113], v[48:49]
	ds_read2_b64 v[110:113], v96 offset0:25 offset1:26
	v_fma_f64 v[46:47], -v[84:85], v[102:103], v[46:47]
	v_fma_f64 v[44:45], -v[84:85], v[104:105], v[44:45]
	;; [unrolled: 1-line block ×3, first 2 shown]
	ds_read2_b64 v[102:105], v96 offset0:27 offset1:28
	v_fma_f64 v[40:41], -v[84:85], v[108:109], v[40:41]
	ds_read2_b64 v[106:109], v96 offset0:29 offset1:30
	s_waitcnt lgkmcnt(0)
	v_fma_f64 v[38:39], -v[84:85], v[110:111], v[38:39]
	v_fma_f64 v[36:37], -v[84:85], v[112:113], v[36:37]
	;; [unrolled: 1-line block ×3, first 2 shown]
	ds_read2_b64 v[110:113], v96 offset0:31 offset1:32
	v_fma_f64 v[32:33], -v[84:85], v[104:105], v[32:33]
	ds_read2_b64 v[102:105], v96 offset0:33 offset1:34
	v_fma_f64 v[28:29], -v[84:85], v[106:107], v[28:29]
	v_fma_f64 v[30:31], -v[84:85], v[108:109], v[30:31]
	ds_read2_b64 v[106:109], v96 offset0:35 offset1:36
	s_waitcnt lgkmcnt(0)
	v_fma_f64 v[26:27], -v[84:85], v[110:111], v[26:27]
	v_fma_f64 v[24:25], -v[84:85], v[112:113], v[24:25]
	ds_read2_b64 v[110:113], v96 offset0:37 offset1:38
	v_fma_f64 v[22:23], -v[84:85], v[102:103], v[22:23]
	v_fma_f64 v[20:21], -v[84:85], v[104:105], v[20:21]
	;; [unrolled: 1-line block ×4, first 2 shown]
	ds_read2_b64 v[102:105], v96 offset0:39 offset1:40
	ds_read2_b64 v[106:109], v96 offset0:41 offset1:42
	s_waitcnt lgkmcnt(0)
	v_fma_f64 v[14:15], -v[84:85], v[110:111], v[14:15]
	v_fma_f64 v[12:13], -v[84:85], v[112:113], v[12:13]
	v_fma_f64 v[90:91], -v[84:85], v[92:93], v[90:91]
	v_fma_f64 v[10:11], -v[84:85], v[102:103], v[10:11]
	v_fma_f64 v[8:9], -v[84:85], v[104:105], v[8:9]
	v_fma_f64 v[6:7], -v[84:85], v[106:107], v[6:7]
	v_fma_f64 v[0:1], -v[84:85], v[108:109], v[0:1]
.LBB86_46:
	s_or_b64 exec, exec, s[0:1]
	v_lshl_add_u32 v92, v97, 3, v96
	s_barrier
	ds_write_b64 v92, v[82:83]
	s_waitcnt lgkmcnt(0)
	s_barrier
	ds_read_b64 v[92:93], v96 offset:24
	s_cmp_lt_i32 s18, 5
	v_mov_b32_e32 v94, 3
	s_cbranch_scc1 .LBB86_49
; %bb.47:
	v_add3_u32 v102, v101, 0, 32
	s_mov_b32 s0, 4
	v_mov_b32_e32 v94, 3
.LBB86_48:                              ; =>This Inner Loop Header: Depth=1
	ds_read_b64 v[104:105], v102
	v_mov_b32_e32 v103, s0
	s_add_i32 s0, s0, 1
	v_add_u32_e32 v102, 8, v102
	s_cmp_lg_u32 s18, s0
	s_waitcnt lgkmcnt(0)
	v_cmp_lt_f64_e64 vcc, |v[92:93]|, |v[104:105]|
	v_cndmask_b32_e32 v93, v93, v105, vcc
	v_cndmask_b32_e32 v92, v92, v104, vcc
	;; [unrolled: 1-line block ×3, first 2 shown]
	s_cbranch_scc1 .LBB86_48
.LBB86_49:
	s_waitcnt lgkmcnt(0)
	v_cmp_eq_f64_e32 vcc, 0, v[92:93]
	s_and_saveexec_b64 s[0:1], vcc
	s_xor_b64 s[0:1], exec, s[0:1]
; %bb.50:
	v_cmp_ne_u32_e32 vcc, 0, v100
	v_cndmask_b32_e32 v100, 4, v100, vcc
; %bb.51:
	s_andn2_saveexec_b64 s[0:1], s[0:1]
; %bb.52:
	v_div_scale_f64 v[102:103], s[2:3], v[92:93], v[92:93], 1.0
	v_rcp_f64_e32 v[104:105], v[102:103]
	v_div_scale_f64 v[106:107], vcc, 1.0, v[92:93], 1.0
	v_fma_f64 v[108:109], -v[102:103], v[104:105], 1.0
	v_fmac_f64_e32 v[104:105], v[104:105], v[108:109]
	v_fma_f64 v[108:109], -v[102:103], v[104:105], 1.0
	v_fmac_f64_e32 v[104:105], v[104:105], v[108:109]
	v_mul_f64 v[108:109], v[106:107], v[104:105]
	v_fma_f64 v[102:103], -v[102:103], v[108:109], v[106:107]
	v_div_fmas_f64 v[102:103], v[102:103], v[104:105], v[108:109]
	v_div_fixup_f64 v[92:93], v[102:103], v[92:93], 1.0
; %bb.53:
	s_or_b64 exec, exec, s[0:1]
	v_cmp_ne_u32_e32 vcc, v97, v94
	s_and_saveexec_b64 s[0:1], vcc
	s_xor_b64 s[0:1], exec, s[0:1]
	s_cbranch_execz .LBB86_59
; %bb.54:
	v_cmp_eq_u32_e32 vcc, 3, v97
	s_and_saveexec_b64 s[2:3], vcc
	s_cbranch_execz .LBB86_58
; %bb.55:
	v_cmp_ne_u32_e32 vcc, 3, v94
	s_xor_b64 s[14:15], s[6:7], -1
	s_and_b64 s[16:17], s[14:15], vcc
	s_and_saveexec_b64 s[14:15], s[16:17]
	s_cbranch_execz .LBB86_57
; %bb.56:
	v_ashrrev_i32_e32 v95, 31, v94
	v_lshlrev_b64 v[102:103], 2, v[94:95]
	v_add_co_u32_e32 v102, vcc, v4, v102
	v_addc_co_u32_e32 v103, vcc, v5, v103, vcc
	flat_load_dword v95, v[102:103]
	flat_load_dword v97, v[4:5] offset:12
	s_waitcnt vmcnt(0) lgkmcnt(0)
	flat_store_dword v[4:5], v95 offset:12
	flat_store_dword v[102:103], v97
.LBB86_57:
	s_or_b64 exec, exec, s[14:15]
	v_mov_b32_e32 v95, v94
	v_mov_b32_e32 v97, v94
.LBB86_58:
	s_or_b64 exec, exec, s[2:3]
.LBB86_59:
	s_andn2_saveexec_b64 s[0:1], s[0:1]
	s_cbranch_execz .LBB86_61
; %bb.60:
	v_mov_b32_e32 v102, v80
	v_mov_b32_e32 v103, v81
	v_mov_b32_e32 v104, v78
	v_mov_b32_e32 v105, v79
	ds_write2_b64 v96, v[102:103], v[104:105] offset0:4 offset1:5
	v_mov_b32_e32 v102, v76
	v_mov_b32_e32 v103, v77
	v_mov_b32_e32 v104, v74
	v_mov_b32_e32 v105, v75
	ds_write2_b64 v96, v[102:103], v[104:105] offset0:6 offset1:7
	;; [unrolled: 5-line block ×19, first 2 shown]
	v_mov_b32_e32 v102, v0
	v_mov_b32_e32 v103, v1
	;; [unrolled: 1-line block ×3, first 2 shown]
	ds_write2_b64 v96, v[102:103], v[90:91] offset0:42 offset1:43
.LBB86_61:
	s_or_b64 exec, exec, s[0:1]
	v_cmp_lt_i32_e32 vcc, 3, v97
	s_waitcnt lgkmcnt(0)
	s_barrier
	s_and_saveexec_b64 s[0:1], vcc
	s_cbranch_execz .LBB86_63
; %bb.62:
	ds_read2_b64 v[102:105], v96 offset0:4 offset1:5
	ds_read2_b64 v[106:109], v96 offset0:6 offset1:7
	v_mul_f64 v[82:83], v[92:93], v[82:83]
	ds_read2_b64 v[110:113], v96 offset0:8 offset1:9
	s_waitcnt lgkmcnt(0)
	v_fma_f64 v[80:81], -v[82:83], v[102:103], v[80:81]
	v_fma_f64 v[78:79], -v[82:83], v[104:105], v[78:79]
	ds_read2_b64 v[102:105], v96 offset0:10 offset1:11
	v_fma_f64 v[76:77], -v[82:83], v[106:107], v[76:77]
	v_fma_f64 v[74:75], -v[82:83], v[108:109], v[74:75]
	ds_read2_b64 v[106:109], v96 offset0:12 offset1:13
	;; [unrolled: 3-line block ×3, first 2 shown]
	s_waitcnt lgkmcnt(0)
	v_fma_f64 v[68:69], -v[82:83], v[102:103], v[68:69]
	v_fma_f64 v[66:67], -v[82:83], v[104:105], v[66:67]
	;; [unrolled: 1-line block ×3, first 2 shown]
	ds_read2_b64 v[102:105], v96 offset0:16 offset1:17
	v_fma_f64 v[62:63], -v[82:83], v[108:109], v[62:63]
	ds_read2_b64 v[106:109], v96 offset0:18 offset1:19
	v_fma_f64 v[58:59], -v[82:83], v[110:111], v[58:59]
	v_fma_f64 v[60:61], -v[82:83], v[112:113], v[60:61]
	s_waitcnt lgkmcnt(0)
	v_fma_f64 v[56:57], -v[82:83], v[102:103], v[56:57]
	ds_read2_b64 v[110:113], v96 offset0:20 offset1:21
	v_fma_f64 v[54:55], -v[82:83], v[104:105], v[54:55]
	ds_read2_b64 v[102:105], v96 offset0:22 offset1:23
	v_fma_f64 v[52:53], -v[82:83], v[106:107], v[52:53]
	v_fma_f64 v[50:51], -v[82:83], v[108:109], v[50:51]
	ds_read2_b64 v[106:109], v96 offset0:24 offset1:25
	s_waitcnt lgkmcnt(0)
	v_fma_f64 v[48:49], -v[82:83], v[110:111], v[48:49]
	v_fma_f64 v[46:47], -v[82:83], v[112:113], v[46:47]
	ds_read2_b64 v[110:113], v96 offset0:26 offset1:27
	v_fma_f64 v[44:45], -v[82:83], v[102:103], v[44:45]
	v_fma_f64 v[42:43], -v[82:83], v[104:105], v[42:43]
	;; [unrolled: 1-line block ×3, first 2 shown]
	ds_read2_b64 v[102:105], v96 offset0:28 offset1:29
	v_fma_f64 v[38:39], -v[82:83], v[108:109], v[38:39]
	ds_read2_b64 v[106:109], v96 offset0:30 offset1:31
	s_waitcnt lgkmcnt(0)
	v_fma_f64 v[36:37], -v[82:83], v[110:111], v[36:37]
	v_fma_f64 v[34:35], -v[82:83], v[112:113], v[34:35]
	;; [unrolled: 1-line block ×3, first 2 shown]
	ds_read2_b64 v[110:113], v96 offset0:32 offset1:33
	v_fma_f64 v[28:29], -v[82:83], v[104:105], v[28:29]
	ds_read2_b64 v[102:105], v96 offset0:34 offset1:35
	v_fma_f64 v[30:31], -v[82:83], v[106:107], v[30:31]
	v_fma_f64 v[26:27], -v[82:83], v[108:109], v[26:27]
	ds_read2_b64 v[106:109], v96 offset0:36 offset1:37
	s_waitcnt lgkmcnt(0)
	v_fma_f64 v[24:25], -v[82:83], v[110:111], v[24:25]
	v_fma_f64 v[22:23], -v[82:83], v[112:113], v[22:23]
	;; [unrolled: 1-line block ×4, first 2 shown]
	ds_read2_b64 v[102:105], v96 offset0:38 offset1:39
	v_fma_f64 v[16:17], -v[82:83], v[106:107], v[16:17]
	ds_read2_b64 v[110:113], v96 offset0:40 offset1:41
	v_fma_f64 v[14:15], -v[82:83], v[108:109], v[14:15]
	ds_read2_b64 v[106:109], v96 offset0:42 offset1:43
	s_waitcnt lgkmcnt(0)
	v_fma_f64 v[12:13], -v[82:83], v[102:103], v[12:13]
	v_fma_f64 v[10:11], -v[82:83], v[104:105], v[10:11]
	;; [unrolled: 1-line block ×6, first 2 shown]
.LBB86_63:
	s_or_b64 exec, exec, s[0:1]
	v_lshl_add_u32 v92, v97, 3, v96
	s_barrier
	ds_write_b64 v92, v[80:81]
	s_waitcnt lgkmcnt(0)
	s_barrier
	ds_read_b64 v[92:93], v96 offset:32
	s_cmp_lt_i32 s18, 6
	v_mov_b32_e32 v94, 4
	s_cbranch_scc1 .LBB86_66
; %bb.64:
	v_add3_u32 v102, v101, 0, 40
	s_mov_b32 s0, 5
	v_mov_b32_e32 v94, 4
.LBB86_65:                              ; =>This Inner Loop Header: Depth=1
	ds_read_b64 v[104:105], v102
	v_mov_b32_e32 v103, s0
	s_add_i32 s0, s0, 1
	v_add_u32_e32 v102, 8, v102
	s_cmp_lg_u32 s18, s0
	s_waitcnt lgkmcnt(0)
	v_cmp_lt_f64_e64 vcc, |v[92:93]|, |v[104:105]|
	v_cndmask_b32_e32 v93, v93, v105, vcc
	v_cndmask_b32_e32 v92, v92, v104, vcc
	v_cndmask_b32_e32 v94, v94, v103, vcc
	s_cbranch_scc1 .LBB86_65
.LBB86_66:
	s_waitcnt lgkmcnt(0)
	v_cmp_eq_f64_e32 vcc, 0, v[92:93]
	s_and_saveexec_b64 s[0:1], vcc
	s_xor_b64 s[0:1], exec, s[0:1]
; %bb.67:
	v_cmp_ne_u32_e32 vcc, 0, v100
	v_cndmask_b32_e32 v100, 5, v100, vcc
; %bb.68:
	s_andn2_saveexec_b64 s[0:1], s[0:1]
; %bb.69:
	v_div_scale_f64 v[102:103], s[2:3], v[92:93], v[92:93], 1.0
	v_rcp_f64_e32 v[104:105], v[102:103]
	v_div_scale_f64 v[106:107], vcc, 1.0, v[92:93], 1.0
	v_fma_f64 v[108:109], -v[102:103], v[104:105], 1.0
	v_fmac_f64_e32 v[104:105], v[104:105], v[108:109]
	v_fma_f64 v[108:109], -v[102:103], v[104:105], 1.0
	v_fmac_f64_e32 v[104:105], v[104:105], v[108:109]
	v_mul_f64 v[108:109], v[106:107], v[104:105]
	v_fma_f64 v[102:103], -v[102:103], v[108:109], v[106:107]
	v_div_fmas_f64 v[102:103], v[102:103], v[104:105], v[108:109]
	v_div_fixup_f64 v[92:93], v[102:103], v[92:93], 1.0
; %bb.70:
	s_or_b64 exec, exec, s[0:1]
	v_cmp_ne_u32_e32 vcc, v97, v94
	s_and_saveexec_b64 s[0:1], vcc
	s_xor_b64 s[0:1], exec, s[0:1]
	s_cbranch_execz .LBB86_76
; %bb.71:
	v_cmp_eq_u32_e32 vcc, 4, v97
	s_and_saveexec_b64 s[2:3], vcc
	s_cbranch_execz .LBB86_75
; %bb.72:
	v_cmp_ne_u32_e32 vcc, 4, v94
	s_xor_b64 s[14:15], s[6:7], -1
	s_and_b64 s[16:17], s[14:15], vcc
	s_and_saveexec_b64 s[14:15], s[16:17]
	s_cbranch_execz .LBB86_74
; %bb.73:
	v_ashrrev_i32_e32 v95, 31, v94
	v_lshlrev_b64 v[102:103], 2, v[94:95]
	v_add_co_u32_e32 v102, vcc, v4, v102
	v_addc_co_u32_e32 v103, vcc, v5, v103, vcc
	flat_load_dword v95, v[102:103]
	flat_load_dword v97, v[4:5] offset:16
	s_waitcnt vmcnt(0) lgkmcnt(0)
	flat_store_dword v[4:5], v95 offset:16
	flat_store_dword v[102:103], v97
.LBB86_74:
	s_or_b64 exec, exec, s[14:15]
	v_mov_b32_e32 v95, v94
	v_mov_b32_e32 v97, v94
.LBB86_75:
	s_or_b64 exec, exec, s[2:3]
.LBB86_76:
	s_andn2_saveexec_b64 s[0:1], s[0:1]
	s_cbranch_execz .LBB86_78
; %bb.77:
	v_mov_b32_e32 v97, 4
	ds_write2_b64 v96, v[78:79], v[76:77] offset0:5 offset1:6
	ds_write2_b64 v96, v[74:75], v[72:73] offset0:7 offset1:8
	;; [unrolled: 1-line block ×19, first 2 shown]
	ds_write_b64 v96, v[90:91] offset:344
.LBB86_78:
	s_or_b64 exec, exec, s[0:1]
	v_cmp_lt_i32_e32 vcc, 4, v97
	s_waitcnt lgkmcnt(0)
	s_barrier
	s_and_saveexec_b64 s[0:1], vcc
	s_cbranch_execz .LBB86_80
; %bb.79:
	ds_read2_b64 v[102:105], v96 offset0:5 offset1:6
	ds_read2_b64 v[106:109], v96 offset0:7 offset1:8
	v_mul_f64 v[80:81], v[92:93], v[80:81]
	ds_read2_b64 v[110:113], v96 offset0:9 offset1:10
	ds_read_b64 v[92:93], v96 offset:344
	s_waitcnt lgkmcnt(0)
	v_fma_f64 v[78:79], -v[80:81], v[102:103], v[78:79]
	v_fma_f64 v[76:77], -v[80:81], v[104:105], v[76:77]
	ds_read2_b64 v[102:105], v96 offset0:11 offset1:12
	v_fma_f64 v[74:75], -v[80:81], v[106:107], v[74:75]
	v_fma_f64 v[72:73], -v[80:81], v[108:109], v[72:73]
	;; [unrolled: 1-line block ×3, first 2 shown]
	ds_read2_b64 v[106:109], v96 offset0:13 offset1:14
	v_fma_f64 v[68:69], -v[80:81], v[112:113], v[68:69]
	ds_read2_b64 v[110:113], v96 offset0:15 offset1:16
	s_waitcnt lgkmcnt(0)
	v_fma_f64 v[66:67], -v[80:81], v[102:103], v[66:67]
	v_fma_f64 v[64:65], -v[80:81], v[104:105], v[64:65]
	ds_read2_b64 v[102:105], v96 offset0:17 offset1:18
	v_fma_f64 v[62:63], -v[80:81], v[106:107], v[62:63]
	v_fma_f64 v[58:59], -v[80:81], v[108:109], v[58:59]
	ds_read2_b64 v[106:109], v96 offset0:19 offset1:20
	v_fma_f64 v[60:61], -v[80:81], v[110:111], v[60:61]
	v_fma_f64 v[56:57], -v[80:81], v[112:113], v[56:57]
	s_waitcnt lgkmcnt(0)
	v_fma_f64 v[54:55], -v[80:81], v[102:103], v[54:55]
	ds_read2_b64 v[110:113], v96 offset0:21 offset1:22
	v_fma_f64 v[52:53], -v[80:81], v[104:105], v[52:53]
	ds_read2_b64 v[102:105], v96 offset0:23 offset1:24
	v_fma_f64 v[50:51], -v[80:81], v[106:107], v[50:51]
	v_fma_f64 v[48:49], -v[80:81], v[108:109], v[48:49]
	s_waitcnt lgkmcnt(0)
	v_fma_f64 v[46:47], -v[80:81], v[110:111], v[46:47]
	ds_read2_b64 v[106:109], v96 offset0:25 offset1:26
	v_fma_f64 v[44:45], -v[80:81], v[112:113], v[44:45]
	ds_read2_b64 v[110:113], v96 offset0:27 offset1:28
	v_fma_f64 v[42:43], -v[80:81], v[102:103], v[42:43]
	v_fma_f64 v[40:41], -v[80:81], v[104:105], v[40:41]
	ds_read2_b64 v[102:105], v96 offset0:29 offset1:30
	s_waitcnt lgkmcnt(0)
	v_fma_f64 v[38:39], -v[80:81], v[106:107], v[38:39]
	v_fma_f64 v[36:37], -v[80:81], v[108:109], v[36:37]
	ds_read2_b64 v[106:109], v96 offset0:31 offset1:32
	v_fma_f64 v[34:35], -v[80:81], v[110:111], v[34:35]
	v_fma_f64 v[32:33], -v[80:81], v[112:113], v[32:33]
	;; [unrolled: 1-line block ×3, first 2 shown]
	ds_read2_b64 v[110:113], v96 offset0:33 offset1:34
	v_fma_f64 v[30:31], -v[80:81], v[104:105], v[30:31]
	ds_read2_b64 v[102:105], v96 offset0:35 offset1:36
	s_waitcnt lgkmcnt(0)
	v_fma_f64 v[26:27], -v[80:81], v[106:107], v[26:27]
	v_fma_f64 v[24:25], -v[80:81], v[108:109], v[24:25]
	;; [unrolled: 1-line block ×3, first 2 shown]
	ds_read2_b64 v[106:109], v96 offset0:37 offset1:38
	v_fma_f64 v[20:21], -v[80:81], v[112:113], v[20:21]
	v_fma_f64 v[18:19], -v[80:81], v[102:103], v[18:19]
	;; [unrolled: 1-line block ×3, first 2 shown]
	ds_read2_b64 v[102:105], v96 offset0:39 offset1:40
	ds_read2_b64 v[110:113], v96 offset0:41 offset1:42
	s_waitcnt lgkmcnt(0)
	v_fma_f64 v[14:15], -v[80:81], v[106:107], v[14:15]
	v_fma_f64 v[12:13], -v[80:81], v[108:109], v[12:13]
	;; [unrolled: 1-line block ×7, first 2 shown]
.LBB86_80:
	s_or_b64 exec, exec, s[0:1]
	v_lshl_add_u32 v92, v97, 3, v96
	s_barrier
	ds_write_b64 v92, v[78:79]
	s_waitcnt lgkmcnt(0)
	s_barrier
	ds_read_b64 v[92:93], v96 offset:40
	s_cmp_lt_i32 s18, 7
	v_mov_b32_e32 v94, 5
	s_cbranch_scc1 .LBB86_83
; %bb.81:
	v_add3_u32 v102, v101, 0, 48
	s_mov_b32 s0, 6
	v_mov_b32_e32 v94, 5
.LBB86_82:                              ; =>This Inner Loop Header: Depth=1
	ds_read_b64 v[104:105], v102
	v_mov_b32_e32 v103, s0
	s_add_i32 s0, s0, 1
	v_add_u32_e32 v102, 8, v102
	s_cmp_lg_u32 s18, s0
	s_waitcnt lgkmcnt(0)
	v_cmp_lt_f64_e64 vcc, |v[92:93]|, |v[104:105]|
	v_cndmask_b32_e32 v93, v93, v105, vcc
	v_cndmask_b32_e32 v92, v92, v104, vcc
	;; [unrolled: 1-line block ×3, first 2 shown]
	s_cbranch_scc1 .LBB86_82
.LBB86_83:
	s_waitcnt lgkmcnt(0)
	v_cmp_eq_f64_e32 vcc, 0, v[92:93]
	s_and_saveexec_b64 s[0:1], vcc
	s_xor_b64 s[0:1], exec, s[0:1]
; %bb.84:
	v_cmp_ne_u32_e32 vcc, 0, v100
	v_cndmask_b32_e32 v100, 6, v100, vcc
; %bb.85:
	s_andn2_saveexec_b64 s[0:1], s[0:1]
; %bb.86:
	v_div_scale_f64 v[102:103], s[2:3], v[92:93], v[92:93], 1.0
	v_rcp_f64_e32 v[104:105], v[102:103]
	v_div_scale_f64 v[106:107], vcc, 1.0, v[92:93], 1.0
	v_fma_f64 v[108:109], -v[102:103], v[104:105], 1.0
	v_fmac_f64_e32 v[104:105], v[104:105], v[108:109]
	v_fma_f64 v[108:109], -v[102:103], v[104:105], 1.0
	v_fmac_f64_e32 v[104:105], v[104:105], v[108:109]
	v_mul_f64 v[108:109], v[106:107], v[104:105]
	v_fma_f64 v[102:103], -v[102:103], v[108:109], v[106:107]
	v_div_fmas_f64 v[102:103], v[102:103], v[104:105], v[108:109]
	v_div_fixup_f64 v[92:93], v[102:103], v[92:93], 1.0
; %bb.87:
	s_or_b64 exec, exec, s[0:1]
	v_cmp_ne_u32_e32 vcc, v97, v94
	s_and_saveexec_b64 s[0:1], vcc
	s_xor_b64 s[0:1], exec, s[0:1]
	s_cbranch_execz .LBB86_93
; %bb.88:
	v_cmp_eq_u32_e32 vcc, 5, v97
	s_and_saveexec_b64 s[2:3], vcc
	s_cbranch_execz .LBB86_92
; %bb.89:
	v_cmp_ne_u32_e32 vcc, 5, v94
	s_xor_b64 s[14:15], s[6:7], -1
	s_and_b64 s[16:17], s[14:15], vcc
	s_and_saveexec_b64 s[14:15], s[16:17]
	s_cbranch_execz .LBB86_91
; %bb.90:
	v_ashrrev_i32_e32 v95, 31, v94
	v_lshlrev_b64 v[102:103], 2, v[94:95]
	v_add_co_u32_e32 v102, vcc, v4, v102
	v_addc_co_u32_e32 v103, vcc, v5, v103, vcc
	flat_load_dword v95, v[102:103]
	flat_load_dword v97, v[4:5] offset:20
	s_waitcnt vmcnt(0) lgkmcnt(0)
	flat_store_dword v[4:5], v95 offset:20
	flat_store_dword v[102:103], v97
.LBB86_91:
	s_or_b64 exec, exec, s[14:15]
	v_mov_b32_e32 v95, v94
	v_mov_b32_e32 v97, v94
.LBB86_92:
	s_or_b64 exec, exec, s[2:3]
.LBB86_93:
	s_andn2_saveexec_b64 s[0:1], s[0:1]
	s_cbranch_execz .LBB86_95
; %bb.94:
	v_mov_b32_e32 v102, v76
	v_mov_b32_e32 v103, v77
	v_mov_b32_e32 v104, v74
	v_mov_b32_e32 v105, v75
	ds_write2_b64 v96, v[102:103], v[104:105] offset0:6 offset1:7
	v_mov_b32_e32 v102, v72
	v_mov_b32_e32 v103, v73
	v_mov_b32_e32 v104, v70
	v_mov_b32_e32 v105, v71
	ds_write2_b64 v96, v[102:103], v[104:105] offset0:8 offset1:9
	;; [unrolled: 5-line block ×18, first 2 shown]
	v_mov_b32_e32 v102, v0
	v_mov_b32_e32 v103, v1
	;; [unrolled: 1-line block ×3, first 2 shown]
	ds_write2_b64 v96, v[102:103], v[90:91] offset0:42 offset1:43
.LBB86_95:
	s_or_b64 exec, exec, s[0:1]
	v_cmp_lt_i32_e32 vcc, 5, v97
	s_waitcnt lgkmcnt(0)
	s_barrier
	s_and_saveexec_b64 s[0:1], vcc
	s_cbranch_execz .LBB86_97
; %bb.96:
	ds_read2_b64 v[102:105], v96 offset0:6 offset1:7
	ds_read2_b64 v[106:109], v96 offset0:8 offset1:9
	v_mul_f64 v[78:79], v[92:93], v[78:79]
	ds_read2_b64 v[110:113], v96 offset0:10 offset1:11
	s_waitcnt lgkmcnt(0)
	v_fma_f64 v[76:77], -v[78:79], v[102:103], v[76:77]
	v_fma_f64 v[74:75], -v[78:79], v[104:105], v[74:75]
	ds_read2_b64 v[102:105], v96 offset0:12 offset1:13
	v_fma_f64 v[72:73], -v[78:79], v[106:107], v[72:73]
	v_fma_f64 v[70:71], -v[78:79], v[108:109], v[70:71]
	;; [unrolled: 1-line block ×3, first 2 shown]
	ds_read2_b64 v[106:109], v96 offset0:14 offset1:15
	v_fma_f64 v[66:67], -v[78:79], v[112:113], v[66:67]
	ds_read2_b64 v[110:113], v96 offset0:16 offset1:17
	s_waitcnt lgkmcnt(0)
	v_fma_f64 v[64:65], -v[78:79], v[102:103], v[64:65]
	v_fma_f64 v[62:63], -v[78:79], v[104:105], v[62:63]
	ds_read2_b64 v[102:105], v96 offset0:18 offset1:19
	v_fma_f64 v[58:59], -v[78:79], v[106:107], v[58:59]
	v_fma_f64 v[60:61], -v[78:79], v[108:109], v[60:61]
	ds_read2_b64 v[106:109], v96 offset0:20 offset1:21
	v_fma_f64 v[56:57], -v[78:79], v[110:111], v[56:57]
	v_fma_f64 v[54:55], -v[78:79], v[112:113], v[54:55]
	s_waitcnt lgkmcnt(0)
	v_fma_f64 v[52:53], -v[78:79], v[102:103], v[52:53]
	ds_read2_b64 v[110:113], v96 offset0:22 offset1:23
	v_fma_f64 v[50:51], -v[78:79], v[104:105], v[50:51]
	ds_read2_b64 v[102:105], v96 offset0:24 offset1:25
	v_fma_f64 v[48:49], -v[78:79], v[106:107], v[48:49]
	v_fma_f64 v[46:47], -v[78:79], v[108:109], v[46:47]
	s_waitcnt lgkmcnt(0)
	v_fma_f64 v[44:45], -v[78:79], v[110:111], v[44:45]
	ds_read2_b64 v[106:109], v96 offset0:26 offset1:27
	v_fma_f64 v[42:43], -v[78:79], v[112:113], v[42:43]
	ds_read2_b64 v[110:113], v96 offset0:28 offset1:29
	v_fma_f64 v[40:41], -v[78:79], v[102:103], v[40:41]
	v_fma_f64 v[38:39], -v[78:79], v[104:105], v[38:39]
	ds_read2_b64 v[102:105], v96 offset0:30 offset1:31
	s_waitcnt lgkmcnt(0)
	v_fma_f64 v[36:37], -v[78:79], v[106:107], v[36:37]
	v_fma_f64 v[34:35], -v[78:79], v[108:109], v[34:35]
	ds_read2_b64 v[106:109], v96 offset0:32 offset1:33
	v_fma_f64 v[32:33], -v[78:79], v[110:111], v[32:33]
	v_fma_f64 v[28:29], -v[78:79], v[112:113], v[28:29]
	v_fma_f64 v[30:31], -v[78:79], v[102:103], v[30:31]
	ds_read2_b64 v[110:113], v96 offset0:34 offset1:35
	v_fma_f64 v[26:27], -v[78:79], v[104:105], v[26:27]
	ds_read2_b64 v[102:105], v96 offset0:36 offset1:37
	s_waitcnt lgkmcnt(0)
	v_fma_f64 v[24:25], -v[78:79], v[106:107], v[24:25]
	v_fma_f64 v[22:23], -v[78:79], v[108:109], v[22:23]
	;; [unrolled: 1-line block ×4, first 2 shown]
	ds_read2_b64 v[106:109], v96 offset0:38 offset1:39
	ds_read2_b64 v[110:113], v96 offset0:40 offset1:41
	v_fma_f64 v[16:17], -v[78:79], v[102:103], v[16:17]
	v_fma_f64 v[14:15], -v[78:79], v[104:105], v[14:15]
	ds_read2_b64 v[102:105], v96 offset0:42 offset1:43
	s_waitcnt lgkmcnt(0)
	v_fma_f64 v[12:13], -v[78:79], v[106:107], v[12:13]
	v_fma_f64 v[10:11], -v[78:79], v[108:109], v[10:11]
	;; [unrolled: 1-line block ×6, first 2 shown]
.LBB86_97:
	s_or_b64 exec, exec, s[0:1]
	v_lshl_add_u32 v92, v97, 3, v96
	s_barrier
	ds_write_b64 v92, v[76:77]
	s_waitcnt lgkmcnt(0)
	s_barrier
	ds_read_b64 v[92:93], v96 offset:48
	s_cmp_lt_i32 s18, 8
	v_mov_b32_e32 v94, 6
	s_cbranch_scc1 .LBB86_100
; %bb.98:
	v_add3_u32 v102, v101, 0, 56
	s_mov_b32 s0, 7
	v_mov_b32_e32 v94, 6
.LBB86_99:                              ; =>This Inner Loop Header: Depth=1
	ds_read_b64 v[104:105], v102
	v_mov_b32_e32 v103, s0
	s_add_i32 s0, s0, 1
	v_add_u32_e32 v102, 8, v102
	s_cmp_lg_u32 s18, s0
	s_waitcnt lgkmcnt(0)
	v_cmp_lt_f64_e64 vcc, |v[92:93]|, |v[104:105]|
	v_cndmask_b32_e32 v93, v93, v105, vcc
	v_cndmask_b32_e32 v92, v92, v104, vcc
	;; [unrolled: 1-line block ×3, first 2 shown]
	s_cbranch_scc1 .LBB86_99
.LBB86_100:
	s_waitcnt lgkmcnt(0)
	v_cmp_eq_f64_e32 vcc, 0, v[92:93]
	s_and_saveexec_b64 s[0:1], vcc
	s_xor_b64 s[0:1], exec, s[0:1]
; %bb.101:
	v_cmp_ne_u32_e32 vcc, 0, v100
	v_cndmask_b32_e32 v100, 7, v100, vcc
; %bb.102:
	s_andn2_saveexec_b64 s[0:1], s[0:1]
; %bb.103:
	v_div_scale_f64 v[102:103], s[2:3], v[92:93], v[92:93], 1.0
	v_rcp_f64_e32 v[104:105], v[102:103]
	v_div_scale_f64 v[106:107], vcc, 1.0, v[92:93], 1.0
	v_fma_f64 v[108:109], -v[102:103], v[104:105], 1.0
	v_fmac_f64_e32 v[104:105], v[104:105], v[108:109]
	v_fma_f64 v[108:109], -v[102:103], v[104:105], 1.0
	v_fmac_f64_e32 v[104:105], v[104:105], v[108:109]
	v_mul_f64 v[108:109], v[106:107], v[104:105]
	v_fma_f64 v[102:103], -v[102:103], v[108:109], v[106:107]
	v_div_fmas_f64 v[102:103], v[102:103], v[104:105], v[108:109]
	v_div_fixup_f64 v[92:93], v[102:103], v[92:93], 1.0
; %bb.104:
	s_or_b64 exec, exec, s[0:1]
	v_cmp_ne_u32_e32 vcc, v97, v94
	s_and_saveexec_b64 s[0:1], vcc
	s_xor_b64 s[0:1], exec, s[0:1]
	s_cbranch_execz .LBB86_110
; %bb.105:
	v_cmp_eq_u32_e32 vcc, 6, v97
	s_and_saveexec_b64 s[2:3], vcc
	s_cbranch_execz .LBB86_109
; %bb.106:
	v_cmp_ne_u32_e32 vcc, 6, v94
	s_xor_b64 s[14:15], s[6:7], -1
	s_and_b64 s[16:17], s[14:15], vcc
	s_and_saveexec_b64 s[14:15], s[16:17]
	s_cbranch_execz .LBB86_108
; %bb.107:
	v_ashrrev_i32_e32 v95, 31, v94
	v_lshlrev_b64 v[102:103], 2, v[94:95]
	v_add_co_u32_e32 v102, vcc, v4, v102
	v_addc_co_u32_e32 v103, vcc, v5, v103, vcc
	flat_load_dword v95, v[102:103]
	flat_load_dword v97, v[4:5] offset:24
	s_waitcnt vmcnt(0) lgkmcnt(0)
	flat_store_dword v[4:5], v95 offset:24
	flat_store_dword v[102:103], v97
.LBB86_108:
	s_or_b64 exec, exec, s[14:15]
	v_mov_b32_e32 v95, v94
	v_mov_b32_e32 v97, v94
.LBB86_109:
	s_or_b64 exec, exec, s[2:3]
.LBB86_110:
	s_andn2_saveexec_b64 s[0:1], s[0:1]
	s_cbranch_execz .LBB86_112
; %bb.111:
	v_mov_b32_e32 v97, 6
	ds_write2_b64 v96, v[74:75], v[72:73] offset0:7 offset1:8
	ds_write2_b64 v96, v[70:71], v[68:69] offset0:9 offset1:10
	;; [unrolled: 1-line block ×18, first 2 shown]
	ds_write_b64 v96, v[90:91] offset:344
.LBB86_112:
	s_or_b64 exec, exec, s[0:1]
	v_cmp_lt_i32_e32 vcc, 6, v97
	s_waitcnt lgkmcnt(0)
	s_barrier
	s_and_saveexec_b64 s[0:1], vcc
	s_cbranch_execz .LBB86_114
; %bb.113:
	ds_read2_b64 v[102:105], v96 offset0:7 offset1:8
	ds_read2_b64 v[106:109], v96 offset0:9 offset1:10
	;; [unrolled: 1-line block ×3, first 2 shown]
	v_mul_f64 v[76:77], v[92:93], v[76:77]
	ds_read_b64 v[92:93], v96 offset:344
	s_waitcnt lgkmcnt(0)
	v_fma_f64 v[74:75], -v[76:77], v[102:103], v[74:75]
	v_fma_f64 v[72:73], -v[76:77], v[104:105], v[72:73]
	ds_read2_b64 v[102:105], v96 offset0:13 offset1:14
	v_fma_f64 v[70:71], -v[76:77], v[106:107], v[70:71]
	v_fma_f64 v[68:69], -v[76:77], v[108:109], v[68:69]
	;; [unrolled: 1-line block ×3, first 2 shown]
	ds_read2_b64 v[106:109], v96 offset0:15 offset1:16
	v_fma_f64 v[64:65], -v[76:77], v[112:113], v[64:65]
	ds_read2_b64 v[110:113], v96 offset0:17 offset1:18
	s_waitcnt lgkmcnt(0)
	v_fma_f64 v[62:63], -v[76:77], v[102:103], v[62:63]
	v_fma_f64 v[58:59], -v[76:77], v[104:105], v[58:59]
	;; [unrolled: 1-line block ×3, first 2 shown]
	ds_read2_b64 v[102:105], v96 offset0:19 offset1:20
	v_fma_f64 v[56:57], -v[76:77], v[108:109], v[56:57]
	ds_read2_b64 v[106:109], v96 offset0:21 offset1:22
	v_fma_f64 v[54:55], -v[76:77], v[110:111], v[54:55]
	v_fma_f64 v[52:53], -v[76:77], v[112:113], v[52:53]
	ds_read2_b64 v[110:113], v96 offset0:23 offset1:24
	s_waitcnt lgkmcnt(0)
	v_fma_f64 v[50:51], -v[76:77], v[102:103], v[50:51]
	v_fma_f64 v[48:49], -v[76:77], v[104:105], v[48:49]
	ds_read2_b64 v[102:105], v96 offset0:25 offset1:26
	v_fma_f64 v[46:47], -v[76:77], v[106:107], v[46:47]
	v_fma_f64 v[44:45], -v[76:77], v[108:109], v[44:45]
	;; [unrolled: 1-line block ×3, first 2 shown]
	ds_read2_b64 v[106:109], v96 offset0:27 offset1:28
	v_fma_f64 v[40:41], -v[76:77], v[112:113], v[40:41]
	ds_read2_b64 v[110:113], v96 offset0:29 offset1:30
	s_waitcnt lgkmcnt(0)
	v_fma_f64 v[38:39], -v[76:77], v[102:103], v[38:39]
	v_fma_f64 v[36:37], -v[76:77], v[104:105], v[36:37]
	;; [unrolled: 1-line block ×3, first 2 shown]
	ds_read2_b64 v[102:105], v96 offset0:31 offset1:32
	v_fma_f64 v[32:33], -v[76:77], v[108:109], v[32:33]
	ds_read2_b64 v[106:109], v96 offset0:33 offset1:34
	v_fma_f64 v[28:29], -v[76:77], v[110:111], v[28:29]
	v_fma_f64 v[30:31], -v[76:77], v[112:113], v[30:31]
	ds_read2_b64 v[110:113], v96 offset0:35 offset1:36
	s_waitcnt lgkmcnt(0)
	v_fma_f64 v[26:27], -v[76:77], v[102:103], v[26:27]
	v_fma_f64 v[24:25], -v[76:77], v[104:105], v[24:25]
	ds_read2_b64 v[102:105], v96 offset0:37 offset1:38
	v_fma_f64 v[22:23], -v[76:77], v[106:107], v[22:23]
	v_fma_f64 v[20:21], -v[76:77], v[108:109], v[20:21]
	;; [unrolled: 1-line block ×4, first 2 shown]
	ds_read2_b64 v[106:109], v96 offset0:39 offset1:40
	ds_read2_b64 v[110:113], v96 offset0:41 offset1:42
	s_waitcnt lgkmcnt(0)
	v_fma_f64 v[14:15], -v[76:77], v[102:103], v[14:15]
	v_fma_f64 v[12:13], -v[76:77], v[104:105], v[12:13]
	;; [unrolled: 1-line block ×7, first 2 shown]
.LBB86_114:
	s_or_b64 exec, exec, s[0:1]
	v_lshl_add_u32 v92, v97, 3, v96
	s_barrier
	ds_write_b64 v92, v[74:75]
	s_waitcnt lgkmcnt(0)
	s_barrier
	ds_read_b64 v[92:93], v96 offset:56
	s_cmp_lt_i32 s18, 9
	v_mov_b32_e32 v94, 7
	s_cbranch_scc1 .LBB86_117
; %bb.115:
	v_add3_u32 v101, v101, 0, 64
	s_mov_b32 s0, 8
	v_mov_b32_e32 v94, 7
.LBB86_116:                             ; =>This Inner Loop Header: Depth=1
	ds_read_b64 v[102:103], v101
	v_mov_b32_e32 v104, s0
	s_add_i32 s0, s0, 1
	v_add_u32_e32 v101, 8, v101
	s_cmp_lg_u32 s18, s0
	s_waitcnt lgkmcnt(0)
	v_cmp_lt_f64_e64 vcc, |v[92:93]|, |v[102:103]|
	v_cndmask_b32_e32 v93, v93, v103, vcc
	v_cndmask_b32_e32 v92, v92, v102, vcc
	;; [unrolled: 1-line block ×3, first 2 shown]
	s_cbranch_scc1 .LBB86_116
.LBB86_117:
	s_waitcnt lgkmcnt(0)
	v_cmp_eq_f64_e32 vcc, 0, v[92:93]
	s_and_saveexec_b64 s[0:1], vcc
	s_xor_b64 s[0:1], exec, s[0:1]
; %bb.118:
	v_cmp_ne_u32_e32 vcc, 0, v100
	v_cndmask_b32_e32 v100, 8, v100, vcc
; %bb.119:
	s_andn2_saveexec_b64 s[0:1], s[0:1]
; %bb.120:
	v_div_scale_f64 v[102:103], s[2:3], v[92:93], v[92:93], 1.0
	v_rcp_f64_e32 v[104:105], v[102:103]
	v_div_scale_f64 v[106:107], vcc, 1.0, v[92:93], 1.0
	v_fma_f64 v[108:109], -v[102:103], v[104:105], 1.0
	v_fmac_f64_e32 v[104:105], v[104:105], v[108:109]
	v_fma_f64 v[108:109], -v[102:103], v[104:105], 1.0
	v_fmac_f64_e32 v[104:105], v[104:105], v[108:109]
	v_mul_f64 v[108:109], v[106:107], v[104:105]
	v_fma_f64 v[102:103], -v[102:103], v[108:109], v[106:107]
	v_div_fmas_f64 v[102:103], v[102:103], v[104:105], v[108:109]
	v_div_fixup_f64 v[92:93], v[102:103], v[92:93], 1.0
; %bb.121:
	s_or_b64 exec, exec, s[0:1]
	v_cmp_ne_u32_e32 vcc, v97, v94
	s_and_saveexec_b64 s[0:1], vcc
	s_xor_b64 s[0:1], exec, s[0:1]
	s_cbranch_execz .LBB86_127
; %bb.122:
	v_cmp_eq_u32_e32 vcc, 7, v97
	s_and_saveexec_b64 s[2:3], vcc
	s_cbranch_execz .LBB86_126
; %bb.123:
	v_cmp_ne_u32_e32 vcc, 7, v94
	s_xor_b64 s[14:15], s[6:7], -1
	s_and_b64 s[16:17], s[14:15], vcc
	s_and_saveexec_b64 s[14:15], s[16:17]
	s_cbranch_execz .LBB86_125
; %bb.124:
	v_ashrrev_i32_e32 v95, 31, v94
	v_lshlrev_b64 v[102:103], 2, v[94:95]
	v_add_co_u32_e32 v102, vcc, v4, v102
	v_addc_co_u32_e32 v103, vcc, v5, v103, vcc
	flat_load_dword v95, v[102:103]
	flat_load_dword v97, v[4:5] offset:28
	s_waitcnt vmcnt(0) lgkmcnt(0)
	flat_store_dword v[4:5], v95 offset:28
	flat_store_dword v[102:103], v97
.LBB86_125:
	s_or_b64 exec, exec, s[14:15]
	v_mov_b32_e32 v95, v94
	v_mov_b32_e32 v97, v94
.LBB86_126:
	s_or_b64 exec, exec, s[2:3]
.LBB86_127:
	s_andn2_saveexec_b64 s[0:1], s[0:1]
	s_cbranch_execz .LBB86_129
; %bb.128:
	v_mov_b32_e32 v102, v72
	v_mov_b32_e32 v103, v73
	v_mov_b32_e32 v104, v70
	v_mov_b32_e32 v105, v71
	ds_write2_b64 v96, v[102:103], v[104:105] offset0:8 offset1:9
	v_mov_b32_e32 v102, v68
	v_mov_b32_e32 v103, v69
	v_mov_b32_e32 v104, v66
	v_mov_b32_e32 v105, v67
	ds_write2_b64 v96, v[102:103], v[104:105] offset0:10 offset1:11
	;; [unrolled: 5-line block ×17, first 2 shown]
	v_mov_b32_e32 v102, v0
	v_mov_b32_e32 v103, v1
	;; [unrolled: 1-line block ×3, first 2 shown]
	ds_write2_b64 v96, v[102:103], v[90:91] offset0:42 offset1:43
.LBB86_129:
	s_or_b64 exec, exec, s[0:1]
	v_cmp_lt_i32_e32 vcc, 7, v97
	s_waitcnt lgkmcnt(0)
	s_barrier
	s_and_saveexec_b64 s[0:1], vcc
	s_cbranch_execz .LBB86_131
; %bb.130:
	ds_read2_b64 v[102:105], v96 offset0:8 offset1:9
	ds_read2_b64 v[106:109], v96 offset0:10 offset1:11
	;; [unrolled: 1-line block ×3, first 2 shown]
	v_mul_f64 v[74:75], v[92:93], v[74:75]
	s_waitcnt lgkmcnt(0)
	v_fma_f64 v[72:73], -v[74:75], v[102:103], v[72:73]
	v_fma_f64 v[70:71], -v[74:75], v[104:105], v[70:71]
	ds_read2_b64 v[102:105], v96 offset0:14 offset1:15
	v_fma_f64 v[68:69], -v[74:75], v[106:107], v[68:69]
	v_fma_f64 v[66:67], -v[74:75], v[108:109], v[66:67]
	;; [unrolled: 1-line block ×3, first 2 shown]
	ds_read2_b64 v[106:109], v96 offset0:16 offset1:17
	v_fma_f64 v[62:63], -v[74:75], v[112:113], v[62:63]
	ds_read2_b64 v[110:113], v96 offset0:18 offset1:19
	s_waitcnt lgkmcnt(0)
	v_fma_f64 v[58:59], -v[74:75], v[102:103], v[58:59]
	v_fma_f64 v[60:61], -v[74:75], v[104:105], v[60:61]
	;; [unrolled: 1-line block ×3, first 2 shown]
	ds_read2_b64 v[102:105], v96 offset0:20 offset1:21
	v_fma_f64 v[54:55], -v[74:75], v[108:109], v[54:55]
	ds_read2_b64 v[106:109], v96 offset0:22 offset1:23
	v_fma_f64 v[52:53], -v[74:75], v[110:111], v[52:53]
	v_fma_f64 v[50:51], -v[74:75], v[112:113], v[50:51]
	ds_read2_b64 v[110:113], v96 offset0:24 offset1:25
	s_waitcnt lgkmcnt(0)
	v_fma_f64 v[48:49], -v[74:75], v[102:103], v[48:49]
	v_fma_f64 v[46:47], -v[74:75], v[104:105], v[46:47]
	ds_read2_b64 v[102:105], v96 offset0:26 offset1:27
	v_fma_f64 v[44:45], -v[74:75], v[106:107], v[44:45]
	v_fma_f64 v[42:43], -v[74:75], v[108:109], v[42:43]
	;; [unrolled: 1-line block ×3, first 2 shown]
	ds_read2_b64 v[106:109], v96 offset0:28 offset1:29
	v_fma_f64 v[38:39], -v[74:75], v[112:113], v[38:39]
	ds_read2_b64 v[110:113], v96 offset0:30 offset1:31
	s_waitcnt lgkmcnt(0)
	v_fma_f64 v[36:37], -v[74:75], v[102:103], v[36:37]
	v_fma_f64 v[34:35], -v[74:75], v[104:105], v[34:35]
	v_fma_f64 v[32:33], -v[74:75], v[106:107], v[32:33]
	ds_read2_b64 v[102:105], v96 offset0:32 offset1:33
	v_fma_f64 v[28:29], -v[74:75], v[108:109], v[28:29]
	ds_read2_b64 v[106:109], v96 offset0:34 offset1:35
	v_fma_f64 v[30:31], -v[74:75], v[110:111], v[30:31]
	v_fma_f64 v[26:27], -v[74:75], v[112:113], v[26:27]
	ds_read2_b64 v[110:113], v96 offset0:36 offset1:37
	s_waitcnt lgkmcnt(0)
	v_fma_f64 v[24:25], -v[74:75], v[102:103], v[24:25]
	v_fma_f64 v[22:23], -v[74:75], v[104:105], v[22:23]
	ds_read2_b64 v[102:105], v96 offset0:38 offset1:39
	v_fma_f64 v[20:21], -v[74:75], v[106:107], v[20:21]
	v_fma_f64 v[18:19], -v[74:75], v[108:109], v[18:19]
	;; [unrolled: 1-line block ×3, first 2 shown]
	ds_read2_b64 v[106:109], v96 offset0:40 offset1:41
	v_fma_f64 v[14:15], -v[74:75], v[112:113], v[14:15]
	ds_read2_b64 v[110:113], v96 offset0:42 offset1:43
	s_waitcnt lgkmcnt(0)
	v_fma_f64 v[12:13], -v[74:75], v[102:103], v[12:13]
	v_fma_f64 v[10:11], -v[74:75], v[104:105], v[10:11]
	;; [unrolled: 1-line block ×6, first 2 shown]
.LBB86_131:
	s_or_b64 exec, exec, s[0:1]
	v_lshl_add_u32 v92, v97, 3, v96
	s_barrier
	ds_write_b64 v92, v[72:73]
	s_waitcnt lgkmcnt(0)
	s_barrier
	ds_read_b64 v[92:93], v96 offset:64
	s_cmp_lt_i32 s18, 10
	v_mov_b32_e32 v94, 8
	s_cbranch_scc1 .LBB86_134
; %bb.132:
	v_add_u32_e32 v101, 0x48, v96
	s_mov_b32 s0, 9
	v_mov_b32_e32 v94, 8
.LBB86_133:                             ; =>This Inner Loop Header: Depth=1
	ds_read_b64 v[102:103], v101
	v_mov_b32_e32 v104, s0
	s_add_i32 s0, s0, 1
	v_add_u32_e32 v101, 8, v101
	s_cmp_lg_u32 s18, s0
	s_waitcnt lgkmcnt(0)
	v_cmp_lt_f64_e64 vcc, |v[92:93]|, |v[102:103]|
	v_cndmask_b32_e32 v93, v93, v103, vcc
	v_cndmask_b32_e32 v92, v92, v102, vcc
	;; [unrolled: 1-line block ×3, first 2 shown]
	s_cbranch_scc1 .LBB86_133
.LBB86_134:
	s_waitcnt lgkmcnt(0)
	v_cmp_eq_f64_e32 vcc, 0, v[92:93]
	s_and_saveexec_b64 s[0:1], vcc
	s_xor_b64 s[0:1], exec, s[0:1]
; %bb.135:
	v_cmp_ne_u32_e32 vcc, 0, v100
	v_cndmask_b32_e32 v100, 9, v100, vcc
; %bb.136:
	s_andn2_saveexec_b64 s[0:1], s[0:1]
; %bb.137:
	v_div_scale_f64 v[102:103], s[2:3], v[92:93], v[92:93], 1.0
	v_rcp_f64_e32 v[104:105], v[102:103]
	v_div_scale_f64 v[106:107], vcc, 1.0, v[92:93], 1.0
	v_fma_f64 v[108:109], -v[102:103], v[104:105], 1.0
	v_fmac_f64_e32 v[104:105], v[104:105], v[108:109]
	v_fma_f64 v[108:109], -v[102:103], v[104:105], 1.0
	v_fmac_f64_e32 v[104:105], v[104:105], v[108:109]
	v_mul_f64 v[108:109], v[106:107], v[104:105]
	v_fma_f64 v[102:103], -v[102:103], v[108:109], v[106:107]
	v_div_fmas_f64 v[102:103], v[102:103], v[104:105], v[108:109]
	v_div_fixup_f64 v[92:93], v[102:103], v[92:93], 1.0
; %bb.138:
	s_or_b64 exec, exec, s[0:1]
	v_cmp_ne_u32_e32 vcc, v97, v94
	s_and_saveexec_b64 s[0:1], vcc
	s_xor_b64 s[0:1], exec, s[0:1]
	s_cbranch_execz .LBB86_144
; %bb.139:
	v_cmp_eq_u32_e32 vcc, 8, v97
	s_and_saveexec_b64 s[2:3], vcc
	s_cbranch_execz .LBB86_143
; %bb.140:
	v_cmp_ne_u32_e32 vcc, 8, v94
	s_xor_b64 s[14:15], s[6:7], -1
	s_and_b64 s[16:17], s[14:15], vcc
	s_and_saveexec_b64 s[14:15], s[16:17]
	s_cbranch_execz .LBB86_142
; %bb.141:
	v_ashrrev_i32_e32 v95, 31, v94
	v_lshlrev_b64 v[102:103], 2, v[94:95]
	v_add_co_u32_e32 v102, vcc, v4, v102
	v_addc_co_u32_e32 v103, vcc, v5, v103, vcc
	flat_load_dword v95, v[102:103]
	flat_load_dword v97, v[4:5] offset:32
	s_waitcnt vmcnt(0) lgkmcnt(0)
	flat_store_dword v[4:5], v95 offset:32
	flat_store_dword v[102:103], v97
.LBB86_142:
	s_or_b64 exec, exec, s[14:15]
	v_mov_b32_e32 v95, v94
	v_mov_b32_e32 v97, v94
.LBB86_143:
	s_or_b64 exec, exec, s[2:3]
.LBB86_144:
	s_andn2_saveexec_b64 s[0:1], s[0:1]
	s_cbranch_execz .LBB86_146
; %bb.145:
	v_mov_b32_e32 v97, 8
	ds_write2_b64 v96, v[70:71], v[68:69] offset0:9 offset1:10
	ds_write2_b64 v96, v[66:67], v[64:65] offset0:11 offset1:12
	;; [unrolled: 1-line block ×17, first 2 shown]
	ds_write_b64 v96, v[90:91] offset:344
.LBB86_146:
	s_or_b64 exec, exec, s[0:1]
	v_cmp_lt_i32_e32 vcc, 8, v97
	s_waitcnt lgkmcnt(0)
	s_barrier
	s_and_saveexec_b64 s[0:1], vcc
	s_cbranch_execz .LBB86_148
; %bb.147:
	ds_read2_b64 v[102:105], v96 offset0:9 offset1:10
	ds_read2_b64 v[106:109], v96 offset0:11 offset1:12
	v_mul_f64 v[72:73], v[92:93], v[72:73]
	ds_read2_b64 v[110:113], v96 offset0:13 offset1:14
	ds_read_b64 v[92:93], v96 offset:344
	s_waitcnt lgkmcnt(0)
	v_fma_f64 v[70:71], -v[72:73], v[102:103], v[70:71]
	v_fma_f64 v[68:69], -v[72:73], v[104:105], v[68:69]
	ds_read2_b64 v[102:105], v96 offset0:15 offset1:16
	v_fma_f64 v[66:67], -v[72:73], v[106:107], v[66:67]
	v_fma_f64 v[64:65], -v[72:73], v[108:109], v[64:65]
	ds_read2_b64 v[106:109], v96 offset0:17 offset1:18
	;; [unrolled: 3-line block ×3, first 2 shown]
	s_waitcnt lgkmcnt(0)
	v_fma_f64 v[60:61], -v[72:73], v[102:103], v[60:61]
	v_fma_f64 v[56:57], -v[72:73], v[104:105], v[56:57]
	v_fma_f64 v[54:55], -v[72:73], v[106:107], v[54:55]
	ds_read2_b64 v[102:105], v96 offset0:21 offset1:22
	v_fma_f64 v[52:53], -v[72:73], v[108:109], v[52:53]
	ds_read2_b64 v[106:109], v96 offset0:23 offset1:24
	v_fma_f64 v[50:51], -v[72:73], v[110:111], v[50:51]
	v_fma_f64 v[48:49], -v[72:73], v[112:113], v[48:49]
	s_waitcnt lgkmcnt(0)
	v_fma_f64 v[46:47], -v[72:73], v[102:103], v[46:47]
	ds_read2_b64 v[110:113], v96 offset0:25 offset1:26
	v_fma_f64 v[44:45], -v[72:73], v[104:105], v[44:45]
	ds_read2_b64 v[102:105], v96 offset0:27 offset1:28
	v_fma_f64 v[42:43], -v[72:73], v[106:107], v[42:43]
	v_fma_f64 v[40:41], -v[72:73], v[108:109], v[40:41]
	ds_read2_b64 v[106:109], v96 offset0:29 offset1:30
	s_waitcnt lgkmcnt(0)
	v_fma_f64 v[38:39], -v[72:73], v[110:111], v[38:39]
	v_fma_f64 v[36:37], -v[72:73], v[112:113], v[36:37]
	ds_read2_b64 v[110:113], v96 offset0:31 offset1:32
	v_fma_f64 v[34:35], -v[72:73], v[102:103], v[34:35]
	v_fma_f64 v[32:33], -v[72:73], v[104:105], v[32:33]
	;; [unrolled: 1-line block ×3, first 2 shown]
	ds_read2_b64 v[102:105], v96 offset0:33 offset1:34
	v_fma_f64 v[30:31], -v[72:73], v[108:109], v[30:31]
	ds_read2_b64 v[106:109], v96 offset0:35 offset1:36
	s_waitcnt lgkmcnt(0)
	v_fma_f64 v[26:27], -v[72:73], v[110:111], v[26:27]
	v_fma_f64 v[24:25], -v[72:73], v[112:113], v[24:25]
	;; [unrolled: 1-line block ×3, first 2 shown]
	ds_read2_b64 v[110:113], v96 offset0:37 offset1:38
	v_fma_f64 v[20:21], -v[72:73], v[104:105], v[20:21]
	ds_read2_b64 v[102:105], v96 offset0:39 offset1:40
	v_fma_f64 v[18:19], -v[72:73], v[106:107], v[18:19]
	v_fma_f64 v[16:17], -v[72:73], v[108:109], v[16:17]
	ds_read2_b64 v[106:109], v96 offset0:41 offset1:42
	s_waitcnt lgkmcnt(0)
	v_fma_f64 v[14:15], -v[72:73], v[110:111], v[14:15]
	v_fma_f64 v[12:13], -v[72:73], v[112:113], v[12:13]
	;; [unrolled: 1-line block ×7, first 2 shown]
.LBB86_148:
	s_or_b64 exec, exec, s[0:1]
	v_lshl_add_u32 v92, v97, 3, v96
	s_barrier
	ds_write_b64 v92, v[70:71]
	s_waitcnt lgkmcnt(0)
	s_barrier
	ds_read_b64 v[92:93], v96 offset:72
	s_cmp_lt_i32 s18, 11
	v_mov_b32_e32 v94, 9
	s_cbranch_scc1 .LBB86_151
; %bb.149:
	v_add_u32_e32 v101, 0x50, v96
	s_mov_b32 s0, 10
	v_mov_b32_e32 v94, 9
.LBB86_150:                             ; =>This Inner Loop Header: Depth=1
	ds_read_b64 v[102:103], v101
	v_mov_b32_e32 v104, s0
	s_add_i32 s0, s0, 1
	v_add_u32_e32 v101, 8, v101
	s_cmp_lg_u32 s18, s0
	s_waitcnt lgkmcnt(0)
	v_cmp_lt_f64_e64 vcc, |v[92:93]|, |v[102:103]|
	v_cndmask_b32_e32 v93, v93, v103, vcc
	v_cndmask_b32_e32 v92, v92, v102, vcc
	;; [unrolled: 1-line block ×3, first 2 shown]
	s_cbranch_scc1 .LBB86_150
.LBB86_151:
	s_waitcnt lgkmcnt(0)
	v_cmp_eq_f64_e32 vcc, 0, v[92:93]
	s_and_saveexec_b64 s[0:1], vcc
	s_xor_b64 s[0:1], exec, s[0:1]
; %bb.152:
	v_cmp_ne_u32_e32 vcc, 0, v100
	v_cndmask_b32_e32 v100, 10, v100, vcc
; %bb.153:
	s_andn2_saveexec_b64 s[0:1], s[0:1]
; %bb.154:
	v_div_scale_f64 v[102:103], s[2:3], v[92:93], v[92:93], 1.0
	v_rcp_f64_e32 v[104:105], v[102:103]
	v_div_scale_f64 v[106:107], vcc, 1.0, v[92:93], 1.0
	v_fma_f64 v[108:109], -v[102:103], v[104:105], 1.0
	v_fmac_f64_e32 v[104:105], v[104:105], v[108:109]
	v_fma_f64 v[108:109], -v[102:103], v[104:105], 1.0
	v_fmac_f64_e32 v[104:105], v[104:105], v[108:109]
	v_mul_f64 v[108:109], v[106:107], v[104:105]
	v_fma_f64 v[102:103], -v[102:103], v[108:109], v[106:107]
	v_div_fmas_f64 v[102:103], v[102:103], v[104:105], v[108:109]
	v_div_fixup_f64 v[92:93], v[102:103], v[92:93], 1.0
; %bb.155:
	s_or_b64 exec, exec, s[0:1]
	v_cmp_ne_u32_e32 vcc, v97, v94
	s_and_saveexec_b64 s[0:1], vcc
	s_xor_b64 s[0:1], exec, s[0:1]
	s_cbranch_execz .LBB86_161
; %bb.156:
	v_cmp_eq_u32_e32 vcc, 9, v97
	s_and_saveexec_b64 s[2:3], vcc
	s_cbranch_execz .LBB86_160
; %bb.157:
	v_cmp_ne_u32_e32 vcc, 9, v94
	s_xor_b64 s[14:15], s[6:7], -1
	s_and_b64 s[16:17], s[14:15], vcc
	s_and_saveexec_b64 s[14:15], s[16:17]
	s_cbranch_execz .LBB86_159
; %bb.158:
	v_ashrrev_i32_e32 v95, 31, v94
	v_lshlrev_b64 v[102:103], 2, v[94:95]
	v_add_co_u32_e32 v102, vcc, v4, v102
	v_addc_co_u32_e32 v103, vcc, v5, v103, vcc
	flat_load_dword v95, v[102:103]
	flat_load_dword v97, v[4:5] offset:36
	s_waitcnt vmcnt(0) lgkmcnt(0)
	flat_store_dword v[4:5], v95 offset:36
	flat_store_dword v[102:103], v97
.LBB86_159:
	s_or_b64 exec, exec, s[14:15]
	v_mov_b32_e32 v95, v94
	v_mov_b32_e32 v97, v94
.LBB86_160:
	s_or_b64 exec, exec, s[2:3]
.LBB86_161:
	s_andn2_saveexec_b64 s[0:1], s[0:1]
	s_cbranch_execz .LBB86_163
; %bb.162:
	v_mov_b32_e32 v102, v68
	v_mov_b32_e32 v103, v69
	v_mov_b32_e32 v104, v66
	v_mov_b32_e32 v105, v67
	ds_write2_b64 v96, v[102:103], v[104:105] offset0:10 offset1:11
	v_mov_b32_e32 v102, v64
	v_mov_b32_e32 v103, v65
	v_mov_b32_e32 v104, v62
	v_mov_b32_e32 v105, v63
	ds_write2_b64 v96, v[102:103], v[104:105] offset0:12 offset1:13
	;; [unrolled: 5-line block ×16, first 2 shown]
	v_mov_b32_e32 v102, v0
	v_mov_b32_e32 v103, v1
	;; [unrolled: 1-line block ×3, first 2 shown]
	ds_write2_b64 v96, v[102:103], v[90:91] offset0:42 offset1:43
.LBB86_163:
	s_or_b64 exec, exec, s[0:1]
	v_cmp_lt_i32_e32 vcc, 9, v97
	s_waitcnt lgkmcnt(0)
	s_barrier
	s_and_saveexec_b64 s[0:1], vcc
	s_cbranch_execz .LBB86_165
; %bb.164:
	ds_read2_b64 v[102:105], v96 offset0:10 offset1:11
	ds_read2_b64 v[106:109], v96 offset0:12 offset1:13
	v_mul_f64 v[70:71], v[92:93], v[70:71]
	ds_read2_b64 v[110:113], v96 offset0:14 offset1:15
	s_waitcnt lgkmcnt(0)
	v_fma_f64 v[68:69], -v[70:71], v[102:103], v[68:69]
	v_fma_f64 v[66:67], -v[70:71], v[104:105], v[66:67]
	ds_read2_b64 v[102:105], v96 offset0:16 offset1:17
	v_fma_f64 v[64:65], -v[70:71], v[106:107], v[64:65]
	v_fma_f64 v[62:63], -v[70:71], v[108:109], v[62:63]
	ds_read2_b64 v[106:109], v96 offset0:18 offset1:19
	;; [unrolled: 3-line block ×3, first 2 shown]
	s_waitcnt lgkmcnt(0)
	v_fma_f64 v[56:57], -v[70:71], v[102:103], v[56:57]
	v_fma_f64 v[54:55], -v[70:71], v[104:105], v[54:55]
	v_fma_f64 v[52:53], -v[70:71], v[106:107], v[52:53]
	ds_read2_b64 v[102:105], v96 offset0:22 offset1:23
	v_fma_f64 v[50:51], -v[70:71], v[108:109], v[50:51]
	ds_read2_b64 v[106:109], v96 offset0:24 offset1:25
	v_fma_f64 v[48:49], -v[70:71], v[110:111], v[48:49]
	v_fma_f64 v[46:47], -v[70:71], v[112:113], v[46:47]
	s_waitcnt lgkmcnt(0)
	v_fma_f64 v[44:45], -v[70:71], v[102:103], v[44:45]
	ds_read2_b64 v[110:113], v96 offset0:26 offset1:27
	v_fma_f64 v[42:43], -v[70:71], v[104:105], v[42:43]
	ds_read2_b64 v[102:105], v96 offset0:28 offset1:29
	v_fma_f64 v[40:41], -v[70:71], v[106:107], v[40:41]
	v_fma_f64 v[38:39], -v[70:71], v[108:109], v[38:39]
	ds_read2_b64 v[106:109], v96 offset0:30 offset1:31
	s_waitcnt lgkmcnt(0)
	v_fma_f64 v[36:37], -v[70:71], v[110:111], v[36:37]
	v_fma_f64 v[34:35], -v[70:71], v[112:113], v[34:35]
	ds_read2_b64 v[110:113], v96 offset0:32 offset1:33
	v_fma_f64 v[32:33], -v[70:71], v[102:103], v[32:33]
	v_fma_f64 v[28:29], -v[70:71], v[104:105], v[28:29]
	;; [unrolled: 1-line block ×3, first 2 shown]
	ds_read2_b64 v[102:105], v96 offset0:34 offset1:35
	v_fma_f64 v[26:27], -v[70:71], v[108:109], v[26:27]
	ds_read2_b64 v[106:109], v96 offset0:36 offset1:37
	s_waitcnt lgkmcnt(0)
	v_fma_f64 v[24:25], -v[70:71], v[110:111], v[24:25]
	v_fma_f64 v[22:23], -v[70:71], v[112:113], v[22:23]
	;; [unrolled: 1-line block ×4, first 2 shown]
	ds_read2_b64 v[102:105], v96 offset0:38 offset1:39
	ds_read2_b64 v[110:113], v96 offset0:40 offset1:41
	v_fma_f64 v[16:17], -v[70:71], v[106:107], v[16:17]
	v_fma_f64 v[14:15], -v[70:71], v[108:109], v[14:15]
	ds_read2_b64 v[106:109], v96 offset0:42 offset1:43
	s_waitcnt lgkmcnt(0)
	v_fma_f64 v[12:13], -v[70:71], v[102:103], v[12:13]
	v_fma_f64 v[10:11], -v[70:71], v[104:105], v[10:11]
	;; [unrolled: 1-line block ×6, first 2 shown]
.LBB86_165:
	s_or_b64 exec, exec, s[0:1]
	v_lshl_add_u32 v92, v97, 3, v96
	s_barrier
	ds_write_b64 v92, v[68:69]
	s_waitcnt lgkmcnt(0)
	s_barrier
	ds_read_b64 v[92:93], v96 offset:80
	s_cmp_lt_i32 s18, 12
	v_mov_b32_e32 v94, 10
	s_cbranch_scc1 .LBB86_168
; %bb.166:
	v_add_u32_e32 v101, 0x58, v96
	s_mov_b32 s0, 11
	v_mov_b32_e32 v94, 10
.LBB86_167:                             ; =>This Inner Loop Header: Depth=1
	ds_read_b64 v[102:103], v101
	v_mov_b32_e32 v104, s0
	s_add_i32 s0, s0, 1
	v_add_u32_e32 v101, 8, v101
	s_cmp_lg_u32 s18, s0
	s_waitcnt lgkmcnt(0)
	v_cmp_lt_f64_e64 vcc, |v[92:93]|, |v[102:103]|
	v_cndmask_b32_e32 v93, v93, v103, vcc
	v_cndmask_b32_e32 v92, v92, v102, vcc
	;; [unrolled: 1-line block ×3, first 2 shown]
	s_cbranch_scc1 .LBB86_167
.LBB86_168:
	s_waitcnt lgkmcnt(0)
	v_cmp_eq_f64_e32 vcc, 0, v[92:93]
	s_and_saveexec_b64 s[0:1], vcc
	s_xor_b64 s[0:1], exec, s[0:1]
; %bb.169:
	v_cmp_ne_u32_e32 vcc, 0, v100
	v_cndmask_b32_e32 v100, 11, v100, vcc
; %bb.170:
	s_andn2_saveexec_b64 s[0:1], s[0:1]
; %bb.171:
	v_div_scale_f64 v[102:103], s[2:3], v[92:93], v[92:93], 1.0
	v_rcp_f64_e32 v[104:105], v[102:103]
	v_div_scale_f64 v[106:107], vcc, 1.0, v[92:93], 1.0
	v_fma_f64 v[108:109], -v[102:103], v[104:105], 1.0
	v_fmac_f64_e32 v[104:105], v[104:105], v[108:109]
	v_fma_f64 v[108:109], -v[102:103], v[104:105], 1.0
	v_fmac_f64_e32 v[104:105], v[104:105], v[108:109]
	v_mul_f64 v[108:109], v[106:107], v[104:105]
	v_fma_f64 v[102:103], -v[102:103], v[108:109], v[106:107]
	v_div_fmas_f64 v[102:103], v[102:103], v[104:105], v[108:109]
	v_div_fixup_f64 v[92:93], v[102:103], v[92:93], 1.0
; %bb.172:
	s_or_b64 exec, exec, s[0:1]
	v_cmp_ne_u32_e32 vcc, v97, v94
	s_and_saveexec_b64 s[0:1], vcc
	s_xor_b64 s[0:1], exec, s[0:1]
	s_cbranch_execz .LBB86_178
; %bb.173:
	v_cmp_eq_u32_e32 vcc, 10, v97
	s_and_saveexec_b64 s[2:3], vcc
	s_cbranch_execz .LBB86_177
; %bb.174:
	v_cmp_ne_u32_e32 vcc, 10, v94
	s_xor_b64 s[14:15], s[6:7], -1
	s_and_b64 s[16:17], s[14:15], vcc
	s_and_saveexec_b64 s[14:15], s[16:17]
	s_cbranch_execz .LBB86_176
; %bb.175:
	v_ashrrev_i32_e32 v95, 31, v94
	v_lshlrev_b64 v[102:103], 2, v[94:95]
	v_add_co_u32_e32 v102, vcc, v4, v102
	v_addc_co_u32_e32 v103, vcc, v5, v103, vcc
	flat_load_dword v95, v[102:103]
	flat_load_dword v97, v[4:5] offset:40
	s_waitcnt vmcnt(0) lgkmcnt(0)
	flat_store_dword v[4:5], v95 offset:40
	flat_store_dword v[102:103], v97
.LBB86_176:
	s_or_b64 exec, exec, s[14:15]
	v_mov_b32_e32 v95, v94
	v_mov_b32_e32 v97, v94
.LBB86_177:
	s_or_b64 exec, exec, s[2:3]
.LBB86_178:
	s_andn2_saveexec_b64 s[0:1], s[0:1]
	s_cbranch_execz .LBB86_180
; %bb.179:
	v_mov_b32_e32 v97, 10
	ds_write2_b64 v96, v[66:67], v[64:65] offset0:11 offset1:12
	ds_write2_b64 v96, v[62:63], v[58:59] offset0:13 offset1:14
	;; [unrolled: 1-line block ×16, first 2 shown]
	ds_write_b64 v96, v[90:91] offset:344
.LBB86_180:
	s_or_b64 exec, exec, s[0:1]
	v_cmp_lt_i32_e32 vcc, 10, v97
	s_waitcnt lgkmcnt(0)
	s_barrier
	s_and_saveexec_b64 s[0:1], vcc
	s_cbranch_execz .LBB86_182
; %bb.181:
	ds_read2_b64 v[102:105], v96 offset0:11 offset1:12
	ds_read2_b64 v[106:109], v96 offset0:13 offset1:14
	v_mul_f64 v[68:69], v[92:93], v[68:69]
	ds_read2_b64 v[110:113], v96 offset0:15 offset1:16
	ds_read_b64 v[92:93], v96 offset:344
	s_waitcnt lgkmcnt(0)
	v_fma_f64 v[66:67], -v[68:69], v[102:103], v[66:67]
	v_fma_f64 v[64:65], -v[68:69], v[104:105], v[64:65]
	ds_read2_b64 v[102:105], v96 offset0:17 offset1:18
	v_fma_f64 v[62:63], -v[68:69], v[106:107], v[62:63]
	v_fma_f64 v[58:59], -v[68:69], v[108:109], v[58:59]
	;; [unrolled: 1-line block ×3, first 2 shown]
	ds_read2_b64 v[106:109], v96 offset0:19 offset1:20
	v_fma_f64 v[56:57], -v[68:69], v[112:113], v[56:57]
	ds_read2_b64 v[110:113], v96 offset0:21 offset1:22
	s_waitcnt lgkmcnt(0)
	v_fma_f64 v[54:55], -v[68:69], v[102:103], v[54:55]
	v_fma_f64 v[52:53], -v[68:69], v[104:105], v[52:53]
	ds_read2_b64 v[102:105], v96 offset0:23 offset1:24
	v_fma_f64 v[50:51], -v[68:69], v[106:107], v[50:51]
	v_fma_f64 v[48:49], -v[68:69], v[108:109], v[48:49]
	ds_read2_b64 v[106:109], v96 offset0:25 offset1:26
	v_fma_f64 v[46:47], -v[68:69], v[110:111], v[46:47]
	v_fma_f64 v[44:45], -v[68:69], v[112:113], v[44:45]
	s_waitcnt lgkmcnt(0)
	v_fma_f64 v[42:43], -v[68:69], v[102:103], v[42:43]
	ds_read2_b64 v[110:113], v96 offset0:27 offset1:28
	v_fma_f64 v[40:41], -v[68:69], v[104:105], v[40:41]
	ds_read2_b64 v[102:105], v96 offset0:29 offset1:30
	v_fma_f64 v[38:39], -v[68:69], v[106:107], v[38:39]
	v_fma_f64 v[36:37], -v[68:69], v[108:109], v[36:37]
	s_waitcnt lgkmcnt(0)
	v_fma_f64 v[34:35], -v[68:69], v[110:111], v[34:35]
	ds_read2_b64 v[106:109], v96 offset0:31 offset1:32
	v_fma_f64 v[32:33], -v[68:69], v[112:113], v[32:33]
	ds_read2_b64 v[110:113], v96 offset0:33 offset1:34
	v_fma_f64 v[28:29], -v[68:69], v[102:103], v[28:29]
	v_fma_f64 v[30:31], -v[68:69], v[104:105], v[30:31]
	ds_read2_b64 v[102:105], v96 offset0:35 offset1:36
	s_waitcnt lgkmcnt(0)
	v_fma_f64 v[26:27], -v[68:69], v[106:107], v[26:27]
	v_fma_f64 v[24:25], -v[68:69], v[108:109], v[24:25]
	ds_read2_b64 v[106:109], v96 offset0:37 offset1:38
	v_fma_f64 v[22:23], -v[68:69], v[110:111], v[22:23]
	v_fma_f64 v[20:21], -v[68:69], v[112:113], v[20:21]
	;; [unrolled: 1-line block ×4, first 2 shown]
	ds_read2_b64 v[102:105], v96 offset0:39 offset1:40
	ds_read2_b64 v[110:113], v96 offset0:41 offset1:42
	s_waitcnt lgkmcnt(0)
	v_fma_f64 v[14:15], -v[68:69], v[106:107], v[14:15]
	v_fma_f64 v[12:13], -v[68:69], v[108:109], v[12:13]
	;; [unrolled: 1-line block ×7, first 2 shown]
.LBB86_182:
	s_or_b64 exec, exec, s[0:1]
	v_lshl_add_u32 v92, v97, 3, v96
	s_barrier
	ds_write_b64 v92, v[66:67]
	s_waitcnt lgkmcnt(0)
	s_barrier
	ds_read_b64 v[92:93], v96 offset:88
	s_cmp_lt_i32 s18, 13
	v_mov_b32_e32 v94, 11
	s_cbranch_scc1 .LBB86_185
; %bb.183:
	v_add_u32_e32 v101, 0x60, v96
	s_mov_b32 s0, 12
	v_mov_b32_e32 v94, 11
.LBB86_184:                             ; =>This Inner Loop Header: Depth=1
	ds_read_b64 v[102:103], v101
	v_mov_b32_e32 v104, s0
	s_add_i32 s0, s0, 1
	v_add_u32_e32 v101, 8, v101
	s_cmp_lg_u32 s18, s0
	s_waitcnt lgkmcnt(0)
	v_cmp_lt_f64_e64 vcc, |v[92:93]|, |v[102:103]|
	v_cndmask_b32_e32 v93, v93, v103, vcc
	v_cndmask_b32_e32 v92, v92, v102, vcc
	;; [unrolled: 1-line block ×3, first 2 shown]
	s_cbranch_scc1 .LBB86_184
.LBB86_185:
	s_waitcnt lgkmcnt(0)
	v_cmp_eq_f64_e32 vcc, 0, v[92:93]
	s_and_saveexec_b64 s[0:1], vcc
	s_xor_b64 s[0:1], exec, s[0:1]
; %bb.186:
	v_cmp_ne_u32_e32 vcc, 0, v100
	v_cndmask_b32_e32 v100, 12, v100, vcc
; %bb.187:
	s_andn2_saveexec_b64 s[0:1], s[0:1]
; %bb.188:
	v_div_scale_f64 v[102:103], s[2:3], v[92:93], v[92:93], 1.0
	v_rcp_f64_e32 v[104:105], v[102:103]
	v_div_scale_f64 v[106:107], vcc, 1.0, v[92:93], 1.0
	v_fma_f64 v[108:109], -v[102:103], v[104:105], 1.0
	v_fmac_f64_e32 v[104:105], v[104:105], v[108:109]
	v_fma_f64 v[108:109], -v[102:103], v[104:105], 1.0
	v_fmac_f64_e32 v[104:105], v[104:105], v[108:109]
	v_mul_f64 v[108:109], v[106:107], v[104:105]
	v_fma_f64 v[102:103], -v[102:103], v[108:109], v[106:107]
	v_div_fmas_f64 v[102:103], v[102:103], v[104:105], v[108:109]
	v_div_fixup_f64 v[92:93], v[102:103], v[92:93], 1.0
; %bb.189:
	s_or_b64 exec, exec, s[0:1]
	v_cmp_ne_u32_e32 vcc, v97, v94
	s_and_saveexec_b64 s[0:1], vcc
	s_xor_b64 s[0:1], exec, s[0:1]
	s_cbranch_execz .LBB86_195
; %bb.190:
	v_cmp_eq_u32_e32 vcc, 11, v97
	s_and_saveexec_b64 s[2:3], vcc
	s_cbranch_execz .LBB86_194
; %bb.191:
	v_cmp_ne_u32_e32 vcc, 11, v94
	s_xor_b64 s[14:15], s[6:7], -1
	s_and_b64 s[16:17], s[14:15], vcc
	s_and_saveexec_b64 s[14:15], s[16:17]
	s_cbranch_execz .LBB86_193
; %bb.192:
	v_ashrrev_i32_e32 v95, 31, v94
	v_lshlrev_b64 v[102:103], 2, v[94:95]
	v_add_co_u32_e32 v102, vcc, v4, v102
	v_addc_co_u32_e32 v103, vcc, v5, v103, vcc
	flat_load_dword v95, v[102:103]
	flat_load_dword v97, v[4:5] offset:44
	s_waitcnt vmcnt(0) lgkmcnt(0)
	flat_store_dword v[4:5], v95 offset:44
	flat_store_dword v[102:103], v97
.LBB86_193:
	s_or_b64 exec, exec, s[14:15]
	v_mov_b32_e32 v95, v94
	v_mov_b32_e32 v97, v94
.LBB86_194:
	s_or_b64 exec, exec, s[2:3]
.LBB86_195:
	s_andn2_saveexec_b64 s[0:1], s[0:1]
	s_cbranch_execz .LBB86_197
; %bb.196:
	v_mov_b32_e32 v102, v64
	v_mov_b32_e32 v103, v65
	v_mov_b32_e32 v104, v62
	v_mov_b32_e32 v105, v63
	ds_write2_b64 v96, v[102:103], v[104:105] offset0:12 offset1:13
	v_mov_b32_e32 v102, v58
	v_mov_b32_e32 v103, v59
	v_mov_b32_e32 v104, v60
	v_mov_b32_e32 v105, v61
	ds_write2_b64 v96, v[102:103], v[104:105] offset0:14 offset1:15
	;; [unrolled: 5-line block ×15, first 2 shown]
	v_mov_b32_e32 v102, v0
	v_mov_b32_e32 v103, v1
	;; [unrolled: 1-line block ×3, first 2 shown]
	ds_write2_b64 v96, v[102:103], v[90:91] offset0:42 offset1:43
.LBB86_197:
	s_or_b64 exec, exec, s[0:1]
	v_cmp_lt_i32_e32 vcc, 11, v97
	s_waitcnt lgkmcnt(0)
	s_barrier
	s_and_saveexec_b64 s[0:1], vcc
	s_cbranch_execz .LBB86_199
; %bb.198:
	ds_read2_b64 v[102:105], v96 offset0:12 offset1:13
	ds_read2_b64 v[106:109], v96 offset0:14 offset1:15
	v_mul_f64 v[66:67], v[92:93], v[66:67]
	ds_read2_b64 v[110:113], v96 offset0:16 offset1:17
	s_waitcnt lgkmcnt(0)
	v_fma_f64 v[64:65], -v[66:67], v[102:103], v[64:65]
	v_fma_f64 v[62:63], -v[66:67], v[104:105], v[62:63]
	ds_read2_b64 v[102:105], v96 offset0:18 offset1:19
	v_fma_f64 v[58:59], -v[66:67], v[106:107], v[58:59]
	v_fma_f64 v[60:61], -v[66:67], v[108:109], v[60:61]
	;; [unrolled: 1-line block ×3, first 2 shown]
	ds_read2_b64 v[106:109], v96 offset0:20 offset1:21
	v_fma_f64 v[54:55], -v[66:67], v[112:113], v[54:55]
	ds_read2_b64 v[110:113], v96 offset0:22 offset1:23
	s_waitcnt lgkmcnt(0)
	v_fma_f64 v[52:53], -v[66:67], v[102:103], v[52:53]
	v_fma_f64 v[50:51], -v[66:67], v[104:105], v[50:51]
	ds_read2_b64 v[102:105], v96 offset0:24 offset1:25
	v_fma_f64 v[48:49], -v[66:67], v[106:107], v[48:49]
	v_fma_f64 v[46:47], -v[66:67], v[108:109], v[46:47]
	ds_read2_b64 v[106:109], v96 offset0:26 offset1:27
	v_fma_f64 v[44:45], -v[66:67], v[110:111], v[44:45]
	v_fma_f64 v[42:43], -v[66:67], v[112:113], v[42:43]
	s_waitcnt lgkmcnt(0)
	v_fma_f64 v[40:41], -v[66:67], v[102:103], v[40:41]
	ds_read2_b64 v[110:113], v96 offset0:28 offset1:29
	v_fma_f64 v[38:39], -v[66:67], v[104:105], v[38:39]
	ds_read2_b64 v[102:105], v96 offset0:30 offset1:31
	v_fma_f64 v[36:37], -v[66:67], v[106:107], v[36:37]
	v_fma_f64 v[34:35], -v[66:67], v[108:109], v[34:35]
	s_waitcnt lgkmcnt(0)
	v_fma_f64 v[32:33], -v[66:67], v[110:111], v[32:33]
	ds_read2_b64 v[106:109], v96 offset0:32 offset1:33
	v_fma_f64 v[28:29], -v[66:67], v[112:113], v[28:29]
	ds_read2_b64 v[110:113], v96 offset0:34 offset1:35
	v_fma_f64 v[30:31], -v[66:67], v[102:103], v[30:31]
	v_fma_f64 v[26:27], -v[66:67], v[104:105], v[26:27]
	ds_read2_b64 v[102:105], v96 offset0:36 offset1:37
	s_waitcnt lgkmcnt(0)
	v_fma_f64 v[24:25], -v[66:67], v[106:107], v[24:25]
	v_fma_f64 v[22:23], -v[66:67], v[108:109], v[22:23]
	ds_read2_b64 v[106:109], v96 offset0:38 offset1:39
	v_fma_f64 v[20:21], -v[66:67], v[110:111], v[20:21]
	v_fma_f64 v[18:19], -v[66:67], v[112:113], v[18:19]
	;; [unrolled: 1-line block ×3, first 2 shown]
	ds_read2_b64 v[110:113], v96 offset0:40 offset1:41
	v_fma_f64 v[14:15], -v[66:67], v[104:105], v[14:15]
	ds_read2_b64 v[102:105], v96 offset0:42 offset1:43
	s_waitcnt lgkmcnt(0)
	v_fma_f64 v[12:13], -v[66:67], v[106:107], v[12:13]
	v_fma_f64 v[10:11], -v[66:67], v[108:109], v[10:11]
	;; [unrolled: 1-line block ×6, first 2 shown]
.LBB86_199:
	s_or_b64 exec, exec, s[0:1]
	v_lshl_add_u32 v92, v97, 3, v96
	s_barrier
	ds_write_b64 v92, v[64:65]
	s_waitcnt lgkmcnt(0)
	s_barrier
	ds_read_b64 v[92:93], v96 offset:96
	s_cmp_lt_i32 s18, 14
	v_mov_b32_e32 v94, 12
	s_cbranch_scc1 .LBB86_202
; %bb.200:
	v_add_u32_e32 v101, 0x68, v96
	s_mov_b32 s0, 13
	v_mov_b32_e32 v94, 12
.LBB86_201:                             ; =>This Inner Loop Header: Depth=1
	ds_read_b64 v[102:103], v101
	v_mov_b32_e32 v104, s0
	s_add_i32 s0, s0, 1
	v_add_u32_e32 v101, 8, v101
	s_cmp_lg_u32 s18, s0
	s_waitcnt lgkmcnt(0)
	v_cmp_lt_f64_e64 vcc, |v[92:93]|, |v[102:103]|
	v_cndmask_b32_e32 v93, v93, v103, vcc
	v_cndmask_b32_e32 v92, v92, v102, vcc
	;; [unrolled: 1-line block ×3, first 2 shown]
	s_cbranch_scc1 .LBB86_201
.LBB86_202:
	s_waitcnt lgkmcnt(0)
	v_cmp_eq_f64_e32 vcc, 0, v[92:93]
	s_and_saveexec_b64 s[0:1], vcc
	s_xor_b64 s[0:1], exec, s[0:1]
; %bb.203:
	v_cmp_ne_u32_e32 vcc, 0, v100
	v_cndmask_b32_e32 v100, 13, v100, vcc
; %bb.204:
	s_andn2_saveexec_b64 s[0:1], s[0:1]
; %bb.205:
	v_div_scale_f64 v[102:103], s[2:3], v[92:93], v[92:93], 1.0
	v_rcp_f64_e32 v[104:105], v[102:103]
	v_div_scale_f64 v[106:107], vcc, 1.0, v[92:93], 1.0
	v_fma_f64 v[108:109], -v[102:103], v[104:105], 1.0
	v_fmac_f64_e32 v[104:105], v[104:105], v[108:109]
	v_fma_f64 v[108:109], -v[102:103], v[104:105], 1.0
	v_fmac_f64_e32 v[104:105], v[104:105], v[108:109]
	v_mul_f64 v[108:109], v[106:107], v[104:105]
	v_fma_f64 v[102:103], -v[102:103], v[108:109], v[106:107]
	v_div_fmas_f64 v[102:103], v[102:103], v[104:105], v[108:109]
	v_div_fixup_f64 v[92:93], v[102:103], v[92:93], 1.0
; %bb.206:
	s_or_b64 exec, exec, s[0:1]
	v_cmp_ne_u32_e32 vcc, v97, v94
	s_and_saveexec_b64 s[0:1], vcc
	s_xor_b64 s[0:1], exec, s[0:1]
	s_cbranch_execz .LBB86_212
; %bb.207:
	v_cmp_eq_u32_e32 vcc, 12, v97
	s_and_saveexec_b64 s[2:3], vcc
	s_cbranch_execz .LBB86_211
; %bb.208:
	v_cmp_ne_u32_e32 vcc, 12, v94
	s_xor_b64 s[14:15], s[6:7], -1
	s_and_b64 s[16:17], s[14:15], vcc
	s_and_saveexec_b64 s[14:15], s[16:17]
	s_cbranch_execz .LBB86_210
; %bb.209:
	v_ashrrev_i32_e32 v95, 31, v94
	v_lshlrev_b64 v[102:103], 2, v[94:95]
	v_add_co_u32_e32 v102, vcc, v4, v102
	v_addc_co_u32_e32 v103, vcc, v5, v103, vcc
	flat_load_dword v95, v[102:103]
	flat_load_dword v97, v[4:5] offset:48
	s_waitcnt vmcnt(0) lgkmcnt(0)
	flat_store_dword v[4:5], v95 offset:48
	flat_store_dword v[102:103], v97
.LBB86_210:
	s_or_b64 exec, exec, s[14:15]
	v_mov_b32_e32 v95, v94
	v_mov_b32_e32 v97, v94
.LBB86_211:
	s_or_b64 exec, exec, s[2:3]
.LBB86_212:
	s_andn2_saveexec_b64 s[0:1], s[0:1]
	s_cbranch_execz .LBB86_214
; %bb.213:
	v_mov_b32_e32 v97, 12
	ds_write2_b64 v96, v[62:63], v[58:59] offset0:13 offset1:14
	ds_write2_b64 v96, v[60:61], v[56:57] offset0:15 offset1:16
	;; [unrolled: 1-line block ×15, first 2 shown]
	ds_write_b64 v96, v[90:91] offset:344
.LBB86_214:
	s_or_b64 exec, exec, s[0:1]
	v_cmp_lt_i32_e32 vcc, 12, v97
	s_waitcnt lgkmcnt(0)
	s_barrier
	s_and_saveexec_b64 s[0:1], vcc
	s_cbranch_execz .LBB86_216
; %bb.215:
	ds_read2_b64 v[102:105], v96 offset0:13 offset1:14
	ds_read2_b64 v[106:109], v96 offset0:15 offset1:16
	;; [unrolled: 1-line block ×3, first 2 shown]
	v_mul_f64 v[64:65], v[92:93], v[64:65]
	ds_read_b64 v[92:93], v96 offset:344
	s_waitcnt lgkmcnt(0)
	v_fma_f64 v[62:63], -v[64:65], v[102:103], v[62:63]
	v_fma_f64 v[58:59], -v[64:65], v[104:105], v[58:59]
	ds_read2_b64 v[102:105], v96 offset0:19 offset1:20
	v_fma_f64 v[60:61], -v[64:65], v[106:107], v[60:61]
	v_fma_f64 v[56:57], -v[64:65], v[108:109], v[56:57]
	;; [unrolled: 1-line block ×3, first 2 shown]
	ds_read2_b64 v[106:109], v96 offset0:21 offset1:22
	v_fma_f64 v[52:53], -v[64:65], v[112:113], v[52:53]
	ds_read2_b64 v[110:113], v96 offset0:23 offset1:24
	s_waitcnt lgkmcnt(0)
	v_fma_f64 v[50:51], -v[64:65], v[102:103], v[50:51]
	v_fma_f64 v[48:49], -v[64:65], v[104:105], v[48:49]
	;; [unrolled: 1-line block ×3, first 2 shown]
	ds_read2_b64 v[102:105], v96 offset0:25 offset1:26
	v_fma_f64 v[44:45], -v[64:65], v[108:109], v[44:45]
	ds_read2_b64 v[106:109], v96 offset0:27 offset1:28
	v_fma_f64 v[42:43], -v[64:65], v[110:111], v[42:43]
	v_fma_f64 v[40:41], -v[64:65], v[112:113], v[40:41]
	ds_read2_b64 v[110:113], v96 offset0:29 offset1:30
	s_waitcnt lgkmcnt(0)
	v_fma_f64 v[38:39], -v[64:65], v[102:103], v[38:39]
	v_fma_f64 v[36:37], -v[64:65], v[104:105], v[36:37]
	ds_read2_b64 v[102:105], v96 offset0:31 offset1:32
	v_fma_f64 v[34:35], -v[64:65], v[106:107], v[34:35]
	v_fma_f64 v[32:33], -v[64:65], v[108:109], v[32:33]
	;; [unrolled: 1-line block ×3, first 2 shown]
	ds_read2_b64 v[106:109], v96 offset0:33 offset1:34
	v_fma_f64 v[30:31], -v[64:65], v[112:113], v[30:31]
	ds_read2_b64 v[110:113], v96 offset0:35 offset1:36
	s_waitcnt lgkmcnt(0)
	v_fma_f64 v[26:27], -v[64:65], v[102:103], v[26:27]
	v_fma_f64 v[24:25], -v[64:65], v[104:105], v[24:25]
	;; [unrolled: 1-line block ×3, first 2 shown]
	ds_read2_b64 v[102:105], v96 offset0:37 offset1:38
	v_fma_f64 v[20:21], -v[64:65], v[108:109], v[20:21]
	ds_read2_b64 v[106:109], v96 offset0:39 offset1:40
	v_fma_f64 v[18:19], -v[64:65], v[110:111], v[18:19]
	v_fma_f64 v[16:17], -v[64:65], v[112:113], v[16:17]
	ds_read2_b64 v[110:113], v96 offset0:41 offset1:42
	s_waitcnt lgkmcnt(0)
	v_fma_f64 v[14:15], -v[64:65], v[102:103], v[14:15]
	v_fma_f64 v[12:13], -v[64:65], v[104:105], v[12:13]
	;; [unrolled: 1-line block ×7, first 2 shown]
.LBB86_216:
	s_or_b64 exec, exec, s[0:1]
	v_lshl_add_u32 v92, v97, 3, v96
	s_barrier
	ds_write_b64 v92, v[62:63]
	s_waitcnt lgkmcnt(0)
	s_barrier
	ds_read_b64 v[92:93], v96 offset:104
	s_cmp_lt_i32 s18, 15
	v_mov_b32_e32 v94, 13
	s_cbranch_scc1 .LBB86_219
; %bb.217:
	v_add_u32_e32 v101, 0x70, v96
	s_mov_b32 s0, 14
	v_mov_b32_e32 v94, 13
.LBB86_218:                             ; =>This Inner Loop Header: Depth=1
	ds_read_b64 v[102:103], v101
	v_mov_b32_e32 v104, s0
	s_add_i32 s0, s0, 1
	v_add_u32_e32 v101, 8, v101
	s_cmp_lg_u32 s18, s0
	s_waitcnt lgkmcnt(0)
	v_cmp_lt_f64_e64 vcc, |v[92:93]|, |v[102:103]|
	v_cndmask_b32_e32 v93, v93, v103, vcc
	v_cndmask_b32_e32 v92, v92, v102, vcc
	;; [unrolled: 1-line block ×3, first 2 shown]
	s_cbranch_scc1 .LBB86_218
.LBB86_219:
	s_waitcnt lgkmcnt(0)
	v_cmp_eq_f64_e32 vcc, 0, v[92:93]
	s_and_saveexec_b64 s[0:1], vcc
	s_xor_b64 s[0:1], exec, s[0:1]
; %bb.220:
	v_cmp_ne_u32_e32 vcc, 0, v100
	v_cndmask_b32_e32 v100, 14, v100, vcc
; %bb.221:
	s_andn2_saveexec_b64 s[0:1], s[0:1]
; %bb.222:
	v_div_scale_f64 v[102:103], s[2:3], v[92:93], v[92:93], 1.0
	v_rcp_f64_e32 v[104:105], v[102:103]
	v_div_scale_f64 v[106:107], vcc, 1.0, v[92:93], 1.0
	v_fma_f64 v[108:109], -v[102:103], v[104:105], 1.0
	v_fmac_f64_e32 v[104:105], v[104:105], v[108:109]
	v_fma_f64 v[108:109], -v[102:103], v[104:105], 1.0
	v_fmac_f64_e32 v[104:105], v[104:105], v[108:109]
	v_mul_f64 v[108:109], v[106:107], v[104:105]
	v_fma_f64 v[102:103], -v[102:103], v[108:109], v[106:107]
	v_div_fmas_f64 v[102:103], v[102:103], v[104:105], v[108:109]
	v_div_fixup_f64 v[92:93], v[102:103], v[92:93], 1.0
; %bb.223:
	s_or_b64 exec, exec, s[0:1]
	v_cmp_ne_u32_e32 vcc, v97, v94
	s_and_saveexec_b64 s[0:1], vcc
	s_xor_b64 s[0:1], exec, s[0:1]
	s_cbranch_execz .LBB86_229
; %bb.224:
	v_cmp_eq_u32_e32 vcc, 13, v97
	s_and_saveexec_b64 s[2:3], vcc
	s_cbranch_execz .LBB86_228
; %bb.225:
	v_cmp_ne_u32_e32 vcc, 13, v94
	s_xor_b64 s[14:15], s[6:7], -1
	s_and_b64 s[16:17], s[14:15], vcc
	s_and_saveexec_b64 s[14:15], s[16:17]
	s_cbranch_execz .LBB86_227
; %bb.226:
	v_ashrrev_i32_e32 v95, 31, v94
	v_lshlrev_b64 v[102:103], 2, v[94:95]
	v_add_co_u32_e32 v102, vcc, v4, v102
	v_addc_co_u32_e32 v103, vcc, v5, v103, vcc
	flat_load_dword v95, v[102:103]
	flat_load_dword v97, v[4:5] offset:52
	s_waitcnt vmcnt(0) lgkmcnt(0)
	flat_store_dword v[4:5], v95 offset:52
	flat_store_dword v[102:103], v97
.LBB86_227:
	s_or_b64 exec, exec, s[14:15]
	v_mov_b32_e32 v95, v94
	v_mov_b32_e32 v97, v94
.LBB86_228:
	s_or_b64 exec, exec, s[2:3]
.LBB86_229:
	s_andn2_saveexec_b64 s[0:1], s[0:1]
	s_cbranch_execz .LBB86_231
; %bb.230:
	v_mov_b32_e32 v102, v58
	v_mov_b32_e32 v103, v59
	v_mov_b32_e32 v104, v60
	v_mov_b32_e32 v105, v61
	ds_write2_b64 v96, v[102:103], v[104:105] offset0:14 offset1:15
	v_mov_b32_e32 v102, v56
	v_mov_b32_e32 v103, v57
	v_mov_b32_e32 v104, v54
	v_mov_b32_e32 v105, v55
	ds_write2_b64 v96, v[102:103], v[104:105] offset0:16 offset1:17
	;; [unrolled: 5-line block ×14, first 2 shown]
	v_mov_b32_e32 v102, v0
	v_mov_b32_e32 v103, v1
	;; [unrolled: 1-line block ×3, first 2 shown]
	ds_write2_b64 v96, v[102:103], v[90:91] offset0:42 offset1:43
.LBB86_231:
	s_or_b64 exec, exec, s[0:1]
	v_cmp_lt_i32_e32 vcc, 13, v97
	s_waitcnt lgkmcnt(0)
	s_barrier
	s_and_saveexec_b64 s[0:1], vcc
	s_cbranch_execz .LBB86_233
; %bb.232:
	ds_read2_b64 v[102:105], v96 offset0:14 offset1:15
	ds_read2_b64 v[106:109], v96 offset0:16 offset1:17
	;; [unrolled: 1-line block ×3, first 2 shown]
	v_mul_f64 v[62:63], v[92:93], v[62:63]
	s_waitcnt lgkmcnt(0)
	v_fma_f64 v[58:59], -v[62:63], v[102:103], v[58:59]
	v_fma_f64 v[60:61], -v[62:63], v[104:105], v[60:61]
	ds_read2_b64 v[102:105], v96 offset0:20 offset1:21
	v_fma_f64 v[56:57], -v[62:63], v[106:107], v[56:57]
	v_fma_f64 v[54:55], -v[62:63], v[108:109], v[54:55]
	v_fma_f64 v[52:53], -v[62:63], v[110:111], v[52:53]
	ds_read2_b64 v[106:109], v96 offset0:22 offset1:23
	v_fma_f64 v[50:51], -v[62:63], v[112:113], v[50:51]
	ds_read2_b64 v[110:113], v96 offset0:24 offset1:25
	s_waitcnt lgkmcnt(0)
	v_fma_f64 v[48:49], -v[62:63], v[102:103], v[48:49]
	v_fma_f64 v[46:47], -v[62:63], v[104:105], v[46:47]
	;; [unrolled: 1-line block ×3, first 2 shown]
	ds_read2_b64 v[102:105], v96 offset0:26 offset1:27
	v_fma_f64 v[42:43], -v[62:63], v[108:109], v[42:43]
	ds_read2_b64 v[106:109], v96 offset0:28 offset1:29
	v_fma_f64 v[40:41], -v[62:63], v[110:111], v[40:41]
	v_fma_f64 v[38:39], -v[62:63], v[112:113], v[38:39]
	ds_read2_b64 v[110:113], v96 offset0:30 offset1:31
	s_waitcnt lgkmcnt(0)
	v_fma_f64 v[36:37], -v[62:63], v[102:103], v[36:37]
	v_fma_f64 v[34:35], -v[62:63], v[104:105], v[34:35]
	ds_read2_b64 v[102:105], v96 offset0:32 offset1:33
	v_fma_f64 v[32:33], -v[62:63], v[106:107], v[32:33]
	v_fma_f64 v[28:29], -v[62:63], v[108:109], v[28:29]
	;; [unrolled: 1-line block ×3, first 2 shown]
	ds_read2_b64 v[106:109], v96 offset0:34 offset1:35
	v_fma_f64 v[26:27], -v[62:63], v[112:113], v[26:27]
	ds_read2_b64 v[110:113], v96 offset0:36 offset1:37
	s_waitcnt lgkmcnt(0)
	v_fma_f64 v[24:25], -v[62:63], v[102:103], v[24:25]
	v_fma_f64 v[22:23], -v[62:63], v[104:105], v[22:23]
	;; [unrolled: 1-line block ×4, first 2 shown]
	ds_read2_b64 v[102:105], v96 offset0:38 offset1:39
	ds_read2_b64 v[106:109], v96 offset0:40 offset1:41
	v_fma_f64 v[16:17], -v[62:63], v[110:111], v[16:17]
	v_fma_f64 v[14:15], -v[62:63], v[112:113], v[14:15]
	ds_read2_b64 v[110:113], v96 offset0:42 offset1:43
	s_waitcnt lgkmcnt(0)
	v_fma_f64 v[12:13], -v[62:63], v[102:103], v[12:13]
	v_fma_f64 v[10:11], -v[62:63], v[104:105], v[10:11]
	;; [unrolled: 1-line block ×6, first 2 shown]
.LBB86_233:
	s_or_b64 exec, exec, s[0:1]
	v_lshl_add_u32 v92, v97, 3, v96
	s_barrier
	ds_write_b64 v92, v[58:59]
	s_waitcnt lgkmcnt(0)
	s_barrier
	ds_read_b64 v[92:93], v96 offset:112
	s_cmp_lt_i32 s18, 16
	v_mov_b32_e32 v94, 14
	s_cbranch_scc1 .LBB86_236
; %bb.234:
	v_add_u32_e32 v101, 0x78, v96
	s_mov_b32 s0, 15
	v_mov_b32_e32 v94, 14
.LBB86_235:                             ; =>This Inner Loop Header: Depth=1
	ds_read_b64 v[102:103], v101
	v_mov_b32_e32 v104, s0
	s_add_i32 s0, s0, 1
	v_add_u32_e32 v101, 8, v101
	s_cmp_lg_u32 s18, s0
	s_waitcnt lgkmcnt(0)
	v_cmp_lt_f64_e64 vcc, |v[92:93]|, |v[102:103]|
	v_cndmask_b32_e32 v93, v93, v103, vcc
	v_cndmask_b32_e32 v92, v92, v102, vcc
	;; [unrolled: 1-line block ×3, first 2 shown]
	s_cbranch_scc1 .LBB86_235
.LBB86_236:
	s_waitcnt lgkmcnt(0)
	v_cmp_eq_f64_e32 vcc, 0, v[92:93]
	s_and_saveexec_b64 s[0:1], vcc
	s_xor_b64 s[0:1], exec, s[0:1]
; %bb.237:
	v_cmp_ne_u32_e32 vcc, 0, v100
	v_cndmask_b32_e32 v100, 15, v100, vcc
; %bb.238:
	s_andn2_saveexec_b64 s[0:1], s[0:1]
; %bb.239:
	v_div_scale_f64 v[102:103], s[2:3], v[92:93], v[92:93], 1.0
	v_rcp_f64_e32 v[104:105], v[102:103]
	v_div_scale_f64 v[106:107], vcc, 1.0, v[92:93], 1.0
	v_fma_f64 v[108:109], -v[102:103], v[104:105], 1.0
	v_fmac_f64_e32 v[104:105], v[104:105], v[108:109]
	v_fma_f64 v[108:109], -v[102:103], v[104:105], 1.0
	v_fmac_f64_e32 v[104:105], v[104:105], v[108:109]
	v_mul_f64 v[108:109], v[106:107], v[104:105]
	v_fma_f64 v[102:103], -v[102:103], v[108:109], v[106:107]
	v_div_fmas_f64 v[102:103], v[102:103], v[104:105], v[108:109]
	v_div_fixup_f64 v[92:93], v[102:103], v[92:93], 1.0
; %bb.240:
	s_or_b64 exec, exec, s[0:1]
	v_cmp_ne_u32_e32 vcc, v97, v94
	s_and_saveexec_b64 s[0:1], vcc
	s_xor_b64 s[0:1], exec, s[0:1]
	s_cbranch_execz .LBB86_246
; %bb.241:
	v_cmp_eq_u32_e32 vcc, 14, v97
	s_and_saveexec_b64 s[2:3], vcc
	s_cbranch_execz .LBB86_245
; %bb.242:
	v_cmp_ne_u32_e32 vcc, 14, v94
	s_xor_b64 s[14:15], s[6:7], -1
	s_and_b64 s[16:17], s[14:15], vcc
	s_and_saveexec_b64 s[14:15], s[16:17]
	s_cbranch_execz .LBB86_244
; %bb.243:
	v_ashrrev_i32_e32 v95, 31, v94
	v_lshlrev_b64 v[102:103], 2, v[94:95]
	v_add_co_u32_e32 v102, vcc, v4, v102
	v_addc_co_u32_e32 v103, vcc, v5, v103, vcc
	flat_load_dword v95, v[102:103]
	flat_load_dword v97, v[4:5] offset:56
	s_waitcnt vmcnt(0) lgkmcnt(0)
	flat_store_dword v[4:5], v95 offset:56
	flat_store_dword v[102:103], v97
.LBB86_244:
	s_or_b64 exec, exec, s[14:15]
	v_mov_b32_e32 v95, v94
	v_mov_b32_e32 v97, v94
.LBB86_245:
	s_or_b64 exec, exec, s[2:3]
.LBB86_246:
	s_andn2_saveexec_b64 s[0:1], s[0:1]
	s_cbranch_execz .LBB86_248
; %bb.247:
	v_mov_b32_e32 v97, 14
	ds_write2_b64 v96, v[60:61], v[56:57] offset0:15 offset1:16
	ds_write2_b64 v96, v[54:55], v[52:53] offset0:17 offset1:18
	;; [unrolled: 1-line block ×14, first 2 shown]
	ds_write_b64 v96, v[90:91] offset:344
.LBB86_248:
	s_or_b64 exec, exec, s[0:1]
	v_cmp_lt_i32_e32 vcc, 14, v97
	s_waitcnt lgkmcnt(0)
	s_barrier
	s_and_saveexec_b64 s[0:1], vcc
	s_cbranch_execz .LBB86_250
; %bb.249:
	ds_read2_b64 v[102:105], v96 offset0:15 offset1:16
	ds_read2_b64 v[106:109], v96 offset0:17 offset1:18
	v_mul_f64 v[58:59], v[92:93], v[58:59]
	ds_read2_b64 v[110:113], v96 offset0:19 offset1:20
	ds_read_b64 v[92:93], v96 offset:344
	s_waitcnt lgkmcnt(0)
	v_fma_f64 v[60:61], -v[58:59], v[102:103], v[60:61]
	v_fma_f64 v[56:57], -v[58:59], v[104:105], v[56:57]
	ds_read2_b64 v[102:105], v96 offset0:21 offset1:22
	v_fma_f64 v[54:55], -v[58:59], v[106:107], v[54:55]
	v_fma_f64 v[52:53], -v[58:59], v[108:109], v[52:53]
	ds_read2_b64 v[106:109], v96 offset0:23 offset1:24
	;; [unrolled: 3-line block ×3, first 2 shown]
	s_waitcnt lgkmcnt(0)
	v_fma_f64 v[46:47], -v[58:59], v[102:103], v[46:47]
	v_fma_f64 v[44:45], -v[58:59], v[104:105], v[44:45]
	;; [unrolled: 1-line block ×3, first 2 shown]
	ds_read2_b64 v[102:105], v96 offset0:27 offset1:28
	v_fma_f64 v[40:41], -v[58:59], v[108:109], v[40:41]
	ds_read2_b64 v[106:109], v96 offset0:29 offset1:30
	v_fma_f64 v[38:39], -v[58:59], v[110:111], v[38:39]
	v_fma_f64 v[36:37], -v[58:59], v[112:113], v[36:37]
	s_waitcnt lgkmcnt(0)
	v_fma_f64 v[34:35], -v[58:59], v[102:103], v[34:35]
	ds_read2_b64 v[110:113], v96 offset0:31 offset1:32
	v_fma_f64 v[32:33], -v[58:59], v[104:105], v[32:33]
	ds_read2_b64 v[102:105], v96 offset0:33 offset1:34
	v_fma_f64 v[28:29], -v[58:59], v[106:107], v[28:29]
	v_fma_f64 v[30:31], -v[58:59], v[108:109], v[30:31]
	ds_read2_b64 v[106:109], v96 offset0:35 offset1:36
	s_waitcnt lgkmcnt(0)
	v_fma_f64 v[26:27], -v[58:59], v[110:111], v[26:27]
	v_fma_f64 v[24:25], -v[58:59], v[112:113], v[24:25]
	ds_read2_b64 v[110:113], v96 offset0:37 offset1:38
	v_fma_f64 v[22:23], -v[58:59], v[102:103], v[22:23]
	v_fma_f64 v[20:21], -v[58:59], v[104:105], v[20:21]
	;; [unrolled: 1-line block ×4, first 2 shown]
	ds_read2_b64 v[102:105], v96 offset0:39 offset1:40
	ds_read2_b64 v[106:109], v96 offset0:41 offset1:42
	s_waitcnt lgkmcnt(0)
	v_fma_f64 v[14:15], -v[58:59], v[110:111], v[14:15]
	v_fma_f64 v[12:13], -v[58:59], v[112:113], v[12:13]
	;; [unrolled: 1-line block ×7, first 2 shown]
.LBB86_250:
	s_or_b64 exec, exec, s[0:1]
	v_lshl_add_u32 v92, v97, 3, v96
	s_barrier
	ds_write_b64 v92, v[60:61]
	s_waitcnt lgkmcnt(0)
	s_barrier
	ds_read_b64 v[92:93], v96 offset:120
	s_cmp_lt_i32 s18, 17
	v_mov_b32_e32 v94, 15
	s_cbranch_scc1 .LBB86_253
; %bb.251:
	v_add_u32_e32 v101, 0x80, v96
	s_mov_b32 s0, 16
	v_mov_b32_e32 v94, 15
.LBB86_252:                             ; =>This Inner Loop Header: Depth=1
	ds_read_b64 v[102:103], v101
	v_mov_b32_e32 v104, s0
	s_add_i32 s0, s0, 1
	v_add_u32_e32 v101, 8, v101
	s_cmp_lg_u32 s18, s0
	s_waitcnt lgkmcnt(0)
	v_cmp_lt_f64_e64 vcc, |v[92:93]|, |v[102:103]|
	v_cndmask_b32_e32 v93, v93, v103, vcc
	v_cndmask_b32_e32 v92, v92, v102, vcc
	;; [unrolled: 1-line block ×3, first 2 shown]
	s_cbranch_scc1 .LBB86_252
.LBB86_253:
	s_waitcnt lgkmcnt(0)
	v_cmp_eq_f64_e32 vcc, 0, v[92:93]
	s_and_saveexec_b64 s[0:1], vcc
	s_xor_b64 s[0:1], exec, s[0:1]
; %bb.254:
	v_cmp_ne_u32_e32 vcc, 0, v100
	v_cndmask_b32_e32 v100, 16, v100, vcc
; %bb.255:
	s_andn2_saveexec_b64 s[0:1], s[0:1]
; %bb.256:
	v_div_scale_f64 v[102:103], s[2:3], v[92:93], v[92:93], 1.0
	v_rcp_f64_e32 v[104:105], v[102:103]
	v_div_scale_f64 v[106:107], vcc, 1.0, v[92:93], 1.0
	v_fma_f64 v[108:109], -v[102:103], v[104:105], 1.0
	v_fmac_f64_e32 v[104:105], v[104:105], v[108:109]
	v_fma_f64 v[108:109], -v[102:103], v[104:105], 1.0
	v_fmac_f64_e32 v[104:105], v[104:105], v[108:109]
	v_mul_f64 v[108:109], v[106:107], v[104:105]
	v_fma_f64 v[102:103], -v[102:103], v[108:109], v[106:107]
	v_div_fmas_f64 v[102:103], v[102:103], v[104:105], v[108:109]
	v_div_fixup_f64 v[92:93], v[102:103], v[92:93], 1.0
; %bb.257:
	s_or_b64 exec, exec, s[0:1]
	v_cmp_ne_u32_e32 vcc, v97, v94
	s_and_saveexec_b64 s[0:1], vcc
	s_xor_b64 s[0:1], exec, s[0:1]
	s_cbranch_execz .LBB86_263
; %bb.258:
	v_cmp_eq_u32_e32 vcc, 15, v97
	s_and_saveexec_b64 s[2:3], vcc
	s_cbranch_execz .LBB86_262
; %bb.259:
	v_cmp_ne_u32_e32 vcc, 15, v94
	s_xor_b64 s[14:15], s[6:7], -1
	s_and_b64 s[16:17], s[14:15], vcc
	s_and_saveexec_b64 s[14:15], s[16:17]
	s_cbranch_execz .LBB86_261
; %bb.260:
	v_ashrrev_i32_e32 v95, 31, v94
	v_lshlrev_b64 v[102:103], 2, v[94:95]
	v_add_co_u32_e32 v102, vcc, v4, v102
	v_addc_co_u32_e32 v103, vcc, v5, v103, vcc
	flat_load_dword v95, v[102:103]
	flat_load_dword v97, v[4:5] offset:60
	s_waitcnt vmcnt(0) lgkmcnt(0)
	flat_store_dword v[4:5], v95 offset:60
	flat_store_dword v[102:103], v97
.LBB86_261:
	s_or_b64 exec, exec, s[14:15]
	v_mov_b32_e32 v95, v94
	v_mov_b32_e32 v97, v94
.LBB86_262:
	s_or_b64 exec, exec, s[2:3]
.LBB86_263:
	s_andn2_saveexec_b64 s[0:1], s[0:1]
	s_cbranch_execz .LBB86_265
; %bb.264:
	v_mov_b32_e32 v102, v56
	v_mov_b32_e32 v103, v57
	v_mov_b32_e32 v104, v54
	v_mov_b32_e32 v105, v55
	ds_write2_b64 v96, v[102:103], v[104:105] offset0:16 offset1:17
	v_mov_b32_e32 v102, v52
	v_mov_b32_e32 v103, v53
	v_mov_b32_e32 v104, v50
	v_mov_b32_e32 v105, v51
	ds_write2_b64 v96, v[102:103], v[104:105] offset0:18 offset1:19
	;; [unrolled: 5-line block ×13, first 2 shown]
	v_mov_b32_e32 v102, v0
	v_mov_b32_e32 v103, v1
	;; [unrolled: 1-line block ×3, first 2 shown]
	ds_write2_b64 v96, v[102:103], v[90:91] offset0:42 offset1:43
.LBB86_265:
	s_or_b64 exec, exec, s[0:1]
	v_cmp_lt_i32_e32 vcc, 15, v97
	s_waitcnt lgkmcnt(0)
	s_barrier
	s_and_saveexec_b64 s[0:1], vcc
	s_cbranch_execz .LBB86_267
; %bb.266:
	ds_read2_b64 v[102:105], v96 offset0:16 offset1:17
	ds_read2_b64 v[106:109], v96 offset0:18 offset1:19
	v_mul_f64 v[60:61], v[92:93], v[60:61]
	ds_read2_b64 v[110:113], v96 offset0:20 offset1:21
	s_waitcnt lgkmcnt(0)
	v_fma_f64 v[56:57], -v[60:61], v[102:103], v[56:57]
	v_fma_f64 v[54:55], -v[60:61], v[104:105], v[54:55]
	ds_read2_b64 v[102:105], v96 offset0:22 offset1:23
	v_fma_f64 v[52:53], -v[60:61], v[106:107], v[52:53]
	v_fma_f64 v[50:51], -v[60:61], v[108:109], v[50:51]
	ds_read2_b64 v[106:109], v96 offset0:24 offset1:25
	;; [unrolled: 3-line block ×3, first 2 shown]
	s_waitcnt lgkmcnt(0)
	v_fma_f64 v[44:45], -v[60:61], v[102:103], v[44:45]
	v_fma_f64 v[42:43], -v[60:61], v[104:105], v[42:43]
	;; [unrolled: 1-line block ×3, first 2 shown]
	ds_read2_b64 v[102:105], v96 offset0:28 offset1:29
	v_fma_f64 v[38:39], -v[60:61], v[108:109], v[38:39]
	ds_read2_b64 v[106:109], v96 offset0:30 offset1:31
	v_fma_f64 v[36:37], -v[60:61], v[110:111], v[36:37]
	v_fma_f64 v[34:35], -v[60:61], v[112:113], v[34:35]
	s_waitcnt lgkmcnt(0)
	v_fma_f64 v[32:33], -v[60:61], v[102:103], v[32:33]
	ds_read2_b64 v[110:113], v96 offset0:32 offset1:33
	v_fma_f64 v[28:29], -v[60:61], v[104:105], v[28:29]
	ds_read2_b64 v[102:105], v96 offset0:34 offset1:35
	v_fma_f64 v[30:31], -v[60:61], v[106:107], v[30:31]
	v_fma_f64 v[26:27], -v[60:61], v[108:109], v[26:27]
	ds_read2_b64 v[106:109], v96 offset0:36 offset1:37
	s_waitcnt lgkmcnt(0)
	v_fma_f64 v[24:25], -v[60:61], v[110:111], v[24:25]
	v_fma_f64 v[22:23], -v[60:61], v[112:113], v[22:23]
	;; [unrolled: 1-line block ×4, first 2 shown]
	ds_read2_b64 v[102:105], v96 offset0:38 offset1:39
	v_fma_f64 v[16:17], -v[60:61], v[106:107], v[16:17]
	ds_read2_b64 v[110:113], v96 offset0:40 offset1:41
	v_fma_f64 v[14:15], -v[60:61], v[108:109], v[14:15]
	ds_read2_b64 v[106:109], v96 offset0:42 offset1:43
	s_waitcnt lgkmcnt(0)
	v_fma_f64 v[12:13], -v[60:61], v[102:103], v[12:13]
	v_fma_f64 v[10:11], -v[60:61], v[104:105], v[10:11]
	;; [unrolled: 1-line block ×6, first 2 shown]
.LBB86_267:
	s_or_b64 exec, exec, s[0:1]
	v_lshl_add_u32 v92, v97, 3, v96
	s_barrier
	ds_write_b64 v92, v[56:57]
	s_waitcnt lgkmcnt(0)
	s_barrier
	ds_read_b64 v[92:93], v96 offset:128
	s_cmp_lt_i32 s18, 18
	v_mov_b32_e32 v94, 16
	s_cbranch_scc1 .LBB86_270
; %bb.268:
	v_add_u32_e32 v101, 0x88, v96
	s_mov_b32 s0, 17
	v_mov_b32_e32 v94, 16
.LBB86_269:                             ; =>This Inner Loop Header: Depth=1
	ds_read_b64 v[102:103], v101
	v_mov_b32_e32 v104, s0
	s_add_i32 s0, s0, 1
	v_add_u32_e32 v101, 8, v101
	s_cmp_lg_u32 s18, s0
	s_waitcnt lgkmcnt(0)
	v_cmp_lt_f64_e64 vcc, |v[92:93]|, |v[102:103]|
	v_cndmask_b32_e32 v93, v93, v103, vcc
	v_cndmask_b32_e32 v92, v92, v102, vcc
	;; [unrolled: 1-line block ×3, first 2 shown]
	s_cbranch_scc1 .LBB86_269
.LBB86_270:
	s_waitcnt lgkmcnt(0)
	v_cmp_eq_f64_e32 vcc, 0, v[92:93]
	s_and_saveexec_b64 s[0:1], vcc
	s_xor_b64 s[0:1], exec, s[0:1]
; %bb.271:
	v_cmp_ne_u32_e32 vcc, 0, v100
	v_cndmask_b32_e32 v100, 17, v100, vcc
; %bb.272:
	s_andn2_saveexec_b64 s[0:1], s[0:1]
; %bb.273:
	v_div_scale_f64 v[102:103], s[2:3], v[92:93], v[92:93], 1.0
	v_rcp_f64_e32 v[104:105], v[102:103]
	v_div_scale_f64 v[106:107], vcc, 1.0, v[92:93], 1.0
	v_fma_f64 v[108:109], -v[102:103], v[104:105], 1.0
	v_fmac_f64_e32 v[104:105], v[104:105], v[108:109]
	v_fma_f64 v[108:109], -v[102:103], v[104:105], 1.0
	v_fmac_f64_e32 v[104:105], v[104:105], v[108:109]
	v_mul_f64 v[108:109], v[106:107], v[104:105]
	v_fma_f64 v[102:103], -v[102:103], v[108:109], v[106:107]
	v_div_fmas_f64 v[102:103], v[102:103], v[104:105], v[108:109]
	v_div_fixup_f64 v[92:93], v[102:103], v[92:93], 1.0
; %bb.274:
	s_or_b64 exec, exec, s[0:1]
	v_cmp_ne_u32_e32 vcc, v97, v94
	s_and_saveexec_b64 s[0:1], vcc
	s_xor_b64 s[0:1], exec, s[0:1]
	s_cbranch_execz .LBB86_280
; %bb.275:
	v_cmp_eq_u32_e32 vcc, 16, v97
	s_and_saveexec_b64 s[2:3], vcc
	s_cbranch_execz .LBB86_279
; %bb.276:
	v_cmp_ne_u32_e32 vcc, 16, v94
	s_xor_b64 s[14:15], s[6:7], -1
	s_and_b64 s[16:17], s[14:15], vcc
	s_and_saveexec_b64 s[14:15], s[16:17]
	s_cbranch_execz .LBB86_278
; %bb.277:
	v_ashrrev_i32_e32 v95, 31, v94
	v_lshlrev_b64 v[102:103], 2, v[94:95]
	v_add_co_u32_e32 v102, vcc, v4, v102
	v_addc_co_u32_e32 v103, vcc, v5, v103, vcc
	flat_load_dword v95, v[102:103]
	flat_load_dword v97, v[4:5] offset:64
	s_waitcnt vmcnt(0) lgkmcnt(0)
	flat_store_dword v[4:5], v95 offset:64
	flat_store_dword v[102:103], v97
.LBB86_278:
	s_or_b64 exec, exec, s[14:15]
	v_mov_b32_e32 v95, v94
	v_mov_b32_e32 v97, v94
.LBB86_279:
	s_or_b64 exec, exec, s[2:3]
.LBB86_280:
	s_andn2_saveexec_b64 s[0:1], s[0:1]
	s_cbranch_execz .LBB86_282
; %bb.281:
	v_mov_b32_e32 v97, 16
	ds_write2_b64 v96, v[54:55], v[52:53] offset0:17 offset1:18
	ds_write2_b64 v96, v[50:51], v[48:49] offset0:19 offset1:20
	;; [unrolled: 1-line block ×13, first 2 shown]
	ds_write_b64 v96, v[90:91] offset:344
.LBB86_282:
	s_or_b64 exec, exec, s[0:1]
	v_cmp_lt_i32_e32 vcc, 16, v97
	s_waitcnt lgkmcnt(0)
	s_barrier
	s_and_saveexec_b64 s[0:1], vcc
	s_cbranch_execz .LBB86_284
; %bb.283:
	ds_read2_b64 v[102:105], v96 offset0:17 offset1:18
	ds_read2_b64 v[106:109], v96 offset0:19 offset1:20
	v_mul_f64 v[56:57], v[92:93], v[56:57]
	ds_read2_b64 v[110:113], v96 offset0:21 offset1:22
	ds_read_b64 v[92:93], v96 offset:344
	s_waitcnt lgkmcnt(0)
	v_fma_f64 v[54:55], -v[56:57], v[102:103], v[54:55]
	v_fma_f64 v[52:53], -v[56:57], v[104:105], v[52:53]
	ds_read2_b64 v[102:105], v96 offset0:23 offset1:24
	v_fma_f64 v[50:51], -v[56:57], v[106:107], v[50:51]
	v_fma_f64 v[48:49], -v[56:57], v[108:109], v[48:49]
	;; [unrolled: 1-line block ×3, first 2 shown]
	ds_read2_b64 v[106:109], v96 offset0:25 offset1:26
	v_fma_f64 v[44:45], -v[56:57], v[112:113], v[44:45]
	ds_read2_b64 v[110:113], v96 offset0:27 offset1:28
	s_waitcnt lgkmcnt(0)
	v_fma_f64 v[42:43], -v[56:57], v[102:103], v[42:43]
	v_fma_f64 v[40:41], -v[56:57], v[104:105], v[40:41]
	ds_read2_b64 v[102:105], v96 offset0:29 offset1:30
	v_fma_f64 v[38:39], -v[56:57], v[106:107], v[38:39]
	v_fma_f64 v[36:37], -v[56:57], v[108:109], v[36:37]
	ds_read2_b64 v[106:109], v96 offset0:31 offset1:32
	v_fma_f64 v[34:35], -v[56:57], v[110:111], v[34:35]
	v_fma_f64 v[32:33], -v[56:57], v[112:113], v[32:33]
	s_waitcnt lgkmcnt(0)
	v_fma_f64 v[28:29], -v[56:57], v[102:103], v[28:29]
	ds_read2_b64 v[110:113], v96 offset0:33 offset1:34
	v_fma_f64 v[30:31], -v[56:57], v[104:105], v[30:31]
	ds_read2_b64 v[102:105], v96 offset0:35 offset1:36
	v_fma_f64 v[26:27], -v[56:57], v[106:107], v[26:27]
	v_fma_f64 v[24:25], -v[56:57], v[108:109], v[24:25]
	s_waitcnt lgkmcnt(0)
	v_fma_f64 v[22:23], -v[56:57], v[110:111], v[22:23]
	ds_read2_b64 v[106:109], v96 offset0:37 offset1:38
	v_fma_f64 v[20:21], -v[56:57], v[112:113], v[20:21]
	v_fma_f64 v[18:19], -v[56:57], v[102:103], v[18:19]
	;; [unrolled: 1-line block ×3, first 2 shown]
	ds_read2_b64 v[102:105], v96 offset0:39 offset1:40
	ds_read2_b64 v[110:113], v96 offset0:41 offset1:42
	s_waitcnt lgkmcnt(0)
	v_fma_f64 v[14:15], -v[56:57], v[106:107], v[14:15]
	v_fma_f64 v[12:13], -v[56:57], v[108:109], v[12:13]
	;; [unrolled: 1-line block ×7, first 2 shown]
.LBB86_284:
	s_or_b64 exec, exec, s[0:1]
	v_lshl_add_u32 v92, v97, 3, v96
	s_barrier
	ds_write_b64 v92, v[54:55]
	s_waitcnt lgkmcnt(0)
	s_barrier
	ds_read_b64 v[92:93], v96 offset:136
	s_cmp_lt_i32 s18, 19
	v_mov_b32_e32 v94, 17
	s_cbranch_scc1 .LBB86_287
; %bb.285:
	v_add_u32_e32 v101, 0x90, v96
	s_mov_b32 s0, 18
	v_mov_b32_e32 v94, 17
.LBB86_286:                             ; =>This Inner Loop Header: Depth=1
	ds_read_b64 v[102:103], v101
	v_mov_b32_e32 v104, s0
	s_add_i32 s0, s0, 1
	v_add_u32_e32 v101, 8, v101
	s_cmp_lg_u32 s18, s0
	s_waitcnt lgkmcnt(0)
	v_cmp_lt_f64_e64 vcc, |v[92:93]|, |v[102:103]|
	v_cndmask_b32_e32 v93, v93, v103, vcc
	v_cndmask_b32_e32 v92, v92, v102, vcc
	;; [unrolled: 1-line block ×3, first 2 shown]
	s_cbranch_scc1 .LBB86_286
.LBB86_287:
	s_waitcnt lgkmcnt(0)
	v_cmp_eq_f64_e32 vcc, 0, v[92:93]
	s_and_saveexec_b64 s[0:1], vcc
	s_xor_b64 s[0:1], exec, s[0:1]
; %bb.288:
	v_cmp_ne_u32_e32 vcc, 0, v100
	v_cndmask_b32_e32 v100, 18, v100, vcc
; %bb.289:
	s_andn2_saveexec_b64 s[0:1], s[0:1]
; %bb.290:
	v_div_scale_f64 v[102:103], s[2:3], v[92:93], v[92:93], 1.0
	v_rcp_f64_e32 v[104:105], v[102:103]
	v_div_scale_f64 v[106:107], vcc, 1.0, v[92:93], 1.0
	v_fma_f64 v[108:109], -v[102:103], v[104:105], 1.0
	v_fmac_f64_e32 v[104:105], v[104:105], v[108:109]
	v_fma_f64 v[108:109], -v[102:103], v[104:105], 1.0
	v_fmac_f64_e32 v[104:105], v[104:105], v[108:109]
	v_mul_f64 v[108:109], v[106:107], v[104:105]
	v_fma_f64 v[102:103], -v[102:103], v[108:109], v[106:107]
	v_div_fmas_f64 v[102:103], v[102:103], v[104:105], v[108:109]
	v_div_fixup_f64 v[92:93], v[102:103], v[92:93], 1.0
; %bb.291:
	s_or_b64 exec, exec, s[0:1]
	v_cmp_ne_u32_e32 vcc, v97, v94
	s_and_saveexec_b64 s[0:1], vcc
	s_xor_b64 s[0:1], exec, s[0:1]
	s_cbranch_execz .LBB86_297
; %bb.292:
	v_cmp_eq_u32_e32 vcc, 17, v97
	s_and_saveexec_b64 s[2:3], vcc
	s_cbranch_execz .LBB86_296
; %bb.293:
	v_cmp_ne_u32_e32 vcc, 17, v94
	s_xor_b64 s[14:15], s[6:7], -1
	s_and_b64 s[16:17], s[14:15], vcc
	s_and_saveexec_b64 s[14:15], s[16:17]
	s_cbranch_execz .LBB86_295
; %bb.294:
	v_ashrrev_i32_e32 v95, 31, v94
	v_lshlrev_b64 v[102:103], 2, v[94:95]
	v_add_co_u32_e32 v102, vcc, v4, v102
	v_addc_co_u32_e32 v103, vcc, v5, v103, vcc
	flat_load_dword v95, v[102:103]
	flat_load_dword v97, v[4:5] offset:68
	s_waitcnt vmcnt(0) lgkmcnt(0)
	flat_store_dword v[4:5], v95 offset:68
	flat_store_dword v[102:103], v97
.LBB86_295:
	s_or_b64 exec, exec, s[14:15]
	v_mov_b32_e32 v95, v94
	v_mov_b32_e32 v97, v94
.LBB86_296:
	s_or_b64 exec, exec, s[2:3]
.LBB86_297:
	s_andn2_saveexec_b64 s[0:1], s[0:1]
	s_cbranch_execz .LBB86_299
; %bb.298:
	v_mov_b32_e32 v102, v52
	v_mov_b32_e32 v103, v53
	v_mov_b32_e32 v104, v50
	v_mov_b32_e32 v105, v51
	ds_write2_b64 v96, v[102:103], v[104:105] offset0:18 offset1:19
	v_mov_b32_e32 v102, v48
	v_mov_b32_e32 v103, v49
	v_mov_b32_e32 v104, v46
	v_mov_b32_e32 v105, v47
	ds_write2_b64 v96, v[102:103], v[104:105] offset0:20 offset1:21
	;; [unrolled: 5-line block ×12, first 2 shown]
	v_mov_b32_e32 v102, v0
	v_mov_b32_e32 v103, v1
	;; [unrolled: 1-line block ×3, first 2 shown]
	ds_write2_b64 v96, v[102:103], v[90:91] offset0:42 offset1:43
.LBB86_299:
	s_or_b64 exec, exec, s[0:1]
	v_cmp_lt_i32_e32 vcc, 17, v97
	s_waitcnt lgkmcnt(0)
	s_barrier
	s_and_saveexec_b64 s[0:1], vcc
	s_cbranch_execz .LBB86_301
; %bb.300:
	ds_read2_b64 v[102:105], v96 offset0:18 offset1:19
	ds_read2_b64 v[106:109], v96 offset0:20 offset1:21
	v_mul_f64 v[54:55], v[92:93], v[54:55]
	ds_read2_b64 v[110:113], v96 offset0:22 offset1:23
	s_waitcnt lgkmcnt(0)
	v_fma_f64 v[52:53], -v[54:55], v[102:103], v[52:53]
	v_fma_f64 v[50:51], -v[54:55], v[104:105], v[50:51]
	ds_read2_b64 v[102:105], v96 offset0:24 offset1:25
	v_fma_f64 v[48:49], -v[54:55], v[106:107], v[48:49]
	v_fma_f64 v[46:47], -v[54:55], v[108:109], v[46:47]
	;; [unrolled: 1-line block ×3, first 2 shown]
	ds_read2_b64 v[106:109], v96 offset0:26 offset1:27
	v_fma_f64 v[42:43], -v[54:55], v[112:113], v[42:43]
	ds_read2_b64 v[110:113], v96 offset0:28 offset1:29
	s_waitcnt lgkmcnt(0)
	v_fma_f64 v[40:41], -v[54:55], v[102:103], v[40:41]
	v_fma_f64 v[38:39], -v[54:55], v[104:105], v[38:39]
	ds_read2_b64 v[102:105], v96 offset0:30 offset1:31
	v_fma_f64 v[36:37], -v[54:55], v[106:107], v[36:37]
	v_fma_f64 v[34:35], -v[54:55], v[108:109], v[34:35]
	ds_read2_b64 v[106:109], v96 offset0:32 offset1:33
	v_fma_f64 v[32:33], -v[54:55], v[110:111], v[32:33]
	v_fma_f64 v[28:29], -v[54:55], v[112:113], v[28:29]
	s_waitcnt lgkmcnt(0)
	v_fma_f64 v[30:31], -v[54:55], v[102:103], v[30:31]
	ds_read2_b64 v[110:113], v96 offset0:34 offset1:35
	v_fma_f64 v[26:27], -v[54:55], v[104:105], v[26:27]
	ds_read2_b64 v[102:105], v96 offset0:36 offset1:37
	v_fma_f64 v[24:25], -v[54:55], v[106:107], v[24:25]
	v_fma_f64 v[22:23], -v[54:55], v[108:109], v[22:23]
	s_waitcnt lgkmcnt(0)
	v_fma_f64 v[20:21], -v[54:55], v[110:111], v[20:21]
	v_fma_f64 v[18:19], -v[54:55], v[112:113], v[18:19]
	ds_read2_b64 v[106:109], v96 offset0:38 offset1:39
	ds_read2_b64 v[110:113], v96 offset0:40 offset1:41
	v_fma_f64 v[16:17], -v[54:55], v[102:103], v[16:17]
	v_fma_f64 v[14:15], -v[54:55], v[104:105], v[14:15]
	ds_read2_b64 v[102:105], v96 offset0:42 offset1:43
	s_waitcnt lgkmcnt(0)
	v_fma_f64 v[12:13], -v[54:55], v[106:107], v[12:13]
	v_fma_f64 v[10:11], -v[54:55], v[108:109], v[10:11]
	;; [unrolled: 1-line block ×6, first 2 shown]
.LBB86_301:
	s_or_b64 exec, exec, s[0:1]
	v_lshl_add_u32 v92, v97, 3, v96
	s_barrier
	ds_write_b64 v92, v[52:53]
	s_waitcnt lgkmcnt(0)
	s_barrier
	ds_read_b64 v[92:93], v96 offset:144
	s_cmp_lt_i32 s18, 20
	v_mov_b32_e32 v94, 18
	s_cbranch_scc1 .LBB86_304
; %bb.302:
	v_add_u32_e32 v101, 0x98, v96
	s_mov_b32 s0, 19
	v_mov_b32_e32 v94, 18
.LBB86_303:                             ; =>This Inner Loop Header: Depth=1
	ds_read_b64 v[102:103], v101
	v_mov_b32_e32 v104, s0
	s_add_i32 s0, s0, 1
	v_add_u32_e32 v101, 8, v101
	s_cmp_lg_u32 s18, s0
	s_waitcnt lgkmcnt(0)
	v_cmp_lt_f64_e64 vcc, |v[92:93]|, |v[102:103]|
	v_cndmask_b32_e32 v93, v93, v103, vcc
	v_cndmask_b32_e32 v92, v92, v102, vcc
	;; [unrolled: 1-line block ×3, first 2 shown]
	s_cbranch_scc1 .LBB86_303
.LBB86_304:
	s_waitcnt lgkmcnt(0)
	v_cmp_eq_f64_e32 vcc, 0, v[92:93]
	s_and_saveexec_b64 s[0:1], vcc
	s_xor_b64 s[0:1], exec, s[0:1]
; %bb.305:
	v_cmp_ne_u32_e32 vcc, 0, v100
	v_cndmask_b32_e32 v100, 19, v100, vcc
; %bb.306:
	s_andn2_saveexec_b64 s[0:1], s[0:1]
; %bb.307:
	v_div_scale_f64 v[102:103], s[2:3], v[92:93], v[92:93], 1.0
	v_rcp_f64_e32 v[104:105], v[102:103]
	v_div_scale_f64 v[106:107], vcc, 1.0, v[92:93], 1.0
	v_fma_f64 v[108:109], -v[102:103], v[104:105], 1.0
	v_fmac_f64_e32 v[104:105], v[104:105], v[108:109]
	v_fma_f64 v[108:109], -v[102:103], v[104:105], 1.0
	v_fmac_f64_e32 v[104:105], v[104:105], v[108:109]
	v_mul_f64 v[108:109], v[106:107], v[104:105]
	v_fma_f64 v[102:103], -v[102:103], v[108:109], v[106:107]
	v_div_fmas_f64 v[102:103], v[102:103], v[104:105], v[108:109]
	v_div_fixup_f64 v[92:93], v[102:103], v[92:93], 1.0
; %bb.308:
	s_or_b64 exec, exec, s[0:1]
	v_cmp_ne_u32_e32 vcc, v97, v94
	s_and_saveexec_b64 s[0:1], vcc
	s_xor_b64 s[0:1], exec, s[0:1]
	s_cbranch_execz .LBB86_314
; %bb.309:
	v_cmp_eq_u32_e32 vcc, 18, v97
	s_and_saveexec_b64 s[2:3], vcc
	s_cbranch_execz .LBB86_313
; %bb.310:
	v_cmp_ne_u32_e32 vcc, 18, v94
	s_xor_b64 s[14:15], s[6:7], -1
	s_and_b64 s[16:17], s[14:15], vcc
	s_and_saveexec_b64 s[14:15], s[16:17]
	s_cbranch_execz .LBB86_312
; %bb.311:
	v_ashrrev_i32_e32 v95, 31, v94
	v_lshlrev_b64 v[102:103], 2, v[94:95]
	v_add_co_u32_e32 v102, vcc, v4, v102
	v_addc_co_u32_e32 v103, vcc, v5, v103, vcc
	flat_load_dword v95, v[102:103]
	flat_load_dword v97, v[4:5] offset:72
	s_waitcnt vmcnt(0) lgkmcnt(0)
	flat_store_dword v[4:5], v95 offset:72
	flat_store_dword v[102:103], v97
.LBB86_312:
	s_or_b64 exec, exec, s[14:15]
	v_mov_b32_e32 v95, v94
	v_mov_b32_e32 v97, v94
.LBB86_313:
	s_or_b64 exec, exec, s[2:3]
.LBB86_314:
	s_andn2_saveexec_b64 s[0:1], s[0:1]
	s_cbranch_execz .LBB86_316
; %bb.315:
	v_mov_b32_e32 v97, 18
	ds_write2_b64 v96, v[50:51], v[48:49] offset0:19 offset1:20
	ds_write2_b64 v96, v[46:47], v[44:45] offset0:21 offset1:22
	;; [unrolled: 1-line block ×12, first 2 shown]
	ds_write_b64 v96, v[90:91] offset:344
.LBB86_316:
	s_or_b64 exec, exec, s[0:1]
	v_cmp_lt_i32_e32 vcc, 18, v97
	s_waitcnt lgkmcnt(0)
	s_barrier
	s_and_saveexec_b64 s[0:1], vcc
	s_cbranch_execz .LBB86_318
; %bb.317:
	ds_read2_b64 v[102:105], v96 offset0:19 offset1:20
	ds_read2_b64 v[106:109], v96 offset0:21 offset1:22
	;; [unrolled: 1-line block ×3, first 2 shown]
	v_mul_f64 v[52:53], v[92:93], v[52:53]
	ds_read_b64 v[92:93], v96 offset:344
	s_waitcnt lgkmcnt(0)
	v_fma_f64 v[50:51], -v[52:53], v[102:103], v[50:51]
	v_fma_f64 v[48:49], -v[52:53], v[104:105], v[48:49]
	ds_read2_b64 v[102:105], v96 offset0:25 offset1:26
	v_fma_f64 v[46:47], -v[52:53], v[106:107], v[46:47]
	v_fma_f64 v[44:45], -v[52:53], v[108:109], v[44:45]
	;; [unrolled: 1-line block ×3, first 2 shown]
	ds_read2_b64 v[106:109], v96 offset0:27 offset1:28
	v_fma_f64 v[40:41], -v[52:53], v[112:113], v[40:41]
	ds_read2_b64 v[110:113], v96 offset0:29 offset1:30
	s_waitcnt lgkmcnt(0)
	v_fma_f64 v[38:39], -v[52:53], v[102:103], v[38:39]
	v_fma_f64 v[36:37], -v[52:53], v[104:105], v[36:37]
	;; [unrolled: 1-line block ×3, first 2 shown]
	ds_read2_b64 v[102:105], v96 offset0:31 offset1:32
	v_fma_f64 v[32:33], -v[52:53], v[108:109], v[32:33]
	ds_read2_b64 v[106:109], v96 offset0:33 offset1:34
	v_fma_f64 v[28:29], -v[52:53], v[110:111], v[28:29]
	v_fma_f64 v[30:31], -v[52:53], v[112:113], v[30:31]
	ds_read2_b64 v[110:113], v96 offset0:35 offset1:36
	s_waitcnt lgkmcnt(0)
	v_fma_f64 v[26:27], -v[52:53], v[102:103], v[26:27]
	v_fma_f64 v[24:25], -v[52:53], v[104:105], v[24:25]
	ds_read2_b64 v[102:105], v96 offset0:37 offset1:38
	v_fma_f64 v[22:23], -v[52:53], v[106:107], v[22:23]
	v_fma_f64 v[20:21], -v[52:53], v[108:109], v[20:21]
	;; [unrolled: 1-line block ×4, first 2 shown]
	ds_read2_b64 v[106:109], v96 offset0:39 offset1:40
	ds_read2_b64 v[110:113], v96 offset0:41 offset1:42
	s_waitcnt lgkmcnt(0)
	v_fma_f64 v[14:15], -v[52:53], v[102:103], v[14:15]
	v_fma_f64 v[12:13], -v[52:53], v[104:105], v[12:13]
	;; [unrolled: 1-line block ×7, first 2 shown]
.LBB86_318:
	s_or_b64 exec, exec, s[0:1]
	v_lshl_add_u32 v92, v97, 3, v96
	s_barrier
	ds_write_b64 v92, v[50:51]
	s_waitcnt lgkmcnt(0)
	s_barrier
	ds_read_b64 v[92:93], v96 offset:152
	s_cmp_lt_i32 s18, 21
	v_mov_b32_e32 v94, 19
	s_cbranch_scc1 .LBB86_321
; %bb.319:
	v_add_u32_e32 v101, 0xa0, v96
	s_mov_b32 s0, 20
	v_mov_b32_e32 v94, 19
.LBB86_320:                             ; =>This Inner Loop Header: Depth=1
	ds_read_b64 v[102:103], v101
	v_mov_b32_e32 v104, s0
	s_add_i32 s0, s0, 1
	v_add_u32_e32 v101, 8, v101
	s_cmp_lg_u32 s18, s0
	s_waitcnt lgkmcnt(0)
	v_cmp_lt_f64_e64 vcc, |v[92:93]|, |v[102:103]|
	v_cndmask_b32_e32 v93, v93, v103, vcc
	v_cndmask_b32_e32 v92, v92, v102, vcc
	v_cndmask_b32_e32 v94, v94, v104, vcc
	s_cbranch_scc1 .LBB86_320
.LBB86_321:
	s_waitcnt lgkmcnt(0)
	v_cmp_eq_f64_e32 vcc, 0, v[92:93]
	s_and_saveexec_b64 s[0:1], vcc
	s_xor_b64 s[0:1], exec, s[0:1]
; %bb.322:
	v_cmp_ne_u32_e32 vcc, 0, v100
	v_cndmask_b32_e32 v100, 20, v100, vcc
; %bb.323:
	s_andn2_saveexec_b64 s[0:1], s[0:1]
; %bb.324:
	v_div_scale_f64 v[102:103], s[2:3], v[92:93], v[92:93], 1.0
	v_rcp_f64_e32 v[104:105], v[102:103]
	v_div_scale_f64 v[106:107], vcc, 1.0, v[92:93], 1.0
	v_fma_f64 v[108:109], -v[102:103], v[104:105], 1.0
	v_fmac_f64_e32 v[104:105], v[104:105], v[108:109]
	v_fma_f64 v[108:109], -v[102:103], v[104:105], 1.0
	v_fmac_f64_e32 v[104:105], v[104:105], v[108:109]
	v_mul_f64 v[108:109], v[106:107], v[104:105]
	v_fma_f64 v[102:103], -v[102:103], v[108:109], v[106:107]
	v_div_fmas_f64 v[102:103], v[102:103], v[104:105], v[108:109]
	v_div_fixup_f64 v[92:93], v[102:103], v[92:93], 1.0
; %bb.325:
	s_or_b64 exec, exec, s[0:1]
	v_cmp_ne_u32_e32 vcc, v97, v94
	s_and_saveexec_b64 s[0:1], vcc
	s_xor_b64 s[0:1], exec, s[0:1]
	s_cbranch_execz .LBB86_331
; %bb.326:
	v_cmp_eq_u32_e32 vcc, 19, v97
	s_and_saveexec_b64 s[2:3], vcc
	s_cbranch_execz .LBB86_330
; %bb.327:
	v_cmp_ne_u32_e32 vcc, 19, v94
	s_xor_b64 s[14:15], s[6:7], -1
	s_and_b64 s[16:17], s[14:15], vcc
	s_and_saveexec_b64 s[14:15], s[16:17]
	s_cbranch_execz .LBB86_329
; %bb.328:
	v_ashrrev_i32_e32 v95, 31, v94
	v_lshlrev_b64 v[102:103], 2, v[94:95]
	v_add_co_u32_e32 v102, vcc, v4, v102
	v_addc_co_u32_e32 v103, vcc, v5, v103, vcc
	flat_load_dword v95, v[102:103]
	flat_load_dword v97, v[4:5] offset:76
	s_waitcnt vmcnt(0) lgkmcnt(0)
	flat_store_dword v[4:5], v95 offset:76
	flat_store_dword v[102:103], v97
.LBB86_329:
	s_or_b64 exec, exec, s[14:15]
	v_mov_b32_e32 v95, v94
	v_mov_b32_e32 v97, v94
.LBB86_330:
	s_or_b64 exec, exec, s[2:3]
.LBB86_331:
	s_andn2_saveexec_b64 s[0:1], s[0:1]
	s_cbranch_execz .LBB86_333
; %bb.332:
	v_mov_b32_e32 v102, v48
	v_mov_b32_e32 v103, v49
	v_mov_b32_e32 v104, v46
	v_mov_b32_e32 v105, v47
	ds_write2_b64 v96, v[102:103], v[104:105] offset0:20 offset1:21
	v_mov_b32_e32 v102, v44
	v_mov_b32_e32 v103, v45
	v_mov_b32_e32 v104, v42
	v_mov_b32_e32 v105, v43
	ds_write2_b64 v96, v[102:103], v[104:105] offset0:22 offset1:23
	;; [unrolled: 5-line block ×11, first 2 shown]
	v_mov_b32_e32 v102, v0
	v_mov_b32_e32 v103, v1
	;; [unrolled: 1-line block ×3, first 2 shown]
	ds_write2_b64 v96, v[102:103], v[90:91] offset0:42 offset1:43
.LBB86_333:
	s_or_b64 exec, exec, s[0:1]
	v_cmp_lt_i32_e32 vcc, 19, v97
	s_waitcnt lgkmcnt(0)
	s_barrier
	s_and_saveexec_b64 s[0:1], vcc
	s_cbranch_execz .LBB86_335
; %bb.334:
	ds_read2_b64 v[102:105], v96 offset0:20 offset1:21
	ds_read2_b64 v[106:109], v96 offset0:22 offset1:23
	;; [unrolled: 1-line block ×3, first 2 shown]
	v_mul_f64 v[50:51], v[92:93], v[50:51]
	s_waitcnt lgkmcnt(0)
	v_fma_f64 v[48:49], -v[50:51], v[102:103], v[48:49]
	v_fma_f64 v[46:47], -v[50:51], v[104:105], v[46:47]
	ds_read2_b64 v[102:105], v96 offset0:26 offset1:27
	v_fma_f64 v[44:45], -v[50:51], v[106:107], v[44:45]
	v_fma_f64 v[42:43], -v[50:51], v[108:109], v[42:43]
	;; [unrolled: 1-line block ×3, first 2 shown]
	ds_read2_b64 v[106:109], v96 offset0:28 offset1:29
	v_fma_f64 v[38:39], -v[50:51], v[112:113], v[38:39]
	ds_read2_b64 v[110:113], v96 offset0:30 offset1:31
	s_waitcnt lgkmcnt(0)
	v_fma_f64 v[36:37], -v[50:51], v[102:103], v[36:37]
	v_fma_f64 v[34:35], -v[50:51], v[104:105], v[34:35]
	;; [unrolled: 1-line block ×3, first 2 shown]
	ds_read2_b64 v[102:105], v96 offset0:32 offset1:33
	v_fma_f64 v[28:29], -v[50:51], v[108:109], v[28:29]
	ds_read2_b64 v[106:109], v96 offset0:34 offset1:35
	v_fma_f64 v[30:31], -v[50:51], v[110:111], v[30:31]
	v_fma_f64 v[26:27], -v[50:51], v[112:113], v[26:27]
	ds_read2_b64 v[110:113], v96 offset0:36 offset1:37
	s_waitcnt lgkmcnt(0)
	v_fma_f64 v[24:25], -v[50:51], v[102:103], v[24:25]
	v_fma_f64 v[22:23], -v[50:51], v[104:105], v[22:23]
	ds_read2_b64 v[102:105], v96 offset0:38 offset1:39
	v_fma_f64 v[20:21], -v[50:51], v[106:107], v[20:21]
	v_fma_f64 v[18:19], -v[50:51], v[108:109], v[18:19]
	v_fma_f64 v[16:17], -v[50:51], v[110:111], v[16:17]
	ds_read2_b64 v[106:109], v96 offset0:40 offset1:41
	v_fma_f64 v[14:15], -v[50:51], v[112:113], v[14:15]
	ds_read2_b64 v[110:113], v96 offset0:42 offset1:43
	s_waitcnt lgkmcnt(0)
	v_fma_f64 v[12:13], -v[50:51], v[102:103], v[12:13]
	v_fma_f64 v[10:11], -v[50:51], v[104:105], v[10:11]
	;; [unrolled: 1-line block ×6, first 2 shown]
.LBB86_335:
	s_or_b64 exec, exec, s[0:1]
	v_lshl_add_u32 v92, v97, 3, v96
	s_barrier
	ds_write_b64 v92, v[48:49]
	s_waitcnt lgkmcnt(0)
	s_barrier
	ds_read_b64 v[92:93], v96 offset:160
	s_cmp_lt_i32 s18, 22
	v_mov_b32_e32 v94, 20
	s_cbranch_scc1 .LBB86_338
; %bb.336:
	v_add_u32_e32 v101, 0xa8, v96
	s_mov_b32 s0, 21
	v_mov_b32_e32 v94, 20
.LBB86_337:                             ; =>This Inner Loop Header: Depth=1
	ds_read_b64 v[102:103], v101
	v_mov_b32_e32 v104, s0
	s_add_i32 s0, s0, 1
	v_add_u32_e32 v101, 8, v101
	s_cmp_lg_u32 s18, s0
	s_waitcnt lgkmcnt(0)
	v_cmp_lt_f64_e64 vcc, |v[92:93]|, |v[102:103]|
	v_cndmask_b32_e32 v93, v93, v103, vcc
	v_cndmask_b32_e32 v92, v92, v102, vcc
	;; [unrolled: 1-line block ×3, first 2 shown]
	s_cbranch_scc1 .LBB86_337
.LBB86_338:
	s_waitcnt lgkmcnt(0)
	v_cmp_eq_f64_e32 vcc, 0, v[92:93]
	s_and_saveexec_b64 s[0:1], vcc
	s_xor_b64 s[0:1], exec, s[0:1]
; %bb.339:
	v_cmp_ne_u32_e32 vcc, 0, v100
	v_cndmask_b32_e32 v100, 21, v100, vcc
; %bb.340:
	s_andn2_saveexec_b64 s[0:1], s[0:1]
; %bb.341:
	v_div_scale_f64 v[102:103], s[2:3], v[92:93], v[92:93], 1.0
	v_rcp_f64_e32 v[104:105], v[102:103]
	v_div_scale_f64 v[106:107], vcc, 1.0, v[92:93], 1.0
	v_fma_f64 v[108:109], -v[102:103], v[104:105], 1.0
	v_fmac_f64_e32 v[104:105], v[104:105], v[108:109]
	v_fma_f64 v[108:109], -v[102:103], v[104:105], 1.0
	v_fmac_f64_e32 v[104:105], v[104:105], v[108:109]
	v_mul_f64 v[108:109], v[106:107], v[104:105]
	v_fma_f64 v[102:103], -v[102:103], v[108:109], v[106:107]
	v_div_fmas_f64 v[102:103], v[102:103], v[104:105], v[108:109]
	v_div_fixup_f64 v[92:93], v[102:103], v[92:93], 1.0
; %bb.342:
	s_or_b64 exec, exec, s[0:1]
	v_cmp_ne_u32_e32 vcc, v97, v94
	s_and_saveexec_b64 s[0:1], vcc
	s_xor_b64 s[0:1], exec, s[0:1]
	s_cbranch_execz .LBB86_348
; %bb.343:
	v_cmp_eq_u32_e32 vcc, 20, v97
	s_and_saveexec_b64 s[2:3], vcc
	s_cbranch_execz .LBB86_347
; %bb.344:
	v_cmp_ne_u32_e32 vcc, 20, v94
	s_xor_b64 s[14:15], s[6:7], -1
	s_and_b64 s[16:17], s[14:15], vcc
	s_and_saveexec_b64 s[14:15], s[16:17]
	s_cbranch_execz .LBB86_346
; %bb.345:
	v_ashrrev_i32_e32 v95, 31, v94
	v_lshlrev_b64 v[102:103], 2, v[94:95]
	v_add_co_u32_e32 v102, vcc, v4, v102
	v_addc_co_u32_e32 v103, vcc, v5, v103, vcc
	flat_load_dword v95, v[102:103]
	flat_load_dword v97, v[4:5] offset:80
	s_waitcnt vmcnt(0) lgkmcnt(0)
	flat_store_dword v[4:5], v95 offset:80
	flat_store_dword v[102:103], v97
.LBB86_346:
	s_or_b64 exec, exec, s[14:15]
	v_mov_b32_e32 v95, v94
	v_mov_b32_e32 v97, v94
.LBB86_347:
	s_or_b64 exec, exec, s[2:3]
.LBB86_348:
	s_andn2_saveexec_b64 s[0:1], s[0:1]
	s_cbranch_execz .LBB86_350
; %bb.349:
	v_mov_b32_e32 v97, 20
	ds_write2_b64 v96, v[46:47], v[44:45] offset0:21 offset1:22
	ds_write2_b64 v96, v[42:43], v[40:41] offset0:23 offset1:24
	;; [unrolled: 1-line block ×11, first 2 shown]
	ds_write_b64 v96, v[90:91] offset:344
.LBB86_350:
	s_or_b64 exec, exec, s[0:1]
	v_cmp_lt_i32_e32 vcc, 20, v97
	s_waitcnt lgkmcnt(0)
	s_barrier
	s_and_saveexec_b64 s[0:1], vcc
	s_cbranch_execz .LBB86_352
; %bb.351:
	ds_read2_b64 v[102:105], v96 offset0:21 offset1:22
	ds_read2_b64 v[106:109], v96 offset0:23 offset1:24
	v_mul_f64 v[48:49], v[92:93], v[48:49]
	ds_read2_b64 v[110:113], v96 offset0:25 offset1:26
	ds_read_b64 v[92:93], v96 offset:344
	s_waitcnt lgkmcnt(0)
	v_fma_f64 v[46:47], -v[48:49], v[102:103], v[46:47]
	v_fma_f64 v[44:45], -v[48:49], v[104:105], v[44:45]
	ds_read2_b64 v[102:105], v96 offset0:27 offset1:28
	v_fma_f64 v[42:43], -v[48:49], v[106:107], v[42:43]
	v_fma_f64 v[40:41], -v[48:49], v[108:109], v[40:41]
	ds_read2_b64 v[106:109], v96 offset0:29 offset1:30
	v_fma_f64 v[38:39], -v[48:49], v[110:111], v[38:39]
	v_fma_f64 v[36:37], -v[48:49], v[112:113], v[36:37]
	ds_read2_b64 v[110:113], v96 offset0:31 offset1:32
	s_waitcnt lgkmcnt(0)
	v_fma_f64 v[34:35], -v[48:49], v[102:103], v[34:35]
	v_fma_f64 v[32:33], -v[48:49], v[104:105], v[32:33]
	;; [unrolled: 1-line block ×3, first 2 shown]
	ds_read2_b64 v[102:105], v96 offset0:33 offset1:34
	v_fma_f64 v[30:31], -v[48:49], v[108:109], v[30:31]
	ds_read2_b64 v[106:109], v96 offset0:35 offset1:36
	v_fma_f64 v[26:27], -v[48:49], v[110:111], v[26:27]
	v_fma_f64 v[24:25], -v[48:49], v[112:113], v[24:25]
	s_waitcnt lgkmcnt(0)
	v_fma_f64 v[22:23], -v[48:49], v[102:103], v[22:23]
	ds_read2_b64 v[110:113], v96 offset0:37 offset1:38
	v_fma_f64 v[20:21], -v[48:49], v[104:105], v[20:21]
	ds_read2_b64 v[102:105], v96 offset0:39 offset1:40
	v_fma_f64 v[18:19], -v[48:49], v[106:107], v[18:19]
	v_fma_f64 v[16:17], -v[48:49], v[108:109], v[16:17]
	ds_read2_b64 v[106:109], v96 offset0:41 offset1:42
	s_waitcnt lgkmcnt(0)
	v_fma_f64 v[14:15], -v[48:49], v[110:111], v[14:15]
	v_fma_f64 v[12:13], -v[48:49], v[112:113], v[12:13]
	;; [unrolled: 1-line block ×7, first 2 shown]
.LBB86_352:
	s_or_b64 exec, exec, s[0:1]
	v_lshl_add_u32 v92, v97, 3, v96
	s_barrier
	ds_write_b64 v92, v[46:47]
	s_waitcnt lgkmcnt(0)
	s_barrier
	ds_read_b64 v[92:93], v96 offset:168
	s_cmp_lt_i32 s18, 23
	v_mov_b32_e32 v94, 21
	s_cbranch_scc1 .LBB86_355
; %bb.353:
	v_add_u32_e32 v101, 0xb0, v96
	s_mov_b32 s0, 22
	v_mov_b32_e32 v94, 21
.LBB86_354:                             ; =>This Inner Loop Header: Depth=1
	ds_read_b64 v[102:103], v101
	v_mov_b32_e32 v104, s0
	s_add_i32 s0, s0, 1
	v_add_u32_e32 v101, 8, v101
	s_cmp_lg_u32 s18, s0
	s_waitcnt lgkmcnt(0)
	v_cmp_lt_f64_e64 vcc, |v[92:93]|, |v[102:103]|
	v_cndmask_b32_e32 v93, v93, v103, vcc
	v_cndmask_b32_e32 v92, v92, v102, vcc
	;; [unrolled: 1-line block ×3, first 2 shown]
	s_cbranch_scc1 .LBB86_354
.LBB86_355:
	s_waitcnt lgkmcnt(0)
	v_cmp_eq_f64_e32 vcc, 0, v[92:93]
	s_and_saveexec_b64 s[0:1], vcc
	s_xor_b64 s[0:1], exec, s[0:1]
; %bb.356:
	v_cmp_ne_u32_e32 vcc, 0, v100
	v_cndmask_b32_e32 v100, 22, v100, vcc
; %bb.357:
	s_andn2_saveexec_b64 s[0:1], s[0:1]
; %bb.358:
	v_div_scale_f64 v[102:103], s[2:3], v[92:93], v[92:93], 1.0
	v_rcp_f64_e32 v[104:105], v[102:103]
	v_div_scale_f64 v[106:107], vcc, 1.0, v[92:93], 1.0
	v_fma_f64 v[108:109], -v[102:103], v[104:105], 1.0
	v_fmac_f64_e32 v[104:105], v[104:105], v[108:109]
	v_fma_f64 v[108:109], -v[102:103], v[104:105], 1.0
	v_fmac_f64_e32 v[104:105], v[104:105], v[108:109]
	v_mul_f64 v[108:109], v[106:107], v[104:105]
	v_fma_f64 v[102:103], -v[102:103], v[108:109], v[106:107]
	v_div_fmas_f64 v[102:103], v[102:103], v[104:105], v[108:109]
	v_div_fixup_f64 v[92:93], v[102:103], v[92:93], 1.0
; %bb.359:
	s_or_b64 exec, exec, s[0:1]
	v_cmp_ne_u32_e32 vcc, v97, v94
	s_and_saveexec_b64 s[0:1], vcc
	s_xor_b64 s[0:1], exec, s[0:1]
	s_cbranch_execz .LBB86_365
; %bb.360:
	v_cmp_eq_u32_e32 vcc, 21, v97
	s_and_saveexec_b64 s[2:3], vcc
	s_cbranch_execz .LBB86_364
; %bb.361:
	v_cmp_ne_u32_e32 vcc, 21, v94
	s_xor_b64 s[14:15], s[6:7], -1
	s_and_b64 s[16:17], s[14:15], vcc
	s_and_saveexec_b64 s[14:15], s[16:17]
	s_cbranch_execz .LBB86_363
; %bb.362:
	v_ashrrev_i32_e32 v95, 31, v94
	v_lshlrev_b64 v[102:103], 2, v[94:95]
	v_add_co_u32_e32 v102, vcc, v4, v102
	v_addc_co_u32_e32 v103, vcc, v5, v103, vcc
	flat_load_dword v95, v[102:103]
	flat_load_dword v97, v[4:5] offset:84
	s_waitcnt vmcnt(0) lgkmcnt(0)
	flat_store_dword v[4:5], v95 offset:84
	flat_store_dword v[102:103], v97
.LBB86_363:
	s_or_b64 exec, exec, s[14:15]
	v_mov_b32_e32 v95, v94
	v_mov_b32_e32 v97, v94
.LBB86_364:
	s_or_b64 exec, exec, s[2:3]
.LBB86_365:
	s_andn2_saveexec_b64 s[0:1], s[0:1]
	s_cbranch_execz .LBB86_367
; %bb.366:
	v_mov_b32_e32 v102, v44
	v_mov_b32_e32 v103, v45
	v_mov_b32_e32 v104, v42
	v_mov_b32_e32 v105, v43
	ds_write2_b64 v96, v[102:103], v[104:105] offset0:22 offset1:23
	v_mov_b32_e32 v102, v40
	v_mov_b32_e32 v103, v41
	v_mov_b32_e32 v104, v38
	v_mov_b32_e32 v105, v39
	ds_write2_b64 v96, v[102:103], v[104:105] offset0:24 offset1:25
	;; [unrolled: 5-line block ×10, first 2 shown]
	v_mov_b32_e32 v102, v0
	v_mov_b32_e32 v103, v1
	;; [unrolled: 1-line block ×3, first 2 shown]
	ds_write2_b64 v96, v[102:103], v[90:91] offset0:42 offset1:43
.LBB86_367:
	s_or_b64 exec, exec, s[0:1]
	v_cmp_lt_i32_e32 vcc, 21, v97
	s_waitcnt lgkmcnt(0)
	s_barrier
	s_and_saveexec_b64 s[0:1], vcc
	s_cbranch_execz .LBB86_369
; %bb.368:
	ds_read2_b64 v[102:105], v96 offset0:22 offset1:23
	ds_read2_b64 v[106:109], v96 offset0:24 offset1:25
	v_mul_f64 v[46:47], v[92:93], v[46:47]
	ds_read2_b64 v[110:113], v96 offset0:26 offset1:27
	s_waitcnt lgkmcnt(0)
	v_fma_f64 v[44:45], -v[46:47], v[102:103], v[44:45]
	v_fma_f64 v[42:43], -v[46:47], v[104:105], v[42:43]
	ds_read2_b64 v[102:105], v96 offset0:28 offset1:29
	v_fma_f64 v[40:41], -v[46:47], v[106:107], v[40:41]
	v_fma_f64 v[38:39], -v[46:47], v[108:109], v[38:39]
	ds_read2_b64 v[106:109], v96 offset0:30 offset1:31
	v_fma_f64 v[36:37], -v[46:47], v[110:111], v[36:37]
	v_fma_f64 v[34:35], -v[46:47], v[112:113], v[34:35]
	ds_read2_b64 v[110:113], v96 offset0:32 offset1:33
	s_waitcnt lgkmcnt(0)
	v_fma_f64 v[32:33], -v[46:47], v[102:103], v[32:33]
	v_fma_f64 v[28:29], -v[46:47], v[104:105], v[28:29]
	;; [unrolled: 1-line block ×3, first 2 shown]
	ds_read2_b64 v[102:105], v96 offset0:34 offset1:35
	v_fma_f64 v[26:27], -v[46:47], v[108:109], v[26:27]
	ds_read2_b64 v[106:109], v96 offset0:36 offset1:37
	v_fma_f64 v[24:25], -v[46:47], v[110:111], v[24:25]
	v_fma_f64 v[22:23], -v[46:47], v[112:113], v[22:23]
	s_waitcnt lgkmcnt(0)
	v_fma_f64 v[20:21], -v[46:47], v[102:103], v[20:21]
	v_fma_f64 v[18:19], -v[46:47], v[104:105], v[18:19]
	ds_read2_b64 v[102:105], v96 offset0:38 offset1:39
	ds_read2_b64 v[110:113], v96 offset0:40 offset1:41
	v_fma_f64 v[16:17], -v[46:47], v[106:107], v[16:17]
	v_fma_f64 v[14:15], -v[46:47], v[108:109], v[14:15]
	ds_read2_b64 v[106:109], v96 offset0:42 offset1:43
	s_waitcnt lgkmcnt(0)
	v_fma_f64 v[12:13], -v[46:47], v[102:103], v[12:13]
	v_fma_f64 v[10:11], -v[46:47], v[104:105], v[10:11]
	;; [unrolled: 1-line block ×6, first 2 shown]
.LBB86_369:
	s_or_b64 exec, exec, s[0:1]
	v_lshl_add_u32 v92, v97, 3, v96
	s_barrier
	ds_write_b64 v92, v[44:45]
	s_waitcnt lgkmcnt(0)
	s_barrier
	ds_read_b64 v[92:93], v96 offset:176
	s_cmp_lt_i32 s18, 24
	v_mov_b32_e32 v94, 22
	s_cbranch_scc1 .LBB86_372
; %bb.370:
	v_add_u32_e32 v101, 0xb8, v96
	s_mov_b32 s0, 23
	v_mov_b32_e32 v94, 22
.LBB86_371:                             ; =>This Inner Loop Header: Depth=1
	ds_read_b64 v[102:103], v101
	v_mov_b32_e32 v104, s0
	s_add_i32 s0, s0, 1
	v_add_u32_e32 v101, 8, v101
	s_cmp_lg_u32 s18, s0
	s_waitcnt lgkmcnt(0)
	v_cmp_lt_f64_e64 vcc, |v[92:93]|, |v[102:103]|
	v_cndmask_b32_e32 v93, v93, v103, vcc
	v_cndmask_b32_e32 v92, v92, v102, vcc
	;; [unrolled: 1-line block ×3, first 2 shown]
	s_cbranch_scc1 .LBB86_371
.LBB86_372:
	s_waitcnt lgkmcnt(0)
	v_cmp_eq_f64_e32 vcc, 0, v[92:93]
	s_and_saveexec_b64 s[0:1], vcc
	s_xor_b64 s[0:1], exec, s[0:1]
; %bb.373:
	v_cmp_ne_u32_e32 vcc, 0, v100
	v_cndmask_b32_e32 v100, 23, v100, vcc
; %bb.374:
	s_andn2_saveexec_b64 s[0:1], s[0:1]
; %bb.375:
	v_div_scale_f64 v[102:103], s[2:3], v[92:93], v[92:93], 1.0
	v_rcp_f64_e32 v[104:105], v[102:103]
	v_div_scale_f64 v[106:107], vcc, 1.0, v[92:93], 1.0
	v_fma_f64 v[108:109], -v[102:103], v[104:105], 1.0
	v_fmac_f64_e32 v[104:105], v[104:105], v[108:109]
	v_fma_f64 v[108:109], -v[102:103], v[104:105], 1.0
	v_fmac_f64_e32 v[104:105], v[104:105], v[108:109]
	v_mul_f64 v[108:109], v[106:107], v[104:105]
	v_fma_f64 v[102:103], -v[102:103], v[108:109], v[106:107]
	v_div_fmas_f64 v[102:103], v[102:103], v[104:105], v[108:109]
	v_div_fixup_f64 v[92:93], v[102:103], v[92:93], 1.0
; %bb.376:
	s_or_b64 exec, exec, s[0:1]
	v_cmp_ne_u32_e32 vcc, v97, v94
	s_and_saveexec_b64 s[0:1], vcc
	s_xor_b64 s[0:1], exec, s[0:1]
	s_cbranch_execz .LBB86_382
; %bb.377:
	v_cmp_eq_u32_e32 vcc, 22, v97
	s_and_saveexec_b64 s[2:3], vcc
	s_cbranch_execz .LBB86_381
; %bb.378:
	v_cmp_ne_u32_e32 vcc, 22, v94
	s_xor_b64 s[14:15], s[6:7], -1
	s_and_b64 s[16:17], s[14:15], vcc
	s_and_saveexec_b64 s[14:15], s[16:17]
	s_cbranch_execz .LBB86_380
; %bb.379:
	v_ashrrev_i32_e32 v95, 31, v94
	v_lshlrev_b64 v[102:103], 2, v[94:95]
	v_add_co_u32_e32 v102, vcc, v4, v102
	v_addc_co_u32_e32 v103, vcc, v5, v103, vcc
	flat_load_dword v95, v[102:103]
	flat_load_dword v97, v[4:5] offset:88
	s_waitcnt vmcnt(0) lgkmcnt(0)
	flat_store_dword v[4:5], v95 offset:88
	flat_store_dword v[102:103], v97
.LBB86_380:
	s_or_b64 exec, exec, s[14:15]
	v_mov_b32_e32 v95, v94
	v_mov_b32_e32 v97, v94
.LBB86_381:
	s_or_b64 exec, exec, s[2:3]
.LBB86_382:
	s_andn2_saveexec_b64 s[0:1], s[0:1]
	s_cbranch_execz .LBB86_384
; %bb.383:
	v_mov_b32_e32 v97, 22
	ds_write2_b64 v96, v[42:43], v[40:41] offset0:23 offset1:24
	ds_write2_b64 v96, v[38:39], v[36:37] offset0:25 offset1:26
	;; [unrolled: 1-line block ×10, first 2 shown]
	ds_write_b64 v96, v[90:91] offset:344
.LBB86_384:
	s_or_b64 exec, exec, s[0:1]
	v_cmp_lt_i32_e32 vcc, 22, v97
	s_waitcnt lgkmcnt(0)
	s_barrier
	s_and_saveexec_b64 s[0:1], vcc
	s_cbranch_execz .LBB86_386
; %bb.385:
	ds_read2_b64 v[102:105], v96 offset0:23 offset1:24
	ds_read2_b64 v[106:109], v96 offset0:25 offset1:26
	v_mul_f64 v[44:45], v[92:93], v[44:45]
	ds_read2_b64 v[110:113], v96 offset0:27 offset1:28
	ds_read_b64 v[92:93], v96 offset:344
	s_waitcnt lgkmcnt(0)
	v_fma_f64 v[42:43], -v[44:45], v[102:103], v[42:43]
	v_fma_f64 v[40:41], -v[44:45], v[104:105], v[40:41]
	ds_read2_b64 v[102:105], v96 offset0:29 offset1:30
	v_fma_f64 v[38:39], -v[44:45], v[106:107], v[38:39]
	v_fma_f64 v[36:37], -v[44:45], v[108:109], v[36:37]
	;; [unrolled: 1-line block ×3, first 2 shown]
	ds_read2_b64 v[106:109], v96 offset0:31 offset1:32
	v_fma_f64 v[32:33], -v[44:45], v[112:113], v[32:33]
	ds_read2_b64 v[110:113], v96 offset0:33 offset1:34
	s_waitcnt lgkmcnt(0)
	v_fma_f64 v[28:29], -v[44:45], v[102:103], v[28:29]
	v_fma_f64 v[30:31], -v[44:45], v[104:105], v[30:31]
	ds_read2_b64 v[102:105], v96 offset0:35 offset1:36
	v_fma_f64 v[26:27], -v[44:45], v[106:107], v[26:27]
	v_fma_f64 v[24:25], -v[44:45], v[108:109], v[24:25]
	ds_read2_b64 v[106:109], v96 offset0:37 offset1:38
	v_fma_f64 v[22:23], -v[44:45], v[110:111], v[22:23]
	v_fma_f64 v[20:21], -v[44:45], v[112:113], v[20:21]
	s_waitcnt lgkmcnt(0)
	v_fma_f64 v[18:19], -v[44:45], v[102:103], v[18:19]
	v_fma_f64 v[16:17], -v[44:45], v[104:105], v[16:17]
	ds_read2_b64 v[102:105], v96 offset0:39 offset1:40
	ds_read2_b64 v[110:113], v96 offset0:41 offset1:42
	v_fma_f64 v[14:15], -v[44:45], v[106:107], v[14:15]
	v_fma_f64 v[12:13], -v[44:45], v[108:109], v[12:13]
	;; [unrolled: 1-line block ×3, first 2 shown]
	s_waitcnt lgkmcnt(0)
	v_fma_f64 v[10:11], -v[44:45], v[102:103], v[10:11]
	v_fma_f64 v[8:9], -v[44:45], v[104:105], v[8:9]
	;; [unrolled: 1-line block ×4, first 2 shown]
.LBB86_386:
	s_or_b64 exec, exec, s[0:1]
	v_lshl_add_u32 v92, v97, 3, v96
	s_barrier
	ds_write_b64 v92, v[42:43]
	s_waitcnt lgkmcnt(0)
	s_barrier
	ds_read_b64 v[92:93], v96 offset:184
	s_cmp_lt_i32 s18, 25
	v_mov_b32_e32 v94, 23
	s_cbranch_scc1 .LBB86_389
; %bb.387:
	v_add_u32_e32 v101, 0xc0, v96
	s_mov_b32 s0, 24
	v_mov_b32_e32 v94, 23
.LBB86_388:                             ; =>This Inner Loop Header: Depth=1
	ds_read_b64 v[102:103], v101
	v_mov_b32_e32 v104, s0
	s_add_i32 s0, s0, 1
	v_add_u32_e32 v101, 8, v101
	s_cmp_lg_u32 s18, s0
	s_waitcnt lgkmcnt(0)
	v_cmp_lt_f64_e64 vcc, |v[92:93]|, |v[102:103]|
	v_cndmask_b32_e32 v93, v93, v103, vcc
	v_cndmask_b32_e32 v92, v92, v102, vcc
	;; [unrolled: 1-line block ×3, first 2 shown]
	s_cbranch_scc1 .LBB86_388
.LBB86_389:
	s_waitcnt lgkmcnt(0)
	v_cmp_eq_f64_e32 vcc, 0, v[92:93]
	s_and_saveexec_b64 s[0:1], vcc
	s_xor_b64 s[0:1], exec, s[0:1]
; %bb.390:
	v_cmp_ne_u32_e32 vcc, 0, v100
	v_cndmask_b32_e32 v100, 24, v100, vcc
; %bb.391:
	s_andn2_saveexec_b64 s[0:1], s[0:1]
; %bb.392:
	v_div_scale_f64 v[102:103], s[2:3], v[92:93], v[92:93], 1.0
	v_rcp_f64_e32 v[104:105], v[102:103]
	v_div_scale_f64 v[106:107], vcc, 1.0, v[92:93], 1.0
	v_fma_f64 v[108:109], -v[102:103], v[104:105], 1.0
	v_fmac_f64_e32 v[104:105], v[104:105], v[108:109]
	v_fma_f64 v[108:109], -v[102:103], v[104:105], 1.0
	v_fmac_f64_e32 v[104:105], v[104:105], v[108:109]
	v_mul_f64 v[108:109], v[106:107], v[104:105]
	v_fma_f64 v[102:103], -v[102:103], v[108:109], v[106:107]
	v_div_fmas_f64 v[102:103], v[102:103], v[104:105], v[108:109]
	v_div_fixup_f64 v[92:93], v[102:103], v[92:93], 1.0
; %bb.393:
	s_or_b64 exec, exec, s[0:1]
	v_cmp_ne_u32_e32 vcc, v97, v94
	s_and_saveexec_b64 s[0:1], vcc
	s_xor_b64 s[0:1], exec, s[0:1]
	s_cbranch_execz .LBB86_399
; %bb.394:
	v_cmp_eq_u32_e32 vcc, 23, v97
	s_and_saveexec_b64 s[2:3], vcc
	s_cbranch_execz .LBB86_398
; %bb.395:
	v_cmp_ne_u32_e32 vcc, 23, v94
	s_xor_b64 s[14:15], s[6:7], -1
	s_and_b64 s[16:17], s[14:15], vcc
	s_and_saveexec_b64 s[14:15], s[16:17]
	s_cbranch_execz .LBB86_397
; %bb.396:
	v_ashrrev_i32_e32 v95, 31, v94
	v_lshlrev_b64 v[102:103], 2, v[94:95]
	v_add_co_u32_e32 v102, vcc, v4, v102
	v_addc_co_u32_e32 v103, vcc, v5, v103, vcc
	flat_load_dword v95, v[102:103]
	flat_load_dword v97, v[4:5] offset:92
	s_waitcnt vmcnt(0) lgkmcnt(0)
	flat_store_dword v[4:5], v95 offset:92
	flat_store_dword v[102:103], v97
.LBB86_397:
	s_or_b64 exec, exec, s[14:15]
	v_mov_b32_e32 v95, v94
	v_mov_b32_e32 v97, v94
.LBB86_398:
	s_or_b64 exec, exec, s[2:3]
.LBB86_399:
	s_andn2_saveexec_b64 s[0:1], s[0:1]
	s_cbranch_execz .LBB86_401
; %bb.400:
	v_mov_b32_e32 v102, v40
	v_mov_b32_e32 v103, v41
	v_mov_b32_e32 v104, v38
	v_mov_b32_e32 v105, v39
	ds_write2_b64 v96, v[102:103], v[104:105] offset0:24 offset1:25
	v_mov_b32_e32 v102, v36
	v_mov_b32_e32 v103, v37
	v_mov_b32_e32 v104, v34
	v_mov_b32_e32 v105, v35
	ds_write2_b64 v96, v[102:103], v[104:105] offset0:26 offset1:27
	;; [unrolled: 5-line block ×9, first 2 shown]
	v_mov_b32_e32 v102, v0
	v_mov_b32_e32 v103, v1
	v_mov_b32_e32 v97, 23
	ds_write2_b64 v96, v[102:103], v[90:91] offset0:42 offset1:43
.LBB86_401:
	s_or_b64 exec, exec, s[0:1]
	v_cmp_lt_i32_e32 vcc, 23, v97
	s_waitcnt lgkmcnt(0)
	s_barrier
	s_and_saveexec_b64 s[0:1], vcc
	s_cbranch_execz .LBB86_403
; %bb.402:
	ds_read2_b64 v[102:105], v96 offset0:24 offset1:25
	ds_read2_b64 v[106:109], v96 offset0:26 offset1:27
	v_mul_f64 v[42:43], v[92:93], v[42:43]
	ds_read2_b64 v[110:113], v96 offset0:28 offset1:29
	s_waitcnt lgkmcnt(0)
	v_fma_f64 v[40:41], -v[42:43], v[102:103], v[40:41]
	v_fma_f64 v[38:39], -v[42:43], v[104:105], v[38:39]
	ds_read2_b64 v[102:105], v96 offset0:30 offset1:31
	v_fma_f64 v[36:37], -v[42:43], v[106:107], v[36:37]
	v_fma_f64 v[34:35], -v[42:43], v[108:109], v[34:35]
	;; [unrolled: 1-line block ×3, first 2 shown]
	ds_read2_b64 v[106:109], v96 offset0:32 offset1:33
	v_fma_f64 v[28:29], -v[42:43], v[112:113], v[28:29]
	ds_read2_b64 v[110:113], v96 offset0:34 offset1:35
	s_waitcnt lgkmcnt(0)
	v_fma_f64 v[30:31], -v[42:43], v[102:103], v[30:31]
	v_fma_f64 v[26:27], -v[42:43], v[104:105], v[26:27]
	ds_read2_b64 v[102:105], v96 offset0:36 offset1:37
	v_fma_f64 v[24:25], -v[42:43], v[106:107], v[24:25]
	v_fma_f64 v[22:23], -v[42:43], v[108:109], v[22:23]
	ds_read2_b64 v[106:109], v96 offset0:38 offset1:39
	v_fma_f64 v[20:21], -v[42:43], v[110:111], v[20:21]
	v_fma_f64 v[18:19], -v[42:43], v[112:113], v[18:19]
	s_waitcnt lgkmcnt(0)
	v_fma_f64 v[16:17], -v[42:43], v[102:103], v[16:17]
	ds_read2_b64 v[110:113], v96 offset0:40 offset1:41
	v_fma_f64 v[14:15], -v[42:43], v[104:105], v[14:15]
	ds_read2_b64 v[102:105], v96 offset0:42 offset1:43
	v_fma_f64 v[12:13], -v[42:43], v[106:107], v[12:13]
	v_fma_f64 v[10:11], -v[42:43], v[108:109], v[10:11]
	s_waitcnt lgkmcnt(0)
	v_fma_f64 v[8:9], -v[42:43], v[110:111], v[8:9]
	v_fma_f64 v[6:7], -v[42:43], v[112:113], v[6:7]
	;; [unrolled: 1-line block ×4, first 2 shown]
.LBB86_403:
	s_or_b64 exec, exec, s[0:1]
	v_lshl_add_u32 v92, v97, 3, v96
	s_barrier
	ds_write_b64 v92, v[40:41]
	s_waitcnt lgkmcnt(0)
	s_barrier
	ds_read_b64 v[92:93], v96 offset:192
	s_cmp_lt_i32 s18, 26
	v_mov_b32_e32 v94, 24
	s_cbranch_scc1 .LBB86_406
; %bb.404:
	v_add_u32_e32 v101, 0xc8, v96
	s_mov_b32 s0, 25
	v_mov_b32_e32 v94, 24
.LBB86_405:                             ; =>This Inner Loop Header: Depth=1
	ds_read_b64 v[102:103], v101
	v_mov_b32_e32 v104, s0
	s_add_i32 s0, s0, 1
	v_add_u32_e32 v101, 8, v101
	s_cmp_lg_u32 s18, s0
	s_waitcnt lgkmcnt(0)
	v_cmp_lt_f64_e64 vcc, |v[92:93]|, |v[102:103]|
	v_cndmask_b32_e32 v93, v93, v103, vcc
	v_cndmask_b32_e32 v92, v92, v102, vcc
	;; [unrolled: 1-line block ×3, first 2 shown]
	s_cbranch_scc1 .LBB86_405
.LBB86_406:
	s_waitcnt lgkmcnt(0)
	v_cmp_eq_f64_e32 vcc, 0, v[92:93]
	s_and_saveexec_b64 s[0:1], vcc
	s_xor_b64 s[0:1], exec, s[0:1]
; %bb.407:
	v_cmp_ne_u32_e32 vcc, 0, v100
	v_cndmask_b32_e32 v100, 25, v100, vcc
; %bb.408:
	s_andn2_saveexec_b64 s[0:1], s[0:1]
; %bb.409:
	v_div_scale_f64 v[102:103], s[2:3], v[92:93], v[92:93], 1.0
	v_rcp_f64_e32 v[104:105], v[102:103]
	v_div_scale_f64 v[106:107], vcc, 1.0, v[92:93], 1.0
	v_fma_f64 v[108:109], -v[102:103], v[104:105], 1.0
	v_fmac_f64_e32 v[104:105], v[104:105], v[108:109]
	v_fma_f64 v[108:109], -v[102:103], v[104:105], 1.0
	v_fmac_f64_e32 v[104:105], v[104:105], v[108:109]
	v_mul_f64 v[108:109], v[106:107], v[104:105]
	v_fma_f64 v[102:103], -v[102:103], v[108:109], v[106:107]
	v_div_fmas_f64 v[102:103], v[102:103], v[104:105], v[108:109]
	v_div_fixup_f64 v[92:93], v[102:103], v[92:93], 1.0
; %bb.410:
	s_or_b64 exec, exec, s[0:1]
	v_cmp_ne_u32_e32 vcc, v97, v94
	s_and_saveexec_b64 s[0:1], vcc
	s_xor_b64 s[0:1], exec, s[0:1]
	s_cbranch_execz .LBB86_416
; %bb.411:
	v_cmp_eq_u32_e32 vcc, 24, v97
	s_and_saveexec_b64 s[2:3], vcc
	s_cbranch_execz .LBB86_415
; %bb.412:
	v_cmp_ne_u32_e32 vcc, 24, v94
	s_xor_b64 s[14:15], s[6:7], -1
	s_and_b64 s[16:17], s[14:15], vcc
	s_and_saveexec_b64 s[14:15], s[16:17]
	s_cbranch_execz .LBB86_414
; %bb.413:
	v_ashrrev_i32_e32 v95, 31, v94
	v_lshlrev_b64 v[102:103], 2, v[94:95]
	v_add_co_u32_e32 v102, vcc, v4, v102
	v_addc_co_u32_e32 v103, vcc, v5, v103, vcc
	flat_load_dword v95, v[102:103]
	flat_load_dword v97, v[4:5] offset:96
	s_waitcnt vmcnt(0) lgkmcnt(0)
	flat_store_dword v[4:5], v95 offset:96
	flat_store_dword v[102:103], v97
.LBB86_414:
	s_or_b64 exec, exec, s[14:15]
	v_mov_b32_e32 v95, v94
	v_mov_b32_e32 v97, v94
.LBB86_415:
	s_or_b64 exec, exec, s[2:3]
.LBB86_416:
	s_andn2_saveexec_b64 s[0:1], s[0:1]
	s_cbranch_execz .LBB86_418
; %bb.417:
	v_mov_b32_e32 v97, 24
	ds_write2_b64 v96, v[38:39], v[36:37] offset0:25 offset1:26
	ds_write2_b64 v96, v[34:35], v[32:33] offset0:27 offset1:28
	;; [unrolled: 1-line block ×9, first 2 shown]
	ds_write_b64 v96, v[90:91] offset:344
.LBB86_418:
	s_or_b64 exec, exec, s[0:1]
	v_cmp_lt_i32_e32 vcc, 24, v97
	s_waitcnt lgkmcnt(0)
	s_barrier
	s_and_saveexec_b64 s[0:1], vcc
	s_cbranch_execz .LBB86_420
; %bb.419:
	ds_read2_b64 v[102:105], v96 offset0:25 offset1:26
	ds_read2_b64 v[106:109], v96 offset0:27 offset1:28
	;; [unrolled: 1-line block ×3, first 2 shown]
	v_mul_f64 v[40:41], v[92:93], v[40:41]
	ds_read_b64 v[92:93], v96 offset:344
	s_waitcnt lgkmcnt(0)
	v_fma_f64 v[38:39], -v[40:41], v[102:103], v[38:39]
	v_fma_f64 v[36:37], -v[40:41], v[104:105], v[36:37]
	ds_read2_b64 v[102:105], v96 offset0:31 offset1:32
	v_fma_f64 v[34:35], -v[40:41], v[106:107], v[34:35]
	v_fma_f64 v[32:33], -v[40:41], v[108:109], v[32:33]
	;; [unrolled: 1-line block ×3, first 2 shown]
	ds_read2_b64 v[106:109], v96 offset0:33 offset1:34
	v_fma_f64 v[30:31], -v[40:41], v[112:113], v[30:31]
	ds_read2_b64 v[110:113], v96 offset0:35 offset1:36
	s_waitcnt lgkmcnt(0)
	v_fma_f64 v[26:27], -v[40:41], v[102:103], v[26:27]
	v_fma_f64 v[24:25], -v[40:41], v[104:105], v[24:25]
	;; [unrolled: 1-line block ×3, first 2 shown]
	ds_read2_b64 v[102:105], v96 offset0:37 offset1:38
	v_fma_f64 v[20:21], -v[40:41], v[108:109], v[20:21]
	ds_read2_b64 v[106:109], v96 offset0:39 offset1:40
	v_fma_f64 v[18:19], -v[40:41], v[110:111], v[18:19]
	v_fma_f64 v[16:17], -v[40:41], v[112:113], v[16:17]
	ds_read2_b64 v[110:113], v96 offset0:41 offset1:42
	s_waitcnt lgkmcnt(0)
	v_fma_f64 v[14:15], -v[40:41], v[102:103], v[14:15]
	v_fma_f64 v[12:13], -v[40:41], v[104:105], v[12:13]
	;; [unrolled: 1-line block ×7, first 2 shown]
.LBB86_420:
	s_or_b64 exec, exec, s[0:1]
	v_lshl_add_u32 v92, v97, 3, v96
	s_barrier
	ds_write_b64 v92, v[38:39]
	s_waitcnt lgkmcnt(0)
	s_barrier
	ds_read_b64 v[92:93], v96 offset:200
	s_cmp_lt_i32 s18, 27
	v_mov_b32_e32 v94, 25
	s_cbranch_scc1 .LBB86_423
; %bb.421:
	v_add_u32_e32 v101, 0xd0, v96
	s_mov_b32 s0, 26
	v_mov_b32_e32 v94, 25
.LBB86_422:                             ; =>This Inner Loop Header: Depth=1
	ds_read_b64 v[102:103], v101
	v_mov_b32_e32 v104, s0
	s_add_i32 s0, s0, 1
	v_add_u32_e32 v101, 8, v101
	s_cmp_lg_u32 s18, s0
	s_waitcnt lgkmcnt(0)
	v_cmp_lt_f64_e64 vcc, |v[92:93]|, |v[102:103]|
	v_cndmask_b32_e32 v93, v93, v103, vcc
	v_cndmask_b32_e32 v92, v92, v102, vcc
	;; [unrolled: 1-line block ×3, first 2 shown]
	s_cbranch_scc1 .LBB86_422
.LBB86_423:
	s_waitcnt lgkmcnt(0)
	v_cmp_eq_f64_e32 vcc, 0, v[92:93]
	s_and_saveexec_b64 s[0:1], vcc
	s_xor_b64 s[0:1], exec, s[0:1]
; %bb.424:
	v_cmp_ne_u32_e32 vcc, 0, v100
	v_cndmask_b32_e32 v100, 26, v100, vcc
; %bb.425:
	s_andn2_saveexec_b64 s[0:1], s[0:1]
; %bb.426:
	v_div_scale_f64 v[102:103], s[2:3], v[92:93], v[92:93], 1.0
	v_rcp_f64_e32 v[104:105], v[102:103]
	v_div_scale_f64 v[106:107], vcc, 1.0, v[92:93], 1.0
	v_fma_f64 v[108:109], -v[102:103], v[104:105], 1.0
	v_fmac_f64_e32 v[104:105], v[104:105], v[108:109]
	v_fma_f64 v[108:109], -v[102:103], v[104:105], 1.0
	v_fmac_f64_e32 v[104:105], v[104:105], v[108:109]
	v_mul_f64 v[108:109], v[106:107], v[104:105]
	v_fma_f64 v[102:103], -v[102:103], v[108:109], v[106:107]
	v_div_fmas_f64 v[102:103], v[102:103], v[104:105], v[108:109]
	v_div_fixup_f64 v[92:93], v[102:103], v[92:93], 1.0
; %bb.427:
	s_or_b64 exec, exec, s[0:1]
	v_cmp_ne_u32_e32 vcc, v97, v94
	s_and_saveexec_b64 s[0:1], vcc
	s_xor_b64 s[0:1], exec, s[0:1]
	s_cbranch_execz .LBB86_433
; %bb.428:
	v_cmp_eq_u32_e32 vcc, 25, v97
	s_and_saveexec_b64 s[2:3], vcc
	s_cbranch_execz .LBB86_432
; %bb.429:
	v_cmp_ne_u32_e32 vcc, 25, v94
	s_xor_b64 s[14:15], s[6:7], -1
	s_and_b64 s[16:17], s[14:15], vcc
	s_and_saveexec_b64 s[14:15], s[16:17]
	s_cbranch_execz .LBB86_431
; %bb.430:
	v_ashrrev_i32_e32 v95, 31, v94
	v_lshlrev_b64 v[102:103], 2, v[94:95]
	v_add_co_u32_e32 v102, vcc, v4, v102
	v_addc_co_u32_e32 v103, vcc, v5, v103, vcc
	flat_load_dword v95, v[102:103]
	flat_load_dword v97, v[4:5] offset:100
	s_waitcnt vmcnt(0) lgkmcnt(0)
	flat_store_dword v[4:5], v95 offset:100
	flat_store_dword v[102:103], v97
.LBB86_431:
	s_or_b64 exec, exec, s[14:15]
	v_mov_b32_e32 v95, v94
	v_mov_b32_e32 v97, v94
.LBB86_432:
	s_or_b64 exec, exec, s[2:3]
.LBB86_433:
	s_andn2_saveexec_b64 s[0:1], s[0:1]
	s_cbranch_execz .LBB86_435
; %bb.434:
	v_mov_b32_e32 v102, v36
	v_mov_b32_e32 v103, v37
	v_mov_b32_e32 v104, v34
	v_mov_b32_e32 v105, v35
	ds_write2_b64 v96, v[102:103], v[104:105] offset0:26 offset1:27
	v_mov_b32_e32 v102, v32
	v_mov_b32_e32 v103, v33
	v_mov_b32_e32 v104, v28
	v_mov_b32_e32 v105, v29
	ds_write2_b64 v96, v[102:103], v[104:105] offset0:28 offset1:29
	;; [unrolled: 5-line block ×8, first 2 shown]
	v_mov_b32_e32 v102, v0
	v_mov_b32_e32 v103, v1
	;; [unrolled: 1-line block ×3, first 2 shown]
	ds_write2_b64 v96, v[102:103], v[90:91] offset0:42 offset1:43
.LBB86_435:
	s_or_b64 exec, exec, s[0:1]
	v_cmp_lt_i32_e32 vcc, 25, v97
	s_waitcnt lgkmcnt(0)
	s_barrier
	s_and_saveexec_b64 s[0:1], vcc
	s_cbranch_execz .LBB86_437
; %bb.436:
	ds_read2_b64 v[102:105], v96 offset0:26 offset1:27
	ds_read2_b64 v[106:109], v96 offset0:28 offset1:29
	;; [unrolled: 1-line block ×3, first 2 shown]
	v_mul_f64 v[38:39], v[92:93], v[38:39]
	s_waitcnt lgkmcnt(0)
	v_fma_f64 v[36:37], -v[38:39], v[102:103], v[36:37]
	v_fma_f64 v[34:35], -v[38:39], v[104:105], v[34:35]
	ds_read2_b64 v[102:105], v96 offset0:32 offset1:33
	v_fma_f64 v[32:33], -v[38:39], v[106:107], v[32:33]
	v_fma_f64 v[28:29], -v[38:39], v[108:109], v[28:29]
	;; [unrolled: 1-line block ×3, first 2 shown]
	ds_read2_b64 v[106:109], v96 offset0:34 offset1:35
	v_fma_f64 v[26:27], -v[38:39], v[112:113], v[26:27]
	ds_read2_b64 v[110:113], v96 offset0:36 offset1:37
	s_waitcnt lgkmcnt(0)
	v_fma_f64 v[24:25], -v[38:39], v[102:103], v[24:25]
	v_fma_f64 v[22:23], -v[38:39], v[104:105], v[22:23]
	v_fma_f64 v[20:21], -v[38:39], v[106:107], v[20:21]
	v_fma_f64 v[18:19], -v[38:39], v[108:109], v[18:19]
	ds_read2_b64 v[102:105], v96 offset0:38 offset1:39
	ds_read2_b64 v[106:109], v96 offset0:40 offset1:41
	v_fma_f64 v[16:17], -v[38:39], v[110:111], v[16:17]
	v_fma_f64 v[14:15], -v[38:39], v[112:113], v[14:15]
	ds_read2_b64 v[110:113], v96 offset0:42 offset1:43
	s_waitcnt lgkmcnt(0)
	v_fma_f64 v[12:13], -v[38:39], v[102:103], v[12:13]
	v_fma_f64 v[10:11], -v[38:39], v[104:105], v[10:11]
	;; [unrolled: 1-line block ×6, first 2 shown]
.LBB86_437:
	s_or_b64 exec, exec, s[0:1]
	v_lshl_add_u32 v92, v97, 3, v96
	s_barrier
	ds_write_b64 v92, v[36:37]
	s_waitcnt lgkmcnt(0)
	s_barrier
	ds_read_b64 v[92:93], v96 offset:208
	s_cmp_lt_i32 s18, 28
	v_mov_b32_e32 v94, 26
	s_cbranch_scc1 .LBB86_440
; %bb.438:
	v_add_u32_e32 v101, 0xd8, v96
	s_mov_b32 s0, 27
	v_mov_b32_e32 v94, 26
.LBB86_439:                             ; =>This Inner Loop Header: Depth=1
	ds_read_b64 v[102:103], v101
	v_mov_b32_e32 v104, s0
	s_add_i32 s0, s0, 1
	v_add_u32_e32 v101, 8, v101
	s_cmp_lg_u32 s18, s0
	s_waitcnt lgkmcnt(0)
	v_cmp_lt_f64_e64 vcc, |v[92:93]|, |v[102:103]|
	v_cndmask_b32_e32 v93, v93, v103, vcc
	v_cndmask_b32_e32 v92, v92, v102, vcc
	;; [unrolled: 1-line block ×3, first 2 shown]
	s_cbranch_scc1 .LBB86_439
.LBB86_440:
	s_waitcnt lgkmcnt(0)
	v_cmp_eq_f64_e32 vcc, 0, v[92:93]
	s_and_saveexec_b64 s[0:1], vcc
	s_xor_b64 s[0:1], exec, s[0:1]
; %bb.441:
	v_cmp_ne_u32_e32 vcc, 0, v100
	v_cndmask_b32_e32 v100, 27, v100, vcc
; %bb.442:
	s_andn2_saveexec_b64 s[0:1], s[0:1]
; %bb.443:
	v_div_scale_f64 v[102:103], s[2:3], v[92:93], v[92:93], 1.0
	v_rcp_f64_e32 v[104:105], v[102:103]
	v_div_scale_f64 v[106:107], vcc, 1.0, v[92:93], 1.0
	v_fma_f64 v[108:109], -v[102:103], v[104:105], 1.0
	v_fmac_f64_e32 v[104:105], v[104:105], v[108:109]
	v_fma_f64 v[108:109], -v[102:103], v[104:105], 1.0
	v_fmac_f64_e32 v[104:105], v[104:105], v[108:109]
	v_mul_f64 v[108:109], v[106:107], v[104:105]
	v_fma_f64 v[102:103], -v[102:103], v[108:109], v[106:107]
	v_div_fmas_f64 v[102:103], v[102:103], v[104:105], v[108:109]
	v_div_fixup_f64 v[92:93], v[102:103], v[92:93], 1.0
; %bb.444:
	s_or_b64 exec, exec, s[0:1]
	v_cmp_ne_u32_e32 vcc, v97, v94
	s_and_saveexec_b64 s[0:1], vcc
	s_xor_b64 s[0:1], exec, s[0:1]
	s_cbranch_execz .LBB86_450
; %bb.445:
	v_cmp_eq_u32_e32 vcc, 26, v97
	s_and_saveexec_b64 s[2:3], vcc
	s_cbranch_execz .LBB86_449
; %bb.446:
	v_cmp_ne_u32_e32 vcc, 26, v94
	s_xor_b64 s[14:15], s[6:7], -1
	s_and_b64 s[16:17], s[14:15], vcc
	s_and_saveexec_b64 s[14:15], s[16:17]
	s_cbranch_execz .LBB86_448
; %bb.447:
	v_ashrrev_i32_e32 v95, 31, v94
	v_lshlrev_b64 v[102:103], 2, v[94:95]
	v_add_co_u32_e32 v102, vcc, v4, v102
	v_addc_co_u32_e32 v103, vcc, v5, v103, vcc
	flat_load_dword v95, v[102:103]
	flat_load_dword v97, v[4:5] offset:104
	s_waitcnt vmcnt(0) lgkmcnt(0)
	flat_store_dword v[4:5], v95 offset:104
	flat_store_dword v[102:103], v97
.LBB86_448:
	s_or_b64 exec, exec, s[14:15]
	v_mov_b32_e32 v95, v94
	v_mov_b32_e32 v97, v94
.LBB86_449:
	s_or_b64 exec, exec, s[2:3]
.LBB86_450:
	s_andn2_saveexec_b64 s[0:1], s[0:1]
	s_cbranch_execz .LBB86_452
; %bb.451:
	v_mov_b32_e32 v97, 26
	ds_write2_b64 v96, v[34:35], v[32:33] offset0:27 offset1:28
	ds_write2_b64 v96, v[28:29], v[30:31] offset0:29 offset1:30
	;; [unrolled: 1-line block ×8, first 2 shown]
	ds_write_b64 v96, v[90:91] offset:344
.LBB86_452:
	s_or_b64 exec, exec, s[0:1]
	v_cmp_lt_i32_e32 vcc, 26, v97
	s_waitcnt lgkmcnt(0)
	s_barrier
	s_and_saveexec_b64 s[0:1], vcc
	s_cbranch_execz .LBB86_454
; %bb.453:
	ds_read2_b64 v[102:105], v96 offset0:27 offset1:28
	ds_read2_b64 v[106:109], v96 offset0:29 offset1:30
	v_mul_f64 v[36:37], v[92:93], v[36:37]
	ds_read2_b64 v[110:113], v96 offset0:31 offset1:32
	ds_read_b64 v[92:93], v96 offset:344
	s_waitcnt lgkmcnt(0)
	v_fma_f64 v[34:35], -v[36:37], v[102:103], v[34:35]
	v_fma_f64 v[32:33], -v[36:37], v[104:105], v[32:33]
	ds_read2_b64 v[102:105], v96 offset0:33 offset1:34
	v_fma_f64 v[28:29], -v[36:37], v[106:107], v[28:29]
	v_fma_f64 v[30:31], -v[36:37], v[108:109], v[30:31]
	ds_read2_b64 v[106:109], v96 offset0:35 offset1:36
	v_fma_f64 v[26:27], -v[36:37], v[110:111], v[26:27]
	v_fma_f64 v[24:25], -v[36:37], v[112:113], v[24:25]
	ds_read2_b64 v[110:113], v96 offset0:37 offset1:38
	s_waitcnt lgkmcnt(0)
	v_fma_f64 v[22:23], -v[36:37], v[102:103], v[22:23]
	v_fma_f64 v[20:21], -v[36:37], v[104:105], v[20:21]
	;; [unrolled: 1-line block ×4, first 2 shown]
	ds_read2_b64 v[102:105], v96 offset0:39 offset1:40
	ds_read2_b64 v[106:109], v96 offset0:41 offset1:42
	v_fma_f64 v[14:15], -v[36:37], v[110:111], v[14:15]
	v_fma_f64 v[12:13], -v[36:37], v[112:113], v[12:13]
	;; [unrolled: 1-line block ×3, first 2 shown]
	s_waitcnt lgkmcnt(0)
	v_fma_f64 v[10:11], -v[36:37], v[102:103], v[10:11]
	v_fma_f64 v[8:9], -v[36:37], v[104:105], v[8:9]
	;; [unrolled: 1-line block ×4, first 2 shown]
.LBB86_454:
	s_or_b64 exec, exec, s[0:1]
	v_lshl_add_u32 v92, v97, 3, v96
	s_barrier
	ds_write_b64 v92, v[34:35]
	s_waitcnt lgkmcnt(0)
	s_barrier
	ds_read_b64 v[92:93], v96 offset:216
	s_cmp_lt_i32 s18, 29
	v_mov_b32_e32 v94, 27
	s_cbranch_scc1 .LBB86_457
; %bb.455:
	v_add_u32_e32 v101, 0xe0, v96
	s_mov_b32 s0, 28
	v_mov_b32_e32 v94, 27
.LBB86_456:                             ; =>This Inner Loop Header: Depth=1
	ds_read_b64 v[102:103], v101
	v_mov_b32_e32 v104, s0
	s_add_i32 s0, s0, 1
	v_add_u32_e32 v101, 8, v101
	s_cmp_lg_u32 s18, s0
	s_waitcnt lgkmcnt(0)
	v_cmp_lt_f64_e64 vcc, |v[92:93]|, |v[102:103]|
	v_cndmask_b32_e32 v93, v93, v103, vcc
	v_cndmask_b32_e32 v92, v92, v102, vcc
	;; [unrolled: 1-line block ×3, first 2 shown]
	s_cbranch_scc1 .LBB86_456
.LBB86_457:
	s_waitcnt lgkmcnt(0)
	v_cmp_eq_f64_e32 vcc, 0, v[92:93]
	s_and_saveexec_b64 s[0:1], vcc
	s_xor_b64 s[0:1], exec, s[0:1]
; %bb.458:
	v_cmp_ne_u32_e32 vcc, 0, v100
	v_cndmask_b32_e32 v100, 28, v100, vcc
; %bb.459:
	s_andn2_saveexec_b64 s[0:1], s[0:1]
; %bb.460:
	v_div_scale_f64 v[102:103], s[2:3], v[92:93], v[92:93], 1.0
	v_rcp_f64_e32 v[104:105], v[102:103]
	v_div_scale_f64 v[106:107], vcc, 1.0, v[92:93], 1.0
	v_fma_f64 v[108:109], -v[102:103], v[104:105], 1.0
	v_fmac_f64_e32 v[104:105], v[104:105], v[108:109]
	v_fma_f64 v[108:109], -v[102:103], v[104:105], 1.0
	v_fmac_f64_e32 v[104:105], v[104:105], v[108:109]
	v_mul_f64 v[108:109], v[106:107], v[104:105]
	v_fma_f64 v[102:103], -v[102:103], v[108:109], v[106:107]
	v_div_fmas_f64 v[102:103], v[102:103], v[104:105], v[108:109]
	v_div_fixup_f64 v[92:93], v[102:103], v[92:93], 1.0
; %bb.461:
	s_or_b64 exec, exec, s[0:1]
	v_cmp_ne_u32_e32 vcc, v97, v94
	s_and_saveexec_b64 s[0:1], vcc
	s_xor_b64 s[0:1], exec, s[0:1]
	s_cbranch_execz .LBB86_467
; %bb.462:
	v_cmp_eq_u32_e32 vcc, 27, v97
	s_and_saveexec_b64 s[2:3], vcc
	s_cbranch_execz .LBB86_466
; %bb.463:
	v_cmp_ne_u32_e32 vcc, 27, v94
	s_xor_b64 s[14:15], s[6:7], -1
	s_and_b64 s[16:17], s[14:15], vcc
	s_and_saveexec_b64 s[14:15], s[16:17]
	s_cbranch_execz .LBB86_465
; %bb.464:
	v_ashrrev_i32_e32 v95, 31, v94
	v_lshlrev_b64 v[102:103], 2, v[94:95]
	v_add_co_u32_e32 v102, vcc, v4, v102
	v_addc_co_u32_e32 v103, vcc, v5, v103, vcc
	flat_load_dword v95, v[102:103]
	flat_load_dword v97, v[4:5] offset:108
	s_waitcnt vmcnt(0) lgkmcnt(0)
	flat_store_dword v[4:5], v95 offset:108
	flat_store_dword v[102:103], v97
.LBB86_465:
	s_or_b64 exec, exec, s[14:15]
	v_mov_b32_e32 v95, v94
	v_mov_b32_e32 v97, v94
.LBB86_466:
	s_or_b64 exec, exec, s[2:3]
.LBB86_467:
	s_andn2_saveexec_b64 s[0:1], s[0:1]
	s_cbranch_execz .LBB86_469
; %bb.468:
	v_mov_b32_e32 v102, v32
	v_mov_b32_e32 v103, v33
	v_mov_b32_e32 v104, v28
	v_mov_b32_e32 v105, v29
	ds_write2_b64 v96, v[102:103], v[104:105] offset0:28 offset1:29
	v_mov_b32_e32 v102, v30
	v_mov_b32_e32 v103, v31
	v_mov_b32_e32 v104, v26
	v_mov_b32_e32 v105, v27
	ds_write2_b64 v96, v[102:103], v[104:105] offset0:30 offset1:31
	;; [unrolled: 5-line block ×7, first 2 shown]
	v_mov_b32_e32 v102, v0
	v_mov_b32_e32 v103, v1
	;; [unrolled: 1-line block ×3, first 2 shown]
	ds_write2_b64 v96, v[102:103], v[90:91] offset0:42 offset1:43
.LBB86_469:
	s_or_b64 exec, exec, s[0:1]
	v_cmp_lt_i32_e32 vcc, 27, v97
	s_waitcnt lgkmcnt(0)
	s_barrier
	s_and_saveexec_b64 s[0:1], vcc
	s_cbranch_execz .LBB86_471
; %bb.470:
	ds_read2_b64 v[102:105], v96 offset0:28 offset1:29
	ds_read2_b64 v[106:109], v96 offset0:30 offset1:31
	v_mul_f64 v[34:35], v[92:93], v[34:35]
	ds_read2_b64 v[110:113], v96 offset0:32 offset1:33
	s_waitcnt lgkmcnt(0)
	v_fma_f64 v[32:33], -v[34:35], v[102:103], v[32:33]
	v_fma_f64 v[28:29], -v[34:35], v[104:105], v[28:29]
	ds_read2_b64 v[102:105], v96 offset0:34 offset1:35
	v_fma_f64 v[30:31], -v[34:35], v[106:107], v[30:31]
	v_fma_f64 v[26:27], -v[34:35], v[108:109], v[26:27]
	ds_read2_b64 v[106:109], v96 offset0:36 offset1:37
	v_fma_f64 v[24:25], -v[34:35], v[110:111], v[24:25]
	v_fma_f64 v[22:23], -v[34:35], v[112:113], v[22:23]
	s_waitcnt lgkmcnt(0)
	v_fma_f64 v[20:21], -v[34:35], v[102:103], v[20:21]
	v_fma_f64 v[18:19], -v[34:35], v[104:105], v[18:19]
	ds_read2_b64 v[102:105], v96 offset0:38 offset1:39
	v_fma_f64 v[16:17], -v[34:35], v[106:107], v[16:17]
	ds_read2_b64 v[110:113], v96 offset0:40 offset1:41
	;; [unrolled: 2-line block ×3, first 2 shown]
	s_waitcnt lgkmcnt(0)
	v_fma_f64 v[12:13], -v[34:35], v[102:103], v[12:13]
	v_fma_f64 v[10:11], -v[34:35], v[104:105], v[10:11]
	;; [unrolled: 1-line block ×6, first 2 shown]
.LBB86_471:
	s_or_b64 exec, exec, s[0:1]
	v_lshl_add_u32 v92, v97, 3, v96
	s_barrier
	ds_write_b64 v92, v[32:33]
	s_waitcnt lgkmcnt(0)
	s_barrier
	ds_read_b64 v[92:93], v96 offset:224
	s_cmp_lt_i32 s18, 30
	v_mov_b32_e32 v94, 28
	s_cbranch_scc1 .LBB86_474
; %bb.472:
	v_add_u32_e32 v101, 0xe8, v96
	s_mov_b32 s0, 29
	v_mov_b32_e32 v94, 28
.LBB86_473:                             ; =>This Inner Loop Header: Depth=1
	ds_read_b64 v[102:103], v101
	v_mov_b32_e32 v104, s0
	s_add_i32 s0, s0, 1
	v_add_u32_e32 v101, 8, v101
	s_cmp_lg_u32 s18, s0
	s_waitcnt lgkmcnt(0)
	v_cmp_lt_f64_e64 vcc, |v[92:93]|, |v[102:103]|
	v_cndmask_b32_e32 v93, v93, v103, vcc
	v_cndmask_b32_e32 v92, v92, v102, vcc
	;; [unrolled: 1-line block ×3, first 2 shown]
	s_cbranch_scc1 .LBB86_473
.LBB86_474:
	s_waitcnt lgkmcnt(0)
	v_cmp_eq_f64_e32 vcc, 0, v[92:93]
	s_and_saveexec_b64 s[0:1], vcc
	s_xor_b64 s[0:1], exec, s[0:1]
; %bb.475:
	v_cmp_ne_u32_e32 vcc, 0, v100
	v_cndmask_b32_e32 v100, 29, v100, vcc
; %bb.476:
	s_andn2_saveexec_b64 s[0:1], s[0:1]
; %bb.477:
	v_div_scale_f64 v[102:103], s[2:3], v[92:93], v[92:93], 1.0
	v_rcp_f64_e32 v[104:105], v[102:103]
	v_div_scale_f64 v[106:107], vcc, 1.0, v[92:93], 1.0
	v_fma_f64 v[108:109], -v[102:103], v[104:105], 1.0
	v_fmac_f64_e32 v[104:105], v[104:105], v[108:109]
	v_fma_f64 v[108:109], -v[102:103], v[104:105], 1.0
	v_fmac_f64_e32 v[104:105], v[104:105], v[108:109]
	v_mul_f64 v[108:109], v[106:107], v[104:105]
	v_fma_f64 v[102:103], -v[102:103], v[108:109], v[106:107]
	v_div_fmas_f64 v[102:103], v[102:103], v[104:105], v[108:109]
	v_div_fixup_f64 v[92:93], v[102:103], v[92:93], 1.0
; %bb.478:
	s_or_b64 exec, exec, s[0:1]
	v_cmp_ne_u32_e32 vcc, v97, v94
	s_and_saveexec_b64 s[0:1], vcc
	s_xor_b64 s[0:1], exec, s[0:1]
	s_cbranch_execz .LBB86_484
; %bb.479:
	v_cmp_eq_u32_e32 vcc, 28, v97
	s_and_saveexec_b64 s[2:3], vcc
	s_cbranch_execz .LBB86_483
; %bb.480:
	v_cmp_ne_u32_e32 vcc, 28, v94
	s_xor_b64 s[14:15], s[6:7], -1
	s_and_b64 s[16:17], s[14:15], vcc
	s_and_saveexec_b64 s[14:15], s[16:17]
	s_cbranch_execz .LBB86_482
; %bb.481:
	v_ashrrev_i32_e32 v95, 31, v94
	v_lshlrev_b64 v[102:103], 2, v[94:95]
	v_add_co_u32_e32 v102, vcc, v4, v102
	v_addc_co_u32_e32 v103, vcc, v5, v103, vcc
	flat_load_dword v95, v[102:103]
	flat_load_dword v97, v[4:5] offset:112
	s_waitcnt vmcnt(0) lgkmcnt(0)
	flat_store_dword v[4:5], v95 offset:112
	flat_store_dword v[102:103], v97
.LBB86_482:
	s_or_b64 exec, exec, s[14:15]
	v_mov_b32_e32 v95, v94
	v_mov_b32_e32 v97, v94
.LBB86_483:
	s_or_b64 exec, exec, s[2:3]
.LBB86_484:
	s_andn2_saveexec_b64 s[0:1], s[0:1]
	s_cbranch_execz .LBB86_486
; %bb.485:
	v_mov_b32_e32 v97, 28
	ds_write2_b64 v96, v[28:29], v[30:31] offset0:29 offset1:30
	ds_write2_b64 v96, v[26:27], v[24:25] offset0:31 offset1:32
	;; [unrolled: 1-line block ×7, first 2 shown]
	ds_write_b64 v96, v[90:91] offset:344
.LBB86_486:
	s_or_b64 exec, exec, s[0:1]
	v_cmp_lt_i32_e32 vcc, 28, v97
	s_waitcnt lgkmcnt(0)
	s_barrier
	s_and_saveexec_b64 s[0:1], vcc
	s_cbranch_execz .LBB86_488
; %bb.487:
	ds_read2_b64 v[102:105], v96 offset0:29 offset1:30
	ds_read2_b64 v[106:109], v96 offset0:31 offset1:32
	v_mul_f64 v[32:33], v[92:93], v[32:33]
	ds_read2_b64 v[110:113], v96 offset0:33 offset1:34
	ds_read_b64 v[92:93], v96 offset:344
	s_waitcnt lgkmcnt(0)
	v_fma_f64 v[28:29], -v[32:33], v[102:103], v[28:29]
	v_fma_f64 v[30:31], -v[32:33], v[104:105], v[30:31]
	ds_read2_b64 v[102:105], v96 offset0:35 offset1:36
	v_fma_f64 v[26:27], -v[32:33], v[106:107], v[26:27]
	v_fma_f64 v[24:25], -v[32:33], v[108:109], v[24:25]
	;; [unrolled: 1-line block ×3, first 2 shown]
	ds_read2_b64 v[106:109], v96 offset0:37 offset1:38
	v_fma_f64 v[20:21], -v[32:33], v[112:113], v[20:21]
	s_waitcnt lgkmcnt(0)
	v_fma_f64 v[18:19], -v[32:33], v[102:103], v[18:19]
	v_fma_f64 v[16:17], -v[32:33], v[104:105], v[16:17]
	ds_read2_b64 v[102:105], v96 offset0:39 offset1:40
	ds_read2_b64 v[110:113], v96 offset0:41 offset1:42
	v_fma_f64 v[14:15], -v[32:33], v[106:107], v[14:15]
	v_fma_f64 v[12:13], -v[32:33], v[108:109], v[12:13]
	;; [unrolled: 1-line block ×3, first 2 shown]
	s_waitcnt lgkmcnt(0)
	v_fma_f64 v[10:11], -v[32:33], v[102:103], v[10:11]
	v_fma_f64 v[8:9], -v[32:33], v[104:105], v[8:9]
	;; [unrolled: 1-line block ×4, first 2 shown]
.LBB86_488:
	s_or_b64 exec, exec, s[0:1]
	v_lshl_add_u32 v92, v97, 3, v96
	s_barrier
	ds_write_b64 v92, v[28:29]
	s_waitcnt lgkmcnt(0)
	s_barrier
	ds_read_b64 v[92:93], v96 offset:232
	s_cmp_lt_i32 s18, 31
	v_mov_b32_e32 v94, 29
	s_cbranch_scc1 .LBB86_491
; %bb.489:
	v_add_u32_e32 v101, 0xf0, v96
	s_mov_b32 s0, 30
	v_mov_b32_e32 v94, 29
.LBB86_490:                             ; =>This Inner Loop Header: Depth=1
	ds_read_b64 v[102:103], v101
	v_mov_b32_e32 v104, s0
	s_add_i32 s0, s0, 1
	v_add_u32_e32 v101, 8, v101
	s_cmp_lg_u32 s18, s0
	s_waitcnt lgkmcnt(0)
	v_cmp_lt_f64_e64 vcc, |v[92:93]|, |v[102:103]|
	v_cndmask_b32_e32 v93, v93, v103, vcc
	v_cndmask_b32_e32 v92, v92, v102, vcc
	;; [unrolled: 1-line block ×3, first 2 shown]
	s_cbranch_scc1 .LBB86_490
.LBB86_491:
	s_waitcnt lgkmcnt(0)
	v_cmp_eq_f64_e32 vcc, 0, v[92:93]
	s_and_saveexec_b64 s[0:1], vcc
	s_xor_b64 s[0:1], exec, s[0:1]
; %bb.492:
	v_cmp_ne_u32_e32 vcc, 0, v100
	v_cndmask_b32_e32 v100, 30, v100, vcc
; %bb.493:
	s_andn2_saveexec_b64 s[0:1], s[0:1]
; %bb.494:
	v_div_scale_f64 v[102:103], s[2:3], v[92:93], v[92:93], 1.0
	v_rcp_f64_e32 v[104:105], v[102:103]
	v_div_scale_f64 v[106:107], vcc, 1.0, v[92:93], 1.0
	v_fma_f64 v[108:109], -v[102:103], v[104:105], 1.0
	v_fmac_f64_e32 v[104:105], v[104:105], v[108:109]
	v_fma_f64 v[108:109], -v[102:103], v[104:105], 1.0
	v_fmac_f64_e32 v[104:105], v[104:105], v[108:109]
	v_mul_f64 v[108:109], v[106:107], v[104:105]
	v_fma_f64 v[102:103], -v[102:103], v[108:109], v[106:107]
	v_div_fmas_f64 v[102:103], v[102:103], v[104:105], v[108:109]
	v_div_fixup_f64 v[92:93], v[102:103], v[92:93], 1.0
; %bb.495:
	s_or_b64 exec, exec, s[0:1]
	v_cmp_ne_u32_e32 vcc, v97, v94
	s_and_saveexec_b64 s[0:1], vcc
	s_xor_b64 s[0:1], exec, s[0:1]
	s_cbranch_execz .LBB86_501
; %bb.496:
	v_cmp_eq_u32_e32 vcc, 29, v97
	s_and_saveexec_b64 s[2:3], vcc
	s_cbranch_execz .LBB86_500
; %bb.497:
	v_cmp_ne_u32_e32 vcc, 29, v94
	s_xor_b64 s[14:15], s[6:7], -1
	s_and_b64 s[16:17], s[14:15], vcc
	s_and_saveexec_b64 s[14:15], s[16:17]
	s_cbranch_execz .LBB86_499
; %bb.498:
	v_ashrrev_i32_e32 v95, 31, v94
	v_lshlrev_b64 v[102:103], 2, v[94:95]
	v_add_co_u32_e32 v102, vcc, v4, v102
	v_addc_co_u32_e32 v103, vcc, v5, v103, vcc
	flat_load_dword v95, v[102:103]
	flat_load_dword v97, v[4:5] offset:116
	s_waitcnt vmcnt(0) lgkmcnt(0)
	flat_store_dword v[4:5], v95 offset:116
	flat_store_dword v[102:103], v97
.LBB86_499:
	s_or_b64 exec, exec, s[14:15]
	v_mov_b32_e32 v95, v94
	v_mov_b32_e32 v97, v94
.LBB86_500:
	s_or_b64 exec, exec, s[2:3]
.LBB86_501:
	s_andn2_saveexec_b64 s[0:1], s[0:1]
	s_cbranch_execz .LBB86_503
; %bb.502:
	v_mov_b32_e32 v102, v30
	v_mov_b32_e32 v103, v31
	v_mov_b32_e32 v104, v26
	v_mov_b32_e32 v105, v27
	ds_write2_b64 v96, v[102:103], v[104:105] offset0:30 offset1:31
	v_mov_b32_e32 v102, v24
	v_mov_b32_e32 v103, v25
	v_mov_b32_e32 v104, v22
	v_mov_b32_e32 v105, v23
	ds_write2_b64 v96, v[102:103], v[104:105] offset0:32 offset1:33
	;; [unrolled: 5-line block ×6, first 2 shown]
	v_mov_b32_e32 v102, v0
	v_mov_b32_e32 v103, v1
	;; [unrolled: 1-line block ×3, first 2 shown]
	ds_write2_b64 v96, v[102:103], v[90:91] offset0:42 offset1:43
.LBB86_503:
	s_or_b64 exec, exec, s[0:1]
	v_cmp_lt_i32_e32 vcc, 29, v97
	s_waitcnt lgkmcnt(0)
	s_barrier
	s_and_saveexec_b64 s[0:1], vcc
	s_cbranch_execz .LBB86_505
; %bb.504:
	ds_read2_b64 v[102:105], v96 offset0:30 offset1:31
	ds_read2_b64 v[106:109], v96 offset0:32 offset1:33
	v_mul_f64 v[28:29], v[92:93], v[28:29]
	ds_read2_b64 v[110:113], v96 offset0:34 offset1:35
	s_waitcnt lgkmcnt(0)
	v_fma_f64 v[30:31], -v[28:29], v[102:103], v[30:31]
	v_fma_f64 v[26:27], -v[28:29], v[104:105], v[26:27]
	ds_read2_b64 v[102:105], v96 offset0:36 offset1:37
	v_fma_f64 v[24:25], -v[28:29], v[106:107], v[24:25]
	v_fma_f64 v[22:23], -v[28:29], v[108:109], v[22:23]
	;; [unrolled: 1-line block ×4, first 2 shown]
	ds_read2_b64 v[106:109], v96 offset0:38 offset1:39
	ds_read2_b64 v[110:113], v96 offset0:40 offset1:41
	s_waitcnt lgkmcnt(0)
	v_fma_f64 v[16:17], -v[28:29], v[102:103], v[16:17]
	v_fma_f64 v[14:15], -v[28:29], v[104:105], v[14:15]
	ds_read2_b64 v[102:105], v96 offset0:42 offset1:43
	v_fma_f64 v[12:13], -v[28:29], v[106:107], v[12:13]
	v_fma_f64 v[10:11], -v[28:29], v[108:109], v[10:11]
	;; [unrolled: 1-line block ×4, first 2 shown]
	s_waitcnt lgkmcnt(0)
	v_fma_f64 v[0:1], -v[28:29], v[102:103], v[0:1]
	v_fma_f64 v[90:91], -v[28:29], v[104:105], v[90:91]
.LBB86_505:
	s_or_b64 exec, exec, s[0:1]
	v_lshl_add_u32 v92, v97, 3, v96
	s_barrier
	ds_write_b64 v92, v[30:31]
	s_waitcnt lgkmcnt(0)
	s_barrier
	ds_read_b64 v[92:93], v96 offset:240
	s_cmp_lt_i32 s18, 32
	v_mov_b32_e32 v94, 30
	s_cbranch_scc1 .LBB86_508
; %bb.506:
	v_add_u32_e32 v101, 0xf8, v96
	s_mov_b32 s0, 31
	v_mov_b32_e32 v94, 30
.LBB86_507:                             ; =>This Inner Loop Header: Depth=1
	ds_read_b64 v[102:103], v101
	v_mov_b32_e32 v104, s0
	s_add_i32 s0, s0, 1
	v_add_u32_e32 v101, 8, v101
	s_cmp_lg_u32 s18, s0
	s_waitcnt lgkmcnt(0)
	v_cmp_lt_f64_e64 vcc, |v[92:93]|, |v[102:103]|
	v_cndmask_b32_e32 v93, v93, v103, vcc
	v_cndmask_b32_e32 v92, v92, v102, vcc
	;; [unrolled: 1-line block ×3, first 2 shown]
	s_cbranch_scc1 .LBB86_507
.LBB86_508:
	s_waitcnt lgkmcnt(0)
	v_cmp_eq_f64_e32 vcc, 0, v[92:93]
	s_and_saveexec_b64 s[0:1], vcc
	s_xor_b64 s[0:1], exec, s[0:1]
; %bb.509:
	v_cmp_ne_u32_e32 vcc, 0, v100
	v_cndmask_b32_e32 v100, 31, v100, vcc
; %bb.510:
	s_andn2_saveexec_b64 s[0:1], s[0:1]
; %bb.511:
	v_div_scale_f64 v[102:103], s[2:3], v[92:93], v[92:93], 1.0
	v_rcp_f64_e32 v[104:105], v[102:103]
	v_div_scale_f64 v[106:107], vcc, 1.0, v[92:93], 1.0
	v_fma_f64 v[108:109], -v[102:103], v[104:105], 1.0
	v_fmac_f64_e32 v[104:105], v[104:105], v[108:109]
	v_fma_f64 v[108:109], -v[102:103], v[104:105], 1.0
	v_fmac_f64_e32 v[104:105], v[104:105], v[108:109]
	v_mul_f64 v[108:109], v[106:107], v[104:105]
	v_fma_f64 v[102:103], -v[102:103], v[108:109], v[106:107]
	v_div_fmas_f64 v[102:103], v[102:103], v[104:105], v[108:109]
	v_div_fixup_f64 v[92:93], v[102:103], v[92:93], 1.0
; %bb.512:
	s_or_b64 exec, exec, s[0:1]
	v_cmp_ne_u32_e32 vcc, v97, v94
	s_and_saveexec_b64 s[0:1], vcc
	s_xor_b64 s[0:1], exec, s[0:1]
	s_cbranch_execz .LBB86_518
; %bb.513:
	v_cmp_eq_u32_e32 vcc, 30, v97
	s_and_saveexec_b64 s[2:3], vcc
	s_cbranch_execz .LBB86_517
; %bb.514:
	v_cmp_ne_u32_e32 vcc, 30, v94
	s_xor_b64 s[14:15], s[6:7], -1
	s_and_b64 s[16:17], s[14:15], vcc
	s_and_saveexec_b64 s[14:15], s[16:17]
	s_cbranch_execz .LBB86_516
; %bb.515:
	v_ashrrev_i32_e32 v95, 31, v94
	v_lshlrev_b64 v[102:103], 2, v[94:95]
	v_add_co_u32_e32 v102, vcc, v4, v102
	v_addc_co_u32_e32 v103, vcc, v5, v103, vcc
	flat_load_dword v95, v[102:103]
	flat_load_dword v97, v[4:5] offset:120
	s_waitcnt vmcnt(0) lgkmcnt(0)
	flat_store_dword v[4:5], v95 offset:120
	flat_store_dword v[102:103], v97
.LBB86_516:
	s_or_b64 exec, exec, s[14:15]
	v_mov_b32_e32 v95, v94
	v_mov_b32_e32 v97, v94
.LBB86_517:
	s_or_b64 exec, exec, s[2:3]
.LBB86_518:
	s_andn2_saveexec_b64 s[0:1], s[0:1]
	s_cbranch_execz .LBB86_520
; %bb.519:
	v_mov_b32_e32 v97, 30
	ds_write2_b64 v96, v[26:27], v[24:25] offset0:31 offset1:32
	ds_write2_b64 v96, v[22:23], v[20:21] offset0:33 offset1:34
	;; [unrolled: 1-line block ×6, first 2 shown]
	ds_write_b64 v96, v[90:91] offset:344
.LBB86_520:
	s_or_b64 exec, exec, s[0:1]
	v_cmp_lt_i32_e32 vcc, 30, v97
	s_waitcnt lgkmcnt(0)
	s_barrier
	s_and_saveexec_b64 s[0:1], vcc
	s_cbranch_execz .LBB86_522
; %bb.521:
	ds_read2_b64 v[102:105], v96 offset0:31 offset1:32
	ds_read2_b64 v[106:109], v96 offset0:33 offset1:34
	;; [unrolled: 1-line block ×3, first 2 shown]
	v_mul_f64 v[30:31], v[92:93], v[30:31]
	ds_read_b64 v[92:93], v96 offset:344
	s_waitcnt lgkmcnt(0)
	v_fma_f64 v[26:27], -v[30:31], v[102:103], v[26:27]
	v_fma_f64 v[24:25], -v[30:31], v[104:105], v[24:25]
	ds_read2_b64 v[102:105], v96 offset0:37 offset1:38
	v_fma_f64 v[22:23], -v[30:31], v[106:107], v[22:23]
	v_fma_f64 v[20:21], -v[30:31], v[108:109], v[20:21]
	;; [unrolled: 1-line block ×4, first 2 shown]
	ds_read2_b64 v[106:109], v96 offset0:39 offset1:40
	ds_read2_b64 v[110:113], v96 offset0:41 offset1:42
	s_waitcnt lgkmcnt(0)
	v_fma_f64 v[14:15], -v[30:31], v[102:103], v[14:15]
	v_fma_f64 v[12:13], -v[30:31], v[104:105], v[12:13]
	;; [unrolled: 1-line block ×7, first 2 shown]
.LBB86_522:
	s_or_b64 exec, exec, s[0:1]
	v_lshl_add_u32 v92, v97, 3, v96
	s_barrier
	ds_write_b64 v92, v[26:27]
	s_waitcnt lgkmcnt(0)
	s_barrier
	ds_read_b64 v[92:93], v96 offset:248
	s_cmp_lt_i32 s18, 33
	v_mov_b32_e32 v94, 31
	s_cbranch_scc1 .LBB86_525
; %bb.523:
	v_add_u32_e32 v101, 0x100, v96
	s_mov_b32 s0, 32
	v_mov_b32_e32 v94, 31
.LBB86_524:                             ; =>This Inner Loop Header: Depth=1
	ds_read_b64 v[102:103], v101
	v_mov_b32_e32 v104, s0
	s_add_i32 s0, s0, 1
	v_add_u32_e32 v101, 8, v101
	s_cmp_lg_u32 s18, s0
	s_waitcnt lgkmcnt(0)
	v_cmp_lt_f64_e64 vcc, |v[92:93]|, |v[102:103]|
	v_cndmask_b32_e32 v93, v93, v103, vcc
	v_cndmask_b32_e32 v92, v92, v102, vcc
	;; [unrolled: 1-line block ×3, first 2 shown]
	s_cbranch_scc1 .LBB86_524
.LBB86_525:
	s_waitcnt lgkmcnt(0)
	v_cmp_eq_f64_e32 vcc, 0, v[92:93]
	s_and_saveexec_b64 s[0:1], vcc
	s_xor_b64 s[0:1], exec, s[0:1]
; %bb.526:
	v_cmp_ne_u32_e32 vcc, 0, v100
	v_cndmask_b32_e32 v100, 32, v100, vcc
; %bb.527:
	s_andn2_saveexec_b64 s[0:1], s[0:1]
; %bb.528:
	v_div_scale_f64 v[102:103], s[2:3], v[92:93], v[92:93], 1.0
	v_rcp_f64_e32 v[104:105], v[102:103]
	v_div_scale_f64 v[106:107], vcc, 1.0, v[92:93], 1.0
	v_fma_f64 v[108:109], -v[102:103], v[104:105], 1.0
	v_fmac_f64_e32 v[104:105], v[104:105], v[108:109]
	v_fma_f64 v[108:109], -v[102:103], v[104:105], 1.0
	v_fmac_f64_e32 v[104:105], v[104:105], v[108:109]
	v_mul_f64 v[108:109], v[106:107], v[104:105]
	v_fma_f64 v[102:103], -v[102:103], v[108:109], v[106:107]
	v_div_fmas_f64 v[102:103], v[102:103], v[104:105], v[108:109]
	v_div_fixup_f64 v[92:93], v[102:103], v[92:93], 1.0
; %bb.529:
	s_or_b64 exec, exec, s[0:1]
	v_cmp_ne_u32_e32 vcc, v97, v94
	s_and_saveexec_b64 s[0:1], vcc
	s_xor_b64 s[0:1], exec, s[0:1]
	s_cbranch_execz .LBB86_535
; %bb.530:
	v_cmp_eq_u32_e32 vcc, 31, v97
	s_and_saveexec_b64 s[2:3], vcc
	s_cbranch_execz .LBB86_534
; %bb.531:
	v_cmp_ne_u32_e32 vcc, 31, v94
	s_xor_b64 s[14:15], s[6:7], -1
	s_and_b64 s[16:17], s[14:15], vcc
	s_and_saveexec_b64 s[14:15], s[16:17]
	s_cbranch_execz .LBB86_533
; %bb.532:
	v_ashrrev_i32_e32 v95, 31, v94
	v_lshlrev_b64 v[102:103], 2, v[94:95]
	v_add_co_u32_e32 v102, vcc, v4, v102
	v_addc_co_u32_e32 v103, vcc, v5, v103, vcc
	flat_load_dword v95, v[102:103]
	flat_load_dword v97, v[4:5] offset:124
	s_waitcnt vmcnt(0) lgkmcnt(0)
	flat_store_dword v[4:5], v95 offset:124
	flat_store_dword v[102:103], v97
.LBB86_533:
	s_or_b64 exec, exec, s[14:15]
	v_mov_b32_e32 v95, v94
	v_mov_b32_e32 v97, v94
.LBB86_534:
	s_or_b64 exec, exec, s[2:3]
.LBB86_535:
	s_andn2_saveexec_b64 s[0:1], s[0:1]
	s_cbranch_execz .LBB86_537
; %bb.536:
	v_mov_b32_e32 v102, v24
	v_mov_b32_e32 v103, v25
	v_mov_b32_e32 v104, v22
	v_mov_b32_e32 v105, v23
	ds_write2_b64 v96, v[102:103], v[104:105] offset0:32 offset1:33
	v_mov_b32_e32 v102, v20
	v_mov_b32_e32 v103, v21
	v_mov_b32_e32 v104, v18
	v_mov_b32_e32 v105, v19
	ds_write2_b64 v96, v[102:103], v[104:105] offset0:34 offset1:35
	v_mov_b32_e32 v102, v16
	v_mov_b32_e32 v103, v17
	v_mov_b32_e32 v104, v14
	v_mov_b32_e32 v105, v15
	ds_write2_b64 v96, v[102:103], v[104:105] offset0:36 offset1:37
	v_mov_b32_e32 v102, v12
	v_mov_b32_e32 v103, v13
	v_mov_b32_e32 v104, v10
	v_mov_b32_e32 v105, v11
	ds_write2_b64 v96, v[102:103], v[104:105] offset0:38 offset1:39
	v_mov_b32_e32 v102, v8
	v_mov_b32_e32 v103, v9
	v_mov_b32_e32 v104, v6
	v_mov_b32_e32 v105, v7
	ds_write2_b64 v96, v[102:103], v[104:105] offset0:40 offset1:41
	v_mov_b32_e32 v102, v0
	v_mov_b32_e32 v103, v1
	;; [unrolled: 1-line block ×3, first 2 shown]
	ds_write2_b64 v96, v[102:103], v[90:91] offset0:42 offset1:43
.LBB86_537:
	s_or_b64 exec, exec, s[0:1]
	v_cmp_lt_i32_e32 vcc, 31, v97
	s_waitcnt lgkmcnt(0)
	s_barrier
	s_and_saveexec_b64 s[0:1], vcc
	s_cbranch_execz .LBB86_539
; %bb.538:
	ds_read2_b64 v[102:105], v96 offset0:32 offset1:33
	ds_read2_b64 v[106:109], v96 offset0:34 offset1:35
	ds_read2_b64 v[110:113], v96 offset0:36 offset1:37
	v_mul_f64 v[26:27], v[92:93], v[26:27]
	s_waitcnt lgkmcnt(0)
	v_fma_f64 v[24:25], -v[26:27], v[102:103], v[24:25]
	v_fma_f64 v[22:23], -v[26:27], v[104:105], v[22:23]
	ds_read2_b64 v[102:105], v96 offset0:38 offset1:39
	v_fma_f64 v[20:21], -v[26:27], v[106:107], v[20:21]
	v_fma_f64 v[18:19], -v[26:27], v[108:109], v[18:19]
	;; [unrolled: 1-line block ×3, first 2 shown]
	ds_read2_b64 v[106:109], v96 offset0:40 offset1:41
	v_fma_f64 v[14:15], -v[26:27], v[112:113], v[14:15]
	ds_read2_b64 v[110:113], v96 offset0:42 offset1:43
	s_waitcnt lgkmcnt(0)
	v_fma_f64 v[12:13], -v[26:27], v[102:103], v[12:13]
	v_fma_f64 v[10:11], -v[26:27], v[104:105], v[10:11]
	;; [unrolled: 1-line block ×6, first 2 shown]
.LBB86_539:
	s_or_b64 exec, exec, s[0:1]
	v_lshl_add_u32 v92, v97, 3, v96
	s_barrier
	ds_write_b64 v92, v[24:25]
	s_waitcnt lgkmcnt(0)
	s_barrier
	ds_read_b64 v[92:93], v96 offset:256
	s_cmp_lt_i32 s18, 34
	v_mov_b32_e32 v94, 32
	s_cbranch_scc1 .LBB86_542
; %bb.540:
	v_add_u32_e32 v101, 0x108, v96
	s_mov_b32 s0, 33
	v_mov_b32_e32 v94, 32
.LBB86_541:                             ; =>This Inner Loop Header: Depth=1
	ds_read_b64 v[102:103], v101
	v_mov_b32_e32 v104, s0
	s_add_i32 s0, s0, 1
	v_add_u32_e32 v101, 8, v101
	s_cmp_lg_u32 s18, s0
	s_waitcnt lgkmcnt(0)
	v_cmp_lt_f64_e64 vcc, |v[92:93]|, |v[102:103]|
	v_cndmask_b32_e32 v93, v93, v103, vcc
	v_cndmask_b32_e32 v92, v92, v102, vcc
	;; [unrolled: 1-line block ×3, first 2 shown]
	s_cbranch_scc1 .LBB86_541
.LBB86_542:
	s_waitcnt lgkmcnt(0)
	v_cmp_eq_f64_e32 vcc, 0, v[92:93]
	s_and_saveexec_b64 s[0:1], vcc
	s_xor_b64 s[0:1], exec, s[0:1]
; %bb.543:
	v_cmp_ne_u32_e32 vcc, 0, v100
	v_cndmask_b32_e32 v100, 33, v100, vcc
; %bb.544:
	s_andn2_saveexec_b64 s[0:1], s[0:1]
; %bb.545:
	v_div_scale_f64 v[102:103], s[2:3], v[92:93], v[92:93], 1.0
	v_rcp_f64_e32 v[104:105], v[102:103]
	v_div_scale_f64 v[106:107], vcc, 1.0, v[92:93], 1.0
	v_fma_f64 v[108:109], -v[102:103], v[104:105], 1.0
	v_fmac_f64_e32 v[104:105], v[104:105], v[108:109]
	v_fma_f64 v[108:109], -v[102:103], v[104:105], 1.0
	v_fmac_f64_e32 v[104:105], v[104:105], v[108:109]
	v_mul_f64 v[108:109], v[106:107], v[104:105]
	v_fma_f64 v[102:103], -v[102:103], v[108:109], v[106:107]
	v_div_fmas_f64 v[102:103], v[102:103], v[104:105], v[108:109]
	v_div_fixup_f64 v[92:93], v[102:103], v[92:93], 1.0
; %bb.546:
	s_or_b64 exec, exec, s[0:1]
	v_cmp_ne_u32_e32 vcc, v97, v94
	s_and_saveexec_b64 s[0:1], vcc
	s_xor_b64 s[0:1], exec, s[0:1]
	s_cbranch_execz .LBB86_552
; %bb.547:
	v_cmp_eq_u32_e32 vcc, 32, v97
	s_and_saveexec_b64 s[2:3], vcc
	s_cbranch_execz .LBB86_551
; %bb.548:
	v_cmp_ne_u32_e32 vcc, 32, v94
	s_xor_b64 s[14:15], s[6:7], -1
	s_and_b64 s[16:17], s[14:15], vcc
	s_and_saveexec_b64 s[14:15], s[16:17]
	s_cbranch_execz .LBB86_550
; %bb.549:
	v_ashrrev_i32_e32 v95, 31, v94
	v_lshlrev_b64 v[102:103], 2, v[94:95]
	v_add_co_u32_e32 v102, vcc, v4, v102
	v_addc_co_u32_e32 v103, vcc, v5, v103, vcc
	flat_load_dword v95, v[102:103]
	flat_load_dword v97, v[4:5] offset:128
	s_waitcnt vmcnt(0) lgkmcnt(0)
	flat_store_dword v[4:5], v95 offset:128
	flat_store_dword v[102:103], v97
.LBB86_550:
	s_or_b64 exec, exec, s[14:15]
	v_mov_b32_e32 v95, v94
	v_mov_b32_e32 v97, v94
.LBB86_551:
	s_or_b64 exec, exec, s[2:3]
.LBB86_552:
	s_andn2_saveexec_b64 s[0:1], s[0:1]
	s_cbranch_execz .LBB86_554
; %bb.553:
	v_mov_b32_e32 v97, 32
	ds_write2_b64 v96, v[22:23], v[20:21] offset0:33 offset1:34
	ds_write2_b64 v96, v[18:19], v[16:17] offset0:35 offset1:36
	;; [unrolled: 1-line block ×5, first 2 shown]
	ds_write_b64 v96, v[90:91] offset:344
.LBB86_554:
	s_or_b64 exec, exec, s[0:1]
	v_cmp_lt_i32_e32 vcc, 32, v97
	s_waitcnt lgkmcnt(0)
	s_barrier
	s_and_saveexec_b64 s[0:1], vcc
	s_cbranch_execz .LBB86_556
; %bb.555:
	ds_read2_b64 v[102:105], v96 offset0:33 offset1:34
	ds_read2_b64 v[106:109], v96 offset0:35 offset1:36
	v_mul_f64 v[24:25], v[92:93], v[24:25]
	ds_read2_b64 v[110:113], v96 offset0:37 offset1:38
	ds_read_b64 v[92:93], v96 offset:344
	s_waitcnt lgkmcnt(0)
	v_fma_f64 v[22:23], -v[24:25], v[102:103], v[22:23]
	v_fma_f64 v[20:21], -v[24:25], v[104:105], v[20:21]
	ds_read2_b64 v[102:105], v96 offset0:39 offset1:40
	v_fma_f64 v[18:19], -v[24:25], v[106:107], v[18:19]
	v_fma_f64 v[16:17], -v[24:25], v[108:109], v[16:17]
	ds_read2_b64 v[106:109], v96 offset0:41 offset1:42
	v_fma_f64 v[14:15], -v[24:25], v[110:111], v[14:15]
	v_fma_f64 v[12:13], -v[24:25], v[112:113], v[12:13]
	s_waitcnt lgkmcnt(0)
	v_fma_f64 v[10:11], -v[24:25], v[102:103], v[10:11]
	v_fma_f64 v[8:9], -v[24:25], v[104:105], v[8:9]
	;; [unrolled: 1-line block ×5, first 2 shown]
.LBB86_556:
	s_or_b64 exec, exec, s[0:1]
	v_lshl_add_u32 v92, v97, 3, v96
	s_barrier
	ds_write_b64 v92, v[22:23]
	s_waitcnt lgkmcnt(0)
	s_barrier
	ds_read_b64 v[92:93], v96 offset:264
	s_cmp_lt_i32 s18, 35
	v_mov_b32_e32 v94, 33
	s_cbranch_scc1 .LBB86_559
; %bb.557:
	v_add_u32_e32 v101, 0x110, v96
	s_mov_b32 s0, 34
	v_mov_b32_e32 v94, 33
.LBB86_558:                             ; =>This Inner Loop Header: Depth=1
	ds_read_b64 v[102:103], v101
	v_mov_b32_e32 v104, s0
	s_add_i32 s0, s0, 1
	v_add_u32_e32 v101, 8, v101
	s_cmp_lg_u32 s18, s0
	s_waitcnt lgkmcnt(0)
	v_cmp_lt_f64_e64 vcc, |v[92:93]|, |v[102:103]|
	v_cndmask_b32_e32 v93, v93, v103, vcc
	v_cndmask_b32_e32 v92, v92, v102, vcc
	;; [unrolled: 1-line block ×3, first 2 shown]
	s_cbranch_scc1 .LBB86_558
.LBB86_559:
	s_waitcnt lgkmcnt(0)
	v_cmp_eq_f64_e32 vcc, 0, v[92:93]
	s_and_saveexec_b64 s[0:1], vcc
	s_xor_b64 s[0:1], exec, s[0:1]
; %bb.560:
	v_cmp_ne_u32_e32 vcc, 0, v100
	v_cndmask_b32_e32 v100, 34, v100, vcc
; %bb.561:
	s_andn2_saveexec_b64 s[0:1], s[0:1]
; %bb.562:
	v_div_scale_f64 v[102:103], s[2:3], v[92:93], v[92:93], 1.0
	v_rcp_f64_e32 v[104:105], v[102:103]
	v_div_scale_f64 v[106:107], vcc, 1.0, v[92:93], 1.0
	v_fma_f64 v[108:109], -v[102:103], v[104:105], 1.0
	v_fmac_f64_e32 v[104:105], v[104:105], v[108:109]
	v_fma_f64 v[108:109], -v[102:103], v[104:105], 1.0
	v_fmac_f64_e32 v[104:105], v[104:105], v[108:109]
	v_mul_f64 v[108:109], v[106:107], v[104:105]
	v_fma_f64 v[102:103], -v[102:103], v[108:109], v[106:107]
	v_div_fmas_f64 v[102:103], v[102:103], v[104:105], v[108:109]
	v_div_fixup_f64 v[92:93], v[102:103], v[92:93], 1.0
; %bb.563:
	s_or_b64 exec, exec, s[0:1]
	v_cmp_ne_u32_e32 vcc, v97, v94
	s_and_saveexec_b64 s[0:1], vcc
	s_xor_b64 s[0:1], exec, s[0:1]
	s_cbranch_execz .LBB86_569
; %bb.564:
	v_cmp_eq_u32_e32 vcc, 33, v97
	s_and_saveexec_b64 s[2:3], vcc
	s_cbranch_execz .LBB86_568
; %bb.565:
	v_cmp_ne_u32_e32 vcc, 33, v94
	s_xor_b64 s[14:15], s[6:7], -1
	s_and_b64 s[16:17], s[14:15], vcc
	s_and_saveexec_b64 s[14:15], s[16:17]
	s_cbranch_execz .LBB86_567
; %bb.566:
	v_ashrrev_i32_e32 v95, 31, v94
	v_lshlrev_b64 v[102:103], 2, v[94:95]
	v_add_co_u32_e32 v102, vcc, v4, v102
	v_addc_co_u32_e32 v103, vcc, v5, v103, vcc
	flat_load_dword v95, v[102:103]
	flat_load_dword v97, v[4:5] offset:132
	s_waitcnt vmcnt(0) lgkmcnt(0)
	flat_store_dword v[4:5], v95 offset:132
	flat_store_dword v[102:103], v97
.LBB86_567:
	s_or_b64 exec, exec, s[14:15]
	v_mov_b32_e32 v95, v94
	v_mov_b32_e32 v97, v94
.LBB86_568:
	s_or_b64 exec, exec, s[2:3]
.LBB86_569:
	s_andn2_saveexec_b64 s[0:1], s[0:1]
	s_cbranch_execz .LBB86_571
; %bb.570:
	v_mov_b32_e32 v102, v20
	v_mov_b32_e32 v103, v21
	v_mov_b32_e32 v104, v18
	v_mov_b32_e32 v105, v19
	ds_write2_b64 v96, v[102:103], v[104:105] offset0:34 offset1:35
	v_mov_b32_e32 v102, v16
	v_mov_b32_e32 v103, v17
	v_mov_b32_e32 v104, v14
	v_mov_b32_e32 v105, v15
	ds_write2_b64 v96, v[102:103], v[104:105] offset0:36 offset1:37
	;; [unrolled: 5-line block ×4, first 2 shown]
	v_mov_b32_e32 v102, v0
	v_mov_b32_e32 v103, v1
	;; [unrolled: 1-line block ×3, first 2 shown]
	ds_write2_b64 v96, v[102:103], v[90:91] offset0:42 offset1:43
.LBB86_571:
	s_or_b64 exec, exec, s[0:1]
	v_cmp_lt_i32_e32 vcc, 33, v97
	s_waitcnt lgkmcnt(0)
	s_barrier
	s_and_saveexec_b64 s[0:1], vcc
	s_cbranch_execz .LBB86_573
; %bb.572:
	ds_read2_b64 v[102:105], v96 offset0:34 offset1:35
	ds_read2_b64 v[106:109], v96 offset0:36 offset1:37
	v_mul_f64 v[22:23], v[92:93], v[22:23]
	ds_read2_b64 v[110:113], v96 offset0:40 offset1:41
	s_waitcnt lgkmcnt(0)
	v_fma_f64 v[20:21], -v[22:23], v[102:103], v[20:21]
	v_fma_f64 v[18:19], -v[22:23], v[104:105], v[18:19]
	ds_read2_b64 v[102:105], v96 offset0:38 offset1:39
	v_fma_f64 v[16:17], -v[22:23], v[106:107], v[16:17]
	v_fma_f64 v[14:15], -v[22:23], v[108:109], v[14:15]
	ds_read2_b64 v[106:109], v96 offset0:42 offset1:43
	v_fma_f64 v[8:9], -v[22:23], v[110:111], v[8:9]
	s_waitcnt lgkmcnt(0)
	v_fma_f64 v[12:13], -v[22:23], v[102:103], v[12:13]
	v_fma_f64 v[10:11], -v[22:23], v[104:105], v[10:11]
	;; [unrolled: 1-line block ×5, first 2 shown]
.LBB86_573:
	s_or_b64 exec, exec, s[0:1]
	v_lshl_add_u32 v92, v97, 3, v96
	s_barrier
	ds_write_b64 v92, v[20:21]
	s_waitcnt lgkmcnt(0)
	s_barrier
	ds_read_b64 v[92:93], v96 offset:272
	s_cmp_lt_i32 s18, 36
	v_mov_b32_e32 v94, 34
	s_cbranch_scc1 .LBB86_576
; %bb.574:
	v_add_u32_e32 v101, 0x118, v96
	s_mov_b32 s0, 35
	v_mov_b32_e32 v94, 34
.LBB86_575:                             ; =>This Inner Loop Header: Depth=1
	ds_read_b64 v[102:103], v101
	v_mov_b32_e32 v104, s0
	s_add_i32 s0, s0, 1
	v_add_u32_e32 v101, 8, v101
	s_cmp_lg_u32 s18, s0
	s_waitcnt lgkmcnt(0)
	v_cmp_lt_f64_e64 vcc, |v[92:93]|, |v[102:103]|
	v_cndmask_b32_e32 v93, v93, v103, vcc
	v_cndmask_b32_e32 v92, v92, v102, vcc
	;; [unrolled: 1-line block ×3, first 2 shown]
	s_cbranch_scc1 .LBB86_575
.LBB86_576:
	s_waitcnt lgkmcnt(0)
	v_cmp_eq_f64_e32 vcc, 0, v[92:93]
	s_and_saveexec_b64 s[0:1], vcc
	s_xor_b64 s[0:1], exec, s[0:1]
; %bb.577:
	v_cmp_ne_u32_e32 vcc, 0, v100
	v_cndmask_b32_e32 v100, 35, v100, vcc
; %bb.578:
	s_andn2_saveexec_b64 s[0:1], s[0:1]
; %bb.579:
	v_div_scale_f64 v[102:103], s[2:3], v[92:93], v[92:93], 1.0
	v_rcp_f64_e32 v[104:105], v[102:103]
	v_div_scale_f64 v[106:107], vcc, 1.0, v[92:93], 1.0
	v_fma_f64 v[108:109], -v[102:103], v[104:105], 1.0
	v_fmac_f64_e32 v[104:105], v[104:105], v[108:109]
	v_fma_f64 v[108:109], -v[102:103], v[104:105], 1.0
	v_fmac_f64_e32 v[104:105], v[104:105], v[108:109]
	v_mul_f64 v[108:109], v[106:107], v[104:105]
	v_fma_f64 v[102:103], -v[102:103], v[108:109], v[106:107]
	v_div_fmas_f64 v[102:103], v[102:103], v[104:105], v[108:109]
	v_div_fixup_f64 v[92:93], v[102:103], v[92:93], 1.0
; %bb.580:
	s_or_b64 exec, exec, s[0:1]
	v_cmp_ne_u32_e32 vcc, v97, v94
	s_and_saveexec_b64 s[0:1], vcc
	s_xor_b64 s[0:1], exec, s[0:1]
	s_cbranch_execz .LBB86_586
; %bb.581:
	v_cmp_eq_u32_e32 vcc, 34, v97
	s_and_saveexec_b64 s[2:3], vcc
	s_cbranch_execz .LBB86_585
; %bb.582:
	v_cmp_ne_u32_e32 vcc, 34, v94
	s_xor_b64 s[14:15], s[6:7], -1
	s_and_b64 s[16:17], s[14:15], vcc
	s_and_saveexec_b64 s[14:15], s[16:17]
	s_cbranch_execz .LBB86_584
; %bb.583:
	v_ashrrev_i32_e32 v95, 31, v94
	v_lshlrev_b64 v[102:103], 2, v[94:95]
	v_add_co_u32_e32 v102, vcc, v4, v102
	v_addc_co_u32_e32 v103, vcc, v5, v103, vcc
	flat_load_dword v95, v[102:103]
	flat_load_dword v97, v[4:5] offset:136
	s_waitcnt vmcnt(0) lgkmcnt(0)
	flat_store_dword v[4:5], v95 offset:136
	flat_store_dword v[102:103], v97
.LBB86_584:
	s_or_b64 exec, exec, s[14:15]
	v_mov_b32_e32 v95, v94
	v_mov_b32_e32 v97, v94
.LBB86_585:
	s_or_b64 exec, exec, s[2:3]
.LBB86_586:
	s_andn2_saveexec_b64 s[0:1], s[0:1]
	s_cbranch_execz .LBB86_588
; %bb.587:
	v_mov_b32_e32 v97, 34
	ds_write2_b64 v96, v[18:19], v[16:17] offset0:35 offset1:36
	ds_write2_b64 v96, v[14:15], v[12:13] offset0:37 offset1:38
	;; [unrolled: 1-line block ×4, first 2 shown]
	ds_write_b64 v96, v[90:91] offset:344
.LBB86_588:
	s_or_b64 exec, exec, s[0:1]
	v_cmp_lt_i32_e32 vcc, 34, v97
	s_waitcnt lgkmcnt(0)
	s_barrier
	s_and_saveexec_b64 s[0:1], vcc
	s_cbranch_execz .LBB86_590
; %bb.589:
	ds_read2_b64 v[102:105], v96 offset0:35 offset1:36
	ds_read2_b64 v[106:109], v96 offset0:37 offset1:38
	v_mul_f64 v[20:21], v[92:93], v[20:21]
	ds_read_b64 v[92:93], v96 offset:344
	ds_read2_b64 v[110:113], v96 offset0:41 offset1:42
	s_waitcnt lgkmcnt(0)
	v_fma_f64 v[18:19], -v[20:21], v[102:103], v[18:19]
	v_fma_f64 v[16:17], -v[20:21], v[104:105], v[16:17]
	ds_read2_b64 v[102:105], v96 offset0:39 offset1:40
	v_fma_f64 v[14:15], -v[20:21], v[106:107], v[14:15]
	v_fma_f64 v[12:13], -v[20:21], v[108:109], v[12:13]
	;; [unrolled: 1-line block ×4, first 2 shown]
	s_waitcnt lgkmcnt(0)
	v_fma_f64 v[10:11], -v[20:21], v[102:103], v[10:11]
	v_fma_f64 v[8:9], -v[20:21], v[104:105], v[8:9]
	;; [unrolled: 1-line block ×3, first 2 shown]
.LBB86_590:
	s_or_b64 exec, exec, s[0:1]
	v_lshl_add_u32 v92, v97, 3, v96
	s_barrier
	ds_write_b64 v92, v[18:19]
	s_waitcnt lgkmcnt(0)
	s_barrier
	ds_read_b64 v[92:93], v96 offset:280
	s_cmp_lt_i32 s18, 37
	v_mov_b32_e32 v94, 35
	s_cbranch_scc1 .LBB86_593
; %bb.591:
	v_add_u32_e32 v101, 0x120, v96
	s_mov_b32 s0, 36
	v_mov_b32_e32 v94, 35
.LBB86_592:                             ; =>This Inner Loop Header: Depth=1
	ds_read_b64 v[102:103], v101
	v_mov_b32_e32 v104, s0
	s_add_i32 s0, s0, 1
	v_add_u32_e32 v101, 8, v101
	s_cmp_lg_u32 s18, s0
	s_waitcnt lgkmcnt(0)
	v_cmp_lt_f64_e64 vcc, |v[92:93]|, |v[102:103]|
	v_cndmask_b32_e32 v93, v93, v103, vcc
	v_cndmask_b32_e32 v92, v92, v102, vcc
	;; [unrolled: 1-line block ×3, first 2 shown]
	s_cbranch_scc1 .LBB86_592
.LBB86_593:
	s_waitcnt lgkmcnt(0)
	v_cmp_eq_f64_e32 vcc, 0, v[92:93]
	s_and_saveexec_b64 s[0:1], vcc
	s_xor_b64 s[0:1], exec, s[0:1]
; %bb.594:
	v_cmp_ne_u32_e32 vcc, 0, v100
	v_cndmask_b32_e32 v100, 36, v100, vcc
; %bb.595:
	s_andn2_saveexec_b64 s[0:1], s[0:1]
; %bb.596:
	v_div_scale_f64 v[102:103], s[2:3], v[92:93], v[92:93], 1.0
	v_rcp_f64_e32 v[104:105], v[102:103]
	v_div_scale_f64 v[106:107], vcc, 1.0, v[92:93], 1.0
	v_fma_f64 v[108:109], -v[102:103], v[104:105], 1.0
	v_fmac_f64_e32 v[104:105], v[104:105], v[108:109]
	v_fma_f64 v[108:109], -v[102:103], v[104:105], 1.0
	v_fmac_f64_e32 v[104:105], v[104:105], v[108:109]
	v_mul_f64 v[108:109], v[106:107], v[104:105]
	v_fma_f64 v[102:103], -v[102:103], v[108:109], v[106:107]
	v_div_fmas_f64 v[102:103], v[102:103], v[104:105], v[108:109]
	v_div_fixup_f64 v[92:93], v[102:103], v[92:93], 1.0
; %bb.597:
	s_or_b64 exec, exec, s[0:1]
	v_cmp_ne_u32_e32 vcc, v97, v94
	s_and_saveexec_b64 s[0:1], vcc
	s_xor_b64 s[0:1], exec, s[0:1]
	s_cbranch_execz .LBB86_603
; %bb.598:
	v_cmp_eq_u32_e32 vcc, 35, v97
	s_and_saveexec_b64 s[2:3], vcc
	s_cbranch_execz .LBB86_602
; %bb.599:
	v_cmp_ne_u32_e32 vcc, 35, v94
	s_xor_b64 s[14:15], s[6:7], -1
	s_and_b64 s[16:17], s[14:15], vcc
	s_and_saveexec_b64 s[14:15], s[16:17]
	s_cbranch_execz .LBB86_601
; %bb.600:
	v_ashrrev_i32_e32 v95, 31, v94
	v_lshlrev_b64 v[102:103], 2, v[94:95]
	v_add_co_u32_e32 v102, vcc, v4, v102
	v_addc_co_u32_e32 v103, vcc, v5, v103, vcc
	flat_load_dword v95, v[102:103]
	flat_load_dword v97, v[4:5] offset:140
	s_waitcnt vmcnt(0) lgkmcnt(0)
	flat_store_dword v[4:5], v95 offset:140
	flat_store_dword v[102:103], v97
.LBB86_601:
	s_or_b64 exec, exec, s[14:15]
	v_mov_b32_e32 v95, v94
	v_mov_b32_e32 v97, v94
.LBB86_602:
	s_or_b64 exec, exec, s[2:3]
.LBB86_603:
	s_andn2_saveexec_b64 s[0:1], s[0:1]
	s_cbranch_execz .LBB86_605
; %bb.604:
	v_mov_b32_e32 v102, v16
	v_mov_b32_e32 v103, v17
	v_mov_b32_e32 v104, v14
	v_mov_b32_e32 v105, v15
	ds_write2_b64 v96, v[102:103], v[104:105] offset0:36 offset1:37
	v_mov_b32_e32 v102, v12
	v_mov_b32_e32 v103, v13
	v_mov_b32_e32 v104, v10
	v_mov_b32_e32 v105, v11
	ds_write2_b64 v96, v[102:103], v[104:105] offset0:38 offset1:39
	;; [unrolled: 5-line block ×3, first 2 shown]
	v_mov_b32_e32 v102, v0
	v_mov_b32_e32 v103, v1
	v_mov_b32_e32 v97, 35
	ds_write2_b64 v96, v[102:103], v[90:91] offset0:42 offset1:43
.LBB86_605:
	s_or_b64 exec, exec, s[0:1]
	v_cmp_lt_i32_e32 vcc, 35, v97
	s_waitcnt lgkmcnt(0)
	s_barrier
	s_and_saveexec_b64 s[0:1], vcc
	s_cbranch_execz .LBB86_607
; %bb.606:
	ds_read2_b64 v[102:105], v96 offset0:36 offset1:37
	ds_read2_b64 v[106:109], v96 offset0:38 offset1:39
	v_mul_f64 v[18:19], v[92:93], v[18:19]
	ds_read2_b64 v[110:113], v96 offset0:40 offset1:41
	s_waitcnt lgkmcnt(0)
	v_fma_f64 v[16:17], -v[18:19], v[102:103], v[16:17]
	v_fma_f64 v[14:15], -v[18:19], v[104:105], v[14:15]
	ds_read2_b64 v[102:105], v96 offset0:42 offset1:43
	v_fma_f64 v[12:13], -v[18:19], v[106:107], v[12:13]
	v_fma_f64 v[10:11], -v[18:19], v[108:109], v[10:11]
	v_fma_f64 v[8:9], -v[18:19], v[110:111], v[8:9]
	v_fma_f64 v[6:7], -v[18:19], v[112:113], v[6:7]
	s_waitcnt lgkmcnt(0)
	v_fma_f64 v[0:1], -v[18:19], v[102:103], v[0:1]
	v_fma_f64 v[90:91], -v[18:19], v[104:105], v[90:91]
.LBB86_607:
	s_or_b64 exec, exec, s[0:1]
	v_lshl_add_u32 v92, v97, 3, v96
	s_barrier
	ds_write_b64 v92, v[16:17]
	s_waitcnt lgkmcnt(0)
	s_barrier
	ds_read_b64 v[92:93], v96 offset:288
	s_cmp_lt_i32 s18, 38
	v_mov_b32_e32 v94, 36
	s_cbranch_scc1 .LBB86_610
; %bb.608:
	v_add_u32_e32 v101, 0x128, v96
	s_mov_b32 s0, 37
	v_mov_b32_e32 v94, 36
.LBB86_609:                             ; =>This Inner Loop Header: Depth=1
	ds_read_b64 v[102:103], v101
	v_mov_b32_e32 v104, s0
	s_add_i32 s0, s0, 1
	v_add_u32_e32 v101, 8, v101
	s_cmp_lg_u32 s18, s0
	s_waitcnt lgkmcnt(0)
	v_cmp_lt_f64_e64 vcc, |v[92:93]|, |v[102:103]|
	v_cndmask_b32_e32 v93, v93, v103, vcc
	v_cndmask_b32_e32 v92, v92, v102, vcc
	;; [unrolled: 1-line block ×3, first 2 shown]
	s_cbranch_scc1 .LBB86_609
.LBB86_610:
	s_waitcnt lgkmcnt(0)
	v_cmp_eq_f64_e32 vcc, 0, v[92:93]
	s_and_saveexec_b64 s[0:1], vcc
	s_xor_b64 s[0:1], exec, s[0:1]
; %bb.611:
	v_cmp_ne_u32_e32 vcc, 0, v100
	v_cndmask_b32_e32 v100, 37, v100, vcc
; %bb.612:
	s_andn2_saveexec_b64 s[0:1], s[0:1]
; %bb.613:
	v_div_scale_f64 v[102:103], s[2:3], v[92:93], v[92:93], 1.0
	v_rcp_f64_e32 v[104:105], v[102:103]
	v_div_scale_f64 v[106:107], vcc, 1.0, v[92:93], 1.0
	v_fma_f64 v[108:109], -v[102:103], v[104:105], 1.0
	v_fmac_f64_e32 v[104:105], v[104:105], v[108:109]
	v_fma_f64 v[108:109], -v[102:103], v[104:105], 1.0
	v_fmac_f64_e32 v[104:105], v[104:105], v[108:109]
	v_mul_f64 v[108:109], v[106:107], v[104:105]
	v_fma_f64 v[102:103], -v[102:103], v[108:109], v[106:107]
	v_div_fmas_f64 v[102:103], v[102:103], v[104:105], v[108:109]
	v_div_fixup_f64 v[92:93], v[102:103], v[92:93], 1.0
; %bb.614:
	s_or_b64 exec, exec, s[0:1]
	v_cmp_ne_u32_e32 vcc, v97, v94
	s_and_saveexec_b64 s[0:1], vcc
	s_xor_b64 s[0:1], exec, s[0:1]
	s_cbranch_execz .LBB86_620
; %bb.615:
	v_cmp_eq_u32_e32 vcc, 36, v97
	s_and_saveexec_b64 s[2:3], vcc
	s_cbranch_execz .LBB86_619
; %bb.616:
	v_cmp_ne_u32_e32 vcc, 36, v94
	s_xor_b64 s[14:15], s[6:7], -1
	s_and_b64 s[16:17], s[14:15], vcc
	s_and_saveexec_b64 s[14:15], s[16:17]
	s_cbranch_execz .LBB86_618
; %bb.617:
	v_ashrrev_i32_e32 v95, 31, v94
	v_lshlrev_b64 v[102:103], 2, v[94:95]
	v_add_co_u32_e32 v102, vcc, v4, v102
	v_addc_co_u32_e32 v103, vcc, v5, v103, vcc
	flat_load_dword v95, v[102:103]
	flat_load_dword v97, v[4:5] offset:144
	s_waitcnt vmcnt(0) lgkmcnt(0)
	flat_store_dword v[4:5], v95 offset:144
	flat_store_dword v[102:103], v97
.LBB86_618:
	s_or_b64 exec, exec, s[14:15]
	v_mov_b32_e32 v95, v94
	v_mov_b32_e32 v97, v94
.LBB86_619:
	s_or_b64 exec, exec, s[2:3]
.LBB86_620:
	s_andn2_saveexec_b64 s[0:1], s[0:1]
	s_cbranch_execz .LBB86_622
; %bb.621:
	v_mov_b32_e32 v97, 36
	ds_write2_b64 v96, v[14:15], v[12:13] offset0:37 offset1:38
	ds_write2_b64 v96, v[10:11], v[8:9] offset0:39 offset1:40
	;; [unrolled: 1-line block ×3, first 2 shown]
	ds_write_b64 v96, v[90:91] offset:344
.LBB86_622:
	s_or_b64 exec, exec, s[0:1]
	v_cmp_lt_i32_e32 vcc, 36, v97
	s_waitcnt lgkmcnt(0)
	s_barrier
	s_and_saveexec_b64 s[0:1], vcc
	s_cbranch_execz .LBB86_624
; %bb.623:
	ds_read2_b64 v[102:105], v96 offset0:37 offset1:38
	ds_read2_b64 v[106:109], v96 offset0:39 offset1:40
	v_mul_f64 v[16:17], v[92:93], v[16:17]
	ds_read2_b64 v[110:113], v96 offset0:41 offset1:42
	ds_read_b64 v[92:93], v96 offset:344
	s_waitcnt lgkmcnt(0)
	v_fma_f64 v[14:15], -v[16:17], v[102:103], v[14:15]
	v_fma_f64 v[12:13], -v[16:17], v[104:105], v[12:13]
	;; [unrolled: 1-line block ×7, first 2 shown]
.LBB86_624:
	s_or_b64 exec, exec, s[0:1]
	v_lshl_add_u32 v92, v97, 3, v96
	s_barrier
	ds_write_b64 v92, v[14:15]
	s_waitcnt lgkmcnt(0)
	s_barrier
	ds_read_b64 v[92:93], v96 offset:296
	s_cmp_lt_i32 s18, 39
	v_mov_b32_e32 v94, 37
	s_cbranch_scc1 .LBB86_627
; %bb.625:
	v_add_u32_e32 v101, 0x130, v96
	s_mov_b32 s0, 38
	v_mov_b32_e32 v94, 37
.LBB86_626:                             ; =>This Inner Loop Header: Depth=1
	ds_read_b64 v[102:103], v101
	v_mov_b32_e32 v104, s0
	s_add_i32 s0, s0, 1
	v_add_u32_e32 v101, 8, v101
	s_cmp_lg_u32 s18, s0
	s_waitcnt lgkmcnt(0)
	v_cmp_lt_f64_e64 vcc, |v[92:93]|, |v[102:103]|
	v_cndmask_b32_e32 v93, v93, v103, vcc
	v_cndmask_b32_e32 v92, v92, v102, vcc
	;; [unrolled: 1-line block ×3, first 2 shown]
	s_cbranch_scc1 .LBB86_626
.LBB86_627:
	s_waitcnt lgkmcnt(0)
	v_cmp_eq_f64_e32 vcc, 0, v[92:93]
	s_and_saveexec_b64 s[0:1], vcc
	s_xor_b64 s[0:1], exec, s[0:1]
; %bb.628:
	v_cmp_ne_u32_e32 vcc, 0, v100
	v_cndmask_b32_e32 v100, 38, v100, vcc
; %bb.629:
	s_andn2_saveexec_b64 s[0:1], s[0:1]
; %bb.630:
	v_div_scale_f64 v[102:103], s[2:3], v[92:93], v[92:93], 1.0
	v_rcp_f64_e32 v[104:105], v[102:103]
	v_div_scale_f64 v[106:107], vcc, 1.0, v[92:93], 1.0
	v_fma_f64 v[108:109], -v[102:103], v[104:105], 1.0
	v_fmac_f64_e32 v[104:105], v[104:105], v[108:109]
	v_fma_f64 v[108:109], -v[102:103], v[104:105], 1.0
	v_fmac_f64_e32 v[104:105], v[104:105], v[108:109]
	v_mul_f64 v[108:109], v[106:107], v[104:105]
	v_fma_f64 v[102:103], -v[102:103], v[108:109], v[106:107]
	v_div_fmas_f64 v[102:103], v[102:103], v[104:105], v[108:109]
	v_div_fixup_f64 v[92:93], v[102:103], v[92:93], 1.0
; %bb.631:
	s_or_b64 exec, exec, s[0:1]
	v_cmp_ne_u32_e32 vcc, v97, v94
	s_and_saveexec_b64 s[0:1], vcc
	s_xor_b64 s[0:1], exec, s[0:1]
	s_cbranch_execz .LBB86_637
; %bb.632:
	v_cmp_eq_u32_e32 vcc, 37, v97
	s_and_saveexec_b64 s[2:3], vcc
	s_cbranch_execz .LBB86_636
; %bb.633:
	v_cmp_ne_u32_e32 vcc, 37, v94
	s_xor_b64 s[14:15], s[6:7], -1
	s_and_b64 s[16:17], s[14:15], vcc
	s_and_saveexec_b64 s[14:15], s[16:17]
	s_cbranch_execz .LBB86_635
; %bb.634:
	v_ashrrev_i32_e32 v95, 31, v94
	v_lshlrev_b64 v[102:103], 2, v[94:95]
	v_add_co_u32_e32 v102, vcc, v4, v102
	v_addc_co_u32_e32 v103, vcc, v5, v103, vcc
	flat_load_dword v95, v[102:103]
	flat_load_dword v97, v[4:5] offset:148
	s_waitcnt vmcnt(0) lgkmcnt(0)
	flat_store_dword v[4:5], v95 offset:148
	flat_store_dword v[102:103], v97
.LBB86_635:
	s_or_b64 exec, exec, s[14:15]
	v_mov_b32_e32 v95, v94
	v_mov_b32_e32 v97, v94
.LBB86_636:
	s_or_b64 exec, exec, s[2:3]
.LBB86_637:
	s_andn2_saveexec_b64 s[0:1], s[0:1]
	s_cbranch_execz .LBB86_639
; %bb.638:
	v_mov_b32_e32 v102, v12
	v_mov_b32_e32 v103, v13
	;; [unrolled: 1-line block ×4, first 2 shown]
	ds_write2_b64 v96, v[102:103], v[104:105] offset0:38 offset1:39
	v_mov_b32_e32 v102, v8
	v_mov_b32_e32 v103, v9
	;; [unrolled: 1-line block ×4, first 2 shown]
	ds_write2_b64 v96, v[102:103], v[104:105] offset0:40 offset1:41
	v_mov_b32_e32 v102, v0
	v_mov_b32_e32 v103, v1
	;; [unrolled: 1-line block ×3, first 2 shown]
	ds_write2_b64 v96, v[102:103], v[90:91] offset0:42 offset1:43
.LBB86_639:
	s_or_b64 exec, exec, s[0:1]
	v_cmp_lt_i32_e32 vcc, 37, v97
	s_waitcnt lgkmcnt(0)
	s_barrier
	s_and_saveexec_b64 s[0:1], vcc
	s_cbranch_execz .LBB86_641
; %bb.640:
	ds_read2_b64 v[102:105], v96 offset0:38 offset1:39
	ds_read2_b64 v[106:109], v96 offset0:40 offset1:41
	;; [unrolled: 1-line block ×3, first 2 shown]
	v_mul_f64 v[14:15], v[92:93], v[14:15]
	s_waitcnt lgkmcnt(0)
	v_fma_f64 v[12:13], -v[14:15], v[102:103], v[12:13]
	v_fma_f64 v[10:11], -v[14:15], v[104:105], v[10:11]
	;; [unrolled: 1-line block ×6, first 2 shown]
.LBB86_641:
	s_or_b64 exec, exec, s[0:1]
	v_lshl_add_u32 v92, v97, 3, v96
	s_barrier
	ds_write_b64 v92, v[12:13]
	s_waitcnt lgkmcnt(0)
	s_barrier
	ds_read_b64 v[92:93], v96 offset:304
	s_cmp_lt_i32 s18, 40
	v_mov_b32_e32 v94, 38
	s_cbranch_scc1 .LBB86_644
; %bb.642:
	v_add_u32_e32 v101, 0x138, v96
	s_mov_b32 s0, 39
	v_mov_b32_e32 v94, 38
.LBB86_643:                             ; =>This Inner Loop Header: Depth=1
	ds_read_b64 v[102:103], v101
	v_mov_b32_e32 v104, s0
	s_add_i32 s0, s0, 1
	v_add_u32_e32 v101, 8, v101
	s_cmp_lg_u32 s18, s0
	s_waitcnt lgkmcnt(0)
	v_cmp_lt_f64_e64 vcc, |v[92:93]|, |v[102:103]|
	v_cndmask_b32_e32 v93, v93, v103, vcc
	v_cndmask_b32_e32 v92, v92, v102, vcc
	;; [unrolled: 1-line block ×3, first 2 shown]
	s_cbranch_scc1 .LBB86_643
.LBB86_644:
	s_waitcnt lgkmcnt(0)
	v_cmp_eq_f64_e32 vcc, 0, v[92:93]
	s_and_saveexec_b64 s[0:1], vcc
	s_xor_b64 s[0:1], exec, s[0:1]
; %bb.645:
	v_cmp_ne_u32_e32 vcc, 0, v100
	v_cndmask_b32_e32 v100, 39, v100, vcc
; %bb.646:
	s_andn2_saveexec_b64 s[0:1], s[0:1]
; %bb.647:
	v_div_scale_f64 v[102:103], s[2:3], v[92:93], v[92:93], 1.0
	v_rcp_f64_e32 v[104:105], v[102:103]
	v_div_scale_f64 v[106:107], vcc, 1.0, v[92:93], 1.0
	v_fma_f64 v[108:109], -v[102:103], v[104:105], 1.0
	v_fmac_f64_e32 v[104:105], v[104:105], v[108:109]
	v_fma_f64 v[108:109], -v[102:103], v[104:105], 1.0
	v_fmac_f64_e32 v[104:105], v[104:105], v[108:109]
	v_mul_f64 v[108:109], v[106:107], v[104:105]
	v_fma_f64 v[102:103], -v[102:103], v[108:109], v[106:107]
	v_div_fmas_f64 v[102:103], v[102:103], v[104:105], v[108:109]
	v_div_fixup_f64 v[92:93], v[102:103], v[92:93], 1.0
; %bb.648:
	s_or_b64 exec, exec, s[0:1]
	v_cmp_ne_u32_e32 vcc, v97, v94
	s_and_saveexec_b64 s[0:1], vcc
	s_xor_b64 s[0:1], exec, s[0:1]
	s_cbranch_execz .LBB86_654
; %bb.649:
	v_cmp_eq_u32_e32 vcc, 38, v97
	s_and_saveexec_b64 s[2:3], vcc
	s_cbranch_execz .LBB86_653
; %bb.650:
	v_cmp_ne_u32_e32 vcc, 38, v94
	s_xor_b64 s[14:15], s[6:7], -1
	s_and_b64 s[16:17], s[14:15], vcc
	s_and_saveexec_b64 s[14:15], s[16:17]
	s_cbranch_execz .LBB86_652
; %bb.651:
	v_ashrrev_i32_e32 v95, 31, v94
	v_lshlrev_b64 v[102:103], 2, v[94:95]
	v_add_co_u32_e32 v102, vcc, v4, v102
	v_addc_co_u32_e32 v103, vcc, v5, v103, vcc
	flat_load_dword v95, v[102:103]
	flat_load_dword v97, v[4:5] offset:152
	s_waitcnt vmcnt(0) lgkmcnt(0)
	flat_store_dword v[4:5], v95 offset:152
	flat_store_dword v[102:103], v97
.LBB86_652:
	s_or_b64 exec, exec, s[14:15]
	v_mov_b32_e32 v95, v94
	v_mov_b32_e32 v97, v94
.LBB86_653:
	s_or_b64 exec, exec, s[2:3]
.LBB86_654:
	s_andn2_saveexec_b64 s[0:1], s[0:1]
	s_cbranch_execz .LBB86_656
; %bb.655:
	v_mov_b32_e32 v97, 38
	ds_write2_b64 v96, v[10:11], v[8:9] offset0:39 offset1:40
	ds_write2_b64 v96, v[6:7], v[0:1] offset0:41 offset1:42
	ds_write_b64 v96, v[90:91] offset:344
.LBB86_656:
	s_or_b64 exec, exec, s[0:1]
	v_cmp_lt_i32_e32 vcc, 38, v97
	s_waitcnt lgkmcnt(0)
	s_barrier
	s_and_saveexec_b64 s[0:1], vcc
	s_cbranch_execz .LBB86_658
; %bb.657:
	ds_read2_b64 v[102:105], v96 offset0:39 offset1:40
	ds_read2_b64 v[106:109], v96 offset0:41 offset1:42
	v_mul_f64 v[12:13], v[92:93], v[12:13]
	ds_read_b64 v[92:93], v96 offset:344
	s_waitcnt lgkmcnt(0)
	v_fma_f64 v[10:11], -v[12:13], v[102:103], v[10:11]
	v_fma_f64 v[8:9], -v[12:13], v[104:105], v[8:9]
	v_fma_f64 v[6:7], -v[12:13], v[106:107], v[6:7]
	v_fma_f64 v[0:1], -v[12:13], v[108:109], v[0:1]
	v_fma_f64 v[90:91], -v[12:13], v[92:93], v[90:91]
.LBB86_658:
	s_or_b64 exec, exec, s[0:1]
	v_lshl_add_u32 v92, v97, 3, v96
	s_barrier
	ds_write_b64 v92, v[10:11]
	s_waitcnt lgkmcnt(0)
	s_barrier
	ds_read_b64 v[92:93], v96 offset:312
	s_cmp_lt_i32 s18, 41
	v_mov_b32_e32 v94, 39
	s_cbranch_scc1 .LBB86_661
; %bb.659:
	v_add_u32_e32 v101, 0x140, v96
	s_mov_b32 s0, 40
	v_mov_b32_e32 v94, 39
.LBB86_660:                             ; =>This Inner Loop Header: Depth=1
	ds_read_b64 v[102:103], v101
	v_mov_b32_e32 v104, s0
	s_add_i32 s0, s0, 1
	v_add_u32_e32 v101, 8, v101
	s_cmp_lg_u32 s18, s0
	s_waitcnt lgkmcnt(0)
	v_cmp_lt_f64_e64 vcc, |v[92:93]|, |v[102:103]|
	v_cndmask_b32_e32 v93, v93, v103, vcc
	v_cndmask_b32_e32 v92, v92, v102, vcc
	;; [unrolled: 1-line block ×3, first 2 shown]
	s_cbranch_scc1 .LBB86_660
.LBB86_661:
	s_waitcnt lgkmcnt(0)
	v_cmp_eq_f64_e32 vcc, 0, v[92:93]
	s_and_saveexec_b64 s[0:1], vcc
	s_xor_b64 s[0:1], exec, s[0:1]
; %bb.662:
	v_cmp_ne_u32_e32 vcc, 0, v100
	v_cndmask_b32_e32 v100, 40, v100, vcc
; %bb.663:
	s_andn2_saveexec_b64 s[0:1], s[0:1]
; %bb.664:
	v_div_scale_f64 v[102:103], s[2:3], v[92:93], v[92:93], 1.0
	v_rcp_f64_e32 v[104:105], v[102:103]
	v_div_scale_f64 v[106:107], vcc, 1.0, v[92:93], 1.0
	v_fma_f64 v[108:109], -v[102:103], v[104:105], 1.0
	v_fmac_f64_e32 v[104:105], v[104:105], v[108:109]
	v_fma_f64 v[108:109], -v[102:103], v[104:105], 1.0
	v_fmac_f64_e32 v[104:105], v[104:105], v[108:109]
	v_mul_f64 v[108:109], v[106:107], v[104:105]
	v_fma_f64 v[102:103], -v[102:103], v[108:109], v[106:107]
	v_div_fmas_f64 v[102:103], v[102:103], v[104:105], v[108:109]
	v_div_fixup_f64 v[92:93], v[102:103], v[92:93], 1.0
; %bb.665:
	s_or_b64 exec, exec, s[0:1]
	v_cmp_ne_u32_e32 vcc, v97, v94
	s_and_saveexec_b64 s[0:1], vcc
	s_xor_b64 s[0:1], exec, s[0:1]
	s_cbranch_execz .LBB86_671
; %bb.666:
	v_cmp_eq_u32_e32 vcc, 39, v97
	s_and_saveexec_b64 s[2:3], vcc
	s_cbranch_execz .LBB86_670
; %bb.667:
	v_cmp_ne_u32_e32 vcc, 39, v94
	s_xor_b64 s[14:15], s[6:7], -1
	s_and_b64 s[16:17], s[14:15], vcc
	s_and_saveexec_b64 s[14:15], s[16:17]
	s_cbranch_execz .LBB86_669
; %bb.668:
	v_ashrrev_i32_e32 v95, 31, v94
	v_lshlrev_b64 v[102:103], 2, v[94:95]
	v_add_co_u32_e32 v102, vcc, v4, v102
	v_addc_co_u32_e32 v103, vcc, v5, v103, vcc
	flat_load_dword v95, v[102:103]
	flat_load_dword v97, v[4:5] offset:156
	s_waitcnt vmcnt(0) lgkmcnt(0)
	flat_store_dword v[4:5], v95 offset:156
	flat_store_dword v[102:103], v97
.LBB86_669:
	s_or_b64 exec, exec, s[14:15]
	v_mov_b32_e32 v95, v94
	v_mov_b32_e32 v97, v94
.LBB86_670:
	s_or_b64 exec, exec, s[2:3]
.LBB86_671:
	s_andn2_saveexec_b64 s[0:1], s[0:1]
	s_cbranch_execz .LBB86_673
; %bb.672:
	v_mov_b32_e32 v102, v8
	v_mov_b32_e32 v103, v9
	;; [unrolled: 1-line block ×4, first 2 shown]
	ds_write2_b64 v96, v[102:103], v[104:105] offset0:40 offset1:41
	v_mov_b32_e32 v102, v0
	v_mov_b32_e32 v103, v1
	;; [unrolled: 1-line block ×3, first 2 shown]
	ds_write2_b64 v96, v[102:103], v[90:91] offset0:42 offset1:43
.LBB86_673:
	s_or_b64 exec, exec, s[0:1]
	v_cmp_lt_i32_e32 vcc, 39, v97
	s_waitcnt lgkmcnt(0)
	s_barrier
	s_and_saveexec_b64 s[0:1], vcc
	s_cbranch_execz .LBB86_675
; %bb.674:
	ds_read2_b64 v[102:105], v96 offset0:40 offset1:41
	ds_read2_b64 v[106:109], v96 offset0:42 offset1:43
	v_mul_f64 v[10:11], v[92:93], v[10:11]
	s_waitcnt lgkmcnt(0)
	v_fma_f64 v[8:9], -v[10:11], v[102:103], v[8:9]
	v_fma_f64 v[6:7], -v[10:11], v[104:105], v[6:7]
	;; [unrolled: 1-line block ×4, first 2 shown]
.LBB86_675:
	s_or_b64 exec, exec, s[0:1]
	v_lshl_add_u32 v92, v97, 3, v96
	s_barrier
	ds_write_b64 v92, v[8:9]
	s_waitcnt lgkmcnt(0)
	s_barrier
	ds_read_b64 v[92:93], v96 offset:320
	s_cmp_lt_i32 s18, 42
	v_mov_b32_e32 v94, 40
	s_cbranch_scc1 .LBB86_678
; %bb.676:
	v_add_u32_e32 v101, 0x148, v96
	s_mov_b32 s0, 41
	v_mov_b32_e32 v94, 40
.LBB86_677:                             ; =>This Inner Loop Header: Depth=1
	ds_read_b64 v[102:103], v101
	v_mov_b32_e32 v104, s0
	s_add_i32 s0, s0, 1
	v_add_u32_e32 v101, 8, v101
	s_cmp_lg_u32 s18, s0
	s_waitcnt lgkmcnt(0)
	v_cmp_lt_f64_e64 vcc, |v[92:93]|, |v[102:103]|
	v_cndmask_b32_e32 v93, v93, v103, vcc
	v_cndmask_b32_e32 v92, v92, v102, vcc
	;; [unrolled: 1-line block ×3, first 2 shown]
	s_cbranch_scc1 .LBB86_677
.LBB86_678:
	s_waitcnt lgkmcnt(0)
	v_cmp_eq_f64_e32 vcc, 0, v[92:93]
	s_and_saveexec_b64 s[0:1], vcc
	s_xor_b64 s[0:1], exec, s[0:1]
; %bb.679:
	v_cmp_ne_u32_e32 vcc, 0, v100
	v_cndmask_b32_e32 v100, 41, v100, vcc
; %bb.680:
	s_andn2_saveexec_b64 s[0:1], s[0:1]
; %bb.681:
	v_div_scale_f64 v[102:103], s[2:3], v[92:93], v[92:93], 1.0
	v_rcp_f64_e32 v[104:105], v[102:103]
	v_div_scale_f64 v[106:107], vcc, 1.0, v[92:93], 1.0
	v_fma_f64 v[108:109], -v[102:103], v[104:105], 1.0
	v_fmac_f64_e32 v[104:105], v[104:105], v[108:109]
	v_fma_f64 v[108:109], -v[102:103], v[104:105], 1.0
	v_fmac_f64_e32 v[104:105], v[104:105], v[108:109]
	v_mul_f64 v[108:109], v[106:107], v[104:105]
	v_fma_f64 v[102:103], -v[102:103], v[108:109], v[106:107]
	v_div_fmas_f64 v[102:103], v[102:103], v[104:105], v[108:109]
	v_div_fixup_f64 v[92:93], v[102:103], v[92:93], 1.0
; %bb.682:
	s_or_b64 exec, exec, s[0:1]
	v_cmp_ne_u32_e32 vcc, v97, v94
	s_and_saveexec_b64 s[0:1], vcc
	s_xor_b64 s[0:1], exec, s[0:1]
	s_cbranch_execz .LBB86_688
; %bb.683:
	v_cmp_eq_u32_e32 vcc, 40, v97
	s_and_saveexec_b64 s[2:3], vcc
	s_cbranch_execz .LBB86_687
; %bb.684:
	v_cmp_ne_u32_e32 vcc, 40, v94
	s_xor_b64 s[14:15], s[6:7], -1
	s_and_b64 s[16:17], s[14:15], vcc
	s_and_saveexec_b64 s[14:15], s[16:17]
	s_cbranch_execz .LBB86_686
; %bb.685:
	v_ashrrev_i32_e32 v95, 31, v94
	v_lshlrev_b64 v[102:103], 2, v[94:95]
	v_add_co_u32_e32 v102, vcc, v4, v102
	v_addc_co_u32_e32 v103, vcc, v5, v103, vcc
	flat_load_dword v95, v[102:103]
	flat_load_dword v97, v[4:5] offset:160
	s_waitcnt vmcnt(0) lgkmcnt(0)
	flat_store_dword v[4:5], v95 offset:160
	flat_store_dword v[102:103], v97
.LBB86_686:
	s_or_b64 exec, exec, s[14:15]
	v_mov_b32_e32 v95, v94
	v_mov_b32_e32 v97, v94
.LBB86_687:
	s_or_b64 exec, exec, s[2:3]
.LBB86_688:
	s_andn2_saveexec_b64 s[0:1], s[0:1]
	s_cbranch_execz .LBB86_690
; %bb.689:
	v_mov_b32_e32 v97, 40
	ds_write2_b64 v96, v[6:7], v[0:1] offset0:41 offset1:42
	ds_write_b64 v96, v[90:91] offset:344
.LBB86_690:
	s_or_b64 exec, exec, s[0:1]
	v_cmp_lt_i32_e32 vcc, 40, v97
	s_waitcnt lgkmcnt(0)
	s_barrier
	s_and_saveexec_b64 s[0:1], vcc
	s_cbranch_execz .LBB86_692
; %bb.691:
	ds_read2_b64 v[102:105], v96 offset0:41 offset1:42
	ds_read_b64 v[106:107], v96 offset:344
	v_mul_f64 v[8:9], v[92:93], v[8:9]
	s_waitcnt lgkmcnt(0)
	v_fma_f64 v[6:7], -v[8:9], v[102:103], v[6:7]
	v_fma_f64 v[0:1], -v[8:9], v[104:105], v[0:1]
	;; [unrolled: 1-line block ×3, first 2 shown]
.LBB86_692:
	s_or_b64 exec, exec, s[0:1]
	v_lshl_add_u32 v92, v97, 3, v96
	s_barrier
	ds_write_b64 v92, v[6:7]
	s_waitcnt lgkmcnt(0)
	s_barrier
	ds_read_b64 v[92:93], v96 offset:328
	s_cmp_lt_i32 s18, 43
	v_mov_b32_e32 v94, 41
	s_cbranch_scc1 .LBB86_695
; %bb.693:
	v_add_u32_e32 v101, 0x150, v96
	s_mov_b32 s0, 42
	v_mov_b32_e32 v94, 41
.LBB86_694:                             ; =>This Inner Loop Header: Depth=1
	ds_read_b64 v[102:103], v101
	v_mov_b32_e32 v104, s0
	s_add_i32 s0, s0, 1
	v_add_u32_e32 v101, 8, v101
	s_cmp_lg_u32 s18, s0
	s_waitcnt lgkmcnt(0)
	v_cmp_lt_f64_e64 vcc, |v[92:93]|, |v[102:103]|
	v_cndmask_b32_e32 v93, v93, v103, vcc
	v_cndmask_b32_e32 v92, v92, v102, vcc
	;; [unrolled: 1-line block ×3, first 2 shown]
	s_cbranch_scc1 .LBB86_694
.LBB86_695:
	s_waitcnt lgkmcnt(0)
	v_cmp_eq_f64_e32 vcc, 0, v[92:93]
	s_and_saveexec_b64 s[0:1], vcc
	s_xor_b64 s[0:1], exec, s[0:1]
; %bb.696:
	v_cmp_ne_u32_e32 vcc, 0, v100
	v_cndmask_b32_e32 v100, 42, v100, vcc
; %bb.697:
	s_andn2_saveexec_b64 s[0:1], s[0:1]
; %bb.698:
	v_div_scale_f64 v[102:103], s[2:3], v[92:93], v[92:93], 1.0
	v_rcp_f64_e32 v[104:105], v[102:103]
	v_div_scale_f64 v[106:107], vcc, 1.0, v[92:93], 1.0
	v_fma_f64 v[108:109], -v[102:103], v[104:105], 1.0
	v_fmac_f64_e32 v[104:105], v[104:105], v[108:109]
	v_fma_f64 v[108:109], -v[102:103], v[104:105], 1.0
	v_fmac_f64_e32 v[104:105], v[104:105], v[108:109]
	v_mul_f64 v[108:109], v[106:107], v[104:105]
	v_fma_f64 v[102:103], -v[102:103], v[108:109], v[106:107]
	v_div_fmas_f64 v[102:103], v[102:103], v[104:105], v[108:109]
	v_div_fixup_f64 v[92:93], v[102:103], v[92:93], 1.0
; %bb.699:
	s_or_b64 exec, exec, s[0:1]
	v_cmp_ne_u32_e32 vcc, v97, v94
	s_and_saveexec_b64 s[0:1], vcc
	s_xor_b64 s[0:1], exec, s[0:1]
	s_cbranch_execz .LBB86_705
; %bb.700:
	v_cmp_eq_u32_e32 vcc, 41, v97
	s_and_saveexec_b64 s[2:3], vcc
	s_cbranch_execz .LBB86_704
; %bb.701:
	v_cmp_ne_u32_e32 vcc, 41, v94
	s_xor_b64 s[14:15], s[6:7], -1
	s_and_b64 s[16:17], s[14:15], vcc
	s_and_saveexec_b64 s[14:15], s[16:17]
	s_cbranch_execz .LBB86_703
; %bb.702:
	v_ashrrev_i32_e32 v95, 31, v94
	v_lshlrev_b64 v[102:103], 2, v[94:95]
	v_add_co_u32_e32 v102, vcc, v4, v102
	v_addc_co_u32_e32 v103, vcc, v5, v103, vcc
	flat_load_dword v95, v[102:103]
	flat_load_dword v97, v[4:5] offset:164
	s_waitcnt vmcnt(0) lgkmcnt(0)
	flat_store_dword v[4:5], v95 offset:164
	flat_store_dword v[102:103], v97
.LBB86_703:
	s_or_b64 exec, exec, s[14:15]
	v_mov_b32_e32 v95, v94
	v_mov_b32_e32 v97, v94
.LBB86_704:
	s_or_b64 exec, exec, s[2:3]
.LBB86_705:
	s_andn2_saveexec_b64 s[0:1], s[0:1]
	s_cbranch_execz .LBB86_707
; %bb.706:
	v_mov_b32_e32 v102, v0
	v_mov_b32_e32 v103, v1
	;; [unrolled: 1-line block ×3, first 2 shown]
	ds_write2_b64 v96, v[102:103], v[90:91] offset0:42 offset1:43
.LBB86_707:
	s_or_b64 exec, exec, s[0:1]
	v_cmp_lt_i32_e32 vcc, 41, v97
	s_waitcnt lgkmcnt(0)
	s_barrier
	s_and_saveexec_b64 s[0:1], vcc
	s_cbranch_execz .LBB86_709
; %bb.708:
	ds_read2_b64 v[102:105], v96 offset0:42 offset1:43
	v_mul_f64 v[6:7], v[92:93], v[6:7]
	s_waitcnt lgkmcnt(0)
	v_fma_f64 v[0:1], -v[6:7], v[102:103], v[0:1]
	v_fma_f64 v[90:91], -v[6:7], v[104:105], v[90:91]
.LBB86_709:
	s_or_b64 exec, exec, s[0:1]
	v_lshl_add_u32 v92, v97, 3, v96
	s_barrier
	ds_write_b64 v92, v[0:1]
	s_waitcnt lgkmcnt(0)
	s_barrier
	ds_read_b64 v[92:93], v96 offset:336
	s_cmp_lt_i32 s18, 44
	v_mov_b32_e32 v94, 42
	s_cbranch_scc1 .LBB86_712
; %bb.710:
	v_add_u32_e32 v101, 0x158, v96
	s_mov_b32 s0, 43
	v_mov_b32_e32 v94, 42
.LBB86_711:                             ; =>This Inner Loop Header: Depth=1
	ds_read_b64 v[102:103], v101
	v_mov_b32_e32 v104, s0
	s_add_i32 s0, s0, 1
	v_add_u32_e32 v101, 8, v101
	s_cmp_lg_u32 s18, s0
	s_waitcnt lgkmcnt(0)
	v_cmp_lt_f64_e64 vcc, |v[92:93]|, |v[102:103]|
	v_cndmask_b32_e32 v93, v93, v103, vcc
	v_cndmask_b32_e32 v92, v92, v102, vcc
	;; [unrolled: 1-line block ×3, first 2 shown]
	s_cbranch_scc1 .LBB86_711
.LBB86_712:
	s_waitcnt lgkmcnt(0)
	v_cmp_eq_f64_e32 vcc, 0, v[92:93]
	s_and_saveexec_b64 s[0:1], vcc
	s_xor_b64 s[0:1], exec, s[0:1]
; %bb.713:
	v_cmp_ne_u32_e32 vcc, 0, v100
	v_cndmask_b32_e32 v100, 43, v100, vcc
; %bb.714:
	s_andn2_saveexec_b64 s[0:1], s[0:1]
; %bb.715:
	v_div_scale_f64 v[102:103], s[2:3], v[92:93], v[92:93], 1.0
	v_rcp_f64_e32 v[104:105], v[102:103]
	v_div_scale_f64 v[106:107], vcc, 1.0, v[92:93], 1.0
	v_fma_f64 v[108:109], -v[102:103], v[104:105], 1.0
	v_fmac_f64_e32 v[104:105], v[104:105], v[108:109]
	v_fma_f64 v[108:109], -v[102:103], v[104:105], 1.0
	v_fmac_f64_e32 v[104:105], v[104:105], v[108:109]
	v_mul_f64 v[108:109], v[106:107], v[104:105]
	v_fma_f64 v[102:103], -v[102:103], v[108:109], v[106:107]
	v_div_fmas_f64 v[102:103], v[102:103], v[104:105], v[108:109]
	v_div_fixup_f64 v[92:93], v[102:103], v[92:93], 1.0
; %bb.716:
	s_or_b64 exec, exec, s[0:1]
	v_cmp_ne_u32_e32 vcc, v97, v94
	s_and_saveexec_b64 s[0:1], vcc
	s_xor_b64 s[0:1], exec, s[0:1]
	s_cbranch_execz .LBB86_722
; %bb.717:
	v_cmp_eq_u32_e32 vcc, 42, v97
	s_and_saveexec_b64 s[2:3], vcc
	s_cbranch_execz .LBB86_721
; %bb.718:
	v_cmp_ne_u32_e32 vcc, 42, v94
	s_xor_b64 s[14:15], s[6:7], -1
	s_and_b64 s[16:17], s[14:15], vcc
	s_and_saveexec_b64 s[14:15], s[16:17]
	s_cbranch_execz .LBB86_720
; %bb.719:
	v_ashrrev_i32_e32 v95, 31, v94
	v_lshlrev_b64 v[102:103], 2, v[94:95]
	v_add_co_u32_e32 v102, vcc, v4, v102
	v_addc_co_u32_e32 v103, vcc, v5, v103, vcc
	flat_load_dword v95, v[102:103]
	flat_load_dword v97, v[4:5] offset:168
	s_waitcnt vmcnt(0) lgkmcnt(0)
	flat_store_dword v[4:5], v95 offset:168
	flat_store_dword v[102:103], v97
.LBB86_720:
	s_or_b64 exec, exec, s[14:15]
	v_mov_b32_e32 v95, v94
	v_mov_b32_e32 v97, v94
.LBB86_721:
	s_or_b64 exec, exec, s[2:3]
.LBB86_722:
	s_andn2_saveexec_b64 s[0:1], s[0:1]
	s_cbranch_execz .LBB86_724
; %bb.723:
	v_mov_b32_e32 v97, 42
	ds_write_b64 v96, v[90:91] offset:344
.LBB86_724:
	s_or_b64 exec, exec, s[0:1]
	v_cmp_lt_i32_e32 vcc, 42, v97
	s_waitcnt lgkmcnt(0)
	s_barrier
	s_and_saveexec_b64 s[0:1], vcc
	s_cbranch_execz .LBB86_726
; %bb.725:
	ds_read_b64 v[102:103], v96 offset:344
	v_mul_f64 v[0:1], v[92:93], v[0:1]
	s_waitcnt lgkmcnt(0)
	v_fma_f64 v[90:91], -v[0:1], v[102:103], v[90:91]
.LBB86_726:
	s_or_b64 exec, exec, s[0:1]
	v_lshl_add_u32 v92, v97, 3, v96
	s_barrier
	ds_write_b64 v92, v[90:91]
	s_waitcnt lgkmcnt(0)
	s_barrier
	ds_read_b64 v[92:93], v96 offset:344
	s_cmp_lt_i32 s18, 45
	v_mov_b32_e32 v94, 43
	s_cbranch_scc1 .LBB86_729
; %bb.727:
	v_add_u32_e32 v96, 0x160, v96
	s_mov_b32 s0, 44
	v_mov_b32_e32 v94, 43
.LBB86_728:                             ; =>This Inner Loop Header: Depth=1
	ds_read_b64 v[102:103], v96
	v_mov_b32_e32 v101, s0
	s_add_i32 s0, s0, 1
	v_add_u32_e32 v96, 8, v96
	s_cmp_lg_u32 s18, s0
	s_waitcnt lgkmcnt(0)
	v_cmp_lt_f64_e64 vcc, |v[92:93]|, |v[102:103]|
	v_cndmask_b32_e32 v93, v93, v103, vcc
	v_cndmask_b32_e32 v92, v92, v102, vcc
	;; [unrolled: 1-line block ×3, first 2 shown]
	s_cbranch_scc1 .LBB86_728
.LBB86_729:
	s_waitcnt lgkmcnt(0)
	v_cmp_eq_f64_e32 vcc, 0, v[92:93]
	s_and_saveexec_b64 s[0:1], vcc
	s_xor_b64 s[0:1], exec, s[0:1]
; %bb.730:
	v_cmp_ne_u32_e32 vcc, 0, v100
	v_cndmask_b32_e32 v100, 44, v100, vcc
; %bb.731:
	s_andn2_saveexec_b64 s[0:1], s[0:1]
; %bb.732:
	v_div_scale_f64 v[102:103], s[2:3], v[92:93], v[92:93], 1.0
	v_rcp_f64_e32 v[104:105], v[102:103]
	v_div_scale_f64 v[106:107], vcc, 1.0, v[92:93], 1.0
	v_fma_f64 v[108:109], -v[102:103], v[104:105], 1.0
	v_fmac_f64_e32 v[104:105], v[104:105], v[108:109]
	v_fma_f64 v[108:109], -v[102:103], v[104:105], 1.0
	v_fmac_f64_e32 v[104:105], v[104:105], v[108:109]
	v_mul_f64 v[108:109], v[106:107], v[104:105]
	v_fma_f64 v[102:103], -v[102:103], v[108:109], v[106:107]
	v_div_fmas_f64 v[102:103], v[102:103], v[104:105], v[108:109]
	v_div_fixup_f64 v[92:93], v[102:103], v[92:93], 1.0
; %bb.733:
	s_or_b64 exec, exec, s[0:1]
	v_cmp_ne_u32_e32 vcc, v97, v94
	v_mov_b32_e32 v96, 43
	s_and_saveexec_b64 s[0:1], vcc
	s_cbranch_execz .LBB86_739
; %bb.734:
	v_cmp_eq_u32_e32 vcc, 43, v97
	s_and_saveexec_b64 s[2:3], vcc
	s_cbranch_execz .LBB86_738
; %bb.735:
	v_cmp_ne_u32_e32 vcc, 43, v94
	s_xor_b64 s[6:7], s[6:7], -1
	s_and_b64 s[14:15], s[6:7], vcc
	s_and_saveexec_b64 s[6:7], s[14:15]
	s_cbranch_execz .LBB86_737
; %bb.736:
	v_ashrrev_i32_e32 v95, 31, v94
	v_lshlrev_b64 v[96:97], 2, v[94:95]
	v_add_co_u32_e32 v96, vcc, v4, v96
	v_addc_co_u32_e32 v97, vcc, v5, v97, vcc
	flat_load_dword v95, v[96:97]
	flat_load_dword v101, v[4:5] offset:172
	s_waitcnt vmcnt(0) lgkmcnt(0)
	flat_store_dword v[4:5], v95 offset:172
	flat_store_dword v[96:97], v101
.LBB86_737:
	s_or_b64 exec, exec, s[6:7]
	v_mov_b32_e32 v95, v94
	v_mov_b32_e32 v97, v94
.LBB86_738:
	s_or_b64 exec, exec, s[2:3]
	v_mov_b32_e32 v96, v97
.LBB86_739:
	s_or_b64 exec, exec, s[0:1]
	s_load_dwordx8 s[0:7], s[4:5], 0x28
	v_cmp_gt_i32_e32 vcc, 44, v96
	v_ashrrev_i32_e32 v97, 31, v96
	s_waitcnt lgkmcnt(0)
	s_barrier
	s_barrier
	s_and_saveexec_b64 s[14:15], vcc
	s_cbranch_execz .LBB86_741
; %bb.740:
	v_mul_lo_u32 v94, v3, s4
	v_mul_lo_u32 v101, v2, s5
	v_mad_u64_u32 v[4:5], s[4:5], v2, s4, 0
	s_lshl_b64 s[2:3], s[2:3], 2
	v_add3_u32 v5, v5, v101, v94
	s_add_u32 s0, s2, s0
	v_lshlrev_b64 v[4:5], 2, v[4:5]
	s_addc_u32 s1, s3, s1
	v_mov_b32_e32 v94, s1
	v_add_co_u32_e32 v101, vcc, s0, v4
	v_addc_co_u32_e32 v94, vcc, v94, v5, vcc
	v_lshlrev_b64 v[4:5], 2, v[96:97]
	v_add_co_u32_e32 v4, vcc, v101, v4
	v_addc_co_u32_e32 v5, vcc, v94, v5, vcc
	v_add3_u32 v94, v95, s13, 1
	global_store_dword v[4:5], v94, off
.LBB86_741:
	s_or_b64 exec, exec, s[14:15]
	v_cmp_eq_u32_e32 vcc, 0, v96
	s_and_saveexec_b64 s[2:3], vcc
	s_cbranch_execz .LBB86_744
; %bb.742:
	v_lshlrev_b64 v[2:3], 2, v[2:3]
	v_mov_b32_e32 v4, s7
	v_add_co_u32_e32 v2, vcc, s6, v2
	v_addc_co_u32_e32 v3, vcc, v4, v3, vcc
	global_load_dword v4, v[2:3], off
	v_cmp_lt_i32_e64 s[0:1], 0, v100
	s_waitcnt vmcnt(0)
	v_cmp_eq_u32_e32 vcc, 0, v4
	s_and_b64 s[0:1], vcc, s[0:1]
	s_and_b64 exec, exec, s[0:1]
	s_cbranch_execz .LBB86_744
; %bb.743:
	v_add_u32_e32 v4, s13, v100
	global_store_dword v[2:3], v4, off
.LBB86_744:
	s_or_b64 exec, exec, s[2:3]
	v_mul_f64 v[2:3], v[92:93], v[90:91]
	v_cmp_lt_i32_e32 vcc, 43, v96
	v_lshlrev_b64 v[4:5], 3, v[96:97]
	v_cndmask_b32_e32 v3, v91, v3, vcc
	v_cndmask_b32_e32 v2, v90, v2, vcc
	v_add_co_u32_e32 v4, vcc, v98, v4
	v_addc_co_u32_e32 v5, vcc, v99, v5, vcc
	global_store_dwordx2 v[4:5], v[86:87], off
	v_mov_b32_e32 v86, s11
	v_add_co_u32_e32 v4, vcc, s10, v4
	v_addc_co_u32_e32 v5, vcc, v5, v86, vcc
	global_store_dwordx2 v[4:5], v[88:89], off
	v_add_u32_e32 v4, s12, v96
	v_ashrrev_i32_e32 v5, 31, v4
	v_lshlrev_b64 v[86:87], 3, v[4:5]
	v_add_co_u32_e32 v86, vcc, v98, v86
	v_add_u32_e32 v4, s8, v4
	v_addc_co_u32_e32 v87, vcc, v99, v87, vcc
	v_ashrrev_i32_e32 v5, 31, v4
	global_store_dwordx2 v[86:87], v[84:85], off
	v_lshlrev_b64 v[84:85], 3, v[4:5]
	v_add_co_u32_e32 v84, vcc, v98, v84
	v_add_u32_e32 v4, s8, v4
	v_addc_co_u32_e32 v85, vcc, v99, v85, vcc
	v_ashrrev_i32_e32 v5, 31, v4
	global_store_dwordx2 v[84:85], v[82:83], off
	;; [unrolled: 6-line block ×40, first 2 shown]
	v_lshlrev_b64 v[6:7], 3, v[4:5]
	v_add_co_u32_e32 v6, vcc, v98, v6
	v_addc_co_u32_e32 v7, vcc, v99, v7, vcc
	global_store_dwordx2 v[6:7], v[0:1], off
	v_add_u32_e32 v0, s8, v4
	v_ashrrev_i32_e32 v1, 31, v0
	v_lshlrev_b64 v[0:1], 3, v[0:1]
	v_add_co_u32_e32 v0, vcc, v98, v0
	v_addc_co_u32_e32 v1, vcc, v99, v1, vcc
	global_store_dwordx2 v[0:1], v[2:3], off
.LBB86_745:
	s_endpgm
	.section	.rodata,"a",@progbits
	.p2align	6, 0x0
	.amdhsa_kernel _ZN9rocsolver6v33100L18getf2_small_kernelILi44EdiiPKPdEEvT1_T3_lS5_lPS5_llPT2_S5_S5_S7_l
		.amdhsa_group_segment_fixed_size 0
		.amdhsa_private_segment_fixed_size 0
		.amdhsa_kernarg_size 352
		.amdhsa_user_sgpr_count 6
		.amdhsa_user_sgpr_private_segment_buffer 1
		.amdhsa_user_sgpr_dispatch_ptr 0
		.amdhsa_user_sgpr_queue_ptr 0
		.amdhsa_user_sgpr_kernarg_segment_ptr 1
		.amdhsa_user_sgpr_dispatch_id 0
		.amdhsa_user_sgpr_flat_scratch_init 0
		.amdhsa_user_sgpr_kernarg_preload_length 0
		.amdhsa_user_sgpr_kernarg_preload_offset 0
		.amdhsa_user_sgpr_private_segment_size 0
		.amdhsa_uses_dynamic_stack 0
		.amdhsa_system_sgpr_private_segment_wavefront_offset 0
		.amdhsa_system_sgpr_workgroup_id_x 1
		.amdhsa_system_sgpr_workgroup_id_y 1
		.amdhsa_system_sgpr_workgroup_id_z 0
		.amdhsa_system_sgpr_workgroup_info 0
		.amdhsa_system_vgpr_workitem_id 1
		.amdhsa_next_free_vgpr 154
		.amdhsa_next_free_sgpr 22
		.amdhsa_accum_offset 156
		.amdhsa_reserve_vcc 1
		.amdhsa_reserve_flat_scratch 0
		.amdhsa_float_round_mode_32 0
		.amdhsa_float_round_mode_16_64 0
		.amdhsa_float_denorm_mode_32 3
		.amdhsa_float_denorm_mode_16_64 3
		.amdhsa_dx10_clamp 1
		.amdhsa_ieee_mode 1
		.amdhsa_fp16_overflow 0
		.amdhsa_tg_split 0
		.amdhsa_exception_fp_ieee_invalid_op 0
		.amdhsa_exception_fp_denorm_src 0
		.amdhsa_exception_fp_ieee_div_zero 0
		.amdhsa_exception_fp_ieee_overflow 0
		.amdhsa_exception_fp_ieee_underflow 0
		.amdhsa_exception_fp_ieee_inexact 0
		.amdhsa_exception_int_div_zero 0
	.end_amdhsa_kernel
	.section	.text._ZN9rocsolver6v33100L18getf2_small_kernelILi44EdiiPKPdEEvT1_T3_lS5_lPS5_llPT2_S5_S5_S7_l,"axG",@progbits,_ZN9rocsolver6v33100L18getf2_small_kernelILi44EdiiPKPdEEvT1_T3_lS5_lPS5_llPT2_S5_S5_S7_l,comdat
.Lfunc_end86:
	.size	_ZN9rocsolver6v33100L18getf2_small_kernelILi44EdiiPKPdEEvT1_T3_lS5_lPS5_llPT2_S5_S5_S7_l, .Lfunc_end86-_ZN9rocsolver6v33100L18getf2_small_kernelILi44EdiiPKPdEEvT1_T3_lS5_lPS5_llPT2_S5_S5_S7_l
                                        ; -- End function
	.section	.AMDGPU.csdata,"",@progbits
; Kernel info:
; codeLenInByte = 40080
; NumSgprs: 26
; NumVgprs: 154
; NumAgprs: 0
; TotalNumVgprs: 154
; ScratchSize: 0
; MemoryBound: 0
; FloatMode: 240
; IeeeMode: 1
; LDSByteSize: 0 bytes/workgroup (compile time only)
; SGPRBlocks: 3
; VGPRBlocks: 19
; NumSGPRsForWavesPerEU: 26
; NumVGPRsForWavesPerEU: 154
; AccumOffset: 156
; Occupancy: 3
; WaveLimiterHint : 1
; COMPUTE_PGM_RSRC2:SCRATCH_EN: 0
; COMPUTE_PGM_RSRC2:USER_SGPR: 6
; COMPUTE_PGM_RSRC2:TRAP_HANDLER: 0
; COMPUTE_PGM_RSRC2:TGID_X_EN: 1
; COMPUTE_PGM_RSRC2:TGID_Y_EN: 1
; COMPUTE_PGM_RSRC2:TGID_Z_EN: 0
; COMPUTE_PGM_RSRC2:TIDIG_COMP_CNT: 1
; COMPUTE_PGM_RSRC3_GFX90A:ACCUM_OFFSET: 38
; COMPUTE_PGM_RSRC3_GFX90A:TG_SPLIT: 0
	.section	.text._ZN9rocsolver6v33100L23getf2_npvt_small_kernelILi44EdiiPKPdEEvT1_T3_lS5_lPT2_S5_S5_,"axG",@progbits,_ZN9rocsolver6v33100L23getf2_npvt_small_kernelILi44EdiiPKPdEEvT1_T3_lS5_lPT2_S5_S5_,comdat
	.globl	_ZN9rocsolver6v33100L23getf2_npvt_small_kernelILi44EdiiPKPdEEvT1_T3_lS5_lPT2_S5_S5_ ; -- Begin function _ZN9rocsolver6v33100L23getf2_npvt_small_kernelILi44EdiiPKPdEEvT1_T3_lS5_lPT2_S5_S5_
	.p2align	8
	.type	_ZN9rocsolver6v33100L23getf2_npvt_small_kernelILi44EdiiPKPdEEvT1_T3_lS5_lPT2_S5_S5_,@function
_ZN9rocsolver6v33100L23getf2_npvt_small_kernelILi44EdiiPKPdEEvT1_T3_lS5_lPT2_S5_S5_: ; @_ZN9rocsolver6v33100L23getf2_npvt_small_kernelILi44EdiiPKPdEEvT1_T3_lS5_lPT2_S5_S5_
; %bb.0:
	s_mov_b64 s[18:19], s[2:3]
	s_mov_b64 s[16:17], s[0:1]
	s_add_u32 s16, s16, s8
	s_load_dword s0, s[4:5], 0x44
	s_load_dwordx2 s[8:9], s[4:5], 0x30
	s_addc_u32 s17, s17, 0
	v_bfe_u32 v178, v0, 10, 10
	s_waitcnt lgkmcnt(0)
	s_lshr_b32 s6, s0, 16
	s_mul_i32 s7, s7, s6
	v_add_u32_e32 v2, s7, v178
	v_cmp_gt_i32_e32 vcc, s8, v2
	s_and_saveexec_b64 s[0:1], vcc
	s_cbranch_execz .LBB87_223
; %bb.1:
	s_load_dwordx4 s[12:15], s[4:5], 0x8
	s_load_dword s0, s[4:5], 0x18
	v_ashrrev_i32_e32 v3, 31, v2
	v_lshlrev_b64 v[4:5], 3, v[2:3]
	v_and_b32_e32 v188, 0x3ff, v0
	s_waitcnt lgkmcnt(0)
	v_mov_b32_e32 v1, s13
	v_add_co_u32_e32 v4, vcc, s12, v4
	v_addc_co_u32_e32 v5, vcc, v1, v5, vcc
	global_load_dwordx2 v[4:5], v[4:5], off
	s_add_i32 s1, s0, s0
	s_lshl_b64 s[2:3], s[14:15], 3
	v_add_u32_e32 v0, s1, v188
	v_mov_b32_e32 v25, s3
	v_ashrrev_i32_e32 v1, 31, v0
	v_add_u32_e32 v6, s0, v0
	v_lshlrev_b64 v[0:1], 3, v[0:1]
	v_ashrrev_i32_e32 v7, 31, v6
	v_add_u32_e32 v8, s0, v6
	v_lshlrev_b64 v[6:7], 3, v[6:7]
	;; [unrolled: 3-line block ×10, first 2 shown]
	v_add_u32_e32 v26, s0, v24
	v_ashrrev_i32_e32 v27, 31, v26
	v_add_u32_e32 v28, s0, v26
	v_ashrrev_i32_e32 v29, 31, v28
	;; [unrolled: 2-line block ×22, first 2 shown]
	v_add_u32_e32 v70, s0, v68
	s_waitcnt vmcnt(0)
	v_add_co_u32_e32 v86, vcc, s2, v4
	v_addc_co_u32_e32 v87, vcc, v5, v25, vcc
	v_add_co_u32_e32 v0, vcc, v86, v0
	v_addc_co_u32_e32 v1, vcc, v87, v1, vcc
	v_add_co_u32_e32 v4, vcc, v86, v6
	v_addc_co_u32_e32 v5, vcc, v87, v7, vcc
	v_add_co_u32_e32 v6, vcc, v86, v8
	v_addc_co_u32_e32 v7, vcc, v87, v9, vcc
	v_add_co_u32_e32 v8, vcc, v86, v10
	v_addc_co_u32_e32 v9, vcc, v87, v11, vcc
	v_add_co_u32_e32 v10, vcc, v86, v12
	v_addc_co_u32_e32 v11, vcc, v87, v13, vcc
	v_add_co_u32_e32 v12, vcc, v86, v14
	v_addc_co_u32_e32 v13, vcc, v87, v15, vcc
	v_add_co_u32_e32 v14, vcc, v86, v16
	v_addc_co_u32_e32 v15, vcc, v87, v17, vcc
	v_add_co_u32_e32 v16, vcc, v86, v18
	v_addc_co_u32_e32 v17, vcc, v87, v19, vcc
	v_add_co_u32_e32 v18, vcc, v86, v20
	v_addc_co_u32_e32 v19, vcc, v87, v21, vcc
	v_add_co_u32_e32 v20, vcc, v86, v22
	v_ashrrev_i32_e32 v25, 31, v24
	v_addc_co_u32_e32 v21, vcc, v87, v23, vcc
	v_lshlrev_b64 v[22:23], 3, v[24:25]
	v_add_co_u32_e32 v22, vcc, v86, v22
	v_addc_co_u32_e32 v23, vcc, v87, v23, vcc
	v_lshlrev_b64 v[24:25], 3, v[26:27]
	v_add_co_u32_e32 v24, vcc, v86, v24
	v_addc_co_u32_e32 v25, vcc, v87, v25, vcc
	v_lshlrev_b64 v[26:27], 3, v[28:29]
	v_add_co_u32_e32 v26, vcc, v86, v26
	v_addc_co_u32_e32 v27, vcc, v87, v27, vcc
	v_lshlrev_b64 v[28:29], 3, v[30:31]
	v_add_co_u32_e32 v28, vcc, v86, v28
	v_addc_co_u32_e32 v29, vcc, v87, v29, vcc
	v_lshlrev_b64 v[30:31], 3, v[32:33]
	v_add_co_u32_e32 v30, vcc, v86, v30
	v_addc_co_u32_e32 v31, vcc, v87, v31, vcc
	v_lshlrev_b64 v[32:33], 3, v[34:35]
	v_add_co_u32_e32 v32, vcc, v86, v32
	v_addc_co_u32_e32 v33, vcc, v87, v33, vcc
	v_lshlrev_b64 v[34:35], 3, v[36:37]
	v_add_co_u32_e32 v34, vcc, v86, v34
	v_addc_co_u32_e32 v35, vcc, v87, v35, vcc
	v_lshlrev_b64 v[36:37], 3, v[38:39]
	v_add_co_u32_e32 v36, vcc, v86, v36
	v_addc_co_u32_e32 v37, vcc, v87, v37, vcc
	v_lshlrev_b64 v[38:39], 3, v[40:41]
	v_add_co_u32_e32 v38, vcc, v86, v38
	v_addc_co_u32_e32 v39, vcc, v87, v39, vcc
	v_lshlrev_b64 v[40:41], 3, v[42:43]
	v_add_co_u32_e32 v40, vcc, v86, v40
	v_addc_co_u32_e32 v41, vcc, v87, v41, vcc
	v_lshlrev_b64 v[42:43], 3, v[44:45]
	v_add_co_u32_e32 v42, vcc, v86, v42
	v_addc_co_u32_e32 v43, vcc, v87, v43, vcc
	v_lshlrev_b64 v[44:45], 3, v[46:47]
	v_add_co_u32_e32 v44, vcc, v86, v44
	v_addc_co_u32_e32 v45, vcc, v87, v45, vcc
	v_lshlrev_b64 v[46:47], 3, v[48:49]
	v_add_co_u32_e32 v46, vcc, v86, v46
	v_addc_co_u32_e32 v47, vcc, v87, v47, vcc
	v_lshlrev_b64 v[48:49], 3, v[50:51]
	v_add_co_u32_e32 v48, vcc, v86, v48
	v_addc_co_u32_e32 v49, vcc, v87, v49, vcc
	v_lshlrev_b64 v[50:51], 3, v[52:53]
	v_add_co_u32_e32 v50, vcc, v86, v50
	v_addc_co_u32_e32 v51, vcc, v87, v51, vcc
	v_lshlrev_b64 v[52:53], 3, v[54:55]
	v_add_co_u32_e32 v52, vcc, v86, v52
	v_addc_co_u32_e32 v53, vcc, v87, v53, vcc
	v_lshlrev_b64 v[54:55], 3, v[56:57]
	v_add_co_u32_e32 v54, vcc, v86, v54
	v_addc_co_u32_e32 v55, vcc, v87, v55, vcc
	v_lshlrev_b64 v[56:57], 3, v[58:59]
	v_add_co_u32_e32 v56, vcc, v86, v56
	v_addc_co_u32_e32 v57, vcc, v87, v57, vcc
	v_lshlrev_b64 v[58:59], 3, v[60:61]
	v_add_co_u32_e32 v58, vcc, v86, v58
	v_addc_co_u32_e32 v59, vcc, v87, v59, vcc
	v_lshlrev_b64 v[60:61], 3, v[62:63]
	v_add_co_u32_e32 v60, vcc, v86, v60
	v_addc_co_u32_e32 v61, vcc, v87, v61, vcc
	v_lshlrev_b64 v[62:63], 3, v[64:65]
	v_add_co_u32_e32 v62, vcc, v86, v62
	v_addc_co_u32_e32 v63, vcc, v87, v63, vcc
	v_lshlrev_b64 v[64:65], 3, v[66:67]
	v_add_co_u32_e32 v64, vcc, v86, v64
	v_addc_co_u32_e32 v65, vcc, v87, v65, vcc
	v_lshlrev_b64 v[66:67], 3, v[68:69]
	v_add_co_u32_e32 v66, vcc, v86, v66
	v_ashrrev_i32_e32 v71, 31, v70
	v_addc_co_u32_e32 v67, vcc, v87, v67, vcc
	v_lshlrev_b64 v[68:69], 3, v[70:71]
	v_add_u32_e32 v72, s0, v70
	v_add_co_u32_e32 v68, vcc, v86, v68
	v_ashrrev_i32_e32 v73, 31, v72
	v_addc_co_u32_e32 v69, vcc, v87, v69, vcc
	v_lshlrev_b64 v[70:71], 3, v[72:73]
	v_add_u32_e32 v74, s0, v72
	v_add_co_u32_e32 v70, vcc, v86, v70
	;; [unrolled: 5-line block ×8, first 2 shown]
	v_ashrrev_i32_e32 v85, 31, v84
	v_addc_co_u32_e32 v83, vcc, v87, v83, vcc
	v_lshlrev_b64 v[84:85], 3, v[84:85]
	v_add_co_u32_e32 v84, vcc, v86, v84
	v_addc_co_u32_e32 v85, vcc, v87, v85, vcc
	v_lshlrev_b32_e32 v88, 3, v188
	v_add_co_u32_e32 v86, vcc, v86, v88
	s_ashr_i32 s1, s0, 31
	v_addc_co_u32_e32 v87, vcc, 0, v87, vcc
	s_lshl_b64 s[0:1], s[0:1], 3
	v_mov_b32_e32 v89, s1
	v_add_co_u32_e32 v88, vcc, s0, v86
	v_addc_co_u32_e32 v89, vcc, v87, v89, vcc
	global_load_dwordx2 v[90:91], v[86:87], off
	global_load_dwordx2 v[132:133], v[88:89], off
	s_nop 0
	buffer_store_dword v0, off, s[16:19], 0 offset:64 ; 4-byte Folded Spill
	s_nop 0
	buffer_store_dword v1, off, s[16:19], 0 offset:68 ; 4-byte Folded Spill
	global_load_dwordx2 v[174:175], v[0:1], off
	global_load_dwordx2 v[130:131], v[4:5], off
	;; [unrolled: 1-line block ×10, first 2 shown]
	s_nop 0
	buffer_store_dword v22, off, s[16:19], 0 offset:72 ; 4-byte Folded Spill
	s_nop 0
	buffer_store_dword v23, off, s[16:19], 0 offset:76 ; 4-byte Folded Spill
	global_load_dwordx2 v[164:165], v[22:23], off
	global_load_dwordx2 v[120:121], v[24:25], off
	;; [unrolled: 1-line block ×32, first 2 shown]
	s_mulk_i32 s6, 0x160
	s_movk_i32 s0, 0x160
	s_add_i32 s1, s6, 0
	v_mad_u32_u24 v187, v178, s0, 0
	v_lshl_add_u32 v186, v178, 3, s1
	v_cmp_ne_u32_e64 s[2:3], 0, v188
	v_cmp_eq_u32_e64 s[0:1], 0, v188
	s_and_saveexec_b64 s[6:7], s[0:1]
	s_cbranch_execz .LBB87_4
; %bb.2:
	s_waitcnt vmcnt(47)
	ds_write_b64 v186, v[90:91]
	s_waitcnt vmcnt(43)
	ds_write2_b64 v187, v[132:133], v[174:175] offset0:1 offset1:2
	s_waitcnt vmcnt(41)
	ds_write2_b64 v187, v[130:131], v[172:173] offset0:3 offset1:4
	;; [unrolled: 2-line block ×21, first 2 shown]
	s_waitcnt vmcnt(0)
	ds_write_b64 v187, v[176:177] offset:344
	ds_read_b64 v[178:179], v186
	s_waitcnt lgkmcnt(0)
	v_cmp_neq_f64_e32 vcc, 0, v[178:179]
	s_and_b64 exec, exec, vcc
	s_cbranch_execz .LBB87_4
; %bb.3:
	v_div_scale_f64 v[180:181], s[10:11], v[178:179], v[178:179], 1.0
	v_rcp_f64_e32 v[182:183], v[180:181]
	v_div_scale_f64 v[184:185], vcc, 1.0, v[178:179], 1.0
	v_fma_f64 v[190:191], -v[180:181], v[182:183], 1.0
	v_fmac_f64_e32 v[182:183], v[182:183], v[190:191]
	v_fma_f64 v[190:191], -v[180:181], v[182:183], 1.0
	v_fmac_f64_e32 v[182:183], v[182:183], v[190:191]
	v_mul_f64 v[190:191], v[184:185], v[182:183]
	v_fma_f64 v[180:181], -v[180:181], v[190:191], v[184:185]
	v_div_fmas_f64 v[180:181], v[180:181], v[182:183], v[190:191]
	v_div_fixup_f64 v[178:179], v[180:181], v[178:179], 1.0
	ds_write_b64 v186, v[178:179]
.LBB87_4:
	s_or_b64 exec, exec, s[6:7]
	s_waitcnt lgkmcnt(0)
	s_barrier
	ds_read_b64 v[178:179], v186
	s_waitcnt lgkmcnt(0)
	buffer_store_dword v178, off, s[16:19], 0 ; 4-byte Folded Spill
	s_nop 0
	buffer_store_dword v179, off, s[16:19], 0 offset:4 ; 4-byte Folded Spill
	s_and_saveexec_b64 s[6:7], s[2:3]
	s_cbranch_execz .LBB87_6
; %bb.5:
	ds_read2_b64 v[178:181], v187 offset0:1 offset1:2
	ds_read2_b64 v[182:185], v187 offset0:3 offset1:4
	buffer_load_dword v190, off, s[16:19], 0 ; 4-byte Folded Reload
	buffer_load_dword v191, off, s[16:19], 0 offset:4 ; 4-byte Folded Reload
	s_waitcnt vmcnt(0)
	v_mul_f64 v[90:91], v[190:191], v[90:91]
	s_waitcnt lgkmcnt(1)
	v_fma_f64 v[132:133], -v[90:91], v[178:179], v[132:133]
	ds_read2_b64 v[190:193], v187 offset0:5 offset1:6
	v_fma_f64 v[174:175], -v[90:91], v[180:181], v[174:175]
	ds_read2_b64 v[178:181], v187 offset0:7 offset1:8
	s_waitcnt lgkmcnt(2)
	v_fma_f64 v[130:131], -v[90:91], v[182:183], v[130:131]
	v_fma_f64 v[172:173], -v[90:91], v[184:185], v[172:173]
	s_waitcnt lgkmcnt(1)
	v_fma_f64 v[128:129], -v[90:91], v[190:191], v[128:129]
	ds_read2_b64 v[182:185], v187 offset0:9 offset1:10
	v_fma_f64 v[170:171], -v[90:91], v[192:193], v[170:171]
	ds_read2_b64 v[190:193], v187 offset0:11 offset1:12
	s_waitcnt lgkmcnt(2)
	v_fma_f64 v[126:127], -v[90:91], v[178:179], v[126:127]
	v_fma_f64 v[168:169], -v[90:91], v[180:181], v[168:169]
	ds_read2_b64 v[178:181], v187 offset0:13 offset1:14
	s_waitcnt lgkmcnt(2)
	v_fma_f64 v[124:125], -v[90:91], v[182:183], v[124:125]
	v_fma_f64 v[166:167], -v[90:91], v[184:185], v[166:167]
	ds_read2_b64 v[182:185], v187 offset0:15 offset1:16
	s_waitcnt lgkmcnt(2)
	v_fma_f64 v[122:123], -v[90:91], v[190:191], v[122:123]
	v_fma_f64 v[164:165], -v[90:91], v[192:193], v[164:165]
	s_waitcnt lgkmcnt(1)
	v_fma_f64 v[120:121], -v[90:91], v[178:179], v[120:121]
	ds_read2_b64 v[190:193], v187 offset0:17 offset1:18
	v_fma_f64 v[162:163], -v[90:91], v[180:181], v[162:163]
	ds_read2_b64 v[178:181], v187 offset0:19 offset1:20
	s_waitcnt lgkmcnt(2)
	v_fma_f64 v[118:119], -v[90:91], v[182:183], v[118:119]
	v_fma_f64 v[160:161], -v[90:91], v[184:185], v[160:161]
	s_waitcnt lgkmcnt(1)
	v_fma_f64 v[116:117], -v[90:91], v[190:191], v[116:117]
	ds_read2_b64 v[182:185], v187 offset0:21 offset1:22
	v_fma_f64 v[158:159], -v[90:91], v[192:193], v[158:159]
	ds_read2_b64 v[190:193], v187 offset0:23 offset1:24
	s_waitcnt lgkmcnt(2)
	v_fma_f64 v[114:115], -v[90:91], v[178:179], v[114:115]
	v_fma_f64 v[156:157], -v[90:91], v[180:181], v[156:157]
	ds_read2_b64 v[178:181], v187 offset0:25 offset1:26
	s_waitcnt lgkmcnt(2)
	v_fma_f64 v[112:113], -v[90:91], v[182:183], v[112:113]
	v_fma_f64 v[154:155], -v[90:91], v[184:185], v[154:155]
	ds_read2_b64 v[182:185], v187 offset0:27 offset1:28
	s_waitcnt lgkmcnt(2)
	v_fma_f64 v[110:111], -v[90:91], v[190:191], v[110:111]
	v_fma_f64 v[152:153], -v[90:91], v[192:193], v[152:153]
	;; [unrolled: 24-line block ×3, first 2 shown]
	s_waitcnt lgkmcnt(1)
	v_fma_f64 v[96:97], -v[90:91], v[178:179], v[96:97]
	ds_read2_b64 v[190:193], v187 offset0:41 offset1:42
	ds_read_b64 v[178:179], v187 offset:344
	v_fma_f64 v[138:139], -v[90:91], v[180:181], v[138:139]
	s_waitcnt lgkmcnt(2)
	v_fma_f64 v[94:95], -v[90:91], v[182:183], v[94:95]
	v_fma_f64 v[136:137], -v[90:91], v[184:185], v[136:137]
	s_waitcnt lgkmcnt(1)
	v_fma_f64 v[92:93], -v[90:91], v[190:191], v[92:93]
	;; [unrolled: 3-line block ×3, first 2 shown]
.LBB87_6:
	s_or_b64 exec, exec, s[6:7]
	v_cmp_eq_u32_e32 vcc, 1, v188
	s_barrier
	s_and_saveexec_b64 s[2:3], vcc
	s_cbranch_execz .LBB87_9
; %bb.7:
	s_waitcnt vmcnt(45)
	v_mov_b32_e32 v178, v174
	v_mov_b32_e32 v179, v175
	s_waitcnt vmcnt(44)
	v_mov_b32_e32 v180, v130
	v_mov_b32_e32 v181, v131
	ds_write_b64 v186, v[132:133]
	ds_write2_b64 v187, v[178:179], v[180:181] offset0:2 offset1:3
	s_waitcnt vmcnt(43)
	v_mov_b32_e32 v178, v172
	v_mov_b32_e32 v179, v173
	s_waitcnt vmcnt(42)
	v_mov_b32_e32 v180, v128
	v_mov_b32_e32 v181, v129
	ds_write2_b64 v187, v[178:179], v[180:181] offset0:4 offset1:5
	s_waitcnt vmcnt(41)
	v_mov_b32_e32 v178, v170
	v_mov_b32_e32 v179, v171
	s_waitcnt vmcnt(40)
	v_mov_b32_e32 v180, v126
	v_mov_b32_e32 v181, v127
	;; [unrolled: 7-line block ×19, first 2 shown]
	ds_write2_b64 v187, v[178:179], v[180:181] offset0:40 offset1:41
	s_waitcnt vmcnt(3)
	v_mov_b32_e32 v178, v134
	v_mov_b32_e32 v179, v135
	s_waitcnt vmcnt(2)
	ds_write2_b64 v187, v[178:179], v[176:177] offset0:42 offset1:43
	ds_read_b64 v[178:179], v186
	s_waitcnt lgkmcnt(0)
	v_cmp_neq_f64_e32 vcc, 0, v[178:179]
	s_and_b64 exec, exec, vcc
	s_cbranch_execz .LBB87_9
; %bb.8:
	v_div_scale_f64 v[180:181], s[6:7], v[178:179], v[178:179], 1.0
	v_rcp_f64_e32 v[182:183], v[180:181]
	v_div_scale_f64 v[184:185], vcc, 1.0, v[178:179], 1.0
	v_fma_f64 v[190:191], -v[180:181], v[182:183], 1.0
	v_fmac_f64_e32 v[182:183], v[182:183], v[190:191]
	v_fma_f64 v[190:191], -v[180:181], v[182:183], 1.0
	v_fmac_f64_e32 v[182:183], v[182:183], v[190:191]
	v_mul_f64 v[190:191], v[184:185], v[182:183]
	v_fma_f64 v[180:181], -v[180:181], v[190:191], v[184:185]
	v_div_fmas_f64 v[180:181], v[180:181], v[182:183], v[190:191]
	v_div_fixup_f64 v[178:179], v[180:181], v[178:179], 1.0
	ds_write_b64 v186, v[178:179]
.LBB87_9:
	s_or_b64 exec, exec, s[2:3]
	s_waitcnt lgkmcnt(0)
	s_barrier
	ds_read_b64 v[178:179], v186
	v_cmp_lt_u32_e32 vcc, 1, v188
	s_waitcnt lgkmcnt(0)
	buffer_store_dword v178, off, s[16:19], 0 offset:8 ; 4-byte Folded Spill
	s_nop 0
	buffer_store_dword v179, off, s[16:19], 0 offset:12 ; 4-byte Folded Spill
	s_and_saveexec_b64 s[2:3], vcc
	s_cbranch_execz .LBB87_11
; %bb.10:
	ds_read2_b64 v[178:181], v187 offset0:2 offset1:3
	ds_read2_b64 v[182:185], v187 offset0:4 offset1:5
	buffer_load_dword v190, off, s[16:19], 0 offset:8 ; 4-byte Folded Reload
	buffer_load_dword v191, off, s[16:19], 0 offset:12 ; 4-byte Folded Reload
	s_waitcnt vmcnt(0)
	v_mul_f64 v[132:133], v[190:191], v[132:133]
	ds_read2_b64 v[190:193], v187 offset0:6 offset1:7
	s_waitcnt lgkmcnt(2)
	v_fma_f64 v[174:175], -v[132:133], v[178:179], v[174:175]
	v_fma_f64 v[130:131], -v[132:133], v[180:181], v[130:131]
	ds_read2_b64 v[178:181], v187 offset0:8 offset1:9
	s_waitcnt lgkmcnt(2)
	v_fma_f64 v[172:173], -v[132:133], v[182:183], v[172:173]
	v_fma_f64 v[128:129], -v[132:133], v[184:185], v[128:129]
	s_waitcnt lgkmcnt(1)
	v_fma_f64 v[170:171], -v[132:133], v[190:191], v[170:171]
	ds_read2_b64 v[182:185], v187 offset0:10 offset1:11
	v_fma_f64 v[126:127], -v[132:133], v[192:193], v[126:127]
	ds_read2_b64 v[190:193], v187 offset0:12 offset1:13
	s_waitcnt lgkmcnt(2)
	v_fma_f64 v[168:169], -v[132:133], v[178:179], v[168:169]
	v_fma_f64 v[124:125], -v[132:133], v[180:181], v[124:125]
	s_waitcnt lgkmcnt(1)
	v_fma_f64 v[166:167], -v[132:133], v[182:183], v[166:167]
	ds_read2_b64 v[178:181], v187 offset0:14 offset1:15
	v_fma_f64 v[122:123], -v[132:133], v[184:185], v[122:123]
	ds_read2_b64 v[182:185], v187 offset0:16 offset1:17
	s_waitcnt lgkmcnt(2)
	v_fma_f64 v[164:165], -v[132:133], v[190:191], v[164:165]
	v_fma_f64 v[120:121], -v[132:133], v[192:193], v[120:121]
	ds_read2_b64 v[190:193], v187 offset0:18 offset1:19
	s_waitcnt lgkmcnt(2)
	v_fma_f64 v[162:163], -v[132:133], v[178:179], v[162:163]
	;; [unrolled: 4-line block ×3, first 2 shown]
	v_fma_f64 v[116:117], -v[132:133], v[184:185], v[116:117]
	s_waitcnt lgkmcnt(1)
	v_fma_f64 v[158:159], -v[132:133], v[190:191], v[158:159]
	ds_read2_b64 v[182:185], v187 offset0:22 offset1:23
	v_fma_f64 v[114:115], -v[132:133], v[192:193], v[114:115]
	ds_read2_b64 v[190:193], v187 offset0:24 offset1:25
	s_waitcnt lgkmcnt(2)
	v_fma_f64 v[156:157], -v[132:133], v[178:179], v[156:157]
	v_fma_f64 v[112:113], -v[132:133], v[180:181], v[112:113]
	s_waitcnt lgkmcnt(1)
	v_fma_f64 v[154:155], -v[132:133], v[182:183], v[154:155]
	ds_read2_b64 v[178:181], v187 offset0:26 offset1:27
	v_fma_f64 v[110:111], -v[132:133], v[184:185], v[110:111]
	ds_read2_b64 v[182:185], v187 offset0:28 offset1:29
	s_waitcnt lgkmcnt(2)
	v_fma_f64 v[152:153], -v[132:133], v[190:191], v[152:153]
	v_fma_f64 v[108:109], -v[132:133], v[192:193], v[108:109]
	ds_read2_b64 v[190:193], v187 offset0:30 offset1:31
	s_waitcnt lgkmcnt(2)
	v_fma_f64 v[150:151], -v[132:133], v[178:179], v[150:151]
	;; [unrolled: 4-line block ×3, first 2 shown]
	v_fma_f64 v[104:105], -v[132:133], v[184:185], v[104:105]
	s_waitcnt lgkmcnt(1)
	v_fma_f64 v[146:147], -v[132:133], v[190:191], v[146:147]
	ds_read2_b64 v[182:185], v187 offset0:34 offset1:35
	v_fma_f64 v[102:103], -v[132:133], v[192:193], v[102:103]
	ds_read2_b64 v[190:193], v187 offset0:36 offset1:37
	s_waitcnt lgkmcnt(2)
	v_fma_f64 v[144:145], -v[132:133], v[178:179], v[144:145]
	v_fma_f64 v[100:101], -v[132:133], v[180:181], v[100:101]
	s_waitcnt lgkmcnt(1)
	v_fma_f64 v[142:143], -v[132:133], v[182:183], v[142:143]
	v_fma_f64 v[98:99], -v[132:133], v[184:185], v[98:99]
	ds_read2_b64 v[178:181], v187 offset0:38 offset1:39
	ds_read2_b64 v[182:185], v187 offset0:40 offset1:41
	s_waitcnt lgkmcnt(2)
	v_fma_f64 v[140:141], -v[132:133], v[190:191], v[140:141]
	v_fma_f64 v[96:97], -v[132:133], v[192:193], v[96:97]
	ds_read2_b64 v[190:193], v187 offset0:42 offset1:43
	s_waitcnt lgkmcnt(2)
	v_fma_f64 v[138:139], -v[132:133], v[178:179], v[138:139]
	v_fma_f64 v[94:95], -v[132:133], v[180:181], v[94:95]
	s_waitcnt lgkmcnt(1)
	v_fma_f64 v[136:137], -v[132:133], v[182:183], v[136:137]
	v_fma_f64 v[92:93], -v[132:133], v[184:185], v[92:93]
	;; [unrolled: 3-line block ×3, first 2 shown]
.LBB87_11:
	s_or_b64 exec, exec, s[2:3]
	v_cmp_eq_u32_e32 vcc, 2, v188
	s_barrier
	s_and_saveexec_b64 s[2:3], vcc
	s_cbranch_execz .LBB87_14
; %bb.12:
	s_waitcnt vmcnt(47)
	ds_write_b64 v186, v[174:175]
	s_waitcnt vmcnt(45)
	ds_write2_b64 v187, v[130:131], v[172:173] offset0:3 offset1:4
	s_waitcnt vmcnt(43)
	ds_write2_b64 v187, v[128:129], v[170:171] offset0:5 offset1:6
	s_waitcnt vmcnt(41)
	ds_write2_b64 v187, v[126:127], v[168:169] offset0:7 offset1:8
	s_waitcnt vmcnt(39)
	ds_write2_b64 v187, v[124:125], v[166:167] offset0:9 offset1:10
	s_waitcnt vmcnt(35)
	ds_write2_b64 v187, v[122:123], v[164:165] offset0:11 offset1:12
	s_waitcnt vmcnt(33)
	ds_write2_b64 v187, v[120:121], v[162:163] offset0:13 offset1:14
	s_waitcnt vmcnt(31)
	ds_write2_b64 v187, v[118:119], v[160:161] offset0:15 offset1:16
	s_waitcnt vmcnt(29)
	ds_write2_b64 v187, v[116:117], v[158:159] offset0:17 offset1:18
	s_waitcnt vmcnt(27)
	ds_write2_b64 v187, v[114:115], v[156:157] offset0:19 offset1:20
	s_waitcnt vmcnt(25)
	ds_write2_b64 v187, v[112:113], v[154:155] offset0:21 offset1:22
	s_waitcnt vmcnt(23)
	ds_write2_b64 v187, v[110:111], v[152:153] offset0:23 offset1:24
	s_waitcnt vmcnt(21)
	ds_write2_b64 v187, v[108:109], v[150:151] offset0:25 offset1:26
	s_waitcnt vmcnt(19)
	ds_write2_b64 v187, v[106:107], v[148:149] offset0:27 offset1:28
	s_waitcnt vmcnt(17)
	ds_write2_b64 v187, v[104:105], v[146:147] offset0:29 offset1:30
	s_waitcnt vmcnt(15)
	ds_write2_b64 v187, v[102:103], v[144:145] offset0:31 offset1:32
	s_waitcnt vmcnt(13)
	ds_write2_b64 v187, v[100:101], v[142:143] offset0:33 offset1:34
	s_waitcnt vmcnt(11)
	ds_write2_b64 v187, v[98:99], v[140:141] offset0:35 offset1:36
	s_waitcnt vmcnt(9)
	ds_write2_b64 v187, v[96:97], v[138:139] offset0:37 offset1:38
	s_waitcnt vmcnt(7)
	ds_write2_b64 v187, v[94:95], v[136:137] offset0:39 offset1:40
	s_waitcnt vmcnt(5)
	ds_write2_b64 v187, v[92:93], v[134:135] offset0:41 offset1:42
	s_waitcnt vmcnt(4)
	ds_write_b64 v187, v[176:177] offset:344
	ds_read_b64 v[178:179], v186
	s_waitcnt lgkmcnt(0)
	v_cmp_neq_f64_e32 vcc, 0, v[178:179]
	s_and_b64 exec, exec, vcc
	s_cbranch_execz .LBB87_14
; %bb.13:
	v_div_scale_f64 v[180:181], s[6:7], v[178:179], v[178:179], 1.0
	v_rcp_f64_e32 v[182:183], v[180:181]
	v_div_scale_f64 v[184:185], vcc, 1.0, v[178:179], 1.0
	v_fma_f64 v[190:191], -v[180:181], v[182:183], 1.0
	v_fmac_f64_e32 v[182:183], v[182:183], v[190:191]
	v_fma_f64 v[190:191], -v[180:181], v[182:183], 1.0
	v_fmac_f64_e32 v[182:183], v[182:183], v[190:191]
	v_mul_f64 v[190:191], v[184:185], v[182:183]
	v_fma_f64 v[180:181], -v[180:181], v[190:191], v[184:185]
	v_div_fmas_f64 v[180:181], v[180:181], v[182:183], v[190:191]
	v_div_fixup_f64 v[178:179], v[180:181], v[178:179], 1.0
	ds_write_b64 v186, v[178:179]
.LBB87_14:
	s_or_b64 exec, exec, s[2:3]
	s_waitcnt lgkmcnt(0)
	s_barrier
	ds_read_b64 v[178:179], v186
	v_cmp_lt_u32_e32 vcc, 2, v188
	s_waitcnt lgkmcnt(0)
	buffer_store_dword v178, off, s[16:19], 0 offset:16 ; 4-byte Folded Spill
	s_nop 0
	buffer_store_dword v179, off, s[16:19], 0 offset:20 ; 4-byte Folded Spill
	s_and_saveexec_b64 s[2:3], vcc
	s_cbranch_execz .LBB87_16
; %bb.15:
	ds_read2_b64 v[178:181], v187 offset0:3 offset1:4
	ds_read2_b64 v[182:185], v187 offset0:5 offset1:6
	buffer_load_dword v190, off, s[16:19], 0 offset:16 ; 4-byte Folded Reload
	buffer_load_dword v191, off, s[16:19], 0 offset:20 ; 4-byte Folded Reload
	s_waitcnt vmcnt(0)
	v_mul_f64 v[174:175], v[190:191], v[174:175]
	ds_read2_b64 v[190:193], v187 offset0:7 offset1:8
	s_waitcnt lgkmcnt(2)
	v_fma_f64 v[130:131], -v[174:175], v[178:179], v[130:131]
	v_fma_f64 v[172:173], -v[174:175], v[180:181], v[172:173]
	ds_read2_b64 v[178:181], v187 offset0:9 offset1:10
	s_waitcnt lgkmcnt(2)
	v_fma_f64 v[128:129], -v[174:175], v[182:183], v[128:129]
	v_fma_f64 v[170:171], -v[174:175], v[184:185], v[170:171]
	s_waitcnt lgkmcnt(1)
	v_fma_f64 v[126:127], -v[174:175], v[190:191], v[126:127]
	ds_read2_b64 v[182:185], v187 offset0:11 offset1:12
	v_fma_f64 v[168:169], -v[174:175], v[192:193], v[168:169]
	ds_read2_b64 v[190:193], v187 offset0:13 offset1:14
	s_waitcnt lgkmcnt(2)
	v_fma_f64 v[124:125], -v[174:175], v[178:179], v[124:125]
	v_fma_f64 v[166:167], -v[174:175], v[180:181], v[166:167]
	s_waitcnt lgkmcnt(1)
	v_fma_f64 v[122:123], -v[174:175], v[182:183], v[122:123]
	ds_read2_b64 v[178:181], v187 offset0:15 offset1:16
	v_fma_f64 v[164:165], -v[174:175], v[184:185], v[164:165]
	ds_read2_b64 v[182:185], v187 offset0:17 offset1:18
	s_waitcnt lgkmcnt(2)
	v_fma_f64 v[120:121], -v[174:175], v[190:191], v[120:121]
	v_fma_f64 v[162:163], -v[174:175], v[192:193], v[162:163]
	ds_read2_b64 v[190:193], v187 offset0:19 offset1:20
	s_waitcnt lgkmcnt(2)
	v_fma_f64 v[118:119], -v[174:175], v[178:179], v[118:119]
	;; [unrolled: 4-line block ×3, first 2 shown]
	v_fma_f64 v[158:159], -v[174:175], v[184:185], v[158:159]
	s_waitcnt lgkmcnt(1)
	v_fma_f64 v[114:115], -v[174:175], v[190:191], v[114:115]
	ds_read2_b64 v[182:185], v187 offset0:23 offset1:24
	v_fma_f64 v[156:157], -v[174:175], v[192:193], v[156:157]
	ds_read2_b64 v[190:193], v187 offset0:25 offset1:26
	s_waitcnt lgkmcnt(2)
	v_fma_f64 v[112:113], -v[174:175], v[178:179], v[112:113]
	v_fma_f64 v[154:155], -v[174:175], v[180:181], v[154:155]
	s_waitcnt lgkmcnt(1)
	v_fma_f64 v[110:111], -v[174:175], v[182:183], v[110:111]
	ds_read2_b64 v[178:181], v187 offset0:27 offset1:28
	v_fma_f64 v[152:153], -v[174:175], v[184:185], v[152:153]
	ds_read2_b64 v[182:185], v187 offset0:29 offset1:30
	s_waitcnt lgkmcnt(2)
	v_fma_f64 v[108:109], -v[174:175], v[190:191], v[108:109]
	v_fma_f64 v[150:151], -v[174:175], v[192:193], v[150:151]
	ds_read2_b64 v[190:193], v187 offset0:31 offset1:32
	s_waitcnt lgkmcnt(2)
	v_fma_f64 v[106:107], -v[174:175], v[178:179], v[106:107]
	v_fma_f64 v[148:149], -v[174:175], v[180:181], v[148:149]
	ds_read2_b64 v[178:181], v187 offset0:33 offset1:34
	s_waitcnt lgkmcnt(2)
	v_fma_f64 v[104:105], -v[174:175], v[182:183], v[104:105]
	v_fma_f64 v[146:147], -v[174:175], v[184:185], v[146:147]
	s_waitcnt lgkmcnt(1)
	v_fma_f64 v[102:103], -v[174:175], v[190:191], v[102:103]
	ds_read2_b64 v[182:185], v187 offset0:35 offset1:36
	v_fma_f64 v[144:145], -v[174:175], v[192:193], v[144:145]
	ds_read2_b64 v[190:193], v187 offset0:37 offset1:38
	s_waitcnt lgkmcnt(2)
	v_fma_f64 v[100:101], -v[174:175], v[178:179], v[100:101]
	v_fma_f64 v[142:143], -v[174:175], v[180:181], v[142:143]
	s_waitcnt lgkmcnt(1)
	v_fma_f64 v[98:99], -v[174:175], v[182:183], v[98:99]
	v_fma_f64 v[140:141], -v[174:175], v[184:185], v[140:141]
	ds_read2_b64 v[178:181], v187 offset0:39 offset1:40
	ds_read2_b64 v[182:185], v187 offset0:41 offset1:42
	s_waitcnt lgkmcnt(2)
	v_fma_f64 v[96:97], -v[174:175], v[190:191], v[96:97]
	ds_read_b64 v[190:191], v187 offset:344
	v_fma_f64 v[138:139], -v[174:175], v[192:193], v[138:139]
	s_waitcnt lgkmcnt(2)
	v_fma_f64 v[94:95], -v[174:175], v[178:179], v[94:95]
	v_fma_f64 v[136:137], -v[174:175], v[180:181], v[136:137]
	s_waitcnt lgkmcnt(1)
	v_fma_f64 v[92:93], -v[174:175], v[182:183], v[92:93]
	;; [unrolled: 3-line block ×3, first 2 shown]
.LBB87_16:
	s_or_b64 exec, exec, s[2:3]
	v_cmp_eq_u32_e32 vcc, 3, v188
	s_barrier
	s_and_saveexec_b64 s[2:3], vcc
	s_cbranch_execz .LBB87_19
; %bb.17:
	s_waitcnt vmcnt(47)
	v_mov_b32_e32 v178, v172
	v_mov_b32_e32 v179, v173
	s_waitcnt vmcnt(46)
	v_mov_b32_e32 v180, v128
	v_mov_b32_e32 v181, v129
	ds_write_b64 v186, v[130:131]
	ds_write2_b64 v187, v[178:179], v[180:181] offset0:4 offset1:5
	s_waitcnt vmcnt(45)
	v_mov_b32_e32 v178, v170
	v_mov_b32_e32 v179, v171
	s_waitcnt vmcnt(44)
	v_mov_b32_e32 v180, v126
	v_mov_b32_e32 v181, v127
	ds_write2_b64 v187, v[178:179], v[180:181] offset0:6 offset1:7
	s_waitcnt vmcnt(43)
	v_mov_b32_e32 v178, v168
	v_mov_b32_e32 v179, v169
	s_waitcnt vmcnt(42)
	v_mov_b32_e32 v180, v124
	v_mov_b32_e32 v181, v125
	;; [unrolled: 7-line block ×18, first 2 shown]
	ds_write2_b64 v187, v[178:179], v[180:181] offset0:40 offset1:41
	s_waitcnt vmcnt(7)
	v_mov_b32_e32 v178, v134
	v_mov_b32_e32 v179, v135
	s_waitcnt vmcnt(6)
	ds_write2_b64 v187, v[178:179], v[176:177] offset0:42 offset1:43
	ds_read_b64 v[178:179], v186
	s_waitcnt lgkmcnt(0)
	v_cmp_neq_f64_e32 vcc, 0, v[178:179]
	s_and_b64 exec, exec, vcc
	s_cbranch_execz .LBB87_19
; %bb.18:
	v_div_scale_f64 v[180:181], s[6:7], v[178:179], v[178:179], 1.0
	v_rcp_f64_e32 v[182:183], v[180:181]
	v_div_scale_f64 v[184:185], vcc, 1.0, v[178:179], 1.0
	v_fma_f64 v[190:191], -v[180:181], v[182:183], 1.0
	v_fmac_f64_e32 v[182:183], v[182:183], v[190:191]
	v_fma_f64 v[190:191], -v[180:181], v[182:183], 1.0
	v_fmac_f64_e32 v[182:183], v[182:183], v[190:191]
	v_mul_f64 v[190:191], v[184:185], v[182:183]
	v_fma_f64 v[180:181], -v[180:181], v[190:191], v[184:185]
	v_div_fmas_f64 v[180:181], v[180:181], v[182:183], v[190:191]
	v_div_fixup_f64 v[178:179], v[180:181], v[178:179], 1.0
	ds_write_b64 v186, v[178:179]
.LBB87_19:
	s_or_b64 exec, exec, s[2:3]
	s_waitcnt lgkmcnt(0)
	s_barrier
	ds_read_b64 v[178:179], v186
	v_cmp_lt_u32_e32 vcc, 3, v188
	s_waitcnt lgkmcnt(0)
	buffer_store_dword v178, off, s[16:19], 0 offset:24 ; 4-byte Folded Spill
	s_nop 0
	buffer_store_dword v179, off, s[16:19], 0 offset:28 ; 4-byte Folded Spill
	s_and_saveexec_b64 s[2:3], vcc
	s_cbranch_execz .LBB87_21
; %bb.20:
	ds_read2_b64 v[178:181], v187 offset0:4 offset1:5
	ds_read2_b64 v[182:185], v187 offset0:6 offset1:7
	buffer_load_dword v190, off, s[16:19], 0 offset:24 ; 4-byte Folded Reload
	buffer_load_dword v191, off, s[16:19], 0 offset:28 ; 4-byte Folded Reload
	s_waitcnt vmcnt(0)
	v_mul_f64 v[130:131], v[190:191], v[130:131]
	s_waitcnt lgkmcnt(1)
	v_fma_f64 v[172:173], -v[130:131], v[178:179], v[172:173]
	ds_read2_b64 v[190:193], v187 offset0:8 offset1:9
	v_fma_f64 v[128:129], -v[130:131], v[180:181], v[128:129]
	ds_read2_b64 v[178:181], v187 offset0:10 offset1:11
	s_waitcnt lgkmcnt(2)
	v_fma_f64 v[170:171], -v[130:131], v[182:183], v[170:171]
	v_fma_f64 v[126:127], -v[130:131], v[184:185], v[126:127]
	ds_read2_b64 v[182:185], v187 offset0:12 offset1:13
	s_waitcnt lgkmcnt(2)
	v_fma_f64 v[168:169], -v[130:131], v[190:191], v[168:169]
	;; [unrolled: 4-line block ×3, first 2 shown]
	v_fma_f64 v[122:123], -v[130:131], v[180:181], v[122:123]
	s_waitcnt lgkmcnt(1)
	v_fma_f64 v[164:165], -v[130:131], v[182:183], v[164:165]
	ds_read2_b64 v[178:181], v187 offset0:16 offset1:17
	v_fma_f64 v[120:121], -v[130:131], v[184:185], v[120:121]
	ds_read2_b64 v[182:185], v187 offset0:18 offset1:19
	s_waitcnt lgkmcnt(2)
	v_fma_f64 v[162:163], -v[130:131], v[190:191], v[162:163]
	v_fma_f64 v[118:119], -v[130:131], v[192:193], v[118:119]
	s_waitcnt lgkmcnt(1)
	v_fma_f64 v[160:161], -v[130:131], v[178:179], v[160:161]
	ds_read2_b64 v[190:193], v187 offset0:20 offset1:21
	v_fma_f64 v[116:117], -v[130:131], v[180:181], v[116:117]
	ds_read2_b64 v[178:181], v187 offset0:22 offset1:23
	s_waitcnt lgkmcnt(2)
	v_fma_f64 v[158:159], -v[130:131], v[182:183], v[158:159]
	v_fma_f64 v[114:115], -v[130:131], v[184:185], v[114:115]
	ds_read2_b64 v[182:185], v187 offset0:24 offset1:25
	s_waitcnt lgkmcnt(2)
	v_fma_f64 v[156:157], -v[130:131], v[190:191], v[156:157]
	;; [unrolled: 4-line block ×3, first 2 shown]
	v_fma_f64 v[110:111], -v[130:131], v[180:181], v[110:111]
	s_waitcnt lgkmcnt(1)
	v_fma_f64 v[152:153], -v[130:131], v[182:183], v[152:153]
	ds_read2_b64 v[178:181], v187 offset0:28 offset1:29
	v_fma_f64 v[108:109], -v[130:131], v[184:185], v[108:109]
	ds_read2_b64 v[182:185], v187 offset0:30 offset1:31
	s_waitcnt lgkmcnt(2)
	v_fma_f64 v[150:151], -v[130:131], v[190:191], v[150:151]
	v_fma_f64 v[106:107], -v[130:131], v[192:193], v[106:107]
	s_waitcnt lgkmcnt(1)
	v_fma_f64 v[148:149], -v[130:131], v[178:179], v[148:149]
	ds_read2_b64 v[190:193], v187 offset0:32 offset1:33
	v_fma_f64 v[104:105], -v[130:131], v[180:181], v[104:105]
	ds_read2_b64 v[178:181], v187 offset0:34 offset1:35
	s_waitcnt lgkmcnt(2)
	v_fma_f64 v[146:147], -v[130:131], v[182:183], v[146:147]
	v_fma_f64 v[102:103], -v[130:131], v[184:185], v[102:103]
	ds_read2_b64 v[182:185], v187 offset0:36 offset1:37
	s_waitcnt lgkmcnt(2)
	v_fma_f64 v[144:145], -v[130:131], v[190:191], v[144:145]
	v_fma_f64 v[100:101], -v[130:131], v[192:193], v[100:101]
	s_waitcnt lgkmcnt(1)
	v_fma_f64 v[142:143], -v[130:131], v[178:179], v[142:143]
	v_fma_f64 v[98:99], -v[130:131], v[180:181], v[98:99]
	ds_read2_b64 v[178:181], v187 offset0:38 offset1:39
	s_waitcnt lgkmcnt(1)
	v_fma_f64 v[140:141], -v[130:131], v[182:183], v[140:141]
	ds_read2_b64 v[190:193], v187 offset0:40 offset1:41
	v_fma_f64 v[96:97], -v[130:131], v[184:185], v[96:97]
	ds_read2_b64 v[182:185], v187 offset0:42 offset1:43
	s_waitcnt lgkmcnt(2)
	v_fma_f64 v[138:139], -v[130:131], v[178:179], v[138:139]
	v_fma_f64 v[94:95], -v[130:131], v[180:181], v[94:95]
	s_waitcnt lgkmcnt(1)
	v_fma_f64 v[136:137], -v[130:131], v[190:191], v[136:137]
	v_fma_f64 v[92:93], -v[130:131], v[192:193], v[92:93]
	;; [unrolled: 3-line block ×3, first 2 shown]
.LBB87_21:
	s_or_b64 exec, exec, s[2:3]
	v_cmp_eq_u32_e32 vcc, 4, v188
	s_barrier
	s_and_saveexec_b64 s[2:3], vcc
	s_cbranch_execz .LBB87_24
; %bb.22:
	s_waitcnt vmcnt(49)
	ds_write_b64 v186, v[172:173]
	s_waitcnt vmcnt(47)
	ds_write2_b64 v187, v[128:129], v[170:171] offset0:5 offset1:6
	s_waitcnt vmcnt(45)
	ds_write2_b64 v187, v[126:127], v[168:169] offset0:7 offset1:8
	;; [unrolled: 2-line block ×19, first 2 shown]
	s_waitcnt vmcnt(8)
	ds_write_b64 v187, v[176:177] offset:344
	ds_read_b64 v[178:179], v186
	s_waitcnt lgkmcnt(0)
	v_cmp_neq_f64_e32 vcc, 0, v[178:179]
	s_and_b64 exec, exec, vcc
	s_cbranch_execz .LBB87_24
; %bb.23:
	v_div_scale_f64 v[180:181], s[6:7], v[178:179], v[178:179], 1.0
	v_rcp_f64_e32 v[182:183], v[180:181]
	v_div_scale_f64 v[184:185], vcc, 1.0, v[178:179], 1.0
	v_fma_f64 v[190:191], -v[180:181], v[182:183], 1.0
	v_fmac_f64_e32 v[182:183], v[182:183], v[190:191]
	v_fma_f64 v[190:191], -v[180:181], v[182:183], 1.0
	v_fmac_f64_e32 v[182:183], v[182:183], v[190:191]
	v_mul_f64 v[190:191], v[184:185], v[182:183]
	v_fma_f64 v[180:181], -v[180:181], v[190:191], v[184:185]
	v_div_fmas_f64 v[180:181], v[180:181], v[182:183], v[190:191]
	v_div_fixup_f64 v[178:179], v[180:181], v[178:179], 1.0
	ds_write_b64 v186, v[178:179]
.LBB87_24:
	s_or_b64 exec, exec, s[2:3]
	s_waitcnt lgkmcnt(0)
	s_barrier
	ds_read_b64 v[178:179], v186
	v_cmp_lt_u32_e32 vcc, 4, v188
	s_waitcnt lgkmcnt(0)
	buffer_store_dword v178, off, s[16:19], 0 offset:32 ; 4-byte Folded Spill
	s_nop 0
	buffer_store_dword v179, off, s[16:19], 0 offset:36 ; 4-byte Folded Spill
	s_and_saveexec_b64 s[2:3], vcc
	s_cbranch_execz .LBB87_26
; %bb.25:
	ds_read2_b64 v[178:181], v187 offset0:5 offset1:6
	ds_read2_b64 v[182:185], v187 offset0:7 offset1:8
	buffer_load_dword v190, off, s[16:19], 0 offset:32 ; 4-byte Folded Reload
	buffer_load_dword v191, off, s[16:19], 0 offset:36 ; 4-byte Folded Reload
	s_waitcnt vmcnt(0)
	v_mul_f64 v[172:173], v[190:191], v[172:173]
	s_waitcnt lgkmcnt(1)
	v_fma_f64 v[128:129], -v[172:173], v[178:179], v[128:129]
	ds_read2_b64 v[190:193], v187 offset0:9 offset1:10
	v_fma_f64 v[170:171], -v[172:173], v[180:181], v[170:171]
	ds_read2_b64 v[178:181], v187 offset0:11 offset1:12
	s_waitcnt lgkmcnt(2)
	v_fma_f64 v[126:127], -v[172:173], v[182:183], v[126:127]
	v_fma_f64 v[168:169], -v[172:173], v[184:185], v[168:169]
	ds_read2_b64 v[182:185], v187 offset0:13 offset1:14
	s_waitcnt lgkmcnt(2)
	v_fma_f64 v[124:125], -v[172:173], v[190:191], v[124:125]
	;; [unrolled: 4-line block ×3, first 2 shown]
	v_fma_f64 v[164:165], -v[172:173], v[180:181], v[164:165]
	s_waitcnt lgkmcnt(1)
	v_fma_f64 v[120:121], -v[172:173], v[182:183], v[120:121]
	ds_read2_b64 v[178:181], v187 offset0:17 offset1:18
	v_fma_f64 v[162:163], -v[172:173], v[184:185], v[162:163]
	ds_read2_b64 v[182:185], v187 offset0:19 offset1:20
	s_waitcnt lgkmcnt(2)
	v_fma_f64 v[118:119], -v[172:173], v[190:191], v[118:119]
	v_fma_f64 v[160:161], -v[172:173], v[192:193], v[160:161]
	s_waitcnt lgkmcnt(1)
	v_fma_f64 v[116:117], -v[172:173], v[178:179], v[116:117]
	ds_read2_b64 v[190:193], v187 offset0:21 offset1:22
	v_fma_f64 v[158:159], -v[172:173], v[180:181], v[158:159]
	ds_read2_b64 v[178:181], v187 offset0:23 offset1:24
	s_waitcnt lgkmcnt(2)
	v_fma_f64 v[114:115], -v[172:173], v[182:183], v[114:115]
	v_fma_f64 v[156:157], -v[172:173], v[184:185], v[156:157]
	ds_read2_b64 v[182:185], v187 offset0:25 offset1:26
	s_waitcnt lgkmcnt(2)
	v_fma_f64 v[112:113], -v[172:173], v[190:191], v[112:113]
	;; [unrolled: 4-line block ×3, first 2 shown]
	v_fma_f64 v[152:153], -v[172:173], v[180:181], v[152:153]
	s_waitcnt lgkmcnt(1)
	v_fma_f64 v[108:109], -v[172:173], v[182:183], v[108:109]
	ds_read2_b64 v[178:181], v187 offset0:29 offset1:30
	v_fma_f64 v[150:151], -v[172:173], v[184:185], v[150:151]
	ds_read2_b64 v[182:185], v187 offset0:31 offset1:32
	s_waitcnt lgkmcnt(2)
	v_fma_f64 v[106:107], -v[172:173], v[190:191], v[106:107]
	v_fma_f64 v[148:149], -v[172:173], v[192:193], v[148:149]
	s_waitcnt lgkmcnt(1)
	v_fma_f64 v[104:105], -v[172:173], v[178:179], v[104:105]
	ds_read2_b64 v[190:193], v187 offset0:33 offset1:34
	v_fma_f64 v[146:147], -v[172:173], v[180:181], v[146:147]
	ds_read2_b64 v[178:181], v187 offset0:35 offset1:36
	s_waitcnt lgkmcnt(2)
	v_fma_f64 v[102:103], -v[172:173], v[182:183], v[102:103]
	v_fma_f64 v[144:145], -v[172:173], v[184:185], v[144:145]
	ds_read2_b64 v[182:185], v187 offset0:37 offset1:38
	s_waitcnt lgkmcnt(2)
	v_fma_f64 v[100:101], -v[172:173], v[190:191], v[100:101]
	v_fma_f64 v[142:143], -v[172:173], v[192:193], v[142:143]
	s_waitcnt lgkmcnt(1)
	v_fma_f64 v[98:99], -v[172:173], v[178:179], v[98:99]
	v_fma_f64 v[140:141], -v[172:173], v[180:181], v[140:141]
	ds_read2_b64 v[178:181], v187 offset0:39 offset1:40
	s_waitcnt lgkmcnt(1)
	v_fma_f64 v[96:97], -v[172:173], v[182:183], v[96:97]
	ds_read2_b64 v[190:193], v187 offset0:41 offset1:42
	ds_read_b64 v[182:183], v187 offset:344
	v_fma_f64 v[138:139], -v[172:173], v[184:185], v[138:139]
	s_waitcnt lgkmcnt(2)
	v_fma_f64 v[94:95], -v[172:173], v[178:179], v[94:95]
	v_fma_f64 v[136:137], -v[172:173], v[180:181], v[136:137]
	s_waitcnt lgkmcnt(1)
	v_fma_f64 v[92:93], -v[172:173], v[190:191], v[92:93]
	;; [unrolled: 3-line block ×3, first 2 shown]
.LBB87_26:
	s_or_b64 exec, exec, s[2:3]
	v_cmp_eq_u32_e32 vcc, 5, v188
	s_barrier
	s_and_saveexec_b64 s[2:3], vcc
	s_cbranch_execz .LBB87_29
; %bb.27:
	s_waitcnt vmcnt(49)
	v_mov_b32_e32 v178, v170
	v_mov_b32_e32 v179, v171
	s_waitcnt vmcnt(48)
	v_mov_b32_e32 v180, v126
	v_mov_b32_e32 v181, v127
	ds_write_b64 v186, v[128:129]
	ds_write2_b64 v187, v[178:179], v[180:181] offset0:6 offset1:7
	s_waitcnt vmcnt(47)
	v_mov_b32_e32 v178, v168
	v_mov_b32_e32 v179, v169
	s_waitcnt vmcnt(46)
	v_mov_b32_e32 v180, v124
	v_mov_b32_e32 v181, v125
	ds_write2_b64 v187, v[178:179], v[180:181] offset0:8 offset1:9
	s_waitcnt vmcnt(45)
	v_mov_b32_e32 v178, v166
	v_mov_b32_e32 v179, v167
	s_waitcnt vmcnt(44)
	v_mov_b32_e32 v180, v122
	v_mov_b32_e32 v181, v123
	;; [unrolled: 7-line block ×17, first 2 shown]
	ds_write2_b64 v187, v[178:179], v[180:181] offset0:40 offset1:41
	s_waitcnt vmcnt(11)
	v_mov_b32_e32 v178, v134
	v_mov_b32_e32 v179, v135
	s_waitcnt vmcnt(10)
	ds_write2_b64 v187, v[178:179], v[176:177] offset0:42 offset1:43
	ds_read_b64 v[178:179], v186
	s_waitcnt lgkmcnt(0)
	v_cmp_neq_f64_e32 vcc, 0, v[178:179]
	s_and_b64 exec, exec, vcc
	s_cbranch_execz .LBB87_29
; %bb.28:
	v_div_scale_f64 v[180:181], s[6:7], v[178:179], v[178:179], 1.0
	v_rcp_f64_e32 v[182:183], v[180:181]
	v_div_scale_f64 v[184:185], vcc, 1.0, v[178:179], 1.0
	v_fma_f64 v[190:191], -v[180:181], v[182:183], 1.0
	v_fmac_f64_e32 v[182:183], v[182:183], v[190:191]
	v_fma_f64 v[190:191], -v[180:181], v[182:183], 1.0
	v_fmac_f64_e32 v[182:183], v[182:183], v[190:191]
	v_mul_f64 v[190:191], v[184:185], v[182:183]
	v_fma_f64 v[180:181], -v[180:181], v[190:191], v[184:185]
	v_div_fmas_f64 v[180:181], v[180:181], v[182:183], v[190:191]
	v_div_fixup_f64 v[178:179], v[180:181], v[178:179], 1.0
	ds_write_b64 v186, v[178:179]
.LBB87_29:
	s_or_b64 exec, exec, s[2:3]
	s_waitcnt lgkmcnt(0)
	s_barrier
	ds_read_b64 v[178:179], v186
	v_cmp_lt_u32_e32 vcc, 5, v188
	s_waitcnt lgkmcnt(0)
	buffer_store_dword v178, off, s[16:19], 0 offset:40 ; 4-byte Folded Spill
	s_nop 0
	buffer_store_dword v179, off, s[16:19], 0 offset:44 ; 4-byte Folded Spill
	s_and_saveexec_b64 s[2:3], vcc
	s_cbranch_execz .LBB87_31
; %bb.30:
	ds_read2_b64 v[178:181], v187 offset0:6 offset1:7
	ds_read2_b64 v[182:185], v187 offset0:8 offset1:9
	buffer_load_dword v190, off, s[16:19], 0 offset:40 ; 4-byte Folded Reload
	buffer_load_dword v191, off, s[16:19], 0 offset:44 ; 4-byte Folded Reload
	s_waitcnt vmcnt(0)
	v_mul_f64 v[128:129], v[190:191], v[128:129]
	s_waitcnt lgkmcnt(1)
	v_fma_f64 v[170:171], -v[128:129], v[178:179], v[170:171]
	ds_read2_b64 v[190:193], v187 offset0:10 offset1:11
	v_fma_f64 v[126:127], -v[128:129], v[180:181], v[126:127]
	ds_read2_b64 v[178:181], v187 offset0:12 offset1:13
	s_waitcnt lgkmcnt(2)
	v_fma_f64 v[168:169], -v[128:129], v[182:183], v[168:169]
	v_fma_f64 v[124:125], -v[128:129], v[184:185], v[124:125]
	s_waitcnt lgkmcnt(1)
	v_fma_f64 v[166:167], -v[128:129], v[190:191], v[166:167]
	ds_read2_b64 v[182:185], v187 offset0:14 offset1:15
	v_fma_f64 v[122:123], -v[128:129], v[192:193], v[122:123]
	ds_read2_b64 v[190:193], v187 offset0:16 offset1:17
	s_waitcnt lgkmcnt(2)
	v_fma_f64 v[164:165], -v[128:129], v[178:179], v[164:165]
	v_fma_f64 v[120:121], -v[128:129], v[180:181], v[120:121]
	ds_read2_b64 v[178:181], v187 offset0:18 offset1:19
	s_waitcnt lgkmcnt(2)
	v_fma_f64 v[162:163], -v[128:129], v[182:183], v[162:163]
	v_fma_f64 v[118:119], -v[128:129], v[184:185], v[118:119]
	ds_read2_b64 v[182:185], v187 offset0:20 offset1:21
	s_waitcnt lgkmcnt(2)
	v_fma_f64 v[160:161], -v[128:129], v[190:191], v[160:161]
	v_fma_f64 v[116:117], -v[128:129], v[192:193], v[116:117]
	s_waitcnt lgkmcnt(1)
	v_fma_f64 v[158:159], -v[128:129], v[178:179], v[158:159]
	ds_read2_b64 v[190:193], v187 offset0:22 offset1:23
	v_fma_f64 v[114:115], -v[128:129], v[180:181], v[114:115]
	ds_read2_b64 v[178:181], v187 offset0:24 offset1:25
	s_waitcnt lgkmcnt(2)
	v_fma_f64 v[156:157], -v[128:129], v[182:183], v[156:157]
	v_fma_f64 v[112:113], -v[128:129], v[184:185], v[112:113]
	s_waitcnt lgkmcnt(1)
	v_fma_f64 v[154:155], -v[128:129], v[190:191], v[154:155]
	ds_read2_b64 v[182:185], v187 offset0:26 offset1:27
	v_fma_f64 v[110:111], -v[128:129], v[192:193], v[110:111]
	ds_read2_b64 v[190:193], v187 offset0:28 offset1:29
	s_waitcnt lgkmcnt(2)
	v_fma_f64 v[152:153], -v[128:129], v[178:179], v[152:153]
	v_fma_f64 v[108:109], -v[128:129], v[180:181], v[108:109]
	ds_read2_b64 v[178:181], v187 offset0:30 offset1:31
	s_waitcnt lgkmcnt(2)
	v_fma_f64 v[150:151], -v[128:129], v[182:183], v[150:151]
	;; [unrolled: 4-line block ×3, first 2 shown]
	v_fma_f64 v[104:105], -v[128:129], v[192:193], v[104:105]
	s_waitcnt lgkmcnt(1)
	v_fma_f64 v[146:147], -v[128:129], v[178:179], v[146:147]
	ds_read2_b64 v[190:193], v187 offset0:34 offset1:35
	v_fma_f64 v[102:103], -v[128:129], v[180:181], v[102:103]
	ds_read2_b64 v[178:181], v187 offset0:36 offset1:37
	s_waitcnt lgkmcnt(2)
	v_fma_f64 v[144:145], -v[128:129], v[182:183], v[144:145]
	v_fma_f64 v[100:101], -v[128:129], v[184:185], v[100:101]
	s_waitcnt lgkmcnt(1)
	v_fma_f64 v[142:143], -v[128:129], v[190:191], v[142:143]
	v_fma_f64 v[98:99], -v[128:129], v[192:193], v[98:99]
	ds_read2_b64 v[182:185], v187 offset0:38 offset1:39
	ds_read2_b64 v[190:193], v187 offset0:40 offset1:41
	s_waitcnt lgkmcnt(2)
	v_fma_f64 v[140:141], -v[128:129], v[178:179], v[140:141]
	v_fma_f64 v[96:97], -v[128:129], v[180:181], v[96:97]
	ds_read2_b64 v[178:181], v187 offset0:42 offset1:43
	s_waitcnt lgkmcnt(2)
	v_fma_f64 v[138:139], -v[128:129], v[182:183], v[138:139]
	v_fma_f64 v[94:95], -v[128:129], v[184:185], v[94:95]
	s_waitcnt lgkmcnt(1)
	v_fma_f64 v[136:137], -v[128:129], v[190:191], v[136:137]
	v_fma_f64 v[92:93], -v[128:129], v[192:193], v[92:93]
	;; [unrolled: 3-line block ×3, first 2 shown]
.LBB87_31:
	s_or_b64 exec, exec, s[2:3]
	v_cmp_eq_u32_e32 vcc, 6, v188
	s_barrier
	s_and_saveexec_b64 s[2:3], vcc
	s_cbranch_execz .LBB87_34
; %bb.32:
	s_waitcnt vmcnt(51)
	ds_write_b64 v186, v[170:171]
	s_waitcnt vmcnt(49)
	ds_write2_b64 v187, v[126:127], v[168:169] offset0:7 offset1:8
	s_waitcnt vmcnt(47)
	ds_write2_b64 v187, v[124:125], v[166:167] offset0:9 offset1:10
	;; [unrolled: 2-line block ×18, first 2 shown]
	s_waitcnt vmcnt(12)
	ds_write_b64 v187, v[176:177] offset:344
	ds_read_b64 v[178:179], v186
	s_waitcnt lgkmcnt(0)
	v_cmp_neq_f64_e32 vcc, 0, v[178:179]
	s_and_b64 exec, exec, vcc
	s_cbranch_execz .LBB87_34
; %bb.33:
	v_div_scale_f64 v[180:181], s[6:7], v[178:179], v[178:179], 1.0
	v_rcp_f64_e32 v[182:183], v[180:181]
	v_div_scale_f64 v[184:185], vcc, 1.0, v[178:179], 1.0
	v_fma_f64 v[190:191], -v[180:181], v[182:183], 1.0
	v_fmac_f64_e32 v[182:183], v[182:183], v[190:191]
	v_fma_f64 v[190:191], -v[180:181], v[182:183], 1.0
	v_fmac_f64_e32 v[182:183], v[182:183], v[190:191]
	v_mul_f64 v[190:191], v[184:185], v[182:183]
	v_fma_f64 v[180:181], -v[180:181], v[190:191], v[184:185]
	v_div_fmas_f64 v[180:181], v[180:181], v[182:183], v[190:191]
	v_div_fixup_f64 v[178:179], v[180:181], v[178:179], 1.0
	ds_write_b64 v186, v[178:179]
.LBB87_34:
	s_or_b64 exec, exec, s[2:3]
	s_waitcnt lgkmcnt(0)
	s_barrier
	ds_read_b64 v[178:179], v186
	v_cmp_lt_u32_e32 vcc, 6, v188
	s_waitcnt lgkmcnt(0)
	buffer_store_dword v178, off, s[16:19], 0 offset:48 ; 4-byte Folded Spill
	s_nop 0
	buffer_store_dword v179, off, s[16:19], 0 offset:52 ; 4-byte Folded Spill
	s_and_saveexec_b64 s[2:3], vcc
	s_cbranch_execz .LBB87_36
; %bb.35:
	ds_read2_b64 v[178:181], v187 offset0:7 offset1:8
	ds_read2_b64 v[182:185], v187 offset0:9 offset1:10
	buffer_load_dword v190, off, s[16:19], 0 offset:48 ; 4-byte Folded Reload
	buffer_load_dword v191, off, s[16:19], 0 offset:52 ; 4-byte Folded Reload
	ds_read2_b64 v[192:195], v187 offset0:11 offset1:12
	s_waitcnt vmcnt(0)
	v_mul_f64 v[170:171], v[190:191], v[170:171]
	s_waitcnt lgkmcnt(2)
	v_fma_f64 v[126:127], -v[170:171], v[178:179], v[126:127]
	v_fma_f64 v[168:169], -v[170:171], v[180:181], v[168:169]
	ds_read2_b64 v[178:181], v187 offset0:13 offset1:14
	s_waitcnt lgkmcnt(2)
	v_fma_f64 v[124:125], -v[170:171], v[182:183], v[124:125]
	v_fma_f64 v[166:167], -v[170:171], v[184:185], v[166:167]
	s_waitcnt lgkmcnt(1)
	v_fma_f64 v[122:123], -v[170:171], v[192:193], v[122:123]
	ds_read2_b64 v[182:185], v187 offset0:15 offset1:16
	v_fma_f64 v[164:165], -v[170:171], v[194:195], v[164:165]
	ds_read2_b64 v[192:195], v187 offset0:17 offset1:18
	s_waitcnt lgkmcnt(2)
	v_fma_f64 v[120:121], -v[170:171], v[178:179], v[120:121]
	v_fma_f64 v[162:163], -v[170:171], v[180:181], v[162:163]
	ds_read2_b64 v[178:181], v187 offset0:19 offset1:20
	s_waitcnt lgkmcnt(2)
	v_fma_f64 v[118:119], -v[170:171], v[182:183], v[118:119]
	v_fma_f64 v[160:161], -v[170:171], v[184:185], v[160:161]
	ds_read2_b64 v[182:185], v187 offset0:21 offset1:22
	s_waitcnt lgkmcnt(2)
	v_fma_f64 v[116:117], -v[170:171], v[192:193], v[116:117]
	v_fma_f64 v[158:159], -v[170:171], v[194:195], v[158:159]
	s_waitcnt lgkmcnt(1)
	v_fma_f64 v[114:115], -v[170:171], v[178:179], v[114:115]
	ds_read2_b64 v[192:195], v187 offset0:23 offset1:24
	v_fma_f64 v[156:157], -v[170:171], v[180:181], v[156:157]
	ds_read2_b64 v[178:181], v187 offset0:25 offset1:26
	s_waitcnt lgkmcnt(2)
	v_fma_f64 v[112:113], -v[170:171], v[182:183], v[112:113]
	v_fma_f64 v[154:155], -v[170:171], v[184:185], v[154:155]
	s_waitcnt lgkmcnt(1)
	v_fma_f64 v[110:111], -v[170:171], v[192:193], v[110:111]
	ds_read2_b64 v[182:185], v187 offset0:27 offset1:28
	v_fma_f64 v[152:153], -v[170:171], v[194:195], v[152:153]
	ds_read2_b64 v[192:195], v187 offset0:29 offset1:30
	s_waitcnt lgkmcnt(2)
	v_fma_f64 v[108:109], -v[170:171], v[178:179], v[108:109]
	v_fma_f64 v[150:151], -v[170:171], v[180:181], v[150:151]
	ds_read2_b64 v[178:181], v187 offset0:31 offset1:32
	s_waitcnt lgkmcnt(2)
	v_fma_f64 v[106:107], -v[170:171], v[182:183], v[106:107]
	;; [unrolled: 4-line block ×3, first 2 shown]
	v_fma_f64 v[146:147], -v[170:171], v[194:195], v[146:147]
	s_waitcnt lgkmcnt(1)
	v_fma_f64 v[102:103], -v[170:171], v[178:179], v[102:103]
	ds_read2_b64 v[192:195], v187 offset0:35 offset1:36
	v_fma_f64 v[144:145], -v[170:171], v[180:181], v[144:145]
	ds_read2_b64 v[178:181], v187 offset0:37 offset1:38
	s_waitcnt lgkmcnt(2)
	v_fma_f64 v[100:101], -v[170:171], v[182:183], v[100:101]
	v_fma_f64 v[142:143], -v[170:171], v[184:185], v[142:143]
	s_waitcnt lgkmcnt(1)
	v_fma_f64 v[98:99], -v[170:171], v[192:193], v[98:99]
	v_fma_f64 v[140:141], -v[170:171], v[194:195], v[140:141]
	ds_read2_b64 v[182:185], v187 offset0:39 offset1:40
	ds_read2_b64 v[192:195], v187 offset0:41 offset1:42
	s_waitcnt lgkmcnt(2)
	v_fma_f64 v[96:97], -v[170:171], v[178:179], v[96:97]
	ds_read_b64 v[178:179], v187 offset:344
	v_fma_f64 v[138:139], -v[170:171], v[180:181], v[138:139]
	s_waitcnt lgkmcnt(2)
	v_fma_f64 v[94:95], -v[170:171], v[182:183], v[94:95]
	v_fma_f64 v[136:137], -v[170:171], v[184:185], v[136:137]
	s_waitcnt lgkmcnt(1)
	v_fma_f64 v[92:93], -v[170:171], v[192:193], v[92:93]
	;; [unrolled: 3-line block ×3, first 2 shown]
.LBB87_36:
	s_or_b64 exec, exec, s[2:3]
	v_cmp_eq_u32_e32 vcc, 7, v188
	s_barrier
	s_and_saveexec_b64 s[2:3], vcc
	s_cbranch_execz .LBB87_39
; %bb.37:
	s_waitcnt vmcnt(51)
	v_mov_b32_e32 v178, v168
	v_mov_b32_e32 v179, v169
	s_waitcnt vmcnt(50)
	v_mov_b32_e32 v180, v124
	v_mov_b32_e32 v181, v125
	ds_write_b64 v186, v[126:127]
	ds_write2_b64 v187, v[178:179], v[180:181] offset0:8 offset1:9
	s_waitcnt vmcnt(49)
	v_mov_b32_e32 v178, v166
	v_mov_b32_e32 v179, v167
	s_waitcnt vmcnt(48)
	v_mov_b32_e32 v180, v122
	v_mov_b32_e32 v181, v123
	ds_write2_b64 v187, v[178:179], v[180:181] offset0:10 offset1:11
	s_waitcnt vmcnt(45)
	v_mov_b32_e32 v178, v164
	v_mov_b32_e32 v179, v165
	s_waitcnt vmcnt(44)
	v_mov_b32_e32 v180, v120
	v_mov_b32_e32 v181, v121
	;; [unrolled: 7-line block ×16, first 2 shown]
	ds_write2_b64 v187, v[178:179], v[180:181] offset0:40 offset1:41
	s_waitcnt vmcnt(15)
	v_mov_b32_e32 v178, v134
	v_mov_b32_e32 v179, v135
	s_waitcnt vmcnt(14)
	ds_write2_b64 v187, v[178:179], v[176:177] offset0:42 offset1:43
	ds_read_b64 v[178:179], v186
	s_waitcnt lgkmcnt(0)
	v_cmp_neq_f64_e32 vcc, 0, v[178:179]
	s_and_b64 exec, exec, vcc
	s_cbranch_execz .LBB87_39
; %bb.38:
	v_div_scale_f64 v[180:181], s[6:7], v[178:179], v[178:179], 1.0
	v_rcp_f64_e32 v[182:183], v[180:181]
	v_div_scale_f64 v[184:185], vcc, 1.0, v[178:179], 1.0
	v_fma_f64 v[190:191], -v[180:181], v[182:183], 1.0
	v_fmac_f64_e32 v[182:183], v[182:183], v[190:191]
	v_fma_f64 v[190:191], -v[180:181], v[182:183], 1.0
	v_fmac_f64_e32 v[182:183], v[182:183], v[190:191]
	v_mul_f64 v[190:191], v[184:185], v[182:183]
	v_fma_f64 v[180:181], -v[180:181], v[190:191], v[184:185]
	v_div_fmas_f64 v[180:181], v[180:181], v[182:183], v[190:191]
	v_div_fixup_f64 v[178:179], v[180:181], v[178:179], 1.0
	ds_write_b64 v186, v[178:179]
.LBB87_39:
	s_or_b64 exec, exec, s[2:3]
	s_waitcnt lgkmcnt(0)
	s_barrier
	ds_read_b64 v[178:179], v186
	v_cmp_lt_u32_e32 vcc, 7, v188
	s_waitcnt lgkmcnt(0)
	buffer_store_dword v178, off, s[16:19], 0 offset:56 ; 4-byte Folded Spill
	s_nop 0
	buffer_store_dword v179, off, s[16:19], 0 offset:60 ; 4-byte Folded Spill
	s_and_saveexec_b64 s[2:3], vcc
	s_cbranch_execz .LBB87_41
; %bb.40:
	ds_read2_b64 v[178:181], v187 offset0:8 offset1:9
	ds_read2_b64 v[182:185], v187 offset0:10 offset1:11
	buffer_load_dword v190, off, s[16:19], 0 offset:56 ; 4-byte Folded Reload
	buffer_load_dword v191, off, s[16:19], 0 offset:60 ; 4-byte Folded Reload
	ds_read2_b64 v[194:197], v187 offset0:12 offset1:13
	s_waitcnt vmcnt(0)
	v_mul_f64 v[126:127], v[190:191], v[126:127]
	s_waitcnt lgkmcnt(2)
	v_fma_f64 v[168:169], -v[126:127], v[178:179], v[168:169]
	v_fma_f64 v[124:125], -v[126:127], v[180:181], v[124:125]
	ds_read2_b64 v[178:181], v187 offset0:14 offset1:15
	s_waitcnt lgkmcnt(2)
	v_fma_f64 v[166:167], -v[126:127], v[182:183], v[166:167]
	v_fma_f64 v[122:123], -v[126:127], v[184:185], v[122:123]
	s_waitcnt lgkmcnt(1)
	v_fma_f64 v[164:165], -v[126:127], v[194:195], v[164:165]
	ds_read2_b64 v[182:185], v187 offset0:16 offset1:17
	v_fma_f64 v[120:121], -v[126:127], v[196:197], v[120:121]
	ds_read2_b64 v[194:197], v187 offset0:18 offset1:19
	s_waitcnt lgkmcnt(2)
	v_fma_f64 v[162:163], -v[126:127], v[178:179], v[162:163]
	v_fma_f64 v[118:119], -v[126:127], v[180:181], v[118:119]
	s_waitcnt lgkmcnt(1)
	v_fma_f64 v[160:161], -v[126:127], v[182:183], v[160:161]
	ds_read2_b64 v[178:181], v187 offset0:20 offset1:21
	v_fma_f64 v[116:117], -v[126:127], v[184:185], v[116:117]
	ds_read2_b64 v[182:185], v187 offset0:22 offset1:23
	s_waitcnt lgkmcnt(2)
	v_fma_f64 v[158:159], -v[126:127], v[194:195], v[158:159]
	v_fma_f64 v[114:115], -v[126:127], v[196:197], v[114:115]
	ds_read2_b64 v[194:197], v187 offset0:24 offset1:25
	s_waitcnt lgkmcnt(2)
	v_fma_f64 v[156:157], -v[126:127], v[178:179], v[156:157]
	;; [unrolled: 4-line block ×3, first 2 shown]
	v_fma_f64 v[110:111], -v[126:127], v[184:185], v[110:111]
	s_waitcnt lgkmcnt(1)
	v_fma_f64 v[152:153], -v[126:127], v[194:195], v[152:153]
	ds_read2_b64 v[182:185], v187 offset0:28 offset1:29
	v_fma_f64 v[108:109], -v[126:127], v[196:197], v[108:109]
	ds_read2_b64 v[194:197], v187 offset0:30 offset1:31
	s_waitcnt lgkmcnt(2)
	v_fma_f64 v[150:151], -v[126:127], v[178:179], v[150:151]
	v_fma_f64 v[106:107], -v[126:127], v[180:181], v[106:107]
	s_waitcnt lgkmcnt(1)
	v_fma_f64 v[148:149], -v[126:127], v[182:183], v[148:149]
	ds_read2_b64 v[178:181], v187 offset0:32 offset1:33
	v_fma_f64 v[104:105], -v[126:127], v[184:185], v[104:105]
	ds_read2_b64 v[182:185], v187 offset0:34 offset1:35
	s_waitcnt lgkmcnt(2)
	v_fma_f64 v[146:147], -v[126:127], v[194:195], v[146:147]
	v_fma_f64 v[102:103], -v[126:127], v[196:197], v[102:103]
	ds_read2_b64 v[194:197], v187 offset0:36 offset1:37
	s_waitcnt lgkmcnt(2)
	v_fma_f64 v[144:145], -v[126:127], v[178:179], v[144:145]
	;; [unrolled: 4-line block ×3, first 2 shown]
	v_fma_f64 v[98:99], -v[126:127], v[184:185], v[98:99]
	s_waitcnt lgkmcnt(1)
	v_fma_f64 v[140:141], -v[126:127], v[194:195], v[140:141]
	ds_read2_b64 v[182:185], v187 offset0:40 offset1:41
	v_fma_f64 v[96:97], -v[126:127], v[196:197], v[96:97]
	ds_read2_b64 v[194:197], v187 offset0:42 offset1:43
	s_waitcnt lgkmcnt(2)
	v_fma_f64 v[138:139], -v[126:127], v[178:179], v[138:139]
	v_fma_f64 v[94:95], -v[126:127], v[180:181], v[94:95]
	s_waitcnt lgkmcnt(1)
	v_fma_f64 v[136:137], -v[126:127], v[182:183], v[136:137]
	v_fma_f64 v[92:93], -v[126:127], v[184:185], v[92:93]
	s_waitcnt lgkmcnt(0)
	v_fma_f64 v[134:135], -v[126:127], v[194:195], v[134:135]
	v_fma_f64 v[176:177], -v[126:127], v[196:197], v[176:177]
.LBB87_41:
	s_or_b64 exec, exec, s[2:3]
	v_cmp_eq_u32_e32 vcc, 8, v188
	s_waitcnt vmcnt(63) expcnt(7) lgkmcnt(15)
	s_barrier
	s_and_saveexec_b64 s[2:3], vcc
	s_cbranch_execz .LBB87_44
; %bb.42:
	s_waitcnt vmcnt(53)
	ds_write_b64 v186, v[168:169]
	s_waitcnt vmcnt(51)
	ds_write2_b64 v187, v[124:125], v[166:167] offset0:9 offset1:10
	s_waitcnt vmcnt(47)
	ds_write2_b64 v187, v[122:123], v[164:165] offset0:11 offset1:12
	;; [unrolled: 2-line block ×17, first 2 shown]
	s_waitcnt vmcnt(16)
	ds_write_b64 v187, v[176:177] offset:344
	ds_read_b64 v[178:179], v186
	s_waitcnt lgkmcnt(0)
	v_cmp_neq_f64_e32 vcc, 0, v[178:179]
	s_and_b64 exec, exec, vcc
	s_cbranch_execz .LBB87_44
; %bb.43:
	v_div_scale_f64 v[180:181], s[6:7], v[178:179], v[178:179], 1.0
	v_rcp_f64_e32 v[182:183], v[180:181]
	v_div_scale_f64 v[184:185], vcc, 1.0, v[178:179], 1.0
	v_fma_f64 v[190:191], -v[180:181], v[182:183], 1.0
	v_fmac_f64_e32 v[182:183], v[182:183], v[190:191]
	v_fma_f64 v[190:191], -v[180:181], v[182:183], 1.0
	v_fmac_f64_e32 v[182:183], v[182:183], v[190:191]
	v_mul_f64 v[190:191], v[184:185], v[182:183]
	v_fma_f64 v[180:181], -v[180:181], v[190:191], v[184:185]
	v_div_fmas_f64 v[180:181], v[180:181], v[182:183], v[190:191]
	v_div_fixup_f64 v[178:179], v[180:181], v[178:179], 1.0
	ds_write_b64 v186, v[178:179]
.LBB87_44:
	s_or_b64 exec, exec, s[2:3]
	s_waitcnt lgkmcnt(0)
	s_barrier
	ds_read_b64 v[194:195], v186
	v_cmp_lt_u32_e32 vcc, 8, v188
	s_and_saveexec_b64 s[2:3], vcc
	s_cbranch_execz .LBB87_46
; %bb.45:
	ds_read2_b64 v[178:181], v187 offset0:9 offset1:10
	ds_read2_b64 v[182:185], v187 offset0:11 offset1:12
	s_waitcnt vmcnt(53) lgkmcnt(2)
	v_mul_f64 v[168:169], v[194:195], v[168:169]
	ds_read2_b64 v[196:199], v187 offset0:13 offset1:14
	ds_read_b64 v[190:191], v187 offset:344
	s_waitcnt vmcnt(52) lgkmcnt(3)
	v_fma_f64 v[124:125], -v[168:169], v[178:179], v[124:125]
	s_waitcnt vmcnt(51)
	v_fma_f64 v[166:167], -v[168:169], v[180:181], v[166:167]
	ds_read2_b64 v[178:181], v187 offset0:15 offset1:16
	s_waitcnt vmcnt(50) lgkmcnt(3)
	v_fma_f64 v[122:123], -v[168:169], v[182:183], v[122:123]
	s_waitcnt vmcnt(47)
	v_fma_f64 v[164:165], -v[168:169], v[184:185], v[164:165]
	ds_read2_b64 v[182:185], v187 offset0:17 offset1:18
	;; [unrolled: 5-line block ×3, first 2 shown]
	s_waitcnt vmcnt(44) lgkmcnt(2)
	v_fma_f64 v[118:119], -v[168:169], v[178:179], v[118:119]
	s_waitcnt vmcnt(43)
	v_fma_f64 v[160:161], -v[168:169], v[180:181], v[160:161]
	s_waitcnt vmcnt(42) lgkmcnt(1)
	v_fma_f64 v[116:117], -v[168:169], v[182:183], v[116:117]
	ds_read2_b64 v[178:181], v187 offset0:21 offset1:22
	s_waitcnt vmcnt(41)
	v_fma_f64 v[158:159], -v[168:169], v[184:185], v[158:159]
	ds_read2_b64 v[182:185], v187 offset0:23 offset1:24
	s_waitcnt vmcnt(40) lgkmcnt(2)
	v_fma_f64 v[114:115], -v[168:169], v[196:197], v[114:115]
	s_waitcnt vmcnt(39)
	v_fma_f64 v[156:157], -v[168:169], v[198:199], v[156:157]
	s_waitcnt vmcnt(38) lgkmcnt(1)
	v_fma_f64 v[112:113], -v[168:169], v[178:179], v[112:113]
	ds_read2_b64 v[196:199], v187 offset0:25 offset1:26
	s_waitcnt vmcnt(37)
	v_fma_f64 v[154:155], -v[168:169], v[180:181], v[154:155]
	ds_read2_b64 v[178:181], v187 offset0:27 offset1:28
	s_waitcnt vmcnt(36) lgkmcnt(2)
	v_fma_f64 v[110:111], -v[168:169], v[182:183], v[110:111]
	s_waitcnt vmcnt(35)
	v_fma_f64 v[152:153], -v[168:169], v[184:185], v[152:153]
	ds_read2_b64 v[182:185], v187 offset0:29 offset1:30
	s_waitcnt vmcnt(34) lgkmcnt(2)
	v_fma_f64 v[108:109], -v[168:169], v[196:197], v[108:109]
	;; [unrolled: 5-line block ×3, first 2 shown]
	s_waitcnt vmcnt(31)
	v_fma_f64 v[148:149], -v[168:169], v[180:181], v[148:149]
	s_waitcnt vmcnt(30) lgkmcnt(1)
	v_fma_f64 v[104:105], -v[168:169], v[182:183], v[104:105]
	ds_read2_b64 v[178:181], v187 offset0:33 offset1:34
	s_waitcnt vmcnt(29)
	v_fma_f64 v[146:147], -v[168:169], v[184:185], v[146:147]
	ds_read2_b64 v[182:185], v187 offset0:35 offset1:36
	s_waitcnt vmcnt(28) lgkmcnt(2)
	v_fma_f64 v[102:103], -v[168:169], v[196:197], v[102:103]
	s_waitcnt vmcnt(27)
	v_fma_f64 v[144:145], -v[168:169], v[198:199], v[144:145]
	s_waitcnt vmcnt(26) lgkmcnt(1)
	v_fma_f64 v[100:101], -v[168:169], v[178:179], v[100:101]
	ds_read2_b64 v[196:199], v187 offset0:37 offset1:38
	s_waitcnt vmcnt(25)
	v_fma_f64 v[142:143], -v[168:169], v[180:181], v[142:143]
	ds_read2_b64 v[178:181], v187 offset0:39 offset1:40
	s_waitcnt vmcnt(24) lgkmcnt(2)
	v_fma_f64 v[98:99], -v[168:169], v[182:183], v[98:99]
	s_waitcnt vmcnt(23)
	v_fma_f64 v[140:141], -v[168:169], v[184:185], v[140:141]
	ds_read2_b64 v[182:185], v187 offset0:41 offset1:42
	s_waitcnt vmcnt(22) lgkmcnt(2)
	v_fma_f64 v[96:97], -v[168:169], v[196:197], v[96:97]
	s_waitcnt vmcnt(21)
	v_fma_f64 v[138:139], -v[168:169], v[198:199], v[138:139]
	s_waitcnt vmcnt(20) lgkmcnt(1)
	v_fma_f64 v[94:95], -v[168:169], v[178:179], v[94:95]
	s_waitcnt vmcnt(19)
	v_fma_f64 v[136:137], -v[168:169], v[180:181], v[136:137]
	;; [unrolled: 4-line block ×3, first 2 shown]
	s_waitcnt vmcnt(16)
	v_fma_f64 v[176:177], -v[168:169], v[190:191], v[176:177]
.LBB87_46:
	s_or_b64 exec, exec, s[2:3]
	v_cmp_eq_u32_e32 vcc, 9, v188
	s_waitcnt lgkmcnt(0)
	s_barrier
	s_and_saveexec_b64 s[2:3], vcc
	s_cbranch_execz .LBB87_49
; %bb.47:
	s_waitcnt vmcnt(51)
	v_mov_b32_e32 v178, v166
	v_mov_b32_e32 v179, v167
	s_waitcnt vmcnt(50)
	v_mov_b32_e32 v180, v122
	v_mov_b32_e32 v181, v123
	ds_write_b64 v186, v[124:125]
	ds_write2_b64 v187, v[178:179], v[180:181] offset0:10 offset1:11
	s_waitcnt vmcnt(47)
	v_mov_b32_e32 v178, v164
	v_mov_b32_e32 v179, v165
	s_waitcnt vmcnt(46)
	v_mov_b32_e32 v180, v120
	v_mov_b32_e32 v181, v121
	ds_write2_b64 v187, v[178:179], v[180:181] offset0:12 offset1:13
	s_waitcnt vmcnt(45)
	v_mov_b32_e32 v178, v162
	v_mov_b32_e32 v179, v163
	s_waitcnt vmcnt(44)
	v_mov_b32_e32 v180, v118
	v_mov_b32_e32 v181, v119
	;; [unrolled: 7-line block ×15, first 2 shown]
	ds_write2_b64 v187, v[178:179], v[180:181] offset0:40 offset1:41
	s_waitcnt vmcnt(17)
	v_mov_b32_e32 v178, v134
	v_mov_b32_e32 v179, v135
	s_waitcnt vmcnt(16)
	ds_write2_b64 v187, v[178:179], v[176:177] offset0:42 offset1:43
	ds_read_b64 v[178:179], v186
	s_waitcnt lgkmcnt(0)
	v_cmp_neq_f64_e32 vcc, 0, v[178:179]
	s_and_b64 exec, exec, vcc
	s_cbranch_execz .LBB87_49
; %bb.48:
	v_div_scale_f64 v[180:181], s[6:7], v[178:179], v[178:179], 1.0
	v_rcp_f64_e32 v[182:183], v[180:181]
	v_div_scale_f64 v[184:185], vcc, 1.0, v[178:179], 1.0
	v_fma_f64 v[190:191], -v[180:181], v[182:183], 1.0
	v_fmac_f64_e32 v[182:183], v[182:183], v[190:191]
	v_fma_f64 v[190:191], -v[180:181], v[182:183], 1.0
	v_fmac_f64_e32 v[182:183], v[182:183], v[190:191]
	v_mul_f64 v[190:191], v[184:185], v[182:183]
	v_fma_f64 v[180:181], -v[180:181], v[190:191], v[184:185]
	v_div_fmas_f64 v[180:181], v[180:181], v[182:183], v[190:191]
	v_div_fixup_f64 v[178:179], v[180:181], v[178:179], 1.0
	ds_write_b64 v186, v[178:179]
.LBB87_49:
	s_or_b64 exec, exec, s[2:3]
	s_waitcnt lgkmcnt(0)
	s_barrier
	ds_read_b64 v[196:197], v186
	v_cmp_lt_u32_e32 vcc, 9, v188
	s_and_saveexec_b64 s[2:3], vcc
	s_cbranch_execz .LBB87_51
; %bb.50:
	ds_read2_b64 v[178:181], v187 offset0:10 offset1:11
	ds_read2_b64 v[182:185], v187 offset0:12 offset1:13
	s_waitcnt vmcnt(52) lgkmcnt(2)
	v_mul_f64 v[124:125], v[196:197], v[124:125]
	ds_read2_b64 v[198:201], v187 offset0:14 offset1:15
	s_waitcnt vmcnt(51) lgkmcnt(2)
	v_fma_f64 v[166:167], -v[124:125], v[178:179], v[166:167]
	s_waitcnt vmcnt(50)
	v_fma_f64 v[122:123], -v[124:125], v[180:181], v[122:123]
	ds_read2_b64 v[178:181], v187 offset0:16 offset1:17
	s_waitcnt vmcnt(47) lgkmcnt(2)
	v_fma_f64 v[164:165], -v[124:125], v[182:183], v[164:165]
	s_waitcnt vmcnt(46)
	v_fma_f64 v[120:121], -v[124:125], v[184:185], v[120:121]
	;; [unrolled: 5-line block ×4, first 2 shown]
	s_waitcnt vmcnt(41) lgkmcnt(1)
	v_fma_f64 v[158:159], -v[124:125], v[182:183], v[158:159]
	ds_read2_b64 v[178:181], v187 offset0:22 offset1:23
	s_waitcnt vmcnt(40)
	v_fma_f64 v[114:115], -v[124:125], v[184:185], v[114:115]
	ds_read2_b64 v[182:185], v187 offset0:24 offset1:25
	s_waitcnt vmcnt(39) lgkmcnt(2)
	v_fma_f64 v[156:157], -v[124:125], v[198:199], v[156:157]
	s_waitcnt vmcnt(38)
	v_fma_f64 v[112:113], -v[124:125], v[200:201], v[112:113]
	s_waitcnt vmcnt(37) lgkmcnt(1)
	v_fma_f64 v[154:155], -v[124:125], v[178:179], v[154:155]
	ds_read2_b64 v[198:201], v187 offset0:26 offset1:27
	s_waitcnt vmcnt(36)
	v_fma_f64 v[110:111], -v[124:125], v[180:181], v[110:111]
	ds_read2_b64 v[178:181], v187 offset0:28 offset1:29
	s_waitcnt vmcnt(35) lgkmcnt(2)
	v_fma_f64 v[152:153], -v[124:125], v[182:183], v[152:153]
	s_waitcnt vmcnt(34)
	v_fma_f64 v[108:109], -v[124:125], v[184:185], v[108:109]
	ds_read2_b64 v[182:185], v187 offset0:30 offset1:31
	s_waitcnt vmcnt(33) lgkmcnt(2)
	v_fma_f64 v[150:151], -v[124:125], v[198:199], v[150:151]
	;; [unrolled: 5-line block ×3, first 2 shown]
	s_waitcnt vmcnt(30)
	v_fma_f64 v[104:105], -v[124:125], v[180:181], v[104:105]
	s_waitcnt vmcnt(29) lgkmcnt(1)
	v_fma_f64 v[146:147], -v[124:125], v[182:183], v[146:147]
	ds_read2_b64 v[178:181], v187 offset0:34 offset1:35
	s_waitcnt vmcnt(28)
	v_fma_f64 v[102:103], -v[124:125], v[184:185], v[102:103]
	ds_read2_b64 v[182:185], v187 offset0:36 offset1:37
	s_waitcnt vmcnt(27) lgkmcnt(2)
	v_fma_f64 v[144:145], -v[124:125], v[198:199], v[144:145]
	s_waitcnt vmcnt(26)
	v_fma_f64 v[100:101], -v[124:125], v[200:201], v[100:101]
	s_waitcnt vmcnt(25) lgkmcnt(1)
	v_fma_f64 v[142:143], -v[124:125], v[178:179], v[142:143]
	s_waitcnt vmcnt(24)
	v_fma_f64 v[98:99], -v[124:125], v[180:181], v[98:99]
	ds_read2_b64 v[178:181], v187 offset0:38 offset1:39
	ds_read2_b64 v[198:201], v187 offset0:40 offset1:41
	s_waitcnt vmcnt(23) lgkmcnt(2)
	v_fma_f64 v[140:141], -v[124:125], v[182:183], v[140:141]
	s_waitcnt vmcnt(22)
	v_fma_f64 v[96:97], -v[124:125], v[184:185], v[96:97]
	ds_read2_b64 v[182:185], v187 offset0:42 offset1:43
	s_waitcnt vmcnt(21) lgkmcnt(2)
	v_fma_f64 v[138:139], -v[124:125], v[178:179], v[138:139]
	s_waitcnt vmcnt(20)
	v_fma_f64 v[94:95], -v[124:125], v[180:181], v[94:95]
	s_waitcnt vmcnt(19) lgkmcnt(1)
	v_fma_f64 v[136:137], -v[124:125], v[198:199], v[136:137]
	s_waitcnt vmcnt(18)
	v_fma_f64 v[92:93], -v[124:125], v[200:201], v[92:93]
	;; [unrolled: 4-line block ×3, first 2 shown]
.LBB87_51:
	s_or_b64 exec, exec, s[2:3]
	v_cmp_eq_u32_e32 vcc, 10, v188
	s_waitcnt lgkmcnt(0)
	s_barrier
	s_and_saveexec_b64 s[2:3], vcc
	s_cbranch_execz .LBB87_54
; %bb.52:
	s_waitcnt vmcnt(51)
	ds_write_b64 v186, v[166:167]
	s_waitcnt vmcnt(47)
	ds_write2_b64 v187, v[122:123], v[164:165] offset0:11 offset1:12
	s_waitcnt vmcnt(45)
	ds_write2_b64 v187, v[120:121], v[162:163] offset0:13 offset1:14
	;; [unrolled: 2-line block ×16, first 2 shown]
	s_waitcnt vmcnt(16)
	ds_write_b64 v187, v[176:177] offset:344
	ds_read_b64 v[178:179], v186
	s_waitcnt lgkmcnt(0)
	v_cmp_neq_f64_e32 vcc, 0, v[178:179]
	s_and_b64 exec, exec, vcc
	s_cbranch_execz .LBB87_54
; %bb.53:
	v_div_scale_f64 v[180:181], s[6:7], v[178:179], v[178:179], 1.0
	v_rcp_f64_e32 v[182:183], v[180:181]
	v_div_scale_f64 v[184:185], vcc, 1.0, v[178:179], 1.0
	v_fma_f64 v[190:191], -v[180:181], v[182:183], 1.0
	v_fmac_f64_e32 v[182:183], v[182:183], v[190:191]
	v_fma_f64 v[190:191], -v[180:181], v[182:183], 1.0
	v_fmac_f64_e32 v[182:183], v[182:183], v[190:191]
	v_mul_f64 v[190:191], v[184:185], v[182:183]
	v_fma_f64 v[180:181], -v[180:181], v[190:191], v[184:185]
	v_div_fmas_f64 v[180:181], v[180:181], v[182:183], v[190:191]
	v_div_fixup_f64 v[178:179], v[180:181], v[178:179], 1.0
	ds_write_b64 v186, v[178:179]
.LBB87_54:
	s_or_b64 exec, exec, s[2:3]
	s_waitcnt lgkmcnt(0)
	s_barrier
	ds_read_b64 v[198:199], v186
	v_cmp_lt_u32_e32 vcc, 10, v188
	s_and_saveexec_b64 s[2:3], vcc
	s_cbranch_execz .LBB87_56
; %bb.55:
	ds_read2_b64 v[178:181], v187 offset0:11 offset1:12
	ds_read2_b64 v[182:185], v187 offset0:13 offset1:14
	s_waitcnt vmcnt(51) lgkmcnt(2)
	v_mul_f64 v[166:167], v[198:199], v[166:167]
	ds_read2_b64 v[200:203], v187 offset0:15 offset1:16
	s_waitcnt vmcnt(50) lgkmcnt(2)
	v_fma_f64 v[122:123], -v[166:167], v[178:179], v[122:123]
	s_waitcnt vmcnt(47)
	v_fma_f64 v[164:165], -v[166:167], v[180:181], v[164:165]
	ds_read2_b64 v[178:181], v187 offset0:17 offset1:18
	s_waitcnt vmcnt(46) lgkmcnt(2)
	v_fma_f64 v[120:121], -v[166:167], v[182:183], v[120:121]
	s_waitcnt vmcnt(45)
	v_fma_f64 v[162:163], -v[166:167], v[184:185], v[162:163]
	;; [unrolled: 5-line block ×4, first 2 shown]
	s_waitcnt vmcnt(40) lgkmcnt(1)
	v_fma_f64 v[114:115], -v[166:167], v[182:183], v[114:115]
	ds_read2_b64 v[178:181], v187 offset0:23 offset1:24
	s_waitcnt vmcnt(39)
	v_fma_f64 v[156:157], -v[166:167], v[184:185], v[156:157]
	ds_read2_b64 v[182:185], v187 offset0:25 offset1:26
	s_waitcnt vmcnt(38) lgkmcnt(2)
	v_fma_f64 v[112:113], -v[166:167], v[200:201], v[112:113]
	s_waitcnt vmcnt(37)
	v_fma_f64 v[154:155], -v[166:167], v[202:203], v[154:155]
	s_waitcnt vmcnt(36) lgkmcnt(1)
	v_fma_f64 v[110:111], -v[166:167], v[178:179], v[110:111]
	ds_read2_b64 v[200:203], v187 offset0:27 offset1:28
	s_waitcnt vmcnt(35)
	v_fma_f64 v[152:153], -v[166:167], v[180:181], v[152:153]
	ds_read2_b64 v[178:181], v187 offset0:29 offset1:30
	s_waitcnt vmcnt(34) lgkmcnt(2)
	v_fma_f64 v[108:109], -v[166:167], v[182:183], v[108:109]
	s_waitcnt vmcnt(33)
	v_fma_f64 v[150:151], -v[166:167], v[184:185], v[150:151]
	ds_read2_b64 v[182:185], v187 offset0:31 offset1:32
	s_waitcnt vmcnt(32) lgkmcnt(2)
	v_fma_f64 v[106:107], -v[166:167], v[200:201], v[106:107]
	s_waitcnt vmcnt(31)
	v_fma_f64 v[148:149], -v[166:167], v[202:203], v[148:149]
	ds_read2_b64 v[200:203], v187 offset0:33 offset1:34
	s_waitcnt vmcnt(30) lgkmcnt(2)
	v_fma_f64 v[104:105], -v[166:167], v[178:179], v[104:105]
	s_waitcnt vmcnt(29)
	v_fma_f64 v[146:147], -v[166:167], v[180:181], v[146:147]
	s_waitcnt vmcnt(28) lgkmcnt(1)
	v_fma_f64 v[102:103], -v[166:167], v[182:183], v[102:103]
	ds_read2_b64 v[178:181], v187 offset0:35 offset1:36
	s_waitcnt vmcnt(27)
	v_fma_f64 v[144:145], -v[166:167], v[184:185], v[144:145]
	ds_read2_b64 v[182:185], v187 offset0:37 offset1:38
	s_waitcnt vmcnt(26) lgkmcnt(2)
	v_fma_f64 v[100:101], -v[166:167], v[200:201], v[100:101]
	s_waitcnt vmcnt(25)
	v_fma_f64 v[142:143], -v[166:167], v[202:203], v[142:143]
	s_waitcnt vmcnt(24) lgkmcnt(1)
	v_fma_f64 v[98:99], -v[166:167], v[178:179], v[98:99]
	s_waitcnt vmcnt(23)
	v_fma_f64 v[140:141], -v[166:167], v[180:181], v[140:141]
	ds_read2_b64 v[178:181], v187 offset0:39 offset1:40
	ds_read2_b64 v[200:203], v187 offset0:41 offset1:42
	s_waitcnt vmcnt(22) lgkmcnt(2)
	v_fma_f64 v[96:97], -v[166:167], v[182:183], v[96:97]
	ds_read_b64 v[182:183], v187 offset:344
	s_waitcnt vmcnt(21)
	v_fma_f64 v[138:139], -v[166:167], v[184:185], v[138:139]
	s_waitcnt vmcnt(20) lgkmcnt(2)
	v_fma_f64 v[94:95], -v[166:167], v[178:179], v[94:95]
	s_waitcnt vmcnt(19)
	v_fma_f64 v[136:137], -v[166:167], v[180:181], v[136:137]
	s_waitcnt vmcnt(18) lgkmcnt(1)
	v_fma_f64 v[92:93], -v[166:167], v[200:201], v[92:93]
	;; [unrolled: 4-line block ×3, first 2 shown]
.LBB87_56:
	s_or_b64 exec, exec, s[2:3]
	v_cmp_eq_u32_e32 vcc, 11, v188
	s_waitcnt lgkmcnt(0)
	s_barrier
	s_and_saveexec_b64 s[2:3], vcc
	s_cbranch_execz .LBB87_59
; %bb.57:
	s_waitcnt vmcnt(47)
	v_mov_b32_e32 v178, v164
	v_mov_b32_e32 v179, v165
	s_waitcnt vmcnt(46)
	v_mov_b32_e32 v180, v120
	v_mov_b32_e32 v181, v121
	ds_write_b64 v186, v[122:123]
	ds_write2_b64 v187, v[178:179], v[180:181] offset0:12 offset1:13
	s_waitcnt vmcnt(45)
	v_mov_b32_e32 v178, v162
	v_mov_b32_e32 v179, v163
	s_waitcnt vmcnt(44)
	v_mov_b32_e32 v180, v118
	v_mov_b32_e32 v181, v119
	ds_write2_b64 v187, v[178:179], v[180:181] offset0:14 offset1:15
	s_waitcnt vmcnt(43)
	v_mov_b32_e32 v178, v160
	v_mov_b32_e32 v179, v161
	s_waitcnt vmcnt(42)
	v_mov_b32_e32 v180, v116
	v_mov_b32_e32 v181, v117
	;; [unrolled: 7-line block ×14, first 2 shown]
	ds_write2_b64 v187, v[178:179], v[180:181] offset0:40 offset1:41
	s_waitcnt vmcnt(17)
	v_mov_b32_e32 v178, v134
	v_mov_b32_e32 v179, v135
	s_waitcnt vmcnt(16)
	ds_write2_b64 v187, v[178:179], v[176:177] offset0:42 offset1:43
	ds_read_b64 v[178:179], v186
	s_waitcnt lgkmcnt(0)
	v_cmp_neq_f64_e32 vcc, 0, v[178:179]
	s_and_b64 exec, exec, vcc
	s_cbranch_execz .LBB87_59
; %bb.58:
	v_div_scale_f64 v[180:181], s[6:7], v[178:179], v[178:179], 1.0
	v_rcp_f64_e32 v[182:183], v[180:181]
	v_div_scale_f64 v[184:185], vcc, 1.0, v[178:179], 1.0
	v_fma_f64 v[190:191], -v[180:181], v[182:183], 1.0
	v_fmac_f64_e32 v[182:183], v[182:183], v[190:191]
	v_fma_f64 v[190:191], -v[180:181], v[182:183], 1.0
	v_fmac_f64_e32 v[182:183], v[182:183], v[190:191]
	v_mul_f64 v[190:191], v[184:185], v[182:183]
	v_fma_f64 v[180:181], -v[180:181], v[190:191], v[184:185]
	v_div_fmas_f64 v[180:181], v[180:181], v[182:183], v[190:191]
	v_div_fixup_f64 v[178:179], v[180:181], v[178:179], 1.0
	ds_write_b64 v186, v[178:179]
.LBB87_59:
	s_or_b64 exec, exec, s[2:3]
	s_waitcnt lgkmcnt(0)
	s_barrier
	ds_read_b64 v[200:201], v186
	v_cmp_lt_u32_e32 vcc, 11, v188
	s_and_saveexec_b64 s[2:3], vcc
	s_cbranch_execz .LBB87_61
; %bb.60:
	ds_read2_b64 v[178:181], v187 offset0:12 offset1:13
	ds_read2_b64 v[182:185], v187 offset0:14 offset1:15
	s_waitcnt vmcnt(50) lgkmcnt(2)
	v_mul_f64 v[122:123], v[200:201], v[122:123]
	ds_read2_b64 v[202:205], v187 offset0:16 offset1:17
	s_waitcnt vmcnt(47) lgkmcnt(2)
	v_fma_f64 v[164:165], -v[122:123], v[178:179], v[164:165]
	s_waitcnt vmcnt(46)
	v_fma_f64 v[120:121], -v[122:123], v[180:181], v[120:121]
	ds_read2_b64 v[178:181], v187 offset0:18 offset1:19
	s_waitcnt vmcnt(45) lgkmcnt(2)
	v_fma_f64 v[162:163], -v[122:123], v[182:183], v[162:163]
	s_waitcnt vmcnt(44)
	v_fma_f64 v[118:119], -v[122:123], v[184:185], v[118:119]
	s_waitcnt vmcnt(43) lgkmcnt(1)
	v_fma_f64 v[160:161], -v[122:123], v[202:203], v[160:161]
	ds_read2_b64 v[182:185], v187 offset0:20 offset1:21
	s_waitcnt vmcnt(42)
	v_fma_f64 v[116:117], -v[122:123], v[204:205], v[116:117]
	ds_read2_b64 v[202:205], v187 offset0:22 offset1:23
	s_waitcnt vmcnt(41) lgkmcnt(2)
	v_fma_f64 v[158:159], -v[122:123], v[178:179], v[158:159]
	s_waitcnt vmcnt(40)
	v_fma_f64 v[114:115], -v[122:123], v[180:181], v[114:115]
	ds_read2_b64 v[178:181], v187 offset0:24 offset1:25
	s_waitcnt vmcnt(39) lgkmcnt(2)
	v_fma_f64 v[156:157], -v[122:123], v[182:183], v[156:157]
	;; [unrolled: 5-line block ×3, first 2 shown]
	s_waitcnt vmcnt(36)
	v_fma_f64 v[110:111], -v[122:123], v[204:205], v[110:111]
	s_waitcnt vmcnt(35) lgkmcnt(1)
	v_fma_f64 v[152:153], -v[122:123], v[178:179], v[152:153]
	ds_read2_b64 v[202:205], v187 offset0:28 offset1:29
	s_waitcnt vmcnt(34)
	v_fma_f64 v[108:109], -v[122:123], v[180:181], v[108:109]
	ds_read2_b64 v[178:181], v187 offset0:30 offset1:31
	s_waitcnt vmcnt(33) lgkmcnt(2)
	v_fma_f64 v[150:151], -v[122:123], v[182:183], v[150:151]
	s_waitcnt vmcnt(32)
	v_fma_f64 v[106:107], -v[122:123], v[184:185], v[106:107]
	s_waitcnt vmcnt(31) lgkmcnt(1)
	v_fma_f64 v[148:149], -v[122:123], v[202:203], v[148:149]
	ds_read2_b64 v[182:185], v187 offset0:32 offset1:33
	s_waitcnt vmcnt(30)
	v_fma_f64 v[104:105], -v[122:123], v[204:205], v[104:105]
	ds_read2_b64 v[202:205], v187 offset0:34 offset1:35
	s_waitcnt vmcnt(29) lgkmcnt(2)
	v_fma_f64 v[146:147], -v[122:123], v[178:179], v[146:147]
	s_waitcnt vmcnt(28)
	v_fma_f64 v[102:103], -v[122:123], v[180:181], v[102:103]
	ds_read2_b64 v[178:181], v187 offset0:36 offset1:37
	s_waitcnt vmcnt(27) lgkmcnt(2)
	v_fma_f64 v[144:145], -v[122:123], v[182:183], v[144:145]
	;; [unrolled: 5-line block ×3, first 2 shown]
	s_waitcnt vmcnt(24)
	v_fma_f64 v[98:99], -v[122:123], v[204:205], v[98:99]
	s_waitcnt vmcnt(23) lgkmcnt(1)
	v_fma_f64 v[140:141], -v[122:123], v[178:179], v[140:141]
	ds_read2_b64 v[202:205], v187 offset0:40 offset1:41
	s_waitcnt vmcnt(22)
	v_fma_f64 v[96:97], -v[122:123], v[180:181], v[96:97]
	ds_read2_b64 v[178:181], v187 offset0:42 offset1:43
	s_waitcnt vmcnt(21) lgkmcnt(2)
	v_fma_f64 v[138:139], -v[122:123], v[182:183], v[138:139]
	s_waitcnt vmcnt(20)
	v_fma_f64 v[94:95], -v[122:123], v[184:185], v[94:95]
	s_waitcnt vmcnt(19) lgkmcnt(1)
	v_fma_f64 v[136:137], -v[122:123], v[202:203], v[136:137]
	s_waitcnt vmcnt(18)
	v_fma_f64 v[92:93], -v[122:123], v[204:205], v[92:93]
	;; [unrolled: 4-line block ×3, first 2 shown]
.LBB87_61:
	s_or_b64 exec, exec, s[2:3]
	v_cmp_eq_u32_e32 vcc, 12, v188
	s_waitcnt lgkmcnt(0)
	s_barrier
	s_and_saveexec_b64 s[2:3], vcc
	s_cbranch_execz .LBB87_64
; %bb.62:
	s_waitcnt vmcnt(47)
	ds_write_b64 v186, v[164:165]
	s_waitcnt vmcnt(45)
	ds_write2_b64 v187, v[120:121], v[162:163] offset0:13 offset1:14
	s_waitcnt vmcnt(43)
	ds_write2_b64 v187, v[118:119], v[160:161] offset0:15 offset1:16
	;; [unrolled: 2-line block ×15, first 2 shown]
	s_waitcnt vmcnt(16)
	ds_write_b64 v187, v[176:177] offset:344
	ds_read_b64 v[178:179], v186
	s_waitcnt lgkmcnt(0)
	v_cmp_neq_f64_e32 vcc, 0, v[178:179]
	s_and_b64 exec, exec, vcc
	s_cbranch_execz .LBB87_64
; %bb.63:
	v_div_scale_f64 v[180:181], s[6:7], v[178:179], v[178:179], 1.0
	v_rcp_f64_e32 v[182:183], v[180:181]
	v_div_scale_f64 v[184:185], vcc, 1.0, v[178:179], 1.0
	v_fma_f64 v[190:191], -v[180:181], v[182:183], 1.0
	v_fmac_f64_e32 v[182:183], v[182:183], v[190:191]
	v_fma_f64 v[190:191], -v[180:181], v[182:183], 1.0
	v_fmac_f64_e32 v[182:183], v[182:183], v[190:191]
	v_mul_f64 v[190:191], v[184:185], v[182:183]
	v_fma_f64 v[180:181], -v[180:181], v[190:191], v[184:185]
	v_div_fmas_f64 v[180:181], v[180:181], v[182:183], v[190:191]
	v_div_fixup_f64 v[178:179], v[180:181], v[178:179], 1.0
	ds_write_b64 v186, v[178:179]
.LBB87_64:
	s_or_b64 exec, exec, s[2:3]
	s_waitcnt lgkmcnt(0)
	s_barrier
	ds_read_b64 v[202:203], v186
	v_cmp_lt_u32_e32 vcc, 12, v188
	s_and_saveexec_b64 s[2:3], vcc
	s_cbranch_execz .LBB87_66
; %bb.65:
	ds_read2_b64 v[178:181], v187 offset0:13 offset1:14
	ds_read2_b64 v[182:185], v187 offset0:15 offset1:16
	s_waitcnt vmcnt(47) lgkmcnt(2)
	v_mul_f64 v[164:165], v[202:203], v[164:165]
	ds_read2_b64 v[204:207], v187 offset0:17 offset1:18
	s_waitcnt vmcnt(46) lgkmcnt(2)
	v_fma_f64 v[120:121], -v[164:165], v[178:179], v[120:121]
	s_waitcnt vmcnt(45)
	v_fma_f64 v[162:163], -v[164:165], v[180:181], v[162:163]
	ds_read2_b64 v[178:181], v187 offset0:19 offset1:20
	s_waitcnt vmcnt(44) lgkmcnt(2)
	v_fma_f64 v[118:119], -v[164:165], v[182:183], v[118:119]
	s_waitcnt vmcnt(43)
	v_fma_f64 v[160:161], -v[164:165], v[184:185], v[160:161]
	s_waitcnt vmcnt(42) lgkmcnt(1)
	v_fma_f64 v[116:117], -v[164:165], v[204:205], v[116:117]
	ds_read2_b64 v[182:185], v187 offset0:21 offset1:22
	s_waitcnt vmcnt(41)
	v_fma_f64 v[158:159], -v[164:165], v[206:207], v[158:159]
	ds_read2_b64 v[204:207], v187 offset0:23 offset1:24
	s_waitcnt vmcnt(40) lgkmcnt(2)
	v_fma_f64 v[114:115], -v[164:165], v[178:179], v[114:115]
	s_waitcnt vmcnt(39)
	v_fma_f64 v[156:157], -v[164:165], v[180:181], v[156:157]
	ds_read2_b64 v[178:181], v187 offset0:25 offset1:26
	s_waitcnt vmcnt(38) lgkmcnt(2)
	v_fma_f64 v[112:113], -v[164:165], v[182:183], v[112:113]
	s_waitcnt vmcnt(37)
	v_fma_f64 v[154:155], -v[164:165], v[184:185], v[154:155]
	ds_read2_b64 v[182:185], v187 offset0:27 offset1:28
	s_waitcnt vmcnt(36) lgkmcnt(2)
	v_fma_f64 v[110:111], -v[164:165], v[204:205], v[110:111]
	s_waitcnt vmcnt(35)
	v_fma_f64 v[152:153], -v[164:165], v[206:207], v[152:153]
	s_waitcnt vmcnt(34) lgkmcnt(1)
	v_fma_f64 v[108:109], -v[164:165], v[178:179], v[108:109]
	ds_read2_b64 v[204:207], v187 offset0:29 offset1:30
	s_waitcnt vmcnt(33)
	v_fma_f64 v[150:151], -v[164:165], v[180:181], v[150:151]
	ds_read2_b64 v[178:181], v187 offset0:31 offset1:32
	s_waitcnt vmcnt(32) lgkmcnt(2)
	v_fma_f64 v[106:107], -v[164:165], v[182:183], v[106:107]
	s_waitcnt vmcnt(31)
	v_fma_f64 v[148:149], -v[164:165], v[184:185], v[148:149]
	s_waitcnt vmcnt(30) lgkmcnt(1)
	v_fma_f64 v[104:105], -v[164:165], v[204:205], v[104:105]
	ds_read2_b64 v[182:185], v187 offset0:33 offset1:34
	s_waitcnt vmcnt(29)
	v_fma_f64 v[146:147], -v[164:165], v[206:207], v[146:147]
	ds_read2_b64 v[204:207], v187 offset0:35 offset1:36
	s_waitcnt vmcnt(28) lgkmcnt(2)
	v_fma_f64 v[102:103], -v[164:165], v[178:179], v[102:103]
	s_waitcnt vmcnt(27)
	v_fma_f64 v[144:145], -v[164:165], v[180:181], v[144:145]
	ds_read2_b64 v[178:181], v187 offset0:37 offset1:38
	s_waitcnt vmcnt(26) lgkmcnt(2)
	v_fma_f64 v[100:101], -v[164:165], v[182:183], v[100:101]
	;; [unrolled: 5-line block ×3, first 2 shown]
	s_waitcnt vmcnt(23)
	v_fma_f64 v[140:141], -v[164:165], v[206:207], v[140:141]
	s_waitcnt vmcnt(22) lgkmcnt(1)
	v_fma_f64 v[96:97], -v[164:165], v[178:179], v[96:97]
	ds_read2_b64 v[204:207], v187 offset0:41 offset1:42
	ds_read_b64 v[178:179], v187 offset:344
	s_waitcnt vmcnt(21)
	v_fma_f64 v[138:139], -v[164:165], v[180:181], v[138:139]
	s_waitcnt vmcnt(20) lgkmcnt(2)
	v_fma_f64 v[94:95], -v[164:165], v[182:183], v[94:95]
	s_waitcnt vmcnt(19)
	v_fma_f64 v[136:137], -v[164:165], v[184:185], v[136:137]
	s_waitcnt vmcnt(18) lgkmcnt(1)
	v_fma_f64 v[92:93], -v[164:165], v[204:205], v[92:93]
	;; [unrolled: 4-line block ×3, first 2 shown]
.LBB87_66:
	s_or_b64 exec, exec, s[2:3]
	v_cmp_eq_u32_e32 vcc, 13, v188
	s_waitcnt lgkmcnt(0)
	s_barrier
	s_and_saveexec_b64 s[2:3], vcc
	s_cbranch_execz .LBB87_69
; %bb.67:
	s_waitcnt vmcnt(45)
	v_mov_b32_e32 v178, v162
	v_mov_b32_e32 v179, v163
	s_waitcnt vmcnt(44)
	v_mov_b32_e32 v180, v118
	v_mov_b32_e32 v181, v119
	ds_write_b64 v186, v[120:121]
	ds_write2_b64 v187, v[178:179], v[180:181] offset0:14 offset1:15
	s_waitcnt vmcnt(43)
	v_mov_b32_e32 v178, v160
	v_mov_b32_e32 v179, v161
	s_waitcnt vmcnt(42)
	v_mov_b32_e32 v180, v116
	v_mov_b32_e32 v181, v117
	ds_write2_b64 v187, v[178:179], v[180:181] offset0:16 offset1:17
	s_waitcnt vmcnt(41)
	v_mov_b32_e32 v178, v158
	v_mov_b32_e32 v179, v159
	s_waitcnt vmcnt(40)
	v_mov_b32_e32 v180, v114
	v_mov_b32_e32 v181, v115
	ds_write2_b64 v187, v[178:179], v[180:181] offset0:18 offset1:19
	s_waitcnt vmcnt(39)
	v_mov_b32_e32 v178, v156
	v_mov_b32_e32 v179, v157
	s_waitcnt vmcnt(38)
	v_mov_b32_e32 v180, v112
	v_mov_b32_e32 v181, v113
	ds_write2_b64 v187, v[178:179], v[180:181] offset0:20 offset1:21
	s_waitcnt vmcnt(37)
	v_mov_b32_e32 v178, v154
	v_mov_b32_e32 v179, v155
	s_waitcnt vmcnt(36)
	v_mov_b32_e32 v180, v110
	v_mov_b32_e32 v181, v111
	ds_write2_b64 v187, v[178:179], v[180:181] offset0:22 offset1:23
	s_waitcnt vmcnt(35)
	v_mov_b32_e32 v178, v152
	v_mov_b32_e32 v179, v153
	s_waitcnt vmcnt(34)
	v_mov_b32_e32 v180, v108
	v_mov_b32_e32 v181, v109
	ds_write2_b64 v187, v[178:179], v[180:181] offset0:24 offset1:25
	s_waitcnt vmcnt(33)
	v_mov_b32_e32 v178, v150
	v_mov_b32_e32 v179, v151
	s_waitcnt vmcnt(32)
	v_mov_b32_e32 v180, v106
	v_mov_b32_e32 v181, v107
	ds_write2_b64 v187, v[178:179], v[180:181] offset0:26 offset1:27
	s_waitcnt vmcnt(31)
	v_mov_b32_e32 v178, v148
	v_mov_b32_e32 v179, v149
	s_waitcnt vmcnt(30)
	v_mov_b32_e32 v180, v104
	v_mov_b32_e32 v181, v105
	ds_write2_b64 v187, v[178:179], v[180:181] offset0:28 offset1:29
	s_waitcnt vmcnt(29)
	v_mov_b32_e32 v178, v146
	v_mov_b32_e32 v179, v147
	s_waitcnt vmcnt(28)
	v_mov_b32_e32 v180, v102
	v_mov_b32_e32 v181, v103
	ds_write2_b64 v187, v[178:179], v[180:181] offset0:30 offset1:31
	s_waitcnt vmcnt(27)
	v_mov_b32_e32 v178, v144
	v_mov_b32_e32 v179, v145
	s_waitcnt vmcnt(26)
	v_mov_b32_e32 v180, v100
	v_mov_b32_e32 v181, v101
	ds_write2_b64 v187, v[178:179], v[180:181] offset0:32 offset1:33
	s_waitcnt vmcnt(25)
	v_mov_b32_e32 v178, v142
	v_mov_b32_e32 v179, v143
	s_waitcnt vmcnt(24)
	v_mov_b32_e32 v180, v98
	v_mov_b32_e32 v181, v99
	ds_write2_b64 v187, v[178:179], v[180:181] offset0:34 offset1:35
	s_waitcnt vmcnt(23)
	v_mov_b32_e32 v178, v140
	v_mov_b32_e32 v179, v141
	s_waitcnt vmcnt(22)
	v_mov_b32_e32 v180, v96
	v_mov_b32_e32 v181, v97
	ds_write2_b64 v187, v[178:179], v[180:181] offset0:36 offset1:37
	s_waitcnt vmcnt(21)
	v_mov_b32_e32 v178, v138
	v_mov_b32_e32 v179, v139
	s_waitcnt vmcnt(20)
	v_mov_b32_e32 v180, v94
	v_mov_b32_e32 v181, v95
	ds_write2_b64 v187, v[178:179], v[180:181] offset0:38 offset1:39
	s_waitcnt vmcnt(19)
	v_mov_b32_e32 v178, v136
	v_mov_b32_e32 v179, v137
	s_waitcnt vmcnt(18)
	v_mov_b32_e32 v180, v92
	v_mov_b32_e32 v181, v93
	ds_write2_b64 v187, v[178:179], v[180:181] offset0:40 offset1:41
	s_waitcnt vmcnt(17)
	v_mov_b32_e32 v178, v134
	v_mov_b32_e32 v179, v135
	s_waitcnt vmcnt(16)
	ds_write2_b64 v187, v[178:179], v[176:177] offset0:42 offset1:43
	ds_read_b64 v[178:179], v186
	s_waitcnt lgkmcnt(0)
	v_cmp_neq_f64_e32 vcc, 0, v[178:179]
	s_and_b64 exec, exec, vcc
	s_cbranch_execz .LBB87_69
; %bb.68:
	v_div_scale_f64 v[180:181], s[6:7], v[178:179], v[178:179], 1.0
	v_rcp_f64_e32 v[182:183], v[180:181]
	v_div_scale_f64 v[184:185], vcc, 1.0, v[178:179], 1.0
	v_fma_f64 v[190:191], -v[180:181], v[182:183], 1.0
	v_fmac_f64_e32 v[182:183], v[182:183], v[190:191]
	v_fma_f64 v[190:191], -v[180:181], v[182:183], 1.0
	v_fmac_f64_e32 v[182:183], v[182:183], v[190:191]
	v_mul_f64 v[190:191], v[184:185], v[182:183]
	v_fma_f64 v[180:181], -v[180:181], v[190:191], v[184:185]
	v_div_fmas_f64 v[180:181], v[180:181], v[182:183], v[190:191]
	v_div_fixup_f64 v[178:179], v[180:181], v[178:179], 1.0
	ds_write_b64 v186, v[178:179]
.LBB87_69:
	s_or_b64 exec, exec, s[2:3]
	s_waitcnt lgkmcnt(0)
	s_barrier
	ds_read_b64 v[204:205], v186
	v_cmp_lt_u32_e32 vcc, 13, v188
	s_and_saveexec_b64 s[2:3], vcc
	s_cbranch_execz .LBB87_71
; %bb.70:
	ds_read2_b64 v[178:181], v187 offset0:14 offset1:15
	ds_read2_b64 v[182:185], v187 offset0:16 offset1:17
	;; [unrolled: 1-line block ×3, first 2 shown]
	s_waitcnt vmcnt(46) lgkmcnt(3)
	v_mul_f64 v[120:121], v[204:205], v[120:121]
	s_waitcnt vmcnt(45) lgkmcnt(2)
	v_fma_f64 v[162:163], -v[120:121], v[178:179], v[162:163]
	s_waitcnt vmcnt(44)
	v_fma_f64 v[118:119], -v[120:121], v[180:181], v[118:119]
	ds_read2_b64 v[178:181], v187 offset0:20 offset1:21
	s_waitcnt vmcnt(43) lgkmcnt(2)
	v_fma_f64 v[160:161], -v[120:121], v[182:183], v[160:161]
	s_waitcnt vmcnt(42)
	v_fma_f64 v[116:117], -v[120:121], v[184:185], v[116:117]
	s_waitcnt vmcnt(41) lgkmcnt(1)
	v_fma_f64 v[158:159], -v[120:121], v[206:207], v[158:159]
	ds_read2_b64 v[182:185], v187 offset0:22 offset1:23
	s_waitcnt vmcnt(40)
	v_fma_f64 v[114:115], -v[120:121], v[208:209], v[114:115]
	ds_read2_b64 v[206:209], v187 offset0:24 offset1:25
	s_waitcnt vmcnt(39) lgkmcnt(2)
	v_fma_f64 v[156:157], -v[120:121], v[178:179], v[156:157]
	s_waitcnt vmcnt(38)
	v_fma_f64 v[112:113], -v[120:121], v[180:181], v[112:113]
	s_waitcnt vmcnt(37) lgkmcnt(1)
	v_fma_f64 v[154:155], -v[120:121], v[182:183], v[154:155]
	ds_read2_b64 v[178:181], v187 offset0:26 offset1:27
	s_waitcnt vmcnt(36)
	v_fma_f64 v[110:111], -v[120:121], v[184:185], v[110:111]
	ds_read2_b64 v[182:185], v187 offset0:28 offset1:29
	s_waitcnt vmcnt(35) lgkmcnt(2)
	v_fma_f64 v[152:153], -v[120:121], v[206:207], v[152:153]
	s_waitcnt vmcnt(34)
	v_fma_f64 v[108:109], -v[120:121], v[208:209], v[108:109]
	ds_read2_b64 v[206:209], v187 offset0:30 offset1:31
	s_waitcnt vmcnt(33) lgkmcnt(2)
	v_fma_f64 v[150:151], -v[120:121], v[178:179], v[150:151]
	;; [unrolled: 5-line block ×3, first 2 shown]
	s_waitcnt vmcnt(30)
	v_fma_f64 v[104:105], -v[120:121], v[184:185], v[104:105]
	s_waitcnt vmcnt(29) lgkmcnt(1)
	v_fma_f64 v[146:147], -v[120:121], v[206:207], v[146:147]
	ds_read2_b64 v[182:185], v187 offset0:34 offset1:35
	s_waitcnt vmcnt(28)
	v_fma_f64 v[102:103], -v[120:121], v[208:209], v[102:103]
	ds_read2_b64 v[206:209], v187 offset0:36 offset1:37
	s_waitcnt vmcnt(27) lgkmcnt(2)
	v_fma_f64 v[144:145], -v[120:121], v[178:179], v[144:145]
	s_waitcnt vmcnt(26)
	v_fma_f64 v[100:101], -v[120:121], v[180:181], v[100:101]
	s_waitcnt vmcnt(25) lgkmcnt(1)
	v_fma_f64 v[142:143], -v[120:121], v[182:183], v[142:143]
	s_waitcnt vmcnt(24)
	v_fma_f64 v[98:99], -v[120:121], v[184:185], v[98:99]
	ds_read2_b64 v[178:181], v187 offset0:38 offset1:39
	ds_read2_b64 v[182:185], v187 offset0:40 offset1:41
	s_waitcnt vmcnt(23) lgkmcnt(2)
	v_fma_f64 v[140:141], -v[120:121], v[206:207], v[140:141]
	s_waitcnt vmcnt(22)
	v_fma_f64 v[96:97], -v[120:121], v[208:209], v[96:97]
	ds_read2_b64 v[206:209], v187 offset0:42 offset1:43
	s_waitcnt vmcnt(21) lgkmcnt(2)
	v_fma_f64 v[138:139], -v[120:121], v[178:179], v[138:139]
	s_waitcnt vmcnt(20)
	v_fma_f64 v[94:95], -v[120:121], v[180:181], v[94:95]
	s_waitcnt vmcnt(19) lgkmcnt(1)
	v_fma_f64 v[136:137], -v[120:121], v[182:183], v[136:137]
	s_waitcnt vmcnt(18)
	v_fma_f64 v[92:93], -v[120:121], v[184:185], v[92:93]
	;; [unrolled: 4-line block ×3, first 2 shown]
.LBB87_71:
	s_or_b64 exec, exec, s[2:3]
	v_cmp_eq_u32_e32 vcc, 14, v188
	s_waitcnt lgkmcnt(0)
	s_barrier
	s_and_saveexec_b64 s[2:3], vcc
	s_cbranch_execz .LBB87_74
; %bb.72:
	s_waitcnt vmcnt(45)
	ds_write_b64 v186, v[162:163]
	s_waitcnt vmcnt(43)
	ds_write2_b64 v187, v[118:119], v[160:161] offset0:15 offset1:16
	s_waitcnt vmcnt(41)
	ds_write2_b64 v187, v[116:117], v[158:159] offset0:17 offset1:18
	;; [unrolled: 2-line block ×14, first 2 shown]
	s_waitcnt vmcnt(16)
	ds_write_b64 v187, v[176:177] offset:344
	ds_read_b64 v[178:179], v186
	s_waitcnt lgkmcnt(0)
	v_cmp_neq_f64_e32 vcc, 0, v[178:179]
	s_and_b64 exec, exec, vcc
	s_cbranch_execz .LBB87_74
; %bb.73:
	v_div_scale_f64 v[180:181], s[6:7], v[178:179], v[178:179], 1.0
	v_rcp_f64_e32 v[182:183], v[180:181]
	v_div_scale_f64 v[184:185], vcc, 1.0, v[178:179], 1.0
	v_fma_f64 v[190:191], -v[180:181], v[182:183], 1.0
	v_fmac_f64_e32 v[182:183], v[182:183], v[190:191]
	v_fma_f64 v[190:191], -v[180:181], v[182:183], 1.0
	v_fmac_f64_e32 v[182:183], v[182:183], v[190:191]
	v_mul_f64 v[190:191], v[184:185], v[182:183]
	v_fma_f64 v[180:181], -v[180:181], v[190:191], v[184:185]
	v_div_fmas_f64 v[180:181], v[180:181], v[182:183], v[190:191]
	v_div_fixup_f64 v[178:179], v[180:181], v[178:179], 1.0
	ds_write_b64 v186, v[178:179]
.LBB87_74:
	s_or_b64 exec, exec, s[2:3]
	s_waitcnt lgkmcnt(0)
	s_barrier
	ds_read_b64 v[206:207], v186
	v_cmp_lt_u32_e32 vcc, 14, v188
	s_and_saveexec_b64 s[2:3], vcc
	s_cbranch_execz .LBB87_76
; %bb.75:
	ds_read2_b64 v[178:181], v187 offset0:15 offset1:16
	ds_read2_b64 v[182:185], v187 offset0:17 offset1:18
	s_waitcnt vmcnt(45) lgkmcnt(2)
	v_mul_f64 v[162:163], v[206:207], v[162:163]
	ds_read2_b64 v[208:211], v187 offset0:19 offset1:20
	ds_read_b64 v[190:191], v187 offset:344
	s_waitcnt vmcnt(44) lgkmcnt(3)
	v_fma_f64 v[118:119], -v[162:163], v[178:179], v[118:119]
	s_waitcnt vmcnt(43)
	v_fma_f64 v[160:161], -v[162:163], v[180:181], v[160:161]
	ds_read2_b64 v[178:181], v187 offset0:21 offset1:22
	s_waitcnt vmcnt(42) lgkmcnt(3)
	v_fma_f64 v[116:117], -v[162:163], v[182:183], v[116:117]
	s_waitcnt vmcnt(41)
	v_fma_f64 v[158:159], -v[162:163], v[184:185], v[158:159]
	ds_read2_b64 v[182:185], v187 offset0:23 offset1:24
	;; [unrolled: 5-line block ×3, first 2 shown]
	s_waitcnt vmcnt(38) lgkmcnt(2)
	v_fma_f64 v[112:113], -v[162:163], v[178:179], v[112:113]
	s_waitcnt vmcnt(37)
	v_fma_f64 v[154:155], -v[162:163], v[180:181], v[154:155]
	s_waitcnt vmcnt(36) lgkmcnt(1)
	v_fma_f64 v[110:111], -v[162:163], v[182:183], v[110:111]
	ds_read2_b64 v[178:181], v187 offset0:27 offset1:28
	s_waitcnt vmcnt(35)
	v_fma_f64 v[152:153], -v[162:163], v[184:185], v[152:153]
	ds_read2_b64 v[182:185], v187 offset0:29 offset1:30
	s_waitcnt vmcnt(34) lgkmcnt(2)
	v_fma_f64 v[108:109], -v[162:163], v[208:209], v[108:109]
	s_waitcnt vmcnt(33)
	v_fma_f64 v[150:151], -v[162:163], v[210:211], v[150:151]
	s_waitcnt vmcnt(32) lgkmcnt(1)
	v_fma_f64 v[106:107], -v[162:163], v[178:179], v[106:107]
	ds_read2_b64 v[208:211], v187 offset0:31 offset1:32
	s_waitcnt vmcnt(31)
	v_fma_f64 v[148:149], -v[162:163], v[180:181], v[148:149]
	ds_read2_b64 v[178:181], v187 offset0:33 offset1:34
	s_waitcnt vmcnt(30) lgkmcnt(2)
	v_fma_f64 v[104:105], -v[162:163], v[182:183], v[104:105]
	s_waitcnt vmcnt(29)
	v_fma_f64 v[146:147], -v[162:163], v[184:185], v[146:147]
	ds_read2_b64 v[182:185], v187 offset0:35 offset1:36
	s_waitcnt vmcnt(28) lgkmcnt(2)
	v_fma_f64 v[102:103], -v[162:163], v[208:209], v[102:103]
	;; [unrolled: 5-line block ×3, first 2 shown]
	s_waitcnt vmcnt(25)
	v_fma_f64 v[142:143], -v[162:163], v[180:181], v[142:143]
	s_waitcnt vmcnt(24) lgkmcnt(1)
	v_fma_f64 v[98:99], -v[162:163], v[182:183], v[98:99]
	s_waitcnt vmcnt(23)
	v_fma_f64 v[140:141], -v[162:163], v[184:185], v[140:141]
	ds_read2_b64 v[178:181], v187 offset0:39 offset1:40
	ds_read2_b64 v[182:185], v187 offset0:41 offset1:42
	s_waitcnt vmcnt(22) lgkmcnt(2)
	v_fma_f64 v[96:97], -v[162:163], v[208:209], v[96:97]
	s_waitcnt vmcnt(21)
	v_fma_f64 v[138:139], -v[162:163], v[210:211], v[138:139]
	s_waitcnt vmcnt(16)
	v_fma_f64 v[176:177], -v[162:163], v[190:191], v[176:177]
	s_waitcnt lgkmcnt(1)
	v_fma_f64 v[94:95], -v[162:163], v[178:179], v[94:95]
	v_fma_f64 v[136:137], -v[162:163], v[180:181], v[136:137]
	s_waitcnt lgkmcnt(0)
	v_fma_f64 v[92:93], -v[162:163], v[182:183], v[92:93]
	v_fma_f64 v[134:135], -v[162:163], v[184:185], v[134:135]
.LBB87_76:
	s_or_b64 exec, exec, s[2:3]
	v_cmp_eq_u32_e32 vcc, 15, v188
	s_waitcnt lgkmcnt(0)
	s_barrier
	s_and_saveexec_b64 s[2:3], vcc
	s_cbranch_execz .LBB87_79
; %bb.77:
	s_waitcnt vmcnt(43)
	v_mov_b32_e32 v178, v160
	v_mov_b32_e32 v179, v161
	s_waitcnt vmcnt(42)
	v_mov_b32_e32 v180, v116
	v_mov_b32_e32 v181, v117
	ds_write_b64 v186, v[118:119]
	ds_write2_b64 v187, v[178:179], v[180:181] offset0:16 offset1:17
	s_waitcnt vmcnt(41)
	v_mov_b32_e32 v178, v158
	v_mov_b32_e32 v179, v159
	s_waitcnt vmcnt(40)
	v_mov_b32_e32 v180, v114
	v_mov_b32_e32 v181, v115
	ds_write2_b64 v187, v[178:179], v[180:181] offset0:18 offset1:19
	s_waitcnt vmcnt(39)
	v_mov_b32_e32 v178, v156
	v_mov_b32_e32 v179, v157
	s_waitcnt vmcnt(38)
	v_mov_b32_e32 v180, v112
	v_mov_b32_e32 v181, v113
	ds_write2_b64 v187, v[178:179], v[180:181] offset0:20 offset1:21
	s_waitcnt vmcnt(37)
	v_mov_b32_e32 v178, v154
	v_mov_b32_e32 v179, v155
	s_waitcnt vmcnt(36)
	v_mov_b32_e32 v180, v110
	v_mov_b32_e32 v181, v111
	ds_write2_b64 v187, v[178:179], v[180:181] offset0:22 offset1:23
	s_waitcnt vmcnt(35)
	v_mov_b32_e32 v178, v152
	v_mov_b32_e32 v179, v153
	s_waitcnt vmcnt(34)
	v_mov_b32_e32 v180, v108
	v_mov_b32_e32 v181, v109
	ds_write2_b64 v187, v[178:179], v[180:181] offset0:24 offset1:25
	s_waitcnt vmcnt(33)
	v_mov_b32_e32 v178, v150
	v_mov_b32_e32 v179, v151
	s_waitcnt vmcnt(32)
	v_mov_b32_e32 v180, v106
	v_mov_b32_e32 v181, v107
	ds_write2_b64 v187, v[178:179], v[180:181] offset0:26 offset1:27
	s_waitcnt vmcnt(31)
	v_mov_b32_e32 v178, v148
	v_mov_b32_e32 v179, v149
	s_waitcnt vmcnt(30)
	v_mov_b32_e32 v180, v104
	v_mov_b32_e32 v181, v105
	ds_write2_b64 v187, v[178:179], v[180:181] offset0:28 offset1:29
	s_waitcnt vmcnt(29)
	v_mov_b32_e32 v178, v146
	v_mov_b32_e32 v179, v147
	s_waitcnt vmcnt(28)
	v_mov_b32_e32 v180, v102
	v_mov_b32_e32 v181, v103
	ds_write2_b64 v187, v[178:179], v[180:181] offset0:30 offset1:31
	s_waitcnt vmcnt(27)
	v_mov_b32_e32 v178, v144
	v_mov_b32_e32 v179, v145
	s_waitcnt vmcnt(26)
	v_mov_b32_e32 v180, v100
	v_mov_b32_e32 v181, v101
	ds_write2_b64 v187, v[178:179], v[180:181] offset0:32 offset1:33
	s_waitcnt vmcnt(25)
	v_mov_b32_e32 v178, v142
	v_mov_b32_e32 v179, v143
	s_waitcnt vmcnt(24)
	v_mov_b32_e32 v180, v98
	v_mov_b32_e32 v181, v99
	ds_write2_b64 v187, v[178:179], v[180:181] offset0:34 offset1:35
	s_waitcnt vmcnt(23)
	v_mov_b32_e32 v178, v140
	v_mov_b32_e32 v179, v141
	s_waitcnt vmcnt(22)
	v_mov_b32_e32 v180, v96
	v_mov_b32_e32 v181, v97
	ds_write2_b64 v187, v[178:179], v[180:181] offset0:36 offset1:37
	s_waitcnt vmcnt(21)
	v_mov_b32_e32 v178, v138
	v_mov_b32_e32 v179, v139
	s_waitcnt vmcnt(20)
	v_mov_b32_e32 v180, v94
	v_mov_b32_e32 v181, v95
	ds_write2_b64 v187, v[178:179], v[180:181] offset0:38 offset1:39
	s_waitcnt vmcnt(19)
	v_mov_b32_e32 v178, v136
	v_mov_b32_e32 v179, v137
	s_waitcnt vmcnt(18)
	v_mov_b32_e32 v180, v92
	v_mov_b32_e32 v181, v93
	ds_write2_b64 v187, v[178:179], v[180:181] offset0:40 offset1:41
	s_waitcnt vmcnt(17)
	v_mov_b32_e32 v178, v134
	v_mov_b32_e32 v179, v135
	s_waitcnt vmcnt(16)
	ds_write2_b64 v187, v[178:179], v[176:177] offset0:42 offset1:43
	ds_read_b64 v[178:179], v186
	s_waitcnt lgkmcnt(0)
	v_cmp_neq_f64_e32 vcc, 0, v[178:179]
	s_and_b64 exec, exec, vcc
	s_cbranch_execz .LBB87_79
; %bb.78:
	v_div_scale_f64 v[180:181], s[6:7], v[178:179], v[178:179], 1.0
	v_rcp_f64_e32 v[182:183], v[180:181]
	v_div_scale_f64 v[184:185], vcc, 1.0, v[178:179], 1.0
	v_fma_f64 v[190:191], -v[180:181], v[182:183], 1.0
	v_fmac_f64_e32 v[182:183], v[182:183], v[190:191]
	v_fma_f64 v[190:191], -v[180:181], v[182:183], 1.0
	v_fmac_f64_e32 v[182:183], v[182:183], v[190:191]
	v_mul_f64 v[190:191], v[184:185], v[182:183]
	v_fma_f64 v[180:181], -v[180:181], v[190:191], v[184:185]
	v_div_fmas_f64 v[180:181], v[180:181], v[182:183], v[190:191]
	v_div_fixup_f64 v[178:179], v[180:181], v[178:179], 1.0
	ds_write_b64 v186, v[178:179]
.LBB87_79:
	s_or_b64 exec, exec, s[2:3]
	s_waitcnt lgkmcnt(0)
	s_barrier
	ds_read_b64 v[208:209], v186
	v_cmp_lt_u32_e32 vcc, 15, v188
	s_and_saveexec_b64 s[2:3], vcc
	s_cbranch_execz .LBB87_81
; %bb.80:
	ds_read2_b64 v[178:181], v187 offset0:16 offset1:17
	ds_read2_b64 v[182:185], v187 offset0:18 offset1:19
	s_waitcnt vmcnt(44) lgkmcnt(2)
	v_mul_f64 v[118:119], v[208:209], v[118:119]
	ds_read2_b64 v[210:213], v187 offset0:20 offset1:21
	s_waitcnt vmcnt(43) lgkmcnt(2)
	v_fma_f64 v[160:161], -v[118:119], v[178:179], v[160:161]
	s_waitcnt vmcnt(42)
	v_fma_f64 v[116:117], -v[118:119], v[180:181], v[116:117]
	ds_read2_b64 v[178:181], v187 offset0:22 offset1:23
	s_waitcnt vmcnt(41) lgkmcnt(2)
	v_fma_f64 v[158:159], -v[118:119], v[182:183], v[158:159]
	s_waitcnt vmcnt(40)
	v_fma_f64 v[114:115], -v[118:119], v[184:185], v[114:115]
	;; [unrolled: 5-line block ×4, first 2 shown]
	s_waitcnt vmcnt(35) lgkmcnt(1)
	v_fma_f64 v[152:153], -v[118:119], v[182:183], v[152:153]
	ds_read2_b64 v[178:181], v187 offset0:28 offset1:29
	s_waitcnt vmcnt(34)
	v_fma_f64 v[108:109], -v[118:119], v[184:185], v[108:109]
	ds_read2_b64 v[182:185], v187 offset0:30 offset1:31
	s_waitcnt vmcnt(33) lgkmcnt(2)
	v_fma_f64 v[150:151], -v[118:119], v[210:211], v[150:151]
	s_waitcnt vmcnt(32)
	v_fma_f64 v[106:107], -v[118:119], v[212:213], v[106:107]
	s_waitcnt vmcnt(31) lgkmcnt(1)
	v_fma_f64 v[148:149], -v[118:119], v[178:179], v[148:149]
	ds_read2_b64 v[210:213], v187 offset0:32 offset1:33
	s_waitcnt vmcnt(30)
	v_fma_f64 v[104:105], -v[118:119], v[180:181], v[104:105]
	ds_read2_b64 v[178:181], v187 offset0:34 offset1:35
	s_waitcnt vmcnt(29) lgkmcnt(2)
	v_fma_f64 v[146:147], -v[118:119], v[182:183], v[146:147]
	s_waitcnt vmcnt(28)
	v_fma_f64 v[102:103], -v[118:119], v[184:185], v[102:103]
	ds_read2_b64 v[182:185], v187 offset0:36 offset1:37
	s_waitcnt vmcnt(27) lgkmcnt(2)
	v_fma_f64 v[144:145], -v[118:119], v[210:211], v[144:145]
	s_waitcnt vmcnt(26)
	v_fma_f64 v[100:101], -v[118:119], v[212:213], v[100:101]
	s_waitcnt vmcnt(25) lgkmcnt(1)
	v_fma_f64 v[142:143], -v[118:119], v[178:179], v[142:143]
	s_waitcnt vmcnt(24)
	v_fma_f64 v[98:99], -v[118:119], v[180:181], v[98:99]
	ds_read2_b64 v[178:181], v187 offset0:38 offset1:39
	s_waitcnt vmcnt(23) lgkmcnt(1)
	v_fma_f64 v[140:141], -v[118:119], v[182:183], v[140:141]
	ds_read2_b64 v[210:213], v187 offset0:40 offset1:41
	s_waitcnt vmcnt(22)
	v_fma_f64 v[96:97], -v[118:119], v[184:185], v[96:97]
	ds_read2_b64 v[182:185], v187 offset0:42 offset1:43
	s_waitcnt vmcnt(21) lgkmcnt(2)
	v_fma_f64 v[138:139], -v[118:119], v[178:179], v[138:139]
	s_waitcnt vmcnt(20)
	v_fma_f64 v[94:95], -v[118:119], v[180:181], v[94:95]
	s_waitcnt vmcnt(19) lgkmcnt(1)
	v_fma_f64 v[136:137], -v[118:119], v[210:211], v[136:137]
	s_waitcnt vmcnt(18)
	v_fma_f64 v[92:93], -v[118:119], v[212:213], v[92:93]
	;; [unrolled: 4-line block ×3, first 2 shown]
.LBB87_81:
	s_or_b64 exec, exec, s[2:3]
	v_cmp_eq_u32_e32 vcc, 16, v188
	s_waitcnt lgkmcnt(0)
	s_barrier
	s_and_saveexec_b64 s[2:3], vcc
	s_cbranch_execz .LBB87_84
; %bb.82:
	s_waitcnt vmcnt(43)
	ds_write_b64 v186, v[160:161]
	s_waitcnt vmcnt(41)
	ds_write2_b64 v187, v[116:117], v[158:159] offset0:17 offset1:18
	s_waitcnt vmcnt(39)
	ds_write2_b64 v187, v[114:115], v[156:157] offset0:19 offset1:20
	;; [unrolled: 2-line block ×13, first 2 shown]
	s_waitcnt vmcnt(16)
	ds_write_b64 v187, v[176:177] offset:344
	ds_read_b64 v[178:179], v186
	s_waitcnt lgkmcnt(0)
	v_cmp_neq_f64_e32 vcc, 0, v[178:179]
	s_and_b64 exec, exec, vcc
	s_cbranch_execz .LBB87_84
; %bb.83:
	v_div_scale_f64 v[180:181], s[6:7], v[178:179], v[178:179], 1.0
	v_rcp_f64_e32 v[182:183], v[180:181]
	v_div_scale_f64 v[184:185], vcc, 1.0, v[178:179], 1.0
	v_fma_f64 v[190:191], -v[180:181], v[182:183], 1.0
	v_fmac_f64_e32 v[182:183], v[182:183], v[190:191]
	v_fma_f64 v[190:191], -v[180:181], v[182:183], 1.0
	v_fmac_f64_e32 v[182:183], v[182:183], v[190:191]
	v_mul_f64 v[190:191], v[184:185], v[182:183]
	v_fma_f64 v[180:181], -v[180:181], v[190:191], v[184:185]
	v_div_fmas_f64 v[180:181], v[180:181], v[182:183], v[190:191]
	v_div_fixup_f64 v[178:179], v[180:181], v[178:179], 1.0
	ds_write_b64 v186, v[178:179]
.LBB87_84:
	s_or_b64 exec, exec, s[2:3]
	s_waitcnt lgkmcnt(0)
	s_barrier
	ds_read_b64 v[0:1], v186
	v_cmp_lt_u32_e32 vcc, 16, v188
	s_and_saveexec_b64 s[2:3], vcc
	s_cbranch_execz .LBB87_86
; %bb.85:
	ds_read2_b64 v[178:181], v187 offset0:17 offset1:18
	ds_read2_b64 v[182:185], v187 offset0:19 offset1:20
	s_waitcnt vmcnt(43) lgkmcnt(2)
	v_mul_f64 v[160:161], v[0:1], v[160:161]
	ds_read2_b64 v[212:215], v187 offset0:21 offset1:22
	s_waitcnt vmcnt(42) lgkmcnt(2)
	v_fma_f64 v[116:117], -v[160:161], v[178:179], v[116:117]
	s_waitcnt vmcnt(41)
	v_fma_f64 v[158:159], -v[160:161], v[180:181], v[158:159]
	ds_read2_b64 v[178:181], v187 offset0:23 offset1:24
	s_waitcnt vmcnt(40) lgkmcnt(2)
	v_fma_f64 v[114:115], -v[160:161], v[182:183], v[114:115]
	s_waitcnt vmcnt(39)
	v_fma_f64 v[156:157], -v[160:161], v[184:185], v[156:157]
	;; [unrolled: 5-line block ×4, first 2 shown]
	s_waitcnt vmcnt(34) lgkmcnt(1)
	v_fma_f64 v[108:109], -v[160:161], v[182:183], v[108:109]
	ds_read2_b64 v[178:181], v187 offset0:29 offset1:30
	s_waitcnt vmcnt(33)
	v_fma_f64 v[150:151], -v[160:161], v[184:185], v[150:151]
	ds_read2_b64 v[182:185], v187 offset0:31 offset1:32
	s_waitcnt vmcnt(32) lgkmcnt(2)
	v_fma_f64 v[106:107], -v[160:161], v[212:213], v[106:107]
	s_waitcnt vmcnt(31)
	v_fma_f64 v[148:149], -v[160:161], v[214:215], v[148:149]
	s_waitcnt vmcnt(30) lgkmcnt(1)
	v_fma_f64 v[104:105], -v[160:161], v[178:179], v[104:105]
	ds_read2_b64 v[212:215], v187 offset0:33 offset1:34
	s_waitcnt vmcnt(29)
	v_fma_f64 v[146:147], -v[160:161], v[180:181], v[146:147]
	ds_read2_b64 v[178:181], v187 offset0:35 offset1:36
	s_waitcnt vmcnt(28) lgkmcnt(2)
	v_fma_f64 v[102:103], -v[160:161], v[182:183], v[102:103]
	s_waitcnt vmcnt(27)
	v_fma_f64 v[144:145], -v[160:161], v[184:185], v[144:145]
	ds_read2_b64 v[182:185], v187 offset0:37 offset1:38
	s_waitcnt vmcnt(26) lgkmcnt(2)
	v_fma_f64 v[100:101], -v[160:161], v[212:213], v[100:101]
	s_waitcnt vmcnt(25)
	v_fma_f64 v[142:143], -v[160:161], v[214:215], v[142:143]
	s_waitcnt vmcnt(24) lgkmcnt(1)
	v_fma_f64 v[98:99], -v[160:161], v[178:179], v[98:99]
	s_waitcnt vmcnt(23)
	v_fma_f64 v[140:141], -v[160:161], v[180:181], v[140:141]
	ds_read2_b64 v[178:181], v187 offset0:39 offset1:40
	s_waitcnt vmcnt(22) lgkmcnt(1)
	v_fma_f64 v[96:97], -v[160:161], v[182:183], v[96:97]
	ds_read2_b64 v[212:215], v187 offset0:41 offset1:42
	ds_read_b64 v[182:183], v187 offset:344
	s_waitcnt vmcnt(21)
	v_fma_f64 v[138:139], -v[160:161], v[184:185], v[138:139]
	s_waitcnt vmcnt(20) lgkmcnt(2)
	v_fma_f64 v[94:95], -v[160:161], v[178:179], v[94:95]
	s_waitcnt vmcnt(19)
	v_fma_f64 v[136:137], -v[160:161], v[180:181], v[136:137]
	s_waitcnt vmcnt(18) lgkmcnt(1)
	v_fma_f64 v[92:93], -v[160:161], v[212:213], v[92:93]
	;; [unrolled: 4-line block ×3, first 2 shown]
.LBB87_86:
	s_or_b64 exec, exec, s[2:3]
	v_cmp_eq_u32_e32 vcc, 17, v188
	s_waitcnt lgkmcnt(0)
	s_barrier
	s_and_saveexec_b64 s[2:3], vcc
	s_cbranch_execz .LBB87_89
; %bb.87:
	s_waitcnt vmcnt(41)
	v_mov_b32_e32 v178, v158
	v_mov_b32_e32 v179, v159
	s_waitcnt vmcnt(40)
	v_mov_b32_e32 v180, v114
	v_mov_b32_e32 v181, v115
	ds_write_b64 v186, v[116:117]
	ds_write2_b64 v187, v[178:179], v[180:181] offset0:18 offset1:19
	s_waitcnt vmcnt(39)
	v_mov_b32_e32 v178, v156
	v_mov_b32_e32 v179, v157
	s_waitcnt vmcnt(38)
	v_mov_b32_e32 v180, v112
	v_mov_b32_e32 v181, v113
	ds_write2_b64 v187, v[178:179], v[180:181] offset0:20 offset1:21
	s_waitcnt vmcnt(37)
	v_mov_b32_e32 v178, v154
	v_mov_b32_e32 v179, v155
	s_waitcnt vmcnt(36)
	v_mov_b32_e32 v180, v110
	v_mov_b32_e32 v181, v111
	;; [unrolled: 7-line block ×11, first 2 shown]
	ds_write2_b64 v187, v[178:179], v[180:181] offset0:40 offset1:41
	s_waitcnt vmcnt(17)
	v_mov_b32_e32 v178, v134
	v_mov_b32_e32 v179, v135
	s_waitcnt vmcnt(16)
	ds_write2_b64 v187, v[178:179], v[176:177] offset0:42 offset1:43
	ds_read_b64 v[178:179], v186
	s_waitcnt lgkmcnt(0)
	v_cmp_neq_f64_e32 vcc, 0, v[178:179]
	s_and_b64 exec, exec, vcc
	s_cbranch_execz .LBB87_89
; %bb.88:
	v_div_scale_f64 v[180:181], s[6:7], v[178:179], v[178:179], 1.0
	v_rcp_f64_e32 v[182:183], v[180:181]
	v_div_scale_f64 v[184:185], vcc, 1.0, v[178:179], 1.0
	v_fma_f64 v[190:191], -v[180:181], v[182:183], 1.0
	v_fmac_f64_e32 v[182:183], v[182:183], v[190:191]
	v_fma_f64 v[190:191], -v[180:181], v[182:183], 1.0
	v_fmac_f64_e32 v[182:183], v[182:183], v[190:191]
	v_mul_f64 v[190:191], v[184:185], v[182:183]
	v_fma_f64 v[180:181], -v[180:181], v[190:191], v[184:185]
	v_div_fmas_f64 v[180:181], v[180:181], v[182:183], v[190:191]
	v_div_fixup_f64 v[178:179], v[180:181], v[178:179], 1.0
	ds_write_b64 v186, v[178:179]
.LBB87_89:
	s_or_b64 exec, exec, s[2:3]
	s_waitcnt lgkmcnt(0)
	s_barrier
	ds_read_b64 v[212:213], v186
	v_cmp_lt_u32_e32 vcc, 17, v188
	s_and_saveexec_b64 s[2:3], vcc
	s_cbranch_execz .LBB87_91
; %bb.90:
	ds_read2_b64 v[178:181], v187 offset0:18 offset1:19
	ds_read2_b64 v[182:185], v187 offset0:20 offset1:21
	s_waitcnt vmcnt(42) lgkmcnt(2)
	v_mul_f64 v[116:117], v[212:213], v[116:117]
	ds_read2_b64 v[214:217], v187 offset0:22 offset1:23
	s_waitcnt vmcnt(41) lgkmcnt(2)
	v_fma_f64 v[158:159], -v[116:117], v[178:179], v[158:159]
	s_waitcnt vmcnt(40)
	v_fma_f64 v[114:115], -v[116:117], v[180:181], v[114:115]
	ds_read2_b64 v[178:181], v187 offset0:24 offset1:25
	s_waitcnt vmcnt(39) lgkmcnt(2)
	v_fma_f64 v[156:157], -v[116:117], v[182:183], v[156:157]
	s_waitcnt vmcnt(38)
	v_fma_f64 v[112:113], -v[116:117], v[184:185], v[112:113]
	s_waitcnt vmcnt(37) lgkmcnt(1)
	v_fma_f64 v[154:155], -v[116:117], v[214:215], v[154:155]
	ds_read2_b64 v[182:185], v187 offset0:26 offset1:27
	s_waitcnt vmcnt(36)
	v_fma_f64 v[110:111], -v[116:117], v[216:217], v[110:111]
	ds_read2_b64 v[214:217], v187 offset0:28 offset1:29
	s_waitcnt vmcnt(35) lgkmcnt(2)
	v_fma_f64 v[152:153], -v[116:117], v[178:179], v[152:153]
	s_waitcnt vmcnt(34)
	v_fma_f64 v[108:109], -v[116:117], v[180:181], v[108:109]
	ds_read2_b64 v[178:181], v187 offset0:30 offset1:31
	s_waitcnt vmcnt(33) lgkmcnt(2)
	v_fma_f64 v[150:151], -v[116:117], v[182:183], v[150:151]
	;; [unrolled: 5-line block ×3, first 2 shown]
	s_waitcnt vmcnt(30)
	v_fma_f64 v[104:105], -v[116:117], v[216:217], v[104:105]
	s_waitcnt vmcnt(29) lgkmcnt(1)
	v_fma_f64 v[146:147], -v[116:117], v[178:179], v[146:147]
	ds_read2_b64 v[214:217], v187 offset0:34 offset1:35
	s_waitcnt vmcnt(28)
	v_fma_f64 v[102:103], -v[116:117], v[180:181], v[102:103]
	ds_read2_b64 v[178:181], v187 offset0:36 offset1:37
	s_waitcnt vmcnt(27) lgkmcnt(2)
	v_fma_f64 v[144:145], -v[116:117], v[182:183], v[144:145]
	s_waitcnt vmcnt(26)
	v_fma_f64 v[100:101], -v[116:117], v[184:185], v[100:101]
	s_waitcnt vmcnt(25) lgkmcnt(1)
	v_fma_f64 v[142:143], -v[116:117], v[214:215], v[142:143]
	s_waitcnt vmcnt(24)
	v_fma_f64 v[98:99], -v[116:117], v[216:217], v[98:99]
	ds_read2_b64 v[182:185], v187 offset0:38 offset1:39
	ds_read2_b64 v[214:217], v187 offset0:40 offset1:41
	s_waitcnt vmcnt(23) lgkmcnt(2)
	v_fma_f64 v[140:141], -v[116:117], v[178:179], v[140:141]
	s_waitcnt vmcnt(22)
	v_fma_f64 v[96:97], -v[116:117], v[180:181], v[96:97]
	ds_read2_b64 v[178:181], v187 offset0:42 offset1:43
	s_waitcnt vmcnt(21) lgkmcnt(2)
	v_fma_f64 v[138:139], -v[116:117], v[182:183], v[138:139]
	s_waitcnt vmcnt(20)
	v_fma_f64 v[94:95], -v[116:117], v[184:185], v[94:95]
	s_waitcnt vmcnt(19) lgkmcnt(1)
	v_fma_f64 v[136:137], -v[116:117], v[214:215], v[136:137]
	s_waitcnt vmcnt(18)
	v_fma_f64 v[92:93], -v[116:117], v[216:217], v[92:93]
	;; [unrolled: 4-line block ×3, first 2 shown]
.LBB87_91:
	s_or_b64 exec, exec, s[2:3]
	v_cmp_eq_u32_e32 vcc, 18, v188
	s_waitcnt lgkmcnt(0)
	s_barrier
	s_and_saveexec_b64 s[2:3], vcc
	s_cbranch_execz .LBB87_94
; %bb.92:
	s_waitcnt vmcnt(41)
	ds_write_b64 v186, v[158:159]
	s_waitcnt vmcnt(39)
	ds_write2_b64 v187, v[114:115], v[156:157] offset0:19 offset1:20
	s_waitcnt vmcnt(37)
	ds_write2_b64 v187, v[112:113], v[154:155] offset0:21 offset1:22
	s_waitcnt vmcnt(35)
	ds_write2_b64 v187, v[110:111], v[152:153] offset0:23 offset1:24
	s_waitcnt vmcnt(33)
	ds_write2_b64 v187, v[108:109], v[150:151] offset0:25 offset1:26
	s_waitcnt vmcnt(31)
	ds_write2_b64 v187, v[106:107], v[148:149] offset0:27 offset1:28
	s_waitcnt vmcnt(29)
	ds_write2_b64 v187, v[104:105], v[146:147] offset0:29 offset1:30
	s_waitcnt vmcnt(27)
	ds_write2_b64 v187, v[102:103], v[144:145] offset0:31 offset1:32
	s_waitcnt vmcnt(25)
	ds_write2_b64 v187, v[100:101], v[142:143] offset0:33 offset1:34
	s_waitcnt vmcnt(23)
	ds_write2_b64 v187, v[98:99], v[140:141] offset0:35 offset1:36
	s_waitcnt vmcnt(21)
	ds_write2_b64 v187, v[96:97], v[138:139] offset0:37 offset1:38
	s_waitcnt vmcnt(19)
	ds_write2_b64 v187, v[94:95], v[136:137] offset0:39 offset1:40
	s_waitcnt vmcnt(17)
	ds_write2_b64 v187, v[92:93], v[134:135] offset0:41 offset1:42
	s_waitcnt vmcnt(16)
	ds_write_b64 v187, v[176:177] offset:344
	ds_read_b64 v[178:179], v186
	s_waitcnt lgkmcnt(0)
	v_cmp_neq_f64_e32 vcc, 0, v[178:179]
	s_and_b64 exec, exec, vcc
	s_cbranch_execz .LBB87_94
; %bb.93:
	v_div_scale_f64 v[180:181], s[6:7], v[178:179], v[178:179], 1.0
	v_rcp_f64_e32 v[182:183], v[180:181]
	v_div_scale_f64 v[184:185], vcc, 1.0, v[178:179], 1.0
	v_fma_f64 v[190:191], -v[180:181], v[182:183], 1.0
	v_fmac_f64_e32 v[182:183], v[182:183], v[190:191]
	v_fma_f64 v[190:191], -v[180:181], v[182:183], 1.0
	v_fmac_f64_e32 v[182:183], v[182:183], v[190:191]
	v_mul_f64 v[190:191], v[184:185], v[182:183]
	v_fma_f64 v[180:181], -v[180:181], v[190:191], v[184:185]
	v_div_fmas_f64 v[180:181], v[180:181], v[182:183], v[190:191]
	v_div_fixup_f64 v[178:179], v[180:181], v[178:179], 1.0
	ds_write_b64 v186, v[178:179]
.LBB87_94:
	s_or_b64 exec, exec, s[2:3]
	s_waitcnt lgkmcnt(0)
	s_barrier
	ds_read_b64 v[214:215], v186
	v_cmp_lt_u32_e32 vcc, 18, v188
	s_and_saveexec_b64 s[2:3], vcc
	s_cbranch_execz .LBB87_96
; %bb.95:
	ds_read2_b64 v[178:181], v187 offset0:19 offset1:20
	ds_read2_b64 v[182:185], v187 offset0:21 offset1:22
	s_waitcnt vmcnt(41) lgkmcnt(2)
	v_mul_f64 v[158:159], v[214:215], v[158:159]
	ds_read2_b64 v[216:219], v187 offset0:23 offset1:24
	s_waitcnt vmcnt(40) lgkmcnt(2)
	v_fma_f64 v[114:115], -v[158:159], v[178:179], v[114:115]
	s_waitcnt vmcnt(39)
	v_fma_f64 v[156:157], -v[158:159], v[180:181], v[156:157]
	ds_read2_b64 v[178:181], v187 offset0:25 offset1:26
	s_waitcnt vmcnt(38) lgkmcnt(2)
	v_fma_f64 v[112:113], -v[158:159], v[182:183], v[112:113]
	s_waitcnt vmcnt(37)
	v_fma_f64 v[154:155], -v[158:159], v[184:185], v[154:155]
	s_waitcnt vmcnt(36) lgkmcnt(1)
	v_fma_f64 v[110:111], -v[158:159], v[216:217], v[110:111]
	ds_read2_b64 v[182:185], v187 offset0:27 offset1:28
	s_waitcnt vmcnt(35)
	v_fma_f64 v[152:153], -v[158:159], v[218:219], v[152:153]
	ds_read2_b64 v[216:219], v187 offset0:29 offset1:30
	s_waitcnt vmcnt(34) lgkmcnt(2)
	v_fma_f64 v[108:109], -v[158:159], v[178:179], v[108:109]
	s_waitcnt vmcnt(33)
	v_fma_f64 v[150:151], -v[158:159], v[180:181], v[150:151]
	ds_read2_b64 v[178:181], v187 offset0:31 offset1:32
	s_waitcnt vmcnt(32) lgkmcnt(2)
	v_fma_f64 v[106:107], -v[158:159], v[182:183], v[106:107]
	;; [unrolled: 5-line block ×3, first 2 shown]
	s_waitcnt vmcnt(29)
	v_fma_f64 v[146:147], -v[158:159], v[218:219], v[146:147]
	s_waitcnt vmcnt(28) lgkmcnt(1)
	v_fma_f64 v[102:103], -v[158:159], v[178:179], v[102:103]
	ds_read2_b64 v[216:219], v187 offset0:35 offset1:36
	s_waitcnt vmcnt(27)
	v_fma_f64 v[144:145], -v[158:159], v[180:181], v[144:145]
	ds_read2_b64 v[178:181], v187 offset0:37 offset1:38
	s_waitcnt vmcnt(26) lgkmcnt(2)
	v_fma_f64 v[100:101], -v[158:159], v[182:183], v[100:101]
	s_waitcnt vmcnt(25)
	v_fma_f64 v[142:143], -v[158:159], v[184:185], v[142:143]
	s_waitcnt vmcnt(24) lgkmcnt(1)
	v_fma_f64 v[98:99], -v[158:159], v[216:217], v[98:99]
	s_waitcnt vmcnt(23)
	v_fma_f64 v[140:141], -v[158:159], v[218:219], v[140:141]
	ds_read2_b64 v[182:185], v187 offset0:39 offset1:40
	ds_read2_b64 v[216:219], v187 offset0:41 offset1:42
	s_waitcnt vmcnt(22) lgkmcnt(2)
	v_fma_f64 v[96:97], -v[158:159], v[178:179], v[96:97]
	ds_read_b64 v[178:179], v187 offset:344
	s_waitcnt vmcnt(21)
	v_fma_f64 v[138:139], -v[158:159], v[180:181], v[138:139]
	s_waitcnt vmcnt(20) lgkmcnt(2)
	v_fma_f64 v[94:95], -v[158:159], v[182:183], v[94:95]
	s_waitcnt vmcnt(19)
	v_fma_f64 v[136:137], -v[158:159], v[184:185], v[136:137]
	s_waitcnt vmcnt(18) lgkmcnt(1)
	v_fma_f64 v[92:93], -v[158:159], v[216:217], v[92:93]
	;; [unrolled: 4-line block ×3, first 2 shown]
.LBB87_96:
	s_or_b64 exec, exec, s[2:3]
	v_cmp_eq_u32_e32 vcc, 19, v188
	s_waitcnt lgkmcnt(0)
	s_barrier
	s_and_saveexec_b64 s[2:3], vcc
	s_cbranch_execz .LBB87_99
; %bb.97:
	s_waitcnt vmcnt(39)
	v_mov_b32_e32 v178, v156
	v_mov_b32_e32 v179, v157
	s_waitcnt vmcnt(38)
	v_mov_b32_e32 v180, v112
	v_mov_b32_e32 v181, v113
	ds_write_b64 v186, v[114:115]
	ds_write2_b64 v187, v[178:179], v[180:181] offset0:20 offset1:21
	s_waitcnt vmcnt(37)
	v_mov_b32_e32 v178, v154
	v_mov_b32_e32 v179, v155
	s_waitcnt vmcnt(36)
	v_mov_b32_e32 v180, v110
	v_mov_b32_e32 v181, v111
	ds_write2_b64 v187, v[178:179], v[180:181] offset0:22 offset1:23
	s_waitcnt vmcnt(35)
	v_mov_b32_e32 v178, v152
	v_mov_b32_e32 v179, v153
	s_waitcnt vmcnt(34)
	v_mov_b32_e32 v180, v108
	v_mov_b32_e32 v181, v109
	;; [unrolled: 7-line block ×10, first 2 shown]
	ds_write2_b64 v187, v[178:179], v[180:181] offset0:40 offset1:41
	s_waitcnt vmcnt(17)
	v_mov_b32_e32 v178, v134
	v_mov_b32_e32 v179, v135
	s_waitcnt vmcnt(16)
	ds_write2_b64 v187, v[178:179], v[176:177] offset0:42 offset1:43
	ds_read_b64 v[178:179], v186
	s_waitcnt lgkmcnt(0)
	v_cmp_neq_f64_e32 vcc, 0, v[178:179]
	s_and_b64 exec, exec, vcc
	s_cbranch_execz .LBB87_99
; %bb.98:
	v_div_scale_f64 v[180:181], s[6:7], v[178:179], v[178:179], 1.0
	v_rcp_f64_e32 v[182:183], v[180:181]
	v_div_scale_f64 v[184:185], vcc, 1.0, v[178:179], 1.0
	v_fma_f64 v[190:191], -v[180:181], v[182:183], 1.0
	v_fmac_f64_e32 v[182:183], v[182:183], v[190:191]
	v_fma_f64 v[190:191], -v[180:181], v[182:183], 1.0
	v_fmac_f64_e32 v[182:183], v[182:183], v[190:191]
	v_mul_f64 v[190:191], v[184:185], v[182:183]
	v_fma_f64 v[180:181], -v[180:181], v[190:191], v[184:185]
	v_div_fmas_f64 v[180:181], v[180:181], v[182:183], v[190:191]
	v_div_fixup_f64 v[178:179], v[180:181], v[178:179], 1.0
	ds_write_b64 v186, v[178:179]
.LBB87_99:
	s_or_b64 exec, exec, s[2:3]
	s_waitcnt lgkmcnt(0)
	s_barrier
	ds_read_b64 v[216:217], v186
	v_cmp_lt_u32_e32 vcc, 19, v188
	s_and_saveexec_b64 s[2:3], vcc
	s_cbranch_execz .LBB87_101
; %bb.100:
	ds_read2_b64 v[178:181], v187 offset0:20 offset1:21
	ds_read2_b64 v[182:185], v187 offset0:22 offset1:23
	;; [unrolled: 1-line block ×3, first 2 shown]
	s_waitcnt vmcnt(40) lgkmcnt(3)
	v_mul_f64 v[114:115], v[216:217], v[114:115]
	s_waitcnt vmcnt(39) lgkmcnt(2)
	v_fma_f64 v[156:157], -v[114:115], v[178:179], v[156:157]
	s_waitcnt vmcnt(38)
	v_fma_f64 v[112:113], -v[114:115], v[180:181], v[112:113]
	ds_read2_b64 v[178:181], v187 offset0:26 offset1:27
	s_waitcnt vmcnt(37) lgkmcnt(2)
	v_fma_f64 v[154:155], -v[114:115], v[182:183], v[154:155]
	s_waitcnt vmcnt(36)
	v_fma_f64 v[110:111], -v[114:115], v[184:185], v[110:111]
	s_waitcnt vmcnt(35) lgkmcnt(1)
	v_fma_f64 v[152:153], -v[114:115], v[218:219], v[152:153]
	ds_read2_b64 v[182:185], v187 offset0:28 offset1:29
	s_waitcnt vmcnt(34)
	v_fma_f64 v[108:109], -v[114:115], v[220:221], v[108:109]
	ds_read2_b64 v[218:221], v187 offset0:30 offset1:31
	s_waitcnt vmcnt(33) lgkmcnt(2)
	v_fma_f64 v[150:151], -v[114:115], v[178:179], v[150:151]
	s_waitcnt vmcnt(32)
	v_fma_f64 v[106:107], -v[114:115], v[180:181], v[106:107]
	s_waitcnt vmcnt(31) lgkmcnt(1)
	v_fma_f64 v[148:149], -v[114:115], v[182:183], v[148:149]
	ds_read2_b64 v[178:181], v187 offset0:32 offset1:33
	s_waitcnt vmcnt(30)
	v_fma_f64 v[104:105], -v[114:115], v[184:185], v[104:105]
	ds_read2_b64 v[182:185], v187 offset0:34 offset1:35
	s_waitcnt vmcnt(29) lgkmcnt(2)
	v_fma_f64 v[146:147], -v[114:115], v[218:219], v[146:147]
	s_waitcnt vmcnt(28)
	v_fma_f64 v[102:103], -v[114:115], v[220:221], v[102:103]
	ds_read2_b64 v[218:221], v187 offset0:36 offset1:37
	s_waitcnt vmcnt(27) lgkmcnt(2)
	v_fma_f64 v[144:145], -v[114:115], v[178:179], v[144:145]
	;; [unrolled: 5-line block ×3, first 2 shown]
	s_waitcnt vmcnt(24)
	v_fma_f64 v[98:99], -v[114:115], v[184:185], v[98:99]
	s_waitcnt vmcnt(23) lgkmcnt(1)
	v_fma_f64 v[140:141], -v[114:115], v[218:219], v[140:141]
	ds_read2_b64 v[182:185], v187 offset0:40 offset1:41
	s_waitcnt vmcnt(22)
	v_fma_f64 v[96:97], -v[114:115], v[220:221], v[96:97]
	ds_read2_b64 v[218:221], v187 offset0:42 offset1:43
	s_waitcnt vmcnt(21) lgkmcnt(2)
	v_fma_f64 v[138:139], -v[114:115], v[178:179], v[138:139]
	s_waitcnt vmcnt(20)
	v_fma_f64 v[94:95], -v[114:115], v[180:181], v[94:95]
	s_waitcnt vmcnt(19) lgkmcnt(1)
	v_fma_f64 v[136:137], -v[114:115], v[182:183], v[136:137]
	s_waitcnt vmcnt(18)
	v_fma_f64 v[92:93], -v[114:115], v[184:185], v[92:93]
	;; [unrolled: 4-line block ×3, first 2 shown]
.LBB87_101:
	s_or_b64 exec, exec, s[2:3]
	v_cmp_eq_u32_e32 vcc, 20, v188
	s_waitcnt lgkmcnt(0)
	s_barrier
	s_and_saveexec_b64 s[2:3], vcc
	s_cbranch_execz .LBB87_104
; %bb.102:
	s_waitcnt vmcnt(39)
	ds_write_b64 v186, v[156:157]
	s_waitcnt vmcnt(37)
	ds_write2_b64 v187, v[112:113], v[154:155] offset0:21 offset1:22
	s_waitcnt vmcnt(35)
	ds_write2_b64 v187, v[110:111], v[152:153] offset0:23 offset1:24
	;; [unrolled: 2-line block ×11, first 2 shown]
	s_waitcnt vmcnt(16)
	ds_write_b64 v187, v[176:177] offset:344
	ds_read_b64 v[178:179], v186
	s_waitcnt lgkmcnt(0)
	v_cmp_neq_f64_e32 vcc, 0, v[178:179]
	s_and_b64 exec, exec, vcc
	s_cbranch_execz .LBB87_104
; %bb.103:
	v_div_scale_f64 v[180:181], s[6:7], v[178:179], v[178:179], 1.0
	v_rcp_f64_e32 v[182:183], v[180:181]
	v_div_scale_f64 v[184:185], vcc, 1.0, v[178:179], 1.0
	v_fma_f64 v[190:191], -v[180:181], v[182:183], 1.0
	v_fmac_f64_e32 v[182:183], v[182:183], v[190:191]
	v_fma_f64 v[190:191], -v[180:181], v[182:183], 1.0
	v_fmac_f64_e32 v[182:183], v[182:183], v[190:191]
	v_mul_f64 v[190:191], v[184:185], v[182:183]
	v_fma_f64 v[180:181], -v[180:181], v[190:191], v[184:185]
	v_div_fmas_f64 v[180:181], v[180:181], v[182:183], v[190:191]
	v_div_fixup_f64 v[178:179], v[180:181], v[178:179], 1.0
	ds_write_b64 v186, v[178:179]
.LBB87_104:
	s_or_b64 exec, exec, s[2:3]
	s_waitcnt lgkmcnt(0)
	s_barrier
	ds_read_b64 v[218:219], v186
	v_cmp_lt_u32_e32 vcc, 20, v188
	s_and_saveexec_b64 s[2:3], vcc
	s_cbranch_execz .LBB87_106
; %bb.105:
	ds_read2_b64 v[178:181], v187 offset0:21 offset1:22
	ds_read2_b64 v[182:185], v187 offset0:23 offset1:24
	s_waitcnt vmcnt(39) lgkmcnt(2)
	v_mul_f64 v[156:157], v[218:219], v[156:157]
	ds_read2_b64 v[220:223], v187 offset0:25 offset1:26
	ds_read_b64 v[190:191], v187 offset:344
	s_waitcnt vmcnt(38) lgkmcnt(3)
	v_fma_f64 v[112:113], -v[156:157], v[178:179], v[112:113]
	s_waitcnt vmcnt(37)
	v_fma_f64 v[154:155], -v[156:157], v[180:181], v[154:155]
	ds_read2_b64 v[178:181], v187 offset0:27 offset1:28
	s_waitcnt vmcnt(36) lgkmcnt(3)
	v_fma_f64 v[110:111], -v[156:157], v[182:183], v[110:111]
	s_waitcnt vmcnt(35)
	v_fma_f64 v[152:153], -v[156:157], v[184:185], v[152:153]
	ds_read2_b64 v[182:185], v187 offset0:29 offset1:30
	;; [unrolled: 5-line block ×3, first 2 shown]
	s_waitcnt vmcnt(32) lgkmcnt(2)
	v_fma_f64 v[106:107], -v[156:157], v[178:179], v[106:107]
	s_waitcnt vmcnt(31)
	v_fma_f64 v[148:149], -v[156:157], v[180:181], v[148:149]
	s_waitcnt vmcnt(30) lgkmcnt(1)
	v_fma_f64 v[104:105], -v[156:157], v[182:183], v[104:105]
	ds_read2_b64 v[178:181], v187 offset0:33 offset1:34
	s_waitcnt vmcnt(29)
	v_fma_f64 v[146:147], -v[156:157], v[184:185], v[146:147]
	ds_read2_b64 v[182:185], v187 offset0:35 offset1:36
	s_waitcnt vmcnt(28) lgkmcnt(2)
	v_fma_f64 v[102:103], -v[156:157], v[220:221], v[102:103]
	s_waitcnt vmcnt(27)
	v_fma_f64 v[144:145], -v[156:157], v[222:223], v[144:145]
	s_waitcnt vmcnt(26) lgkmcnt(1)
	v_fma_f64 v[100:101], -v[156:157], v[178:179], v[100:101]
	ds_read2_b64 v[220:223], v187 offset0:37 offset1:38
	s_waitcnt vmcnt(25)
	v_fma_f64 v[142:143], -v[156:157], v[180:181], v[142:143]
	ds_read2_b64 v[178:181], v187 offset0:39 offset1:40
	s_waitcnt vmcnt(24) lgkmcnt(2)
	v_fma_f64 v[98:99], -v[156:157], v[182:183], v[98:99]
	s_waitcnt vmcnt(23)
	v_fma_f64 v[140:141], -v[156:157], v[184:185], v[140:141]
	ds_read2_b64 v[182:185], v187 offset0:41 offset1:42
	s_waitcnt vmcnt(22) lgkmcnt(2)
	v_fma_f64 v[96:97], -v[156:157], v[220:221], v[96:97]
	s_waitcnt vmcnt(21)
	v_fma_f64 v[138:139], -v[156:157], v[222:223], v[138:139]
	s_waitcnt vmcnt(20) lgkmcnt(1)
	v_fma_f64 v[94:95], -v[156:157], v[178:179], v[94:95]
	s_waitcnt vmcnt(19)
	v_fma_f64 v[136:137], -v[156:157], v[180:181], v[136:137]
	s_waitcnt vmcnt(18) lgkmcnt(0)
	v_fma_f64 v[92:93], -v[156:157], v[182:183], v[92:93]
	s_waitcnt vmcnt(17)
	v_fma_f64 v[134:135], -v[156:157], v[184:185], v[134:135]
	s_waitcnt vmcnt(16)
	v_fma_f64 v[176:177], -v[156:157], v[190:191], v[176:177]
.LBB87_106:
	s_or_b64 exec, exec, s[2:3]
	v_cmp_eq_u32_e32 vcc, 21, v188
	s_waitcnt lgkmcnt(0)
	s_barrier
	s_and_saveexec_b64 s[2:3], vcc
	s_cbranch_execz .LBB87_109
; %bb.107:
	s_waitcnt vmcnt(37)
	v_mov_b32_e32 v178, v154
	v_mov_b32_e32 v179, v155
	s_waitcnt vmcnt(36)
	v_mov_b32_e32 v180, v110
	v_mov_b32_e32 v181, v111
	ds_write_b64 v186, v[112:113]
	ds_write2_b64 v187, v[178:179], v[180:181] offset0:22 offset1:23
	s_waitcnt vmcnt(35)
	v_mov_b32_e32 v178, v152
	v_mov_b32_e32 v179, v153
	s_waitcnt vmcnt(34)
	v_mov_b32_e32 v180, v108
	v_mov_b32_e32 v181, v109
	ds_write2_b64 v187, v[178:179], v[180:181] offset0:24 offset1:25
	s_waitcnt vmcnt(33)
	v_mov_b32_e32 v178, v150
	v_mov_b32_e32 v179, v151
	s_waitcnt vmcnt(32)
	v_mov_b32_e32 v180, v106
	v_mov_b32_e32 v181, v107
	;; [unrolled: 7-line block ×9, first 2 shown]
	ds_write2_b64 v187, v[178:179], v[180:181] offset0:40 offset1:41
	s_waitcnt vmcnt(17)
	v_mov_b32_e32 v178, v134
	v_mov_b32_e32 v179, v135
	s_waitcnt vmcnt(16)
	ds_write2_b64 v187, v[178:179], v[176:177] offset0:42 offset1:43
	ds_read_b64 v[178:179], v186
	s_waitcnt lgkmcnt(0)
	v_cmp_neq_f64_e32 vcc, 0, v[178:179]
	s_and_b64 exec, exec, vcc
	s_cbranch_execz .LBB87_109
; %bb.108:
	v_div_scale_f64 v[180:181], s[6:7], v[178:179], v[178:179], 1.0
	v_rcp_f64_e32 v[182:183], v[180:181]
	v_div_scale_f64 v[184:185], vcc, 1.0, v[178:179], 1.0
	v_fma_f64 v[190:191], -v[180:181], v[182:183], 1.0
	v_fmac_f64_e32 v[182:183], v[182:183], v[190:191]
	v_fma_f64 v[190:191], -v[180:181], v[182:183], 1.0
	v_fmac_f64_e32 v[182:183], v[182:183], v[190:191]
	v_mul_f64 v[190:191], v[184:185], v[182:183]
	v_fma_f64 v[180:181], -v[180:181], v[190:191], v[184:185]
	v_div_fmas_f64 v[180:181], v[180:181], v[182:183], v[190:191]
	v_div_fixup_f64 v[178:179], v[180:181], v[178:179], 1.0
	ds_write_b64 v186, v[178:179]
.LBB87_109:
	s_or_b64 exec, exec, s[2:3]
	s_waitcnt lgkmcnt(0)
	s_barrier
	ds_read_b64 v[220:221], v186
	v_cmp_lt_u32_e32 vcc, 21, v188
	s_and_saveexec_b64 s[2:3], vcc
	s_cbranch_execz .LBB87_111
; %bb.110:
	ds_read2_b64 v[178:181], v187 offset0:22 offset1:23
	ds_read2_b64 v[182:185], v187 offset0:24 offset1:25
	s_waitcnt vmcnt(38) lgkmcnt(2)
	v_mul_f64 v[112:113], v[220:221], v[112:113]
	ds_read2_b64 v[222:225], v187 offset0:26 offset1:27
	s_waitcnt vmcnt(37) lgkmcnt(2)
	v_fma_f64 v[154:155], -v[112:113], v[178:179], v[154:155]
	s_waitcnt vmcnt(36)
	v_fma_f64 v[110:111], -v[112:113], v[180:181], v[110:111]
	ds_read2_b64 v[178:181], v187 offset0:28 offset1:29
	s_waitcnt vmcnt(35) lgkmcnt(2)
	v_fma_f64 v[152:153], -v[112:113], v[182:183], v[152:153]
	s_waitcnt vmcnt(34)
	v_fma_f64 v[108:109], -v[112:113], v[184:185], v[108:109]
	;; [unrolled: 5-line block ×4, first 2 shown]
	s_waitcnt vmcnt(29) lgkmcnt(1)
	v_fma_f64 v[146:147], -v[112:113], v[182:183], v[146:147]
	ds_read2_b64 v[178:181], v187 offset0:34 offset1:35
	s_waitcnt vmcnt(28)
	v_fma_f64 v[102:103], -v[112:113], v[184:185], v[102:103]
	ds_read2_b64 v[182:185], v187 offset0:36 offset1:37
	s_waitcnt vmcnt(27) lgkmcnt(2)
	v_fma_f64 v[144:145], -v[112:113], v[222:223], v[144:145]
	s_waitcnt vmcnt(26)
	v_fma_f64 v[100:101], -v[112:113], v[224:225], v[100:101]
	s_waitcnt vmcnt(25) lgkmcnt(1)
	v_fma_f64 v[142:143], -v[112:113], v[178:179], v[142:143]
	s_waitcnt vmcnt(24)
	v_fma_f64 v[98:99], -v[112:113], v[180:181], v[98:99]
	ds_read2_b64 v[178:181], v187 offset0:38 offset1:39
	ds_read2_b64 v[222:225], v187 offset0:40 offset1:41
	s_waitcnt vmcnt(23) lgkmcnt(2)
	v_fma_f64 v[140:141], -v[112:113], v[182:183], v[140:141]
	s_waitcnt vmcnt(22)
	v_fma_f64 v[96:97], -v[112:113], v[184:185], v[96:97]
	ds_read2_b64 v[182:185], v187 offset0:42 offset1:43
	s_waitcnt vmcnt(21) lgkmcnt(2)
	v_fma_f64 v[138:139], -v[112:113], v[178:179], v[138:139]
	s_waitcnt vmcnt(20)
	v_fma_f64 v[94:95], -v[112:113], v[180:181], v[94:95]
	s_waitcnt vmcnt(19) lgkmcnt(1)
	v_fma_f64 v[136:137], -v[112:113], v[222:223], v[136:137]
	s_waitcnt vmcnt(18)
	v_fma_f64 v[92:93], -v[112:113], v[224:225], v[92:93]
	;; [unrolled: 4-line block ×3, first 2 shown]
.LBB87_111:
	s_or_b64 exec, exec, s[2:3]
	v_cmp_eq_u32_e32 vcc, 22, v188
	s_waitcnt lgkmcnt(0)
	s_barrier
	s_and_saveexec_b64 s[2:3], vcc
	s_cbranch_execz .LBB87_114
; %bb.112:
	s_waitcnt vmcnt(37)
	ds_write_b64 v186, v[154:155]
	s_waitcnt vmcnt(35)
	ds_write2_b64 v187, v[110:111], v[152:153] offset0:23 offset1:24
	s_waitcnt vmcnt(33)
	ds_write2_b64 v187, v[108:109], v[150:151] offset0:25 offset1:26
	;; [unrolled: 2-line block ×10, first 2 shown]
	s_waitcnt vmcnt(16)
	ds_write_b64 v187, v[176:177] offset:344
	ds_read_b64 v[178:179], v186
	s_waitcnt lgkmcnt(0)
	v_cmp_neq_f64_e32 vcc, 0, v[178:179]
	s_and_b64 exec, exec, vcc
	s_cbranch_execz .LBB87_114
; %bb.113:
	v_div_scale_f64 v[180:181], s[6:7], v[178:179], v[178:179], 1.0
	v_rcp_f64_e32 v[182:183], v[180:181]
	v_div_scale_f64 v[184:185], vcc, 1.0, v[178:179], 1.0
	v_fma_f64 v[190:191], -v[180:181], v[182:183], 1.0
	v_fmac_f64_e32 v[182:183], v[182:183], v[190:191]
	v_fma_f64 v[190:191], -v[180:181], v[182:183], 1.0
	v_fmac_f64_e32 v[182:183], v[182:183], v[190:191]
	v_mul_f64 v[190:191], v[184:185], v[182:183]
	v_fma_f64 v[180:181], -v[180:181], v[190:191], v[184:185]
	v_div_fmas_f64 v[180:181], v[180:181], v[182:183], v[190:191]
	v_div_fixup_f64 v[178:179], v[180:181], v[178:179], 1.0
	ds_write_b64 v186, v[178:179]
.LBB87_114:
	s_or_b64 exec, exec, s[2:3]
	s_waitcnt lgkmcnt(0)
	s_barrier
	ds_read_b64 v[222:223], v186
	v_cmp_lt_u32_e32 vcc, 22, v188
	s_and_saveexec_b64 s[2:3], vcc
	s_cbranch_execz .LBB87_116
; %bb.115:
	ds_read2_b64 v[178:181], v187 offset0:23 offset1:24
	ds_read2_b64 v[182:185], v187 offset0:25 offset1:26
	s_waitcnt vmcnt(37) lgkmcnt(2)
	v_mul_f64 v[154:155], v[222:223], v[154:155]
	ds_read2_b64 v[224:227], v187 offset0:27 offset1:28
	s_waitcnt vmcnt(36) lgkmcnt(2)
	v_fma_f64 v[110:111], -v[154:155], v[178:179], v[110:111]
	s_waitcnt vmcnt(35)
	v_fma_f64 v[152:153], -v[154:155], v[180:181], v[152:153]
	ds_read2_b64 v[178:181], v187 offset0:29 offset1:30
	s_waitcnt vmcnt(34) lgkmcnt(2)
	v_fma_f64 v[108:109], -v[154:155], v[182:183], v[108:109]
	s_waitcnt vmcnt(33)
	v_fma_f64 v[150:151], -v[154:155], v[184:185], v[150:151]
	;; [unrolled: 5-line block ×4, first 2 shown]
	s_waitcnt vmcnt(28) lgkmcnt(1)
	v_fma_f64 v[102:103], -v[154:155], v[182:183], v[102:103]
	ds_read2_b64 v[178:181], v187 offset0:35 offset1:36
	s_waitcnt vmcnt(27)
	v_fma_f64 v[144:145], -v[154:155], v[184:185], v[144:145]
	ds_read2_b64 v[182:185], v187 offset0:37 offset1:38
	s_waitcnt vmcnt(26) lgkmcnt(2)
	v_fma_f64 v[100:101], -v[154:155], v[224:225], v[100:101]
	s_waitcnt vmcnt(25)
	v_fma_f64 v[142:143], -v[154:155], v[226:227], v[142:143]
	s_waitcnt vmcnt(24) lgkmcnt(1)
	v_fma_f64 v[98:99], -v[154:155], v[178:179], v[98:99]
	s_waitcnt vmcnt(23)
	v_fma_f64 v[140:141], -v[154:155], v[180:181], v[140:141]
	ds_read2_b64 v[178:181], v187 offset0:39 offset1:40
	ds_read2_b64 v[224:227], v187 offset0:41 offset1:42
	s_waitcnt vmcnt(22) lgkmcnt(2)
	v_fma_f64 v[96:97], -v[154:155], v[182:183], v[96:97]
	ds_read_b64 v[182:183], v187 offset:344
	s_waitcnt vmcnt(21)
	v_fma_f64 v[138:139], -v[154:155], v[184:185], v[138:139]
	s_waitcnt vmcnt(20) lgkmcnt(2)
	v_fma_f64 v[94:95], -v[154:155], v[178:179], v[94:95]
	s_waitcnt vmcnt(19)
	v_fma_f64 v[136:137], -v[154:155], v[180:181], v[136:137]
	s_waitcnt vmcnt(18) lgkmcnt(1)
	v_fma_f64 v[92:93], -v[154:155], v[224:225], v[92:93]
	;; [unrolled: 4-line block ×3, first 2 shown]
.LBB87_116:
	s_or_b64 exec, exec, s[2:3]
	v_cmp_eq_u32_e32 vcc, 23, v188
	s_waitcnt lgkmcnt(0)
	s_barrier
	s_and_saveexec_b64 s[2:3], vcc
	s_cbranch_execz .LBB87_119
; %bb.117:
	s_waitcnt vmcnt(35)
	v_mov_b32_e32 v178, v152
	v_mov_b32_e32 v179, v153
	s_waitcnt vmcnt(34)
	v_mov_b32_e32 v180, v108
	v_mov_b32_e32 v181, v109
	ds_write_b64 v186, v[110:111]
	ds_write2_b64 v187, v[178:179], v[180:181] offset0:24 offset1:25
	s_waitcnt vmcnt(33)
	v_mov_b32_e32 v178, v150
	v_mov_b32_e32 v179, v151
	s_waitcnt vmcnt(32)
	v_mov_b32_e32 v180, v106
	v_mov_b32_e32 v181, v107
	ds_write2_b64 v187, v[178:179], v[180:181] offset0:26 offset1:27
	s_waitcnt vmcnt(31)
	v_mov_b32_e32 v178, v148
	v_mov_b32_e32 v179, v149
	s_waitcnt vmcnt(30)
	v_mov_b32_e32 v180, v104
	v_mov_b32_e32 v181, v105
	;; [unrolled: 7-line block ×8, first 2 shown]
	ds_write2_b64 v187, v[178:179], v[180:181] offset0:40 offset1:41
	s_waitcnt vmcnt(17)
	v_mov_b32_e32 v178, v134
	v_mov_b32_e32 v179, v135
	s_waitcnt vmcnt(16)
	ds_write2_b64 v187, v[178:179], v[176:177] offset0:42 offset1:43
	ds_read_b64 v[178:179], v186
	s_waitcnt lgkmcnt(0)
	v_cmp_neq_f64_e32 vcc, 0, v[178:179]
	s_and_b64 exec, exec, vcc
	s_cbranch_execz .LBB87_119
; %bb.118:
	v_div_scale_f64 v[180:181], s[6:7], v[178:179], v[178:179], 1.0
	v_rcp_f64_e32 v[182:183], v[180:181]
	v_div_scale_f64 v[184:185], vcc, 1.0, v[178:179], 1.0
	v_fma_f64 v[190:191], -v[180:181], v[182:183], 1.0
	v_fmac_f64_e32 v[182:183], v[182:183], v[190:191]
	v_fma_f64 v[190:191], -v[180:181], v[182:183], 1.0
	v_fmac_f64_e32 v[182:183], v[182:183], v[190:191]
	v_mul_f64 v[190:191], v[184:185], v[182:183]
	v_fma_f64 v[180:181], -v[180:181], v[190:191], v[184:185]
	v_div_fmas_f64 v[180:181], v[180:181], v[182:183], v[190:191]
	v_div_fixup_f64 v[178:179], v[180:181], v[178:179], 1.0
	ds_write_b64 v186, v[178:179]
.LBB87_119:
	s_or_b64 exec, exec, s[2:3]
	s_waitcnt lgkmcnt(0)
	s_barrier
	ds_read_b64 v[224:225], v186
	v_cmp_lt_u32_e32 vcc, 23, v188
	s_and_saveexec_b64 s[2:3], vcc
	s_cbranch_execz .LBB87_121
; %bb.120:
	ds_read2_b64 v[178:181], v187 offset0:24 offset1:25
	ds_read2_b64 v[182:185], v187 offset0:26 offset1:27
	s_waitcnt vmcnt(36) lgkmcnt(2)
	v_mul_f64 v[110:111], v[224:225], v[110:111]
	ds_read2_b64 v[226:229], v187 offset0:28 offset1:29
	s_waitcnt vmcnt(35) lgkmcnt(2)
	v_fma_f64 v[152:153], -v[110:111], v[178:179], v[152:153]
	s_waitcnt vmcnt(34)
	v_fma_f64 v[108:109], -v[110:111], v[180:181], v[108:109]
	ds_read2_b64 v[178:181], v187 offset0:30 offset1:31
	s_waitcnt vmcnt(33) lgkmcnt(2)
	v_fma_f64 v[150:151], -v[110:111], v[182:183], v[150:151]
	s_waitcnt vmcnt(32)
	v_fma_f64 v[106:107], -v[110:111], v[184:185], v[106:107]
	s_waitcnt vmcnt(31) lgkmcnt(1)
	v_fma_f64 v[148:149], -v[110:111], v[226:227], v[148:149]
	ds_read2_b64 v[182:185], v187 offset0:32 offset1:33
	s_waitcnt vmcnt(30)
	v_fma_f64 v[104:105], -v[110:111], v[228:229], v[104:105]
	ds_read2_b64 v[226:229], v187 offset0:34 offset1:35
	s_waitcnt vmcnt(29) lgkmcnt(2)
	v_fma_f64 v[146:147], -v[110:111], v[178:179], v[146:147]
	s_waitcnt vmcnt(28)
	v_fma_f64 v[102:103], -v[110:111], v[180:181], v[102:103]
	ds_read2_b64 v[178:181], v187 offset0:36 offset1:37
	s_waitcnt vmcnt(27) lgkmcnt(2)
	v_fma_f64 v[144:145], -v[110:111], v[182:183], v[144:145]
	;; [unrolled: 5-line block ×3, first 2 shown]
	s_waitcnt vmcnt(24)
	v_fma_f64 v[98:99], -v[110:111], v[228:229], v[98:99]
	s_waitcnt vmcnt(23) lgkmcnt(1)
	v_fma_f64 v[140:141], -v[110:111], v[178:179], v[140:141]
	ds_read2_b64 v[226:229], v187 offset0:40 offset1:41
	s_waitcnt vmcnt(22)
	v_fma_f64 v[96:97], -v[110:111], v[180:181], v[96:97]
	ds_read2_b64 v[178:181], v187 offset0:42 offset1:43
	s_waitcnt vmcnt(21) lgkmcnt(2)
	v_fma_f64 v[138:139], -v[110:111], v[182:183], v[138:139]
	s_waitcnt vmcnt(20)
	v_fma_f64 v[94:95], -v[110:111], v[184:185], v[94:95]
	s_waitcnt vmcnt(19) lgkmcnt(1)
	v_fma_f64 v[136:137], -v[110:111], v[226:227], v[136:137]
	s_waitcnt vmcnt(18)
	v_fma_f64 v[92:93], -v[110:111], v[228:229], v[92:93]
	;; [unrolled: 4-line block ×3, first 2 shown]
.LBB87_121:
	s_or_b64 exec, exec, s[2:3]
	v_cmp_eq_u32_e32 vcc, 24, v188
	s_waitcnt lgkmcnt(0)
	s_barrier
	s_and_saveexec_b64 s[2:3], vcc
	s_cbranch_execz .LBB87_124
; %bb.122:
	s_waitcnt vmcnt(35)
	ds_write_b64 v186, v[152:153]
	s_waitcnt vmcnt(33)
	ds_write2_b64 v187, v[108:109], v[150:151] offset0:25 offset1:26
	s_waitcnt vmcnt(31)
	ds_write2_b64 v187, v[106:107], v[148:149] offset0:27 offset1:28
	s_waitcnt vmcnt(29)
	ds_write2_b64 v187, v[104:105], v[146:147] offset0:29 offset1:30
	s_waitcnt vmcnt(27)
	ds_write2_b64 v187, v[102:103], v[144:145] offset0:31 offset1:32
	s_waitcnt vmcnt(25)
	ds_write2_b64 v187, v[100:101], v[142:143] offset0:33 offset1:34
	s_waitcnt vmcnt(23)
	ds_write2_b64 v187, v[98:99], v[140:141] offset0:35 offset1:36
	s_waitcnt vmcnt(21)
	ds_write2_b64 v187, v[96:97], v[138:139] offset0:37 offset1:38
	s_waitcnt vmcnt(19)
	ds_write2_b64 v187, v[94:95], v[136:137] offset0:39 offset1:40
	s_waitcnt vmcnt(17)
	ds_write2_b64 v187, v[92:93], v[134:135] offset0:41 offset1:42
	s_waitcnt vmcnt(16)
	ds_write_b64 v187, v[176:177] offset:344
	ds_read_b64 v[178:179], v186
	s_waitcnt lgkmcnt(0)
	v_cmp_neq_f64_e32 vcc, 0, v[178:179]
	s_and_b64 exec, exec, vcc
	s_cbranch_execz .LBB87_124
; %bb.123:
	v_div_scale_f64 v[180:181], s[6:7], v[178:179], v[178:179], 1.0
	v_rcp_f64_e32 v[182:183], v[180:181]
	v_div_scale_f64 v[184:185], vcc, 1.0, v[178:179], 1.0
	v_fma_f64 v[190:191], -v[180:181], v[182:183], 1.0
	v_fmac_f64_e32 v[182:183], v[182:183], v[190:191]
	v_fma_f64 v[190:191], -v[180:181], v[182:183], 1.0
	v_fmac_f64_e32 v[182:183], v[182:183], v[190:191]
	v_mul_f64 v[190:191], v[184:185], v[182:183]
	v_fma_f64 v[180:181], -v[180:181], v[190:191], v[184:185]
	v_div_fmas_f64 v[180:181], v[180:181], v[182:183], v[190:191]
	v_div_fixup_f64 v[178:179], v[180:181], v[178:179], 1.0
	ds_write_b64 v186, v[178:179]
.LBB87_124:
	s_or_b64 exec, exec, s[2:3]
	s_waitcnt lgkmcnt(0)
	s_barrier
	ds_read_b64 v[226:227], v186
	v_cmp_lt_u32_e32 vcc, 24, v188
	s_and_saveexec_b64 s[2:3], vcc
	s_cbranch_execz .LBB87_126
; %bb.125:
	ds_read2_b64 v[178:181], v187 offset0:25 offset1:26
	ds_read2_b64 v[182:185], v187 offset0:27 offset1:28
	s_waitcnt vmcnt(35) lgkmcnt(2)
	v_mul_f64 v[152:153], v[226:227], v[152:153]
	ds_read2_b64 v[228:231], v187 offset0:29 offset1:30
	s_waitcnt vmcnt(34) lgkmcnt(2)
	v_fma_f64 v[108:109], -v[152:153], v[178:179], v[108:109]
	s_waitcnt vmcnt(33)
	v_fma_f64 v[150:151], -v[152:153], v[180:181], v[150:151]
	ds_read2_b64 v[178:181], v187 offset0:31 offset1:32
	s_waitcnt vmcnt(32) lgkmcnt(2)
	v_fma_f64 v[106:107], -v[152:153], v[182:183], v[106:107]
	s_waitcnt vmcnt(31)
	v_fma_f64 v[148:149], -v[152:153], v[184:185], v[148:149]
	s_waitcnt vmcnt(30) lgkmcnt(1)
	v_fma_f64 v[104:105], -v[152:153], v[228:229], v[104:105]
	ds_read2_b64 v[182:185], v187 offset0:33 offset1:34
	s_waitcnt vmcnt(29)
	v_fma_f64 v[146:147], -v[152:153], v[230:231], v[146:147]
	ds_read2_b64 v[228:231], v187 offset0:35 offset1:36
	s_waitcnt vmcnt(28) lgkmcnt(2)
	v_fma_f64 v[102:103], -v[152:153], v[178:179], v[102:103]
	s_waitcnt vmcnt(27)
	v_fma_f64 v[144:145], -v[152:153], v[180:181], v[144:145]
	ds_read2_b64 v[178:181], v187 offset0:37 offset1:38
	s_waitcnt vmcnt(26) lgkmcnt(2)
	v_fma_f64 v[100:101], -v[152:153], v[182:183], v[100:101]
	;; [unrolled: 5-line block ×3, first 2 shown]
	s_waitcnt vmcnt(23)
	v_fma_f64 v[140:141], -v[152:153], v[230:231], v[140:141]
	s_waitcnt vmcnt(22) lgkmcnt(1)
	v_fma_f64 v[96:97], -v[152:153], v[178:179], v[96:97]
	ds_read2_b64 v[228:231], v187 offset0:41 offset1:42
	ds_read_b64 v[178:179], v187 offset:344
	s_waitcnt vmcnt(21)
	v_fma_f64 v[138:139], -v[152:153], v[180:181], v[138:139]
	s_waitcnt vmcnt(20) lgkmcnt(2)
	v_fma_f64 v[94:95], -v[152:153], v[182:183], v[94:95]
	s_waitcnt vmcnt(19)
	v_fma_f64 v[136:137], -v[152:153], v[184:185], v[136:137]
	s_waitcnt vmcnt(18) lgkmcnt(1)
	v_fma_f64 v[92:93], -v[152:153], v[228:229], v[92:93]
	s_waitcnt vmcnt(17)
	v_fma_f64 v[134:135], -v[152:153], v[230:231], v[134:135]
	s_waitcnt vmcnt(16) lgkmcnt(0)
	v_fma_f64 v[176:177], -v[152:153], v[178:179], v[176:177]
.LBB87_126:
	s_or_b64 exec, exec, s[2:3]
	v_cmp_eq_u32_e32 vcc, 25, v188
	s_waitcnt lgkmcnt(0)
	s_barrier
	s_and_saveexec_b64 s[2:3], vcc
	s_cbranch_execz .LBB87_129
; %bb.127:
	s_waitcnt vmcnt(33)
	v_mov_b32_e32 v178, v150
	v_mov_b32_e32 v179, v151
	s_waitcnt vmcnt(32)
	v_mov_b32_e32 v180, v106
	v_mov_b32_e32 v181, v107
	ds_write_b64 v186, v[108:109]
	ds_write2_b64 v187, v[178:179], v[180:181] offset0:26 offset1:27
	s_waitcnt vmcnt(31)
	v_mov_b32_e32 v178, v148
	v_mov_b32_e32 v179, v149
	s_waitcnt vmcnt(30)
	v_mov_b32_e32 v180, v104
	v_mov_b32_e32 v181, v105
	ds_write2_b64 v187, v[178:179], v[180:181] offset0:28 offset1:29
	s_waitcnt vmcnt(29)
	v_mov_b32_e32 v178, v146
	v_mov_b32_e32 v179, v147
	s_waitcnt vmcnt(28)
	v_mov_b32_e32 v180, v102
	v_mov_b32_e32 v181, v103
	;; [unrolled: 7-line block ×7, first 2 shown]
	ds_write2_b64 v187, v[178:179], v[180:181] offset0:40 offset1:41
	s_waitcnt vmcnt(17)
	v_mov_b32_e32 v178, v134
	v_mov_b32_e32 v179, v135
	s_waitcnt vmcnt(16)
	ds_write2_b64 v187, v[178:179], v[176:177] offset0:42 offset1:43
	ds_read_b64 v[178:179], v186
	s_waitcnt lgkmcnt(0)
	v_cmp_neq_f64_e32 vcc, 0, v[178:179]
	s_and_b64 exec, exec, vcc
	s_cbranch_execz .LBB87_129
; %bb.128:
	v_div_scale_f64 v[180:181], s[6:7], v[178:179], v[178:179], 1.0
	v_rcp_f64_e32 v[182:183], v[180:181]
	v_div_scale_f64 v[184:185], vcc, 1.0, v[178:179], 1.0
	v_fma_f64 v[190:191], -v[180:181], v[182:183], 1.0
	v_fmac_f64_e32 v[182:183], v[182:183], v[190:191]
	v_fma_f64 v[190:191], -v[180:181], v[182:183], 1.0
	v_fmac_f64_e32 v[182:183], v[182:183], v[190:191]
	v_mul_f64 v[190:191], v[184:185], v[182:183]
	v_fma_f64 v[180:181], -v[180:181], v[190:191], v[184:185]
	v_div_fmas_f64 v[180:181], v[180:181], v[182:183], v[190:191]
	v_div_fixup_f64 v[178:179], v[180:181], v[178:179], 1.0
	ds_write_b64 v186, v[178:179]
.LBB87_129:
	s_or_b64 exec, exec, s[2:3]
	s_waitcnt lgkmcnt(0)
	s_barrier
	ds_read_b64 v[228:229], v186
	v_cmp_lt_u32_e32 vcc, 25, v188
	s_and_saveexec_b64 s[2:3], vcc
	s_cbranch_execz .LBB87_131
; %bb.130:
	ds_read2_b64 v[178:181], v187 offset0:26 offset1:27
	ds_read2_b64 v[182:185], v187 offset0:28 offset1:29
	;; [unrolled: 1-line block ×3, first 2 shown]
	s_waitcnt vmcnt(34) lgkmcnt(3)
	v_mul_f64 v[108:109], v[228:229], v[108:109]
	s_waitcnt vmcnt(33) lgkmcnt(2)
	v_fma_f64 v[150:151], -v[108:109], v[178:179], v[150:151]
	s_waitcnt vmcnt(32)
	v_fma_f64 v[106:107], -v[108:109], v[180:181], v[106:107]
	ds_read2_b64 v[178:181], v187 offset0:32 offset1:33
	s_waitcnt vmcnt(31) lgkmcnt(2)
	v_fma_f64 v[148:149], -v[108:109], v[182:183], v[148:149]
	s_waitcnt vmcnt(30)
	v_fma_f64 v[104:105], -v[108:109], v[184:185], v[104:105]
	s_waitcnt vmcnt(29) lgkmcnt(1)
	v_fma_f64 v[146:147], -v[108:109], v[230:231], v[146:147]
	ds_read2_b64 v[182:185], v187 offset0:34 offset1:35
	s_waitcnt vmcnt(28)
	v_fma_f64 v[102:103], -v[108:109], v[232:233], v[102:103]
	ds_read2_b64 v[230:233], v187 offset0:36 offset1:37
	s_waitcnt vmcnt(27) lgkmcnt(2)
	v_fma_f64 v[144:145], -v[108:109], v[178:179], v[144:145]
	s_waitcnt vmcnt(26)
	v_fma_f64 v[100:101], -v[108:109], v[180:181], v[100:101]
	s_waitcnt vmcnt(25) lgkmcnt(1)
	v_fma_f64 v[142:143], -v[108:109], v[182:183], v[142:143]
	s_waitcnt vmcnt(24)
	v_fma_f64 v[98:99], -v[108:109], v[184:185], v[98:99]
	ds_read2_b64 v[178:181], v187 offset0:38 offset1:39
	ds_read2_b64 v[182:185], v187 offset0:40 offset1:41
	s_waitcnt vmcnt(23) lgkmcnt(2)
	v_fma_f64 v[140:141], -v[108:109], v[230:231], v[140:141]
	s_waitcnt vmcnt(22)
	v_fma_f64 v[96:97], -v[108:109], v[232:233], v[96:97]
	ds_read2_b64 v[230:233], v187 offset0:42 offset1:43
	s_waitcnt vmcnt(21) lgkmcnt(2)
	v_fma_f64 v[138:139], -v[108:109], v[178:179], v[138:139]
	s_waitcnt vmcnt(20)
	v_fma_f64 v[94:95], -v[108:109], v[180:181], v[94:95]
	s_waitcnt vmcnt(19) lgkmcnt(1)
	v_fma_f64 v[136:137], -v[108:109], v[182:183], v[136:137]
	s_waitcnt vmcnt(18)
	v_fma_f64 v[92:93], -v[108:109], v[184:185], v[92:93]
	;; [unrolled: 4-line block ×3, first 2 shown]
.LBB87_131:
	s_or_b64 exec, exec, s[2:3]
	v_cmp_eq_u32_e32 vcc, 26, v188
	s_waitcnt lgkmcnt(0)
	s_barrier
	s_and_saveexec_b64 s[2:3], vcc
	s_cbranch_execz .LBB87_134
; %bb.132:
	s_waitcnt vmcnt(33)
	ds_write_b64 v186, v[150:151]
	s_waitcnt vmcnt(31)
	ds_write2_b64 v187, v[106:107], v[148:149] offset0:27 offset1:28
	s_waitcnt vmcnt(29)
	ds_write2_b64 v187, v[104:105], v[146:147] offset0:29 offset1:30
	;; [unrolled: 2-line block ×8, first 2 shown]
	s_waitcnt vmcnt(16)
	ds_write_b64 v187, v[176:177] offset:344
	ds_read_b64 v[178:179], v186
	s_waitcnt lgkmcnt(0)
	v_cmp_neq_f64_e32 vcc, 0, v[178:179]
	s_and_b64 exec, exec, vcc
	s_cbranch_execz .LBB87_134
; %bb.133:
	v_div_scale_f64 v[180:181], s[6:7], v[178:179], v[178:179], 1.0
	v_rcp_f64_e32 v[182:183], v[180:181]
	v_div_scale_f64 v[184:185], vcc, 1.0, v[178:179], 1.0
	v_fma_f64 v[190:191], -v[180:181], v[182:183], 1.0
	v_fmac_f64_e32 v[182:183], v[182:183], v[190:191]
	v_fma_f64 v[190:191], -v[180:181], v[182:183], 1.0
	v_fmac_f64_e32 v[182:183], v[182:183], v[190:191]
	v_mul_f64 v[190:191], v[184:185], v[182:183]
	v_fma_f64 v[180:181], -v[180:181], v[190:191], v[184:185]
	v_div_fmas_f64 v[180:181], v[180:181], v[182:183], v[190:191]
	v_div_fixup_f64 v[178:179], v[180:181], v[178:179], 1.0
	ds_write_b64 v186, v[178:179]
.LBB87_134:
	s_or_b64 exec, exec, s[2:3]
	s_waitcnt lgkmcnt(0)
	s_barrier
	ds_read_b64 v[230:231], v186
	v_cmp_lt_u32_e32 vcc, 26, v188
	s_and_saveexec_b64 s[2:3], vcc
	s_cbranch_execz .LBB87_136
; %bb.135:
	ds_read2_b64 v[178:181], v187 offset0:27 offset1:28
	ds_read2_b64 v[182:185], v187 offset0:29 offset1:30
	s_waitcnt vmcnt(33) lgkmcnt(2)
	v_mul_f64 v[150:151], v[230:231], v[150:151]
	ds_read2_b64 v[232:235], v187 offset0:31 offset1:32
	ds_read_b64 v[190:191], v187 offset:344
	s_waitcnt vmcnt(32) lgkmcnt(3)
	v_fma_f64 v[106:107], -v[150:151], v[178:179], v[106:107]
	s_waitcnt vmcnt(31)
	v_fma_f64 v[148:149], -v[150:151], v[180:181], v[148:149]
	ds_read2_b64 v[178:181], v187 offset0:33 offset1:34
	s_waitcnt vmcnt(30) lgkmcnt(3)
	v_fma_f64 v[104:105], -v[150:151], v[182:183], v[104:105]
	s_waitcnt vmcnt(29)
	v_fma_f64 v[146:147], -v[150:151], v[184:185], v[146:147]
	ds_read2_b64 v[182:185], v187 offset0:35 offset1:36
	;; [unrolled: 5-line block ×3, first 2 shown]
	s_waitcnt vmcnt(26) lgkmcnt(2)
	v_fma_f64 v[100:101], -v[150:151], v[178:179], v[100:101]
	s_waitcnt vmcnt(25)
	v_fma_f64 v[142:143], -v[150:151], v[180:181], v[142:143]
	s_waitcnt vmcnt(24) lgkmcnt(1)
	v_fma_f64 v[98:99], -v[150:151], v[182:183], v[98:99]
	s_waitcnt vmcnt(23)
	v_fma_f64 v[140:141], -v[150:151], v[184:185], v[140:141]
	ds_read2_b64 v[178:181], v187 offset0:39 offset1:40
	ds_read2_b64 v[182:185], v187 offset0:41 offset1:42
	s_waitcnt vmcnt(22) lgkmcnt(2)
	v_fma_f64 v[96:97], -v[150:151], v[232:233], v[96:97]
	s_waitcnt vmcnt(21)
	v_fma_f64 v[138:139], -v[150:151], v[234:235], v[138:139]
	s_waitcnt vmcnt(16)
	v_fma_f64 v[176:177], -v[150:151], v[190:191], v[176:177]
	s_waitcnt lgkmcnt(1)
	v_fma_f64 v[94:95], -v[150:151], v[178:179], v[94:95]
	v_fma_f64 v[136:137], -v[150:151], v[180:181], v[136:137]
	s_waitcnt lgkmcnt(0)
	v_fma_f64 v[92:93], -v[150:151], v[182:183], v[92:93]
	v_fma_f64 v[134:135], -v[150:151], v[184:185], v[134:135]
.LBB87_136:
	s_or_b64 exec, exec, s[2:3]
	v_cmp_eq_u32_e32 vcc, 27, v188
	s_waitcnt lgkmcnt(0)
	s_barrier
	s_and_saveexec_b64 s[2:3], vcc
	s_cbranch_execz .LBB87_139
; %bb.137:
	s_waitcnt vmcnt(31)
	v_mov_b32_e32 v178, v148
	v_mov_b32_e32 v179, v149
	s_waitcnt vmcnt(30)
	v_mov_b32_e32 v180, v104
	v_mov_b32_e32 v181, v105
	ds_write_b64 v186, v[106:107]
	ds_write2_b64 v187, v[178:179], v[180:181] offset0:28 offset1:29
	s_waitcnt vmcnt(29)
	v_mov_b32_e32 v178, v146
	v_mov_b32_e32 v179, v147
	s_waitcnt vmcnt(28)
	v_mov_b32_e32 v180, v102
	v_mov_b32_e32 v181, v103
	ds_write2_b64 v187, v[178:179], v[180:181] offset0:30 offset1:31
	s_waitcnt vmcnt(27)
	v_mov_b32_e32 v178, v144
	v_mov_b32_e32 v179, v145
	s_waitcnt vmcnt(26)
	v_mov_b32_e32 v180, v100
	v_mov_b32_e32 v181, v101
	;; [unrolled: 7-line block ×6, first 2 shown]
	ds_write2_b64 v187, v[178:179], v[180:181] offset0:40 offset1:41
	s_waitcnt vmcnt(17)
	v_mov_b32_e32 v178, v134
	v_mov_b32_e32 v179, v135
	s_waitcnt vmcnt(16)
	ds_write2_b64 v187, v[178:179], v[176:177] offset0:42 offset1:43
	ds_read_b64 v[178:179], v186
	s_waitcnt lgkmcnt(0)
	v_cmp_neq_f64_e32 vcc, 0, v[178:179]
	s_and_b64 exec, exec, vcc
	s_cbranch_execz .LBB87_139
; %bb.138:
	v_div_scale_f64 v[180:181], s[6:7], v[178:179], v[178:179], 1.0
	v_rcp_f64_e32 v[182:183], v[180:181]
	v_div_scale_f64 v[184:185], vcc, 1.0, v[178:179], 1.0
	v_fma_f64 v[190:191], -v[180:181], v[182:183], 1.0
	v_fmac_f64_e32 v[182:183], v[182:183], v[190:191]
	v_fma_f64 v[190:191], -v[180:181], v[182:183], 1.0
	v_fmac_f64_e32 v[182:183], v[182:183], v[190:191]
	v_mul_f64 v[190:191], v[184:185], v[182:183]
	v_fma_f64 v[180:181], -v[180:181], v[190:191], v[184:185]
	v_div_fmas_f64 v[180:181], v[180:181], v[182:183], v[190:191]
	v_div_fixup_f64 v[178:179], v[180:181], v[178:179], 1.0
	ds_write_b64 v186, v[178:179]
.LBB87_139:
	s_or_b64 exec, exec, s[2:3]
	s_waitcnt lgkmcnt(0)
	s_barrier
	ds_read_b64 v[232:233], v186
	v_cmp_lt_u32_e32 vcc, 27, v188
	s_and_saveexec_b64 s[2:3], vcc
	s_cbranch_execz .LBB87_141
; %bb.140:
	ds_read2_b64 v[178:181], v187 offset0:28 offset1:29
	ds_read2_b64 v[182:185], v187 offset0:30 offset1:31
	s_waitcnt vmcnt(32) lgkmcnt(2)
	v_mul_f64 v[106:107], v[232:233], v[106:107]
	ds_read2_b64 v[234:237], v187 offset0:32 offset1:33
	s_waitcnt vmcnt(31) lgkmcnt(2)
	v_fma_f64 v[148:149], -v[106:107], v[178:179], v[148:149]
	s_waitcnt vmcnt(30)
	v_fma_f64 v[104:105], -v[106:107], v[180:181], v[104:105]
	ds_read2_b64 v[178:181], v187 offset0:34 offset1:35
	s_waitcnt vmcnt(29) lgkmcnt(2)
	v_fma_f64 v[146:147], -v[106:107], v[182:183], v[146:147]
	s_waitcnt vmcnt(28)
	v_fma_f64 v[102:103], -v[106:107], v[184:185], v[102:103]
	ds_read2_b64 v[182:185], v187 offset0:36 offset1:37
	s_waitcnt vmcnt(27) lgkmcnt(2)
	v_fma_f64 v[144:145], -v[106:107], v[234:235], v[144:145]
	s_waitcnt vmcnt(26)
	v_fma_f64 v[100:101], -v[106:107], v[236:237], v[100:101]
	s_waitcnt vmcnt(25) lgkmcnt(1)
	v_fma_f64 v[142:143], -v[106:107], v[178:179], v[142:143]
	s_waitcnt vmcnt(24)
	v_fma_f64 v[98:99], -v[106:107], v[180:181], v[98:99]
	ds_read2_b64 v[178:181], v187 offset0:38 offset1:39
	s_waitcnt vmcnt(23) lgkmcnt(1)
	v_fma_f64 v[140:141], -v[106:107], v[182:183], v[140:141]
	ds_read2_b64 v[234:237], v187 offset0:40 offset1:41
	s_waitcnt vmcnt(22)
	v_fma_f64 v[96:97], -v[106:107], v[184:185], v[96:97]
	ds_read2_b64 v[182:185], v187 offset0:42 offset1:43
	s_waitcnt vmcnt(21) lgkmcnt(2)
	v_fma_f64 v[138:139], -v[106:107], v[178:179], v[138:139]
	s_waitcnt vmcnt(20)
	v_fma_f64 v[94:95], -v[106:107], v[180:181], v[94:95]
	s_waitcnt vmcnt(19) lgkmcnt(1)
	v_fma_f64 v[136:137], -v[106:107], v[234:235], v[136:137]
	s_waitcnt vmcnt(18)
	v_fma_f64 v[92:93], -v[106:107], v[236:237], v[92:93]
	;; [unrolled: 4-line block ×3, first 2 shown]
.LBB87_141:
	s_or_b64 exec, exec, s[2:3]
	v_cmp_eq_u32_e32 vcc, 28, v188
	s_waitcnt lgkmcnt(0)
	s_barrier
	s_and_saveexec_b64 s[2:3], vcc
	s_cbranch_execz .LBB87_144
; %bb.142:
	s_waitcnt vmcnt(31)
	ds_write_b64 v186, v[148:149]
	s_waitcnt vmcnt(29)
	ds_write2_b64 v187, v[104:105], v[146:147] offset0:29 offset1:30
	s_waitcnt vmcnt(27)
	ds_write2_b64 v187, v[102:103], v[144:145] offset0:31 offset1:32
	;; [unrolled: 2-line block ×7, first 2 shown]
	s_waitcnt vmcnt(16)
	ds_write_b64 v187, v[176:177] offset:344
	ds_read_b64 v[178:179], v186
	s_waitcnt lgkmcnt(0)
	v_cmp_neq_f64_e32 vcc, 0, v[178:179]
	s_and_b64 exec, exec, vcc
	s_cbranch_execz .LBB87_144
; %bb.143:
	v_div_scale_f64 v[180:181], s[6:7], v[178:179], v[178:179], 1.0
	v_rcp_f64_e32 v[182:183], v[180:181]
	v_div_scale_f64 v[184:185], vcc, 1.0, v[178:179], 1.0
	v_fma_f64 v[190:191], -v[180:181], v[182:183], 1.0
	v_fmac_f64_e32 v[182:183], v[182:183], v[190:191]
	v_fma_f64 v[190:191], -v[180:181], v[182:183], 1.0
	v_fmac_f64_e32 v[182:183], v[182:183], v[190:191]
	v_mul_f64 v[190:191], v[184:185], v[182:183]
	v_fma_f64 v[180:181], -v[180:181], v[190:191], v[184:185]
	v_div_fmas_f64 v[180:181], v[180:181], v[182:183], v[190:191]
	v_div_fixup_f64 v[178:179], v[180:181], v[178:179], 1.0
	ds_write_b64 v186, v[178:179]
.LBB87_144:
	s_or_b64 exec, exec, s[2:3]
	s_waitcnt lgkmcnt(0)
	s_barrier
	ds_read_b64 v[234:235], v186
	v_cmp_lt_u32_e32 vcc, 28, v188
	s_and_saveexec_b64 s[2:3], vcc
	s_cbranch_execz .LBB87_146
; %bb.145:
	ds_read2_b64 v[178:181], v187 offset0:29 offset1:30
	ds_read2_b64 v[182:185], v187 offset0:31 offset1:32
	s_waitcnt vmcnt(31) lgkmcnt(2)
	v_mul_f64 v[148:149], v[234:235], v[148:149]
	ds_read2_b64 v[236:239], v187 offset0:33 offset1:34
	s_waitcnt vmcnt(30) lgkmcnt(2)
	v_fma_f64 v[104:105], -v[148:149], v[178:179], v[104:105]
	s_waitcnt vmcnt(29)
	v_fma_f64 v[146:147], -v[148:149], v[180:181], v[146:147]
	ds_read2_b64 v[178:181], v187 offset0:35 offset1:36
	s_waitcnt vmcnt(28) lgkmcnt(2)
	v_fma_f64 v[102:103], -v[148:149], v[182:183], v[102:103]
	s_waitcnt vmcnt(27)
	v_fma_f64 v[144:145], -v[148:149], v[184:185], v[144:145]
	;; [unrolled: 5-line block ×3, first 2 shown]
	s_waitcnt vmcnt(24) lgkmcnt(1)
	v_fma_f64 v[98:99], -v[148:149], v[178:179], v[98:99]
	s_waitcnt vmcnt(23)
	v_fma_f64 v[140:141], -v[148:149], v[180:181], v[140:141]
	ds_read2_b64 v[178:181], v187 offset0:39 offset1:40
	s_waitcnt vmcnt(22) lgkmcnt(1)
	v_fma_f64 v[96:97], -v[148:149], v[182:183], v[96:97]
	ds_read2_b64 v[236:239], v187 offset0:41 offset1:42
	ds_read_b64 v[182:183], v187 offset:344
	s_waitcnt vmcnt(21)
	v_fma_f64 v[138:139], -v[148:149], v[184:185], v[138:139]
	s_waitcnt vmcnt(20) lgkmcnt(2)
	v_fma_f64 v[94:95], -v[148:149], v[178:179], v[94:95]
	s_waitcnt vmcnt(19)
	v_fma_f64 v[136:137], -v[148:149], v[180:181], v[136:137]
	s_waitcnt vmcnt(18) lgkmcnt(1)
	v_fma_f64 v[92:93], -v[148:149], v[236:237], v[92:93]
	;; [unrolled: 4-line block ×3, first 2 shown]
.LBB87_146:
	s_or_b64 exec, exec, s[2:3]
	v_cmp_eq_u32_e32 vcc, 29, v188
	s_waitcnt lgkmcnt(0)
	s_barrier
	s_and_saveexec_b64 s[2:3], vcc
	s_cbranch_execz .LBB87_149
; %bb.147:
	s_waitcnt vmcnt(29)
	v_mov_b32_e32 v178, v146
	v_mov_b32_e32 v179, v147
	s_waitcnt vmcnt(28)
	v_mov_b32_e32 v180, v102
	v_mov_b32_e32 v181, v103
	ds_write_b64 v186, v[104:105]
	ds_write2_b64 v187, v[178:179], v[180:181] offset0:30 offset1:31
	s_waitcnt vmcnt(27)
	v_mov_b32_e32 v178, v144
	v_mov_b32_e32 v179, v145
	s_waitcnt vmcnt(26)
	v_mov_b32_e32 v180, v100
	v_mov_b32_e32 v181, v101
	ds_write2_b64 v187, v[178:179], v[180:181] offset0:32 offset1:33
	s_waitcnt vmcnt(25)
	v_mov_b32_e32 v178, v142
	v_mov_b32_e32 v179, v143
	s_waitcnt vmcnt(24)
	v_mov_b32_e32 v180, v98
	v_mov_b32_e32 v181, v99
	;; [unrolled: 7-line block ×5, first 2 shown]
	ds_write2_b64 v187, v[178:179], v[180:181] offset0:40 offset1:41
	s_waitcnt vmcnt(17)
	v_mov_b32_e32 v178, v134
	v_mov_b32_e32 v179, v135
	s_waitcnt vmcnt(16)
	ds_write2_b64 v187, v[178:179], v[176:177] offset0:42 offset1:43
	ds_read_b64 v[178:179], v186
	s_waitcnt lgkmcnt(0)
	v_cmp_neq_f64_e32 vcc, 0, v[178:179]
	s_and_b64 exec, exec, vcc
	s_cbranch_execz .LBB87_149
; %bb.148:
	v_div_scale_f64 v[180:181], s[6:7], v[178:179], v[178:179], 1.0
	v_rcp_f64_e32 v[182:183], v[180:181]
	v_div_scale_f64 v[184:185], vcc, 1.0, v[178:179], 1.0
	v_fma_f64 v[190:191], -v[180:181], v[182:183], 1.0
	v_fmac_f64_e32 v[182:183], v[182:183], v[190:191]
	v_fma_f64 v[190:191], -v[180:181], v[182:183], 1.0
	v_fmac_f64_e32 v[182:183], v[182:183], v[190:191]
	v_mul_f64 v[190:191], v[184:185], v[182:183]
	v_fma_f64 v[180:181], -v[180:181], v[190:191], v[184:185]
	v_div_fmas_f64 v[180:181], v[180:181], v[182:183], v[190:191]
	v_div_fixup_f64 v[178:179], v[180:181], v[178:179], 1.0
	ds_write_b64 v186, v[178:179]
.LBB87_149:
	s_or_b64 exec, exec, s[2:3]
	s_waitcnt lgkmcnt(0)
	s_barrier
	ds_read_b64 v[236:237], v186
	v_cmp_lt_u32_e32 vcc, 29, v188
	s_and_saveexec_b64 s[2:3], vcc
	s_cbranch_execz .LBB87_151
; %bb.150:
	ds_read2_b64 v[178:181], v187 offset0:30 offset1:31
	ds_read2_b64 v[182:185], v187 offset0:32 offset1:33
	s_waitcnt vmcnt(30) lgkmcnt(2)
	v_mul_f64 v[104:105], v[236:237], v[104:105]
	ds_read2_b64 v[238:241], v187 offset0:34 offset1:35
	s_waitcnt vmcnt(29) lgkmcnt(2)
	v_fma_f64 v[146:147], -v[104:105], v[178:179], v[146:147]
	s_waitcnt vmcnt(28)
	v_fma_f64 v[102:103], -v[104:105], v[180:181], v[102:103]
	ds_read2_b64 v[178:181], v187 offset0:36 offset1:37
	s_waitcnt vmcnt(27) lgkmcnt(2)
	v_fma_f64 v[144:145], -v[104:105], v[182:183], v[144:145]
	s_waitcnt vmcnt(26)
	v_fma_f64 v[100:101], -v[104:105], v[184:185], v[100:101]
	s_waitcnt vmcnt(25) lgkmcnt(1)
	v_fma_f64 v[142:143], -v[104:105], v[238:239], v[142:143]
	s_waitcnt vmcnt(24)
	v_fma_f64 v[98:99], -v[104:105], v[240:241], v[98:99]
	ds_read2_b64 v[182:185], v187 offset0:38 offset1:39
	ds_read2_b64 v[238:241], v187 offset0:40 offset1:41
	s_waitcnt vmcnt(23) lgkmcnt(2)
	v_fma_f64 v[140:141], -v[104:105], v[178:179], v[140:141]
	s_waitcnt vmcnt(22)
	v_fma_f64 v[96:97], -v[104:105], v[180:181], v[96:97]
	ds_read2_b64 v[178:181], v187 offset0:42 offset1:43
	s_waitcnt vmcnt(21) lgkmcnt(2)
	v_fma_f64 v[138:139], -v[104:105], v[182:183], v[138:139]
	s_waitcnt vmcnt(20)
	v_fma_f64 v[94:95], -v[104:105], v[184:185], v[94:95]
	s_waitcnt vmcnt(19) lgkmcnt(1)
	v_fma_f64 v[136:137], -v[104:105], v[238:239], v[136:137]
	s_waitcnt vmcnt(18)
	v_fma_f64 v[92:93], -v[104:105], v[240:241], v[92:93]
	s_waitcnt vmcnt(17) lgkmcnt(0)
	v_fma_f64 v[134:135], -v[104:105], v[178:179], v[134:135]
	s_waitcnt vmcnt(16)
	v_fma_f64 v[176:177], -v[104:105], v[180:181], v[176:177]
.LBB87_151:
	s_or_b64 exec, exec, s[2:3]
	v_cmp_eq_u32_e32 vcc, 30, v188
	s_waitcnt lgkmcnt(0)
	s_barrier
	s_and_saveexec_b64 s[2:3], vcc
	s_cbranch_execz .LBB87_154
; %bb.152:
	s_waitcnt vmcnt(29)
	ds_write_b64 v186, v[146:147]
	s_waitcnt vmcnt(27)
	ds_write2_b64 v187, v[102:103], v[144:145] offset0:31 offset1:32
	s_waitcnt vmcnt(25)
	ds_write2_b64 v187, v[100:101], v[142:143] offset0:33 offset1:34
	;; [unrolled: 2-line block ×6, first 2 shown]
	s_waitcnt vmcnt(16)
	ds_write_b64 v187, v[176:177] offset:344
	ds_read_b64 v[178:179], v186
	s_waitcnt lgkmcnt(0)
	v_cmp_neq_f64_e32 vcc, 0, v[178:179]
	s_and_b64 exec, exec, vcc
	s_cbranch_execz .LBB87_154
; %bb.153:
	v_div_scale_f64 v[180:181], s[6:7], v[178:179], v[178:179], 1.0
	v_rcp_f64_e32 v[182:183], v[180:181]
	v_div_scale_f64 v[184:185], vcc, 1.0, v[178:179], 1.0
	v_fma_f64 v[190:191], -v[180:181], v[182:183], 1.0
	v_fmac_f64_e32 v[182:183], v[182:183], v[190:191]
	v_fma_f64 v[190:191], -v[180:181], v[182:183], 1.0
	v_fmac_f64_e32 v[182:183], v[182:183], v[190:191]
	v_mul_f64 v[190:191], v[184:185], v[182:183]
	v_fma_f64 v[180:181], -v[180:181], v[190:191], v[184:185]
	v_div_fmas_f64 v[180:181], v[180:181], v[182:183], v[190:191]
	v_div_fixup_f64 v[178:179], v[180:181], v[178:179], 1.0
	ds_write_b64 v186, v[178:179]
.LBB87_154:
	s_or_b64 exec, exec, s[2:3]
	s_waitcnt lgkmcnt(0)
	s_barrier
	ds_read_b64 v[238:239], v186
	v_cmp_lt_u32_e32 vcc, 30, v188
	s_and_saveexec_b64 s[2:3], vcc
	s_cbranch_execz .LBB87_156
; %bb.155:
	ds_read2_b64 v[178:181], v187 offset0:31 offset1:32
	ds_read2_b64 v[182:185], v187 offset0:33 offset1:34
	s_waitcnt vmcnt(29) lgkmcnt(2)
	v_mul_f64 v[146:147], v[238:239], v[146:147]
	ds_read2_b64 v[240:243], v187 offset0:35 offset1:36
	s_waitcnt vmcnt(28) lgkmcnt(2)
	v_fma_f64 v[102:103], -v[146:147], v[178:179], v[102:103]
	s_waitcnt vmcnt(27)
	v_fma_f64 v[144:145], -v[146:147], v[180:181], v[144:145]
	ds_read2_b64 v[178:181], v187 offset0:37 offset1:38
	s_waitcnt vmcnt(26) lgkmcnt(2)
	v_fma_f64 v[100:101], -v[146:147], v[182:183], v[100:101]
	s_waitcnt vmcnt(25)
	v_fma_f64 v[142:143], -v[146:147], v[184:185], v[142:143]
	s_waitcnt vmcnt(24) lgkmcnt(1)
	v_fma_f64 v[98:99], -v[146:147], v[240:241], v[98:99]
	s_waitcnt vmcnt(23)
	v_fma_f64 v[140:141], -v[146:147], v[242:243], v[140:141]
	ds_read2_b64 v[182:185], v187 offset0:39 offset1:40
	ds_read2_b64 v[240:243], v187 offset0:41 offset1:42
	s_waitcnt vmcnt(22) lgkmcnt(2)
	v_fma_f64 v[96:97], -v[146:147], v[178:179], v[96:97]
	ds_read_b64 v[178:179], v187 offset:344
	s_waitcnt vmcnt(21)
	v_fma_f64 v[138:139], -v[146:147], v[180:181], v[138:139]
	s_waitcnt vmcnt(20) lgkmcnt(2)
	v_fma_f64 v[94:95], -v[146:147], v[182:183], v[94:95]
	s_waitcnt vmcnt(19)
	v_fma_f64 v[136:137], -v[146:147], v[184:185], v[136:137]
	s_waitcnt vmcnt(18) lgkmcnt(1)
	v_fma_f64 v[92:93], -v[146:147], v[240:241], v[92:93]
	;; [unrolled: 4-line block ×3, first 2 shown]
.LBB87_156:
	s_or_b64 exec, exec, s[2:3]
	v_cmp_eq_u32_e32 vcc, 31, v188
	s_waitcnt lgkmcnt(0)
	s_barrier
	s_and_saveexec_b64 s[2:3], vcc
	s_cbranch_execz .LBB87_159
; %bb.157:
	s_waitcnt vmcnt(27)
	v_mov_b32_e32 v178, v144
	v_mov_b32_e32 v179, v145
	s_waitcnt vmcnt(26)
	v_mov_b32_e32 v180, v100
	v_mov_b32_e32 v181, v101
	ds_write_b64 v186, v[102:103]
	ds_write2_b64 v187, v[178:179], v[180:181] offset0:32 offset1:33
	s_waitcnt vmcnt(25)
	v_mov_b32_e32 v178, v142
	v_mov_b32_e32 v179, v143
	s_waitcnt vmcnt(24)
	v_mov_b32_e32 v180, v98
	v_mov_b32_e32 v181, v99
	ds_write2_b64 v187, v[178:179], v[180:181] offset0:34 offset1:35
	s_waitcnt vmcnt(23)
	v_mov_b32_e32 v178, v140
	v_mov_b32_e32 v179, v141
	s_waitcnt vmcnt(22)
	v_mov_b32_e32 v180, v96
	v_mov_b32_e32 v181, v97
	;; [unrolled: 7-line block ×4, first 2 shown]
	ds_write2_b64 v187, v[178:179], v[180:181] offset0:40 offset1:41
	s_waitcnt vmcnt(17)
	v_mov_b32_e32 v178, v134
	v_mov_b32_e32 v179, v135
	s_waitcnt vmcnt(16)
	ds_write2_b64 v187, v[178:179], v[176:177] offset0:42 offset1:43
	ds_read_b64 v[178:179], v186
	s_waitcnt lgkmcnt(0)
	v_cmp_neq_f64_e32 vcc, 0, v[178:179]
	s_and_b64 exec, exec, vcc
	s_cbranch_execz .LBB87_159
; %bb.158:
	v_div_scale_f64 v[180:181], s[6:7], v[178:179], v[178:179], 1.0
	v_rcp_f64_e32 v[182:183], v[180:181]
	v_div_scale_f64 v[184:185], vcc, 1.0, v[178:179], 1.0
	v_fma_f64 v[190:191], -v[180:181], v[182:183], 1.0
	v_fmac_f64_e32 v[182:183], v[182:183], v[190:191]
	v_fma_f64 v[190:191], -v[180:181], v[182:183], 1.0
	v_fmac_f64_e32 v[182:183], v[182:183], v[190:191]
	v_mul_f64 v[190:191], v[184:185], v[182:183]
	v_fma_f64 v[180:181], -v[180:181], v[190:191], v[184:185]
	v_div_fmas_f64 v[180:181], v[180:181], v[182:183], v[190:191]
	v_div_fixup_f64 v[178:179], v[180:181], v[178:179], 1.0
	ds_write_b64 v186, v[178:179]
.LBB87_159:
	s_or_b64 exec, exec, s[2:3]
	s_waitcnt lgkmcnt(0)
	s_barrier
	ds_read_b64 v[240:241], v186
	v_cmp_lt_u32_e32 vcc, 31, v188
	s_and_saveexec_b64 s[2:3], vcc
	s_cbranch_execz .LBB87_161
; %bb.160:
	ds_read2_b64 v[178:181], v187 offset0:32 offset1:33
	s_waitcnt vmcnt(28) lgkmcnt(1)
	v_mul_f64 v[102:103], v[240:241], v[102:103]
	s_waitcnt vmcnt(27) lgkmcnt(0)
	v_fma_f64 v[144:145], -v[102:103], v[178:179], v[144:145]
	s_waitcnt vmcnt(26)
	v_fma_f64 v[100:101], -v[102:103], v[180:181], v[100:101]
	ds_read2_b64 v[178:181], v187 offset0:34 offset1:35
	s_waitcnt vmcnt(25) lgkmcnt(0)
	v_fma_f64 v[142:143], -v[102:103], v[178:179], v[142:143]
	s_waitcnt vmcnt(24)
	v_fma_f64 v[98:99], -v[102:103], v[180:181], v[98:99]
	ds_read2_b64 v[178:181], v187 offset0:36 offset1:37
	;; [unrolled: 5-line block ×5, first 2 shown]
	s_waitcnt vmcnt(17) lgkmcnt(0)
	v_fma_f64 v[134:135], -v[102:103], v[178:179], v[134:135]
	s_waitcnt vmcnt(16)
	v_fma_f64 v[176:177], -v[102:103], v[180:181], v[176:177]
.LBB87_161:
	s_or_b64 exec, exec, s[2:3]
	v_cmp_eq_u32_e32 vcc, 32, v188
	s_waitcnt lgkmcnt(0)
	s_barrier
	s_and_saveexec_b64 s[2:3], vcc
	s_cbranch_execz .LBB87_164
; %bb.162:
	s_waitcnt vmcnt(27)
	ds_write_b64 v186, v[144:145]
	s_waitcnt vmcnt(25)
	ds_write2_b64 v187, v[100:101], v[142:143] offset0:33 offset1:34
	s_waitcnt vmcnt(23)
	ds_write2_b64 v187, v[98:99], v[140:141] offset0:35 offset1:36
	;; [unrolled: 2-line block ×5, first 2 shown]
	s_waitcnt vmcnt(16)
	ds_write_b64 v187, v[176:177] offset:344
	ds_read_b64 v[178:179], v186
	s_waitcnt lgkmcnt(0)
	v_cmp_neq_f64_e32 vcc, 0, v[178:179]
	s_and_b64 exec, exec, vcc
	s_cbranch_execz .LBB87_164
; %bb.163:
	v_div_scale_f64 v[180:181], s[6:7], v[178:179], v[178:179], 1.0
	v_rcp_f64_e32 v[182:183], v[180:181]
	v_div_scale_f64 v[184:185], vcc, 1.0, v[178:179], 1.0
	v_fma_f64 v[190:191], -v[180:181], v[182:183], 1.0
	v_fmac_f64_e32 v[182:183], v[182:183], v[190:191]
	v_fma_f64 v[190:191], -v[180:181], v[182:183], 1.0
	v_fmac_f64_e32 v[182:183], v[182:183], v[190:191]
	v_mul_f64 v[190:191], v[184:185], v[182:183]
	v_fma_f64 v[180:181], -v[180:181], v[190:191], v[184:185]
	v_div_fmas_f64 v[180:181], v[180:181], v[182:183], v[190:191]
	v_div_fixup_f64 v[178:179], v[180:181], v[178:179], 1.0
	ds_write_b64 v186, v[178:179]
.LBB87_164:
	s_or_b64 exec, exec, s[2:3]
	s_waitcnt lgkmcnt(0)
	s_barrier
	ds_read_b64 v[242:243], v186
	v_cmp_lt_u32_e32 vcc, 32, v188
	s_and_saveexec_b64 s[2:3], vcc
	s_cbranch_execz .LBB87_166
; %bb.165:
	ds_read2_b64 v[178:181], v187 offset0:33 offset1:34
	s_waitcnt vmcnt(27) lgkmcnt(1)
	v_mul_f64 v[144:145], v[242:243], v[144:145]
	s_waitcnt vmcnt(26) lgkmcnt(0)
	v_fma_f64 v[100:101], -v[144:145], v[178:179], v[100:101]
	s_waitcnt vmcnt(25)
	v_fma_f64 v[142:143], -v[144:145], v[180:181], v[142:143]
	ds_read2_b64 v[178:181], v187 offset0:35 offset1:36
	s_waitcnt vmcnt(24) lgkmcnt(0)
	v_fma_f64 v[98:99], -v[144:145], v[178:179], v[98:99]
	s_waitcnt vmcnt(23)
	v_fma_f64 v[140:141], -v[144:145], v[180:181], v[140:141]
	ds_read2_b64 v[178:181], v187 offset0:37 offset1:38
	;; [unrolled: 5-line block ×4, first 2 shown]
	s_waitcnt vmcnt(18) lgkmcnt(0)
	v_fma_f64 v[92:93], -v[144:145], v[178:179], v[92:93]
	ds_read_b64 v[178:179], v187 offset:344
	s_waitcnt vmcnt(17)
	v_fma_f64 v[134:135], -v[144:145], v[180:181], v[134:135]
	s_waitcnt vmcnt(16) lgkmcnt(0)
	v_fma_f64 v[176:177], -v[144:145], v[178:179], v[176:177]
.LBB87_166:
	s_or_b64 exec, exec, s[2:3]
	v_cmp_eq_u32_e32 vcc, 33, v188
	s_waitcnt lgkmcnt(0)
	s_barrier
	s_and_saveexec_b64 s[2:3], vcc
	s_cbranch_execz .LBB87_169
; %bb.167:
	s_waitcnt vmcnt(25)
	v_mov_b32_e32 v178, v142
	v_mov_b32_e32 v179, v143
	s_waitcnt vmcnt(24)
	v_mov_b32_e32 v180, v98
	v_mov_b32_e32 v181, v99
	ds_write_b64 v186, v[100:101]
	ds_write2_b64 v187, v[178:179], v[180:181] offset0:34 offset1:35
	s_waitcnt vmcnt(23)
	v_mov_b32_e32 v178, v140
	v_mov_b32_e32 v179, v141
	s_waitcnt vmcnt(22)
	v_mov_b32_e32 v180, v96
	v_mov_b32_e32 v181, v97
	ds_write2_b64 v187, v[178:179], v[180:181] offset0:36 offset1:37
	s_waitcnt vmcnt(21)
	v_mov_b32_e32 v178, v138
	v_mov_b32_e32 v179, v139
	s_waitcnt vmcnt(20)
	v_mov_b32_e32 v180, v94
	v_mov_b32_e32 v181, v95
	;; [unrolled: 7-line block ×3, first 2 shown]
	ds_write2_b64 v187, v[178:179], v[180:181] offset0:40 offset1:41
	s_waitcnt vmcnt(17)
	v_mov_b32_e32 v178, v134
	v_mov_b32_e32 v179, v135
	s_waitcnt vmcnt(16)
	ds_write2_b64 v187, v[178:179], v[176:177] offset0:42 offset1:43
	ds_read_b64 v[178:179], v186
	s_waitcnt lgkmcnt(0)
	v_cmp_neq_f64_e32 vcc, 0, v[178:179]
	s_and_b64 exec, exec, vcc
	s_cbranch_execz .LBB87_169
; %bb.168:
	v_div_scale_f64 v[180:181], s[6:7], v[178:179], v[178:179], 1.0
	v_rcp_f64_e32 v[182:183], v[180:181]
	v_div_scale_f64 v[184:185], vcc, 1.0, v[178:179], 1.0
	v_fma_f64 v[190:191], -v[180:181], v[182:183], 1.0
	v_fmac_f64_e32 v[182:183], v[182:183], v[190:191]
	v_fma_f64 v[190:191], -v[180:181], v[182:183], 1.0
	v_fmac_f64_e32 v[182:183], v[182:183], v[190:191]
	v_mul_f64 v[190:191], v[184:185], v[182:183]
	v_fma_f64 v[180:181], -v[180:181], v[190:191], v[184:185]
	v_div_fmas_f64 v[180:181], v[180:181], v[182:183], v[190:191]
	v_div_fixup_f64 v[178:179], v[180:181], v[178:179], 1.0
	ds_write_b64 v186, v[178:179]
.LBB87_169:
	s_or_b64 exec, exec, s[2:3]
	s_waitcnt lgkmcnt(0)
	s_barrier
	ds_read_b64 v[244:245], v186
	v_cmp_lt_u32_e32 vcc, 33, v188
	s_and_saveexec_b64 s[2:3], vcc
	s_cbranch_execz .LBB87_171
; %bb.170:
	ds_read2_b64 v[178:181], v187 offset0:34 offset1:35
	s_waitcnt vmcnt(26) lgkmcnt(1)
	v_mul_f64 v[100:101], v[244:245], v[100:101]
	s_waitcnt vmcnt(25) lgkmcnt(0)
	v_fma_f64 v[142:143], -v[100:101], v[178:179], v[142:143]
	s_waitcnt vmcnt(24)
	v_fma_f64 v[98:99], -v[100:101], v[180:181], v[98:99]
	ds_read2_b64 v[178:181], v187 offset0:36 offset1:37
	s_waitcnt vmcnt(23) lgkmcnt(0)
	v_fma_f64 v[140:141], -v[100:101], v[178:179], v[140:141]
	s_waitcnt vmcnt(22)
	v_fma_f64 v[96:97], -v[100:101], v[180:181], v[96:97]
	ds_read2_b64 v[178:181], v187 offset0:38 offset1:39
	s_waitcnt vmcnt(21) lgkmcnt(0)
	v_fma_f64 v[138:139], -v[100:101], v[178:179], v[138:139]
	s_waitcnt vmcnt(20)
	v_fma_f64 v[94:95], -v[100:101], v[180:181], v[94:95]
	ds_read2_b64 v[178:181], v187 offset0:40 offset1:41
	s_waitcnt vmcnt(19) lgkmcnt(0)
	v_fma_f64 v[136:137], -v[100:101], v[178:179], v[136:137]
	s_waitcnt vmcnt(18)
	v_fma_f64 v[92:93], -v[100:101], v[180:181], v[92:93]
	ds_read2_b64 v[178:181], v187 offset0:42 offset1:43
	s_waitcnt vmcnt(17) lgkmcnt(0)
	v_fma_f64 v[134:135], -v[100:101], v[178:179], v[134:135]
	s_waitcnt vmcnt(16)
	v_fma_f64 v[176:177], -v[100:101], v[180:181], v[176:177]
.LBB87_171:
	s_or_b64 exec, exec, s[2:3]
	v_cmp_eq_u32_e32 vcc, 34, v188
	s_waitcnt lgkmcnt(0)
	s_barrier
	s_and_saveexec_b64 s[2:3], vcc
	s_cbranch_execz .LBB87_174
; %bb.172:
	s_waitcnt vmcnt(25)
	ds_write_b64 v186, v[142:143]
	s_waitcnt vmcnt(23)
	ds_write2_b64 v187, v[98:99], v[140:141] offset0:35 offset1:36
	s_waitcnt vmcnt(21)
	ds_write2_b64 v187, v[96:97], v[138:139] offset0:37 offset1:38
	;; [unrolled: 2-line block ×4, first 2 shown]
	s_waitcnt vmcnt(16)
	ds_write_b64 v187, v[176:177] offset:344
	ds_read_b64 v[178:179], v186
	s_waitcnt lgkmcnt(0)
	v_cmp_neq_f64_e32 vcc, 0, v[178:179]
	s_and_b64 exec, exec, vcc
	s_cbranch_execz .LBB87_174
; %bb.173:
	v_div_scale_f64 v[180:181], s[6:7], v[178:179], v[178:179], 1.0
	v_rcp_f64_e32 v[182:183], v[180:181]
	v_div_scale_f64 v[184:185], vcc, 1.0, v[178:179], 1.0
	v_fma_f64 v[190:191], -v[180:181], v[182:183], 1.0
	v_fmac_f64_e32 v[182:183], v[182:183], v[190:191]
	v_fma_f64 v[190:191], -v[180:181], v[182:183], 1.0
	v_fmac_f64_e32 v[182:183], v[182:183], v[190:191]
	v_mul_f64 v[190:191], v[184:185], v[182:183]
	v_fma_f64 v[180:181], -v[180:181], v[190:191], v[184:185]
	v_div_fmas_f64 v[180:181], v[180:181], v[182:183], v[190:191]
	v_div_fixup_f64 v[178:179], v[180:181], v[178:179], 1.0
	ds_write_b64 v186, v[178:179]
.LBB87_174:
	s_or_b64 exec, exec, s[2:3]
	s_waitcnt lgkmcnt(0)
	s_barrier
	ds_read_b64 v[246:247], v186
	v_cmp_lt_u32_e32 vcc, 34, v188
	s_and_saveexec_b64 s[2:3], vcc
	s_cbranch_execz .LBB87_176
; %bb.175:
	ds_read2_b64 v[178:181], v187 offset0:35 offset1:36
	s_waitcnt vmcnt(25) lgkmcnt(1)
	v_mul_f64 v[142:143], v[246:247], v[142:143]
	s_waitcnt vmcnt(24) lgkmcnt(0)
	v_fma_f64 v[98:99], -v[142:143], v[178:179], v[98:99]
	s_waitcnt vmcnt(23)
	v_fma_f64 v[140:141], -v[142:143], v[180:181], v[140:141]
	ds_read2_b64 v[178:181], v187 offset0:37 offset1:38
	s_waitcnt vmcnt(22) lgkmcnt(0)
	v_fma_f64 v[96:97], -v[142:143], v[178:179], v[96:97]
	s_waitcnt vmcnt(21)
	v_fma_f64 v[138:139], -v[142:143], v[180:181], v[138:139]
	ds_read2_b64 v[178:181], v187 offset0:39 offset1:40
	;; [unrolled: 5-line block ×3, first 2 shown]
	s_waitcnt vmcnt(18) lgkmcnt(0)
	v_fma_f64 v[92:93], -v[142:143], v[178:179], v[92:93]
	ds_read_b64 v[178:179], v187 offset:344
	s_waitcnt vmcnt(17)
	v_fma_f64 v[134:135], -v[142:143], v[180:181], v[134:135]
	s_waitcnt vmcnt(16) lgkmcnt(0)
	v_fma_f64 v[176:177], -v[142:143], v[178:179], v[176:177]
.LBB87_176:
	s_or_b64 exec, exec, s[2:3]
	v_cmp_eq_u32_e32 vcc, 35, v188
	s_waitcnt lgkmcnt(0)
	s_barrier
	s_and_saveexec_b64 s[2:3], vcc
	s_cbranch_execz .LBB87_179
; %bb.177:
	s_waitcnt vmcnt(23)
	v_mov_b32_e32 v178, v140
	v_mov_b32_e32 v179, v141
	s_waitcnt vmcnt(22)
	v_mov_b32_e32 v180, v96
	v_mov_b32_e32 v181, v97
	ds_write_b64 v186, v[98:99]
	ds_write2_b64 v187, v[178:179], v[180:181] offset0:36 offset1:37
	s_waitcnt vmcnt(21)
	v_mov_b32_e32 v178, v138
	v_mov_b32_e32 v179, v139
	s_waitcnt vmcnt(20)
	v_mov_b32_e32 v180, v94
	v_mov_b32_e32 v181, v95
	ds_write2_b64 v187, v[178:179], v[180:181] offset0:38 offset1:39
	s_waitcnt vmcnt(19)
	v_mov_b32_e32 v178, v136
	v_mov_b32_e32 v179, v137
	s_waitcnt vmcnt(18)
	v_mov_b32_e32 v180, v92
	v_mov_b32_e32 v181, v93
	ds_write2_b64 v187, v[178:179], v[180:181] offset0:40 offset1:41
	s_waitcnt vmcnt(17)
	v_mov_b32_e32 v178, v134
	v_mov_b32_e32 v179, v135
	s_waitcnt vmcnt(16)
	ds_write2_b64 v187, v[178:179], v[176:177] offset0:42 offset1:43
	ds_read_b64 v[178:179], v186
	s_waitcnt lgkmcnt(0)
	v_cmp_neq_f64_e32 vcc, 0, v[178:179]
	s_and_b64 exec, exec, vcc
	s_cbranch_execz .LBB87_179
; %bb.178:
	v_div_scale_f64 v[180:181], s[6:7], v[178:179], v[178:179], 1.0
	v_rcp_f64_e32 v[182:183], v[180:181]
	v_div_scale_f64 v[184:185], vcc, 1.0, v[178:179], 1.0
	v_fma_f64 v[190:191], -v[180:181], v[182:183], 1.0
	v_fmac_f64_e32 v[182:183], v[182:183], v[190:191]
	v_fma_f64 v[190:191], -v[180:181], v[182:183], 1.0
	v_fmac_f64_e32 v[182:183], v[182:183], v[190:191]
	v_mul_f64 v[190:191], v[184:185], v[182:183]
	v_fma_f64 v[180:181], -v[180:181], v[190:191], v[184:185]
	v_div_fmas_f64 v[180:181], v[180:181], v[182:183], v[190:191]
	v_div_fixup_f64 v[178:179], v[180:181], v[178:179], 1.0
	ds_write_b64 v186, v[178:179]
.LBB87_179:
	s_or_b64 exec, exec, s[2:3]
	s_waitcnt lgkmcnt(0)
	s_barrier
	ds_read_b64 v[248:249], v186
	v_cmp_lt_u32_e32 vcc, 35, v188
	s_and_saveexec_b64 s[2:3], vcc
	s_cbranch_execz .LBB87_181
; %bb.180:
	ds_read2_b64 v[178:181], v187 offset0:36 offset1:37
	s_waitcnt vmcnt(24) lgkmcnt(1)
	v_mul_f64 v[98:99], v[248:249], v[98:99]
	s_waitcnt vmcnt(23) lgkmcnt(0)
	v_fma_f64 v[140:141], -v[98:99], v[178:179], v[140:141]
	s_waitcnt vmcnt(22)
	v_fma_f64 v[96:97], -v[98:99], v[180:181], v[96:97]
	ds_read2_b64 v[178:181], v187 offset0:38 offset1:39
	s_waitcnt vmcnt(21) lgkmcnt(0)
	v_fma_f64 v[138:139], -v[98:99], v[178:179], v[138:139]
	s_waitcnt vmcnt(20)
	v_fma_f64 v[94:95], -v[98:99], v[180:181], v[94:95]
	ds_read2_b64 v[178:181], v187 offset0:40 offset1:41
	s_waitcnt vmcnt(19) lgkmcnt(0)
	v_fma_f64 v[136:137], -v[98:99], v[178:179], v[136:137]
	s_waitcnt vmcnt(18)
	v_fma_f64 v[92:93], -v[98:99], v[180:181], v[92:93]
	ds_read2_b64 v[178:181], v187 offset0:42 offset1:43
	s_waitcnt vmcnt(17) lgkmcnt(0)
	v_fma_f64 v[134:135], -v[98:99], v[178:179], v[134:135]
	s_waitcnt vmcnt(16)
	v_fma_f64 v[176:177], -v[98:99], v[180:181], v[176:177]
.LBB87_181:
	s_or_b64 exec, exec, s[2:3]
	v_cmp_eq_u32_e32 vcc, 36, v188
	s_waitcnt lgkmcnt(0)
	s_barrier
	s_and_saveexec_b64 s[2:3], vcc
	s_cbranch_execz .LBB87_184
; %bb.182:
	s_waitcnt vmcnt(23)
	ds_write_b64 v186, v[140:141]
	s_waitcnt vmcnt(21)
	ds_write2_b64 v187, v[96:97], v[138:139] offset0:37 offset1:38
	s_waitcnt vmcnt(19)
	ds_write2_b64 v187, v[94:95], v[136:137] offset0:39 offset1:40
	;; [unrolled: 2-line block ×3, first 2 shown]
	s_waitcnt vmcnt(16)
	ds_write_b64 v187, v[176:177] offset:344
	ds_read_b64 v[178:179], v186
	s_waitcnt lgkmcnt(0)
	v_cmp_neq_f64_e32 vcc, 0, v[178:179]
	s_and_b64 exec, exec, vcc
	s_cbranch_execz .LBB87_184
; %bb.183:
	v_div_scale_f64 v[180:181], s[6:7], v[178:179], v[178:179], 1.0
	v_rcp_f64_e32 v[182:183], v[180:181]
	v_div_scale_f64 v[184:185], vcc, 1.0, v[178:179], 1.0
	v_fma_f64 v[190:191], -v[180:181], v[182:183], 1.0
	v_fmac_f64_e32 v[182:183], v[182:183], v[190:191]
	v_fma_f64 v[190:191], -v[180:181], v[182:183], 1.0
	v_fmac_f64_e32 v[182:183], v[182:183], v[190:191]
	v_mul_f64 v[190:191], v[184:185], v[182:183]
	v_fma_f64 v[180:181], -v[180:181], v[190:191], v[184:185]
	v_div_fmas_f64 v[180:181], v[180:181], v[182:183], v[190:191]
	v_div_fixup_f64 v[178:179], v[180:181], v[178:179], 1.0
	ds_write_b64 v186, v[178:179]
.LBB87_184:
	s_or_b64 exec, exec, s[2:3]
	s_waitcnt lgkmcnt(0)
	s_barrier
	ds_read_b64 v[250:251], v186
	v_cmp_lt_u32_e32 vcc, 36, v188
	s_and_saveexec_b64 s[2:3], vcc
	s_cbranch_execz .LBB87_186
; %bb.185:
	ds_read2_b64 v[178:181], v187 offset0:37 offset1:38
	s_waitcnt vmcnt(23) lgkmcnt(1)
	v_mul_f64 v[140:141], v[250:251], v[140:141]
	s_waitcnt vmcnt(22) lgkmcnt(0)
	v_fma_f64 v[96:97], -v[140:141], v[178:179], v[96:97]
	s_waitcnt vmcnt(21)
	v_fma_f64 v[138:139], -v[140:141], v[180:181], v[138:139]
	ds_read2_b64 v[178:181], v187 offset0:39 offset1:40
	s_waitcnt vmcnt(20) lgkmcnt(0)
	v_fma_f64 v[94:95], -v[140:141], v[178:179], v[94:95]
	s_waitcnt vmcnt(19)
	v_fma_f64 v[136:137], -v[140:141], v[180:181], v[136:137]
	ds_read2_b64 v[178:181], v187 offset0:41 offset1:42
	s_waitcnt vmcnt(18) lgkmcnt(0)
	v_fma_f64 v[92:93], -v[140:141], v[178:179], v[92:93]
	ds_read_b64 v[178:179], v187 offset:344
	s_waitcnt vmcnt(17)
	v_fma_f64 v[134:135], -v[140:141], v[180:181], v[134:135]
	s_waitcnt vmcnt(16) lgkmcnt(0)
	v_fma_f64 v[176:177], -v[140:141], v[178:179], v[176:177]
.LBB87_186:
	s_or_b64 exec, exec, s[2:3]
	v_cmp_eq_u32_e32 vcc, 37, v188
	s_waitcnt lgkmcnt(0)
	s_barrier
	s_and_saveexec_b64 s[2:3], vcc
	s_cbranch_execz .LBB87_189
; %bb.187:
	s_waitcnt vmcnt(21)
	v_mov_b32_e32 v178, v138
	v_mov_b32_e32 v179, v139
	s_waitcnt vmcnt(20)
	v_mov_b32_e32 v180, v94
	v_mov_b32_e32 v181, v95
	ds_write_b64 v186, v[96:97]
	ds_write2_b64 v187, v[178:179], v[180:181] offset0:38 offset1:39
	s_waitcnt vmcnt(19)
	v_mov_b32_e32 v178, v136
	v_mov_b32_e32 v179, v137
	s_waitcnt vmcnt(18)
	v_mov_b32_e32 v180, v92
	v_mov_b32_e32 v181, v93
	ds_write2_b64 v187, v[178:179], v[180:181] offset0:40 offset1:41
	s_waitcnt vmcnt(17)
	v_mov_b32_e32 v178, v134
	v_mov_b32_e32 v179, v135
	s_waitcnt vmcnt(16)
	ds_write2_b64 v187, v[178:179], v[176:177] offset0:42 offset1:43
	ds_read_b64 v[178:179], v186
	s_waitcnt lgkmcnt(0)
	v_cmp_neq_f64_e32 vcc, 0, v[178:179]
	s_and_b64 exec, exec, vcc
	s_cbranch_execz .LBB87_189
; %bb.188:
	v_div_scale_f64 v[180:181], s[6:7], v[178:179], v[178:179], 1.0
	v_rcp_f64_e32 v[182:183], v[180:181]
	v_div_scale_f64 v[184:185], vcc, 1.0, v[178:179], 1.0
	v_fma_f64 v[190:191], -v[180:181], v[182:183], 1.0
	v_fmac_f64_e32 v[182:183], v[182:183], v[190:191]
	v_fma_f64 v[190:191], -v[180:181], v[182:183], 1.0
	v_fmac_f64_e32 v[182:183], v[182:183], v[190:191]
	v_mul_f64 v[190:191], v[184:185], v[182:183]
	v_fma_f64 v[180:181], -v[180:181], v[190:191], v[184:185]
	v_div_fmas_f64 v[180:181], v[180:181], v[182:183], v[190:191]
	v_div_fixup_f64 v[178:179], v[180:181], v[178:179], 1.0
	ds_write_b64 v186, v[178:179]
.LBB87_189:
	s_or_b64 exec, exec, s[2:3]
	s_waitcnt lgkmcnt(0)
	s_barrier
	ds_read_b64 v[252:253], v186
	v_cmp_lt_u32_e32 vcc, 37, v188
	s_and_saveexec_b64 s[2:3], vcc
	s_cbranch_execz .LBB87_191
; %bb.190:
	ds_read2_b64 v[178:181], v187 offset0:38 offset1:39
	s_waitcnt vmcnt(22) lgkmcnt(1)
	v_mul_f64 v[96:97], v[252:253], v[96:97]
	s_waitcnt vmcnt(21) lgkmcnt(0)
	v_fma_f64 v[138:139], -v[96:97], v[178:179], v[138:139]
	s_waitcnt vmcnt(20)
	v_fma_f64 v[94:95], -v[96:97], v[180:181], v[94:95]
	ds_read2_b64 v[178:181], v187 offset0:40 offset1:41
	s_waitcnt vmcnt(19) lgkmcnt(0)
	v_fma_f64 v[136:137], -v[96:97], v[178:179], v[136:137]
	s_waitcnt vmcnt(18)
	v_fma_f64 v[92:93], -v[96:97], v[180:181], v[92:93]
	ds_read2_b64 v[178:181], v187 offset0:42 offset1:43
	s_waitcnt vmcnt(17) lgkmcnt(0)
	v_fma_f64 v[134:135], -v[96:97], v[178:179], v[134:135]
	s_waitcnt vmcnt(16)
	v_fma_f64 v[176:177], -v[96:97], v[180:181], v[176:177]
.LBB87_191:
	s_or_b64 exec, exec, s[2:3]
	v_cmp_eq_u32_e32 vcc, 38, v188
	s_waitcnt lgkmcnt(0)
	s_barrier
	s_and_saveexec_b64 s[2:3], vcc
	s_cbranch_execz .LBB87_194
; %bb.192:
	s_waitcnt vmcnt(21)
	ds_write_b64 v186, v[138:139]
	s_waitcnt vmcnt(19)
	ds_write2_b64 v187, v[94:95], v[136:137] offset0:39 offset1:40
	s_waitcnt vmcnt(17)
	ds_write2_b64 v187, v[92:93], v[134:135] offset0:41 offset1:42
	s_waitcnt vmcnt(16)
	ds_write_b64 v187, v[176:177] offset:344
	ds_read_b64 v[178:179], v186
	s_waitcnt lgkmcnt(0)
	v_cmp_neq_f64_e32 vcc, 0, v[178:179]
	s_and_b64 exec, exec, vcc
	s_cbranch_execz .LBB87_194
; %bb.193:
	v_div_scale_f64 v[180:181], s[6:7], v[178:179], v[178:179], 1.0
	v_rcp_f64_e32 v[182:183], v[180:181]
	v_div_scale_f64 v[184:185], vcc, 1.0, v[178:179], 1.0
	v_fma_f64 v[190:191], -v[180:181], v[182:183], 1.0
	v_fmac_f64_e32 v[182:183], v[182:183], v[190:191]
	v_fma_f64 v[190:191], -v[180:181], v[182:183], 1.0
	v_fmac_f64_e32 v[182:183], v[182:183], v[190:191]
	v_mul_f64 v[190:191], v[184:185], v[182:183]
	v_fma_f64 v[180:181], -v[180:181], v[190:191], v[184:185]
	v_div_fmas_f64 v[180:181], v[180:181], v[182:183], v[190:191]
	v_div_fixup_f64 v[178:179], v[180:181], v[178:179], 1.0
	ds_write_b64 v186, v[178:179]
.LBB87_194:
	s_or_b64 exec, exec, s[2:3]
	s_waitcnt lgkmcnt(0)
	s_barrier
	ds_read_b64 v[254:255], v186
	v_cmp_lt_u32_e32 vcc, 38, v188
	s_and_saveexec_b64 s[2:3], vcc
	s_cbranch_execz .LBB87_196
; %bb.195:
	ds_read2_b64 v[178:181], v187 offset0:39 offset1:40
	s_waitcnt vmcnt(21) lgkmcnt(1)
	v_mul_f64 v[138:139], v[254:255], v[138:139]
	s_waitcnt vmcnt(20) lgkmcnt(0)
	v_fma_f64 v[94:95], -v[138:139], v[178:179], v[94:95]
	s_waitcnt vmcnt(19)
	v_fma_f64 v[136:137], -v[138:139], v[180:181], v[136:137]
	ds_read2_b64 v[178:181], v187 offset0:41 offset1:42
	s_waitcnt vmcnt(18) lgkmcnt(0)
	v_fma_f64 v[92:93], -v[138:139], v[178:179], v[92:93]
	ds_read_b64 v[178:179], v187 offset:344
	s_waitcnt vmcnt(17)
	v_fma_f64 v[134:135], -v[138:139], v[180:181], v[134:135]
	s_waitcnt vmcnt(16) lgkmcnt(0)
	v_fma_f64 v[176:177], -v[138:139], v[178:179], v[176:177]
.LBB87_196:
	s_or_b64 exec, exec, s[2:3]
	v_cmp_eq_u32_e32 vcc, 39, v188
	s_waitcnt lgkmcnt(0)
	s_barrier
	s_and_saveexec_b64 s[2:3], vcc
	s_cbranch_execz .LBB87_199
; %bb.197:
	s_waitcnt vmcnt(19)
	v_mov_b32_e32 v178, v136
	v_mov_b32_e32 v179, v137
	s_waitcnt vmcnt(18)
	v_mov_b32_e32 v180, v92
	v_mov_b32_e32 v181, v93
	ds_write_b64 v186, v[94:95]
	ds_write2_b64 v187, v[178:179], v[180:181] offset0:40 offset1:41
	s_waitcnt vmcnt(17)
	v_mov_b32_e32 v178, v134
	v_mov_b32_e32 v179, v135
	s_waitcnt vmcnt(16)
	ds_write2_b64 v187, v[178:179], v[176:177] offset0:42 offset1:43
	ds_read_b64 v[178:179], v186
	s_waitcnt lgkmcnt(0)
	v_cmp_neq_f64_e32 vcc, 0, v[178:179]
	s_and_b64 exec, exec, vcc
	s_cbranch_execz .LBB87_199
; %bb.198:
	v_div_scale_f64 v[180:181], s[6:7], v[178:179], v[178:179], 1.0
	v_rcp_f64_e32 v[182:183], v[180:181]
	v_div_scale_f64 v[184:185], vcc, 1.0, v[178:179], 1.0
	v_fma_f64 v[190:191], -v[180:181], v[182:183], 1.0
	v_fmac_f64_e32 v[182:183], v[182:183], v[190:191]
	v_fma_f64 v[190:191], -v[180:181], v[182:183], 1.0
	v_fmac_f64_e32 v[182:183], v[182:183], v[190:191]
	v_mul_f64 v[190:191], v[184:185], v[182:183]
	v_fma_f64 v[180:181], -v[180:181], v[190:191], v[184:185]
	v_div_fmas_f64 v[180:181], v[180:181], v[182:183], v[190:191]
	v_div_fixup_f64 v[178:179], v[180:181], v[178:179], 1.0
	ds_write_b64 v186, v[178:179]
.LBB87_199:
	s_or_b64 exec, exec, s[2:3]
	s_waitcnt lgkmcnt(0)
	s_barrier
	ds_read_b64 v[178:179], v186
	v_cmp_lt_u32_e32 vcc, 39, v188
	s_and_saveexec_b64 s[2:3], vcc
	s_cbranch_execz .LBB87_201
; %bb.200:
	ds_read2_b64 v[180:183], v187 offset0:40 offset1:41
	s_waitcnt vmcnt(20) lgkmcnt(1)
	v_mul_f64 v[94:95], v[178:179], v[94:95]
	s_waitcnt vmcnt(19) lgkmcnt(0)
	v_fma_f64 v[136:137], -v[94:95], v[180:181], v[136:137]
	s_waitcnt vmcnt(18)
	v_fma_f64 v[92:93], -v[94:95], v[182:183], v[92:93]
	ds_read2_b64 v[180:183], v187 offset0:42 offset1:43
	s_waitcnt vmcnt(17) lgkmcnt(0)
	v_fma_f64 v[134:135], -v[94:95], v[180:181], v[134:135]
	s_waitcnt vmcnt(16)
	v_fma_f64 v[176:177], -v[94:95], v[182:183], v[176:177]
.LBB87_201:
	s_or_b64 exec, exec, s[2:3]
	v_cmp_eq_u32_e32 vcc, 40, v188
	s_waitcnt lgkmcnt(0)
	s_barrier
	s_and_saveexec_b64 s[2:3], vcc
	s_cbranch_execz .LBB87_204
; %bb.202:
	s_waitcnt vmcnt(19)
	ds_write_b64 v186, v[136:137]
	s_waitcnt vmcnt(17)
	ds_write2_b64 v187, v[92:93], v[134:135] offset0:41 offset1:42
	s_waitcnt vmcnt(16)
	ds_write_b64 v187, v[176:177] offset:344
	ds_read_b64 v[180:181], v186
	s_waitcnt lgkmcnt(0)
	v_cmp_neq_f64_e32 vcc, 0, v[180:181]
	s_and_b64 exec, exec, vcc
	s_cbranch_execz .LBB87_204
; %bb.203:
	v_div_scale_f64 v[182:183], s[6:7], v[180:181], v[180:181], 1.0
	v_rcp_f64_e32 v[184:185], v[182:183]
	v_div_scale_f64 v[190:191], vcc, 1.0, v[180:181], 1.0
	v_fma_f64 v[192:193], -v[182:183], v[184:185], 1.0
	v_fmac_f64_e32 v[184:185], v[184:185], v[192:193]
	v_fma_f64 v[192:193], -v[182:183], v[184:185], 1.0
	v_fmac_f64_e32 v[184:185], v[184:185], v[192:193]
	v_mul_f64 v[192:193], v[190:191], v[184:185]
	v_fma_f64 v[182:183], -v[182:183], v[192:193], v[190:191]
	v_div_fmas_f64 v[182:183], v[182:183], v[184:185], v[192:193]
	v_div_fixup_f64 v[180:181], v[182:183], v[180:181], 1.0
	ds_write_b64 v186, v[180:181]
.LBB87_204:
	s_or_b64 exec, exec, s[2:3]
	s_waitcnt lgkmcnt(0)
	s_barrier
	ds_read_b64 v[180:181], v186
	v_cmp_lt_u32_e32 vcc, 40, v188
	s_and_saveexec_b64 s[2:3], vcc
	s_cbranch_execz .LBB87_206
; %bb.205:
	ds_read2_b64 v[182:185], v187 offset0:41 offset1:42
	s_waitcnt vmcnt(19) lgkmcnt(1)
	v_mul_f64 v[136:137], v[180:181], v[136:137]
	s_waitcnt vmcnt(18) lgkmcnt(0)
	v_fma_f64 v[92:93], -v[136:137], v[182:183], v[92:93]
	ds_read_b64 v[182:183], v187 offset:344
	s_waitcnt vmcnt(17)
	v_fma_f64 v[134:135], -v[136:137], v[184:185], v[134:135]
	s_waitcnt vmcnt(16) lgkmcnt(0)
	v_fma_f64 v[176:177], -v[136:137], v[182:183], v[176:177]
.LBB87_206:
	s_or_b64 exec, exec, s[2:3]
	v_cmp_eq_u32_e32 vcc, 41, v188
	s_waitcnt lgkmcnt(0)
	s_barrier
	s_and_saveexec_b64 s[2:3], vcc
	s_cbranch_execz .LBB87_209
; %bb.207:
	s_waitcnt vmcnt(17)
	v_mov_b32_e32 v182, v134
	v_mov_b32_e32 v183, v135
	ds_write_b64 v186, v[92:93]
	s_waitcnt vmcnt(16)
	ds_write2_b64 v187, v[182:183], v[176:177] offset0:42 offset1:43
	ds_read_b64 v[182:183], v186
	s_waitcnt lgkmcnt(0)
	v_cmp_neq_f64_e32 vcc, 0, v[182:183]
	s_and_b64 exec, exec, vcc
	s_cbranch_execz .LBB87_209
; %bb.208:
	v_div_scale_f64 v[184:185], s[6:7], v[182:183], v[182:183], 1.0
	v_rcp_f64_e32 v[190:191], v[184:185]
	v_pk_mov_b32 v[210:211], v[208:209], v[208:209] op_sel:[0,1]
	v_pk_mov_b32 v[208:209], v[206:207], v[206:207] op_sel:[0,1]
	v_pk_mov_b32 v[206:207], v[204:205], v[204:205] op_sel:[0,1]
	v_pk_mov_b32 v[204:205], v[202:203], v[202:203] op_sel:[0,1]
	v_pk_mov_b32 v[202:203], v[200:201], v[200:201] op_sel:[0,1]
	v_pk_mov_b32 v[200:201], v[2:3], v[2:3] op_sel:[0,1]
	v_pk_mov_b32 v[2:3], v[198:199], v[198:199] op_sel:[0,1]
	v_pk_mov_b32 v[198:199], v[196:197], v[196:197] op_sel:[0,1]
	v_pk_mov_b32 v[196:197], v[194:195], v[194:195] op_sel:[0,1]
	v_fma_f64 v[194:195], -v[184:185], v[190:191], 1.0
	v_fmac_f64_e32 v[190:191], v[190:191], v[194:195]
	v_fma_f64 v[194:195], -v[184:185], v[190:191], 1.0
	v_div_scale_f64 v[192:193], vcc, 1.0, v[182:183], 1.0
	v_fmac_f64_e32 v[190:191], v[190:191], v[194:195]
	v_mul_f64 v[194:195], v[192:193], v[190:191]
	v_fma_f64 v[184:185], -v[184:185], v[194:195], v[192:193]
	s_nop 0
	v_div_fmas_f64 v[184:185], v[184:185], v[190:191], v[194:195]
	v_pk_mov_b32 v[194:195], v[196:197], v[196:197] op_sel:[0,1]
	v_pk_mov_b32 v[196:197], v[198:199], v[198:199] op_sel:[0,1]
	;; [unrolled: 1-line block ×9, first 2 shown]
	v_div_fixup_f64 v[182:183], v[184:185], v[182:183], 1.0
	ds_write_b64 v186, v[182:183]
.LBB87_209:
	s_or_b64 exec, exec, s[2:3]
	s_waitcnt lgkmcnt(0)
	s_barrier
	ds_read_b64 v[182:183], v186
	v_cmp_lt_u32_e32 vcc, 41, v188
	s_and_saveexec_b64 s[2:3], vcc
	s_cbranch_execz .LBB87_211
; %bb.210:
	ds_read2_b64 v[190:193], v187 offset0:42 offset1:43
	s_waitcnt vmcnt(18) lgkmcnt(1)
	v_mul_f64 v[92:93], v[182:183], v[92:93]
	s_waitcnt vmcnt(17) lgkmcnt(0)
	v_fma_f64 v[134:135], -v[92:93], v[190:191], v[134:135]
	s_waitcnt vmcnt(16)
	v_fma_f64 v[176:177], -v[92:93], v[192:193], v[176:177]
.LBB87_211:
	s_or_b64 exec, exec, s[2:3]
	v_cmp_eq_u32_e32 vcc, 42, v188
	s_waitcnt lgkmcnt(0)
	s_barrier
	s_and_saveexec_b64 s[2:3], vcc
	s_cbranch_execz .LBB87_214
; %bb.212:
	s_waitcnt vmcnt(17)
	ds_write_b64 v186, v[134:135]
	s_waitcnt vmcnt(16)
	ds_write_b64 v187, v[176:177] offset:344
	ds_read_b64 v[184:185], v186
	s_waitcnt lgkmcnt(0)
	v_cmp_neq_f64_e32 vcc, 0, v[184:185]
	s_and_b64 exec, exec, vcc
	s_cbranch_execz .LBB87_214
; %bb.213:
	v_div_scale_f64 v[190:191], s[6:7], v[184:185], v[184:185], 1.0
	v_rcp_f64_e32 v[192:193], v[190:191]
	v_pk_mov_b32 v[22:23], v[20:21], v[20:21] op_sel:[0,1]
	v_pk_mov_b32 v[20:21], v[18:19], v[18:19] op_sel:[0,1]
	;; [unrolled: 1-line block ×14, first 2 shown]
	v_fma_f64 v[196:197], -v[190:191], v[192:193], 1.0
	v_fmac_f64_e32 v[192:193], v[192:193], v[196:197]
	v_fma_f64 v[196:197], -v[190:191], v[192:193], 1.0
	v_pk_mov_b32 v[210:211], v[206:207], v[206:207] op_sel:[0,1]
	v_pk_mov_b32 v[206:207], v[202:203], v[202:203] op_sel:[0,1]
	;; [unrolled: 1-line block ×5, first 2 shown]
	v_div_scale_f64 v[194:195], vcc, 1.0, v[184:185], 1.0
	v_fmac_f64_e32 v[192:193], v[192:193], v[196:197]
	v_mul_f64 v[196:197], v[194:195], v[192:193]
	v_fma_f64 v[190:191], -v[190:191], v[196:197], v[194:195]
	s_nop 0
	v_div_fmas_f64 v[190:191], v[190:191], v[192:193], v[196:197]
	v_pk_mov_b32 v[194:195], v[198:199], v[198:199] op_sel:[0,1]
	v_pk_mov_b32 v[198:199], v[2:3], v[2:3] op_sel:[0,1]
	;; [unrolled: 1-line block ×19, first 2 shown]
	v_div_fixup_f64 v[184:185], v[190:191], v[184:185], 1.0
	ds_write_b64 v186, v[184:185]
.LBB87_214:
	s_or_b64 exec, exec, s[2:3]
	s_waitcnt lgkmcnt(0)
	s_barrier
	ds_read_b64 v[184:185], v186
	v_cmp_lt_u32_e32 vcc, 42, v188
	s_and_saveexec_b64 s[2:3], vcc
	s_cbranch_execz .LBB87_216
; %bb.215:
	ds_read_b64 v[190:191], v187 offset:344
	s_waitcnt vmcnt(17) lgkmcnt(1)
	v_mul_f64 v[134:135], v[184:185], v[134:135]
	s_waitcnt vmcnt(16) lgkmcnt(0)
	v_fma_f64 v[176:177], -v[134:135], v[190:191], v[176:177]
.LBB87_216:
	s_or_b64 exec, exec, s[2:3]
	v_cmp_eq_u32_e32 vcc, 43, v188
	s_waitcnt lgkmcnt(0)
	s_barrier
	s_and_saveexec_b64 s[2:3], vcc
	s_cbranch_execz .LBB87_219
; %bb.217:
	s_waitcnt vmcnt(16)
	v_cmp_neq_f64_e32 vcc, 0, v[176:177]
	ds_write_b64 v186, v[176:177]
	s_and_b64 exec, exec, vcc
	s_cbranch_execz .LBB87_219
; %bb.218:
	v_div_scale_f64 v[190:191], s[6:7], v[176:177], v[176:177], 1.0
	v_rcp_f64_e32 v[192:193], v[190:191]
	v_pk_mov_b32 v[22:23], v[20:21], v[20:21] op_sel:[0,1]
	v_pk_mov_b32 v[20:21], v[18:19], v[18:19] op_sel:[0,1]
	;; [unrolled: 1-line block ×14, first 2 shown]
	v_fma_f64 v[196:197], -v[190:191], v[192:193], 1.0
	v_fmac_f64_e32 v[192:193], v[192:193], v[196:197]
	v_fma_f64 v[196:197], -v[190:191], v[192:193], 1.0
	v_pk_mov_b32 v[210:211], v[206:207], v[206:207] op_sel:[0,1]
	v_pk_mov_b32 v[206:207], v[202:203], v[202:203] op_sel:[0,1]
	;; [unrolled: 1-line block ×5, first 2 shown]
	v_div_scale_f64 v[194:195], vcc, 1.0, v[176:177], 1.0
	v_fmac_f64_e32 v[192:193], v[192:193], v[196:197]
	v_mul_f64 v[196:197], v[194:195], v[192:193]
	v_fma_f64 v[190:191], -v[190:191], v[196:197], v[194:195]
	s_nop 0
	v_div_fmas_f64 v[190:191], v[190:191], v[192:193], v[196:197]
	v_pk_mov_b32 v[194:195], v[198:199], v[198:199] op_sel:[0,1]
	v_pk_mov_b32 v[198:199], v[2:3], v[2:3] op_sel:[0,1]
	;; [unrolled: 1-line block ×19, first 2 shown]
	v_div_fixup_f64 v[190:191], v[190:191], v[176:177], 1.0
	ds_write_b64 v186, v[190:191]
.LBB87_219:
	s_or_b64 exec, exec, s[2:3]
	s_waitcnt lgkmcnt(0)
	s_barrier
	ds_read_b64 v[186:187], v186
	s_waitcnt lgkmcnt(0)
	s_barrier
	s_and_saveexec_b64 s[2:3], s[0:1]
	s_cbranch_execz .LBB87_222
; %bb.220:
	buffer_load_dword v190, off, s[16:19], 0 ; 4-byte Folded Reload
	buffer_load_dword v191, off, s[16:19], 0 offset:4 ; 4-byte Folded Reload
	s_load_dwordx2 s[4:5], s[4:5], 0x28
	v_lshlrev_b64 v[2:3], 2, v[2:3]
	s_waitcnt vmcnt(0)
	v_cmp_eq_f64_e32 vcc, 0, v[190:191]
	buffer_load_dword v190, off, s[16:19], 0 offset:8 ; 4-byte Folded Reload
	buffer_load_dword v191, off, s[16:19], 0 offset:12 ; 4-byte Folded Reload
	v_cndmask_b32_e64 v189, 0, 1, vcc
	s_waitcnt vmcnt(0)
	v_cmp_neq_f64_e64 s[0:1], 0, v[190:191]
	buffer_load_dword v190, off, s[16:19], 0 offset:16 ; 4-byte Folded Reload
	buffer_load_dword v191, off, s[16:19], 0 offset:20 ; 4-byte Folded Reload
	s_or_b64 vcc, s[0:1], vcc
	v_cndmask_b32_e32 v189, 2, v189, vcc
	v_cmp_eq_u32_e64 s[0:1], 0, v189
	s_waitcnt vmcnt(0)
	v_cmp_eq_f64_e32 vcc, 0, v[190:191]
	buffer_load_dword v190, off, s[16:19], 0 offset:24 ; 4-byte Folded Reload
	buffer_load_dword v191, off, s[16:19], 0 offset:28 ; 4-byte Folded Reload
	s_and_b64 s[0:1], vcc, s[0:1]
	v_cndmask_b32_e64 v189, v189, 3, s[0:1]
	v_cmp_eq_u32_e64 s[0:1], 0, v189
	s_waitcnt vmcnt(0)
	v_cmp_eq_f64_e32 vcc, 0, v[190:191]
	buffer_load_dword v190, off, s[16:19], 0 offset:32 ; 4-byte Folded Reload
	buffer_load_dword v191, off, s[16:19], 0 offset:36 ; 4-byte Folded Reload
	s_and_b64 s[0:1], vcc, s[0:1]
	v_cndmask_b32_e64 v189, v189, 4, s[0:1]
	;; [unrolled: 7-line block ×5, first 2 shown]
	v_cmp_eq_u32_e64 s[0:1], 0, v189
	s_waitcnt vmcnt(0)
	v_cmp_eq_f64_e32 vcc, 0, v[190:191]
	s_and_b64 s[0:1], vcc, s[0:1]
	v_cndmask_b32_e64 v189, v189, 8, s[0:1]
	v_cmp_eq_f64_e32 vcc, 0, v[194:195]
	v_cmp_eq_u32_e64 s[0:1], 0, v189
	s_and_b64 s[0:1], vcc, s[0:1]
	v_cndmask_b32_e64 v189, v189, 9, s[0:1]
	v_cmp_eq_f64_e32 vcc, 0, v[196:197]
	v_cmp_eq_u32_e64 s[0:1], 0, v189
	;; [unrolled: 4-line block ×16, first 2 shown]
	s_and_b64 s[0:1], vcc, s[0:1]
	v_cndmask_b32_e64 v189, v189, 24, s[0:1]
	s_waitcnt lgkmcnt(0)
	v_mov_b32_e32 v190, s5
	v_add_co_u32_e64 v2, s[0:1], s4, v2
	v_addc_co_u32_e64 v3, s[0:1], v190, v3, s[0:1]
	global_load_dword v190, v[2:3], off
	v_cmp_eq_f64_e32 vcc, 0, v[226:227]
	v_cmp_eq_u32_e64 s[0:1], 0, v189
	s_and_b64 s[0:1], vcc, s[0:1]
	v_cndmask_b32_e64 v189, v189, 25, s[0:1]
	v_cmp_eq_f64_e32 vcc, 0, v[228:229]
	v_cmp_eq_u32_e64 s[0:1], 0, v189
	s_and_b64 s[0:1], vcc, s[0:1]
	v_cndmask_b32_e64 v189, v189, 26, s[0:1]
	;; [unrolled: 4-line block ×20, first 2 shown]
	s_waitcnt vmcnt(0)
	v_cmp_eq_u32_e32 vcc, 0, v190
	v_cmp_ne_u32_e64 s[0:1], 0, v178
	s_and_b64 s[0:1], vcc, s[0:1]
	s_and_b64 exec, exec, s[0:1]
	s_cbranch_execz .LBB87_222
; %bb.221:
	v_add_u32_e32 v178, s9, v178
	global_store_dword v[2:3], v178, off
.LBB87_222:
	s_or_b64 exec, exec, s[2:3]
	global_store_dwordx2 v[86:87], v[90:91], off
	s_waitcnt vmcnt(62)
	global_store_dwordx2 v[88:89], v[132:133], off
	buffer_load_dword v0, off, s[16:19], 0 offset:64 ; 4-byte Folded Reload
	buffer_load_dword v1, off, s[16:19], 0 offset:68 ; 4-byte Folded Reload
	s_waitcnt vmcnt(20)
	v_mul_f64 v[2:3], v[186:187], v[176:177]
	v_cmp_lt_u32_e32 vcc, 43, v188
	v_cndmask_b32_e32 v3, v177, v3, vcc
	v_cndmask_b32_e32 v2, v176, v2, vcc
	s_waitcnt vmcnt(0)
	global_store_dwordx2 v[0:1], v[174:175], off
	global_store_dwordx2 v[4:5], v[130:131], off
	;; [unrolled: 1-line block ×10, first 2 shown]
	buffer_load_dword v0, off, s[16:19], 0 offset:72 ; 4-byte Folded Reload
	buffer_load_dword v1, off, s[16:19], 0 offset:76 ; 4-byte Folded Reload
	s_waitcnt vmcnt(0)
	global_store_dwordx2 v[0:1], v[164:165], off
	global_store_dwordx2 v[24:25], v[120:121], off
	;; [unrolled: 1-line block ×32, first 2 shown]
.LBB87_223:
	s_endpgm
	.section	.rodata,"a",@progbits
	.p2align	6, 0x0
	.amdhsa_kernel _ZN9rocsolver6v33100L23getf2_npvt_small_kernelILi44EdiiPKPdEEvT1_T3_lS5_lPT2_S5_S5_
		.amdhsa_group_segment_fixed_size 0
		.amdhsa_private_segment_fixed_size 84
		.amdhsa_kernarg_size 312
		.amdhsa_user_sgpr_count 6
		.amdhsa_user_sgpr_private_segment_buffer 1
		.amdhsa_user_sgpr_dispatch_ptr 0
		.amdhsa_user_sgpr_queue_ptr 0
		.amdhsa_user_sgpr_kernarg_segment_ptr 1
		.amdhsa_user_sgpr_dispatch_id 0
		.amdhsa_user_sgpr_flat_scratch_init 0
		.amdhsa_user_sgpr_kernarg_preload_length 0
		.amdhsa_user_sgpr_kernarg_preload_offset 0
		.amdhsa_user_sgpr_private_segment_size 0
		.amdhsa_uses_dynamic_stack 0
		.amdhsa_system_sgpr_private_segment_wavefront_offset 1
		.amdhsa_system_sgpr_workgroup_id_x 1
		.amdhsa_system_sgpr_workgroup_id_y 1
		.amdhsa_system_sgpr_workgroup_id_z 0
		.amdhsa_system_sgpr_workgroup_info 0
		.amdhsa_system_vgpr_workitem_id 1
		.amdhsa_next_free_vgpr 256
		.amdhsa_next_free_sgpr 20
		.amdhsa_accum_offset 256
		.amdhsa_reserve_vcc 1
		.amdhsa_reserve_flat_scratch 0
		.amdhsa_float_round_mode_32 0
		.amdhsa_float_round_mode_16_64 0
		.amdhsa_float_denorm_mode_32 3
		.amdhsa_float_denorm_mode_16_64 3
		.amdhsa_dx10_clamp 1
		.amdhsa_ieee_mode 1
		.amdhsa_fp16_overflow 0
		.amdhsa_tg_split 0
		.amdhsa_exception_fp_ieee_invalid_op 0
		.amdhsa_exception_fp_denorm_src 0
		.amdhsa_exception_fp_ieee_div_zero 0
		.amdhsa_exception_fp_ieee_overflow 0
		.amdhsa_exception_fp_ieee_underflow 0
		.amdhsa_exception_fp_ieee_inexact 0
		.amdhsa_exception_int_div_zero 0
	.end_amdhsa_kernel
	.section	.text._ZN9rocsolver6v33100L23getf2_npvt_small_kernelILi44EdiiPKPdEEvT1_T3_lS5_lPT2_S5_S5_,"axG",@progbits,_ZN9rocsolver6v33100L23getf2_npvt_small_kernelILi44EdiiPKPdEEvT1_T3_lS5_lPT2_S5_S5_,comdat
.Lfunc_end87:
	.size	_ZN9rocsolver6v33100L23getf2_npvt_small_kernelILi44EdiiPKPdEEvT1_T3_lS5_lPT2_S5_S5_, .Lfunc_end87-_ZN9rocsolver6v33100L23getf2_npvt_small_kernelILi44EdiiPKPdEEvT1_T3_lS5_lPT2_S5_S5_
                                        ; -- End function
	.section	.AMDGPU.csdata,"",@progbits
; Kernel info:
; codeLenInByte = 37396
; NumSgprs: 24
; NumVgprs: 256
; NumAgprs: 0
; TotalNumVgprs: 256
; ScratchSize: 84
; MemoryBound: 0
; FloatMode: 240
; IeeeMode: 1
; LDSByteSize: 0 bytes/workgroup (compile time only)
; SGPRBlocks: 2
; VGPRBlocks: 31
; NumSGPRsForWavesPerEU: 24
; NumVGPRsForWavesPerEU: 256
; AccumOffset: 256
; Occupancy: 2
; WaveLimiterHint : 1
; COMPUTE_PGM_RSRC2:SCRATCH_EN: 1
; COMPUTE_PGM_RSRC2:USER_SGPR: 6
; COMPUTE_PGM_RSRC2:TRAP_HANDLER: 0
; COMPUTE_PGM_RSRC2:TGID_X_EN: 1
; COMPUTE_PGM_RSRC2:TGID_Y_EN: 1
; COMPUTE_PGM_RSRC2:TGID_Z_EN: 0
; COMPUTE_PGM_RSRC2:TIDIG_COMP_CNT: 1
; COMPUTE_PGM_RSRC3_GFX90A:ACCUM_OFFSET: 63
; COMPUTE_PGM_RSRC3_GFX90A:TG_SPLIT: 0
	.section	.text._ZN9rocsolver6v33100L18getf2_small_kernelILi45EdiiPKPdEEvT1_T3_lS5_lPS5_llPT2_S5_S5_S7_l,"axG",@progbits,_ZN9rocsolver6v33100L18getf2_small_kernelILi45EdiiPKPdEEvT1_T3_lS5_lPS5_llPT2_S5_S5_S7_l,comdat
	.globl	_ZN9rocsolver6v33100L18getf2_small_kernelILi45EdiiPKPdEEvT1_T3_lS5_lPS5_llPT2_S5_S5_S7_l ; -- Begin function _ZN9rocsolver6v33100L18getf2_small_kernelILi45EdiiPKPdEEvT1_T3_lS5_lPS5_llPT2_S5_S5_S7_l
	.p2align	8
	.type	_ZN9rocsolver6v33100L18getf2_small_kernelILi45EdiiPKPdEEvT1_T3_lS5_lPS5_llPT2_S5_S5_S7_l,@function
_ZN9rocsolver6v33100L18getf2_small_kernelILi45EdiiPKPdEEvT1_T3_lS5_lPS5_llPT2_S5_S5_S7_l: ; @_ZN9rocsolver6v33100L18getf2_small_kernelILi45EdiiPKPdEEvT1_T3_lS5_lPS5_llPT2_S5_S5_S7_l
; %bb.0:
	s_load_dword s0, s[4:5], 0x6c
	s_load_dwordx2 s[12:13], s[4:5], 0x48
	v_bfe_u32 v94, v0, 10, 10
	s_waitcnt lgkmcnt(0)
	s_lshr_b32 s0, s0, 16
	s_mul_i32 s7, s7, s0
	v_add_u32_e32 v2, s7, v94
	v_cmp_gt_i32_e32 vcc, s12, v2
	s_and_saveexec_b64 s[0:1], vcc
	s_cbranch_execz .LBB88_762
; %bb.1:
	s_load_dwordx4 s[0:3], s[4:5], 0x8
	s_load_dwordx4 s[8:11], s[4:5], 0x50
	v_ashrrev_i32_e32 v3, 31, v2
	v_lshlrev_b64 v[4:5], 3, v[2:3]
	s_waitcnt lgkmcnt(0)
	v_mov_b32_e32 v1, s1
	v_add_co_u32_e32 v4, vcc, s0, v4
	v_addc_co_u32_e32 v5, vcc, v1, v5, vcc
	global_load_dwordx2 v[6:7], v[4:5], off
	s_cmp_eq_u64 s[8:9], 0
	s_cselect_b64 s[6:7], -1, 0
	s_and_b64 vcc, exec, s[6:7]
	v_pk_mov_b32 v[4:5], 0, 0
	s_cbranch_vccnz .LBB88_3
; %bb.2:
	v_mul_lo_u32 v1, v3, s10
	v_mul_lo_u32 v8, v2, s11
	v_mad_u64_u32 v[4:5], s[0:1], v2, s10, 0
	v_add3_u32 v5, v5, v8, v1
	v_lshlrev_b64 v[4:5], 2, v[4:5]
	v_mov_b32_e32 v1, s9
	v_add_co_u32_e32 v4, vcc, s8, v4
	v_addc_co_u32_e32 v5, vcc, v1, v5, vcc
.LBB88_3:
	s_load_dword s8, s[4:5], 0x18
	s_load_dword s18, s[4:5], 0x0
	s_lshl_b64 s[0:1], s[2:3], 3
	v_and_b32_e32 v102, 0x3ff, v0
	v_mov_b32_e32 v1, s1
	s_waitcnt lgkmcnt(0)
	s_add_i32 s12, s8, s8
	s_waitcnt vmcnt(0)
	v_add_co_u32_e32 v100, vcc, s0, v6
	v_add_u32_e32 v0, s12, v102
	v_addc_co_u32_e32 v101, vcc, v7, v1, vcc
	v_ashrrev_i32_e32 v1, 31, v0
	v_lshlrev_b64 v[6:7], 3, v[0:1]
	v_add_u32_e32 v0, s8, v0
	v_add_co_u32_e32 v6, vcc, v100, v6
	v_ashrrev_i32_e32 v1, 31, v0
	v_addc_co_u32_e32 v7, vcc, v101, v7, vcc
	v_lshlrev_b64 v[8:9], 3, v[0:1]
	v_add_u32_e32 v0, s8, v0
	v_add_co_u32_e32 v8, vcc, v100, v8
	v_ashrrev_i32_e32 v1, 31, v0
	v_addc_co_u32_e32 v9, vcc, v101, v9, vcc
	;; [unrolled: 5-line block ×42, first 2 shown]
	v_lshlrev_b64 v[0:1], 3, v[0:1]
	v_add_co_u32_e32 v152, vcc, v100, v0
	v_addc_co_u32_e32 v153, vcc, v101, v1, vcc
	v_lshlrev_b32_e32 v95, 3, v102
	v_add_co_u32_e32 v0, vcc, v100, v95
	s_ashr_i32 s9, s8, 31
	v_addc_co_u32_e32 v1, vcc, 0, v101, vcc
	s_lshl_b64 s[10:11], s[8:9], 3
	v_mov_b32_e32 v35, s11
	v_add_co_u32_e32 v34, vcc, s10, v0
	v_addc_co_u32_e32 v35, vcc, v1, v35, vcc
	s_max_i32 s0, s18, 45
	global_load_dwordx2 v[88:89], v[0:1], off
	global_load_dwordx2 v[90:91], v[34:35], off
	;; [unrolled: 1-line block ×14, first 2 shown]
                                        ; kill: killed $vgpr22 killed $vgpr23
                                        ; kill: killed $vgpr26 killed $vgpr27
                                        ; kill: killed $vgpr8 killed $vgpr9
                                        ; kill: killed $vgpr12 killed $vgpr13
                                        ; kill: killed $vgpr16 killed $vgpr17
                                        ; kill: killed $vgpr20 killed $vgpr21
                                        ; kill: killed $vgpr24 killed $vgpr25
                                        ; kill: killed $vgpr28 killed $vgpr29
                                        ; kill: killed $vgpr0 killed $vgpr1
                                        ; kill: killed $vgpr6 killed $vgpr7
                                        ; kill: killed $vgpr34 killed $vgpr35
                                        ; kill: killed $vgpr10 killed $vgpr11
                                        ; kill: killed $vgpr14 killed $vgpr15
                                        ; kill: killed $vgpr18 killed $vgpr19
	global_load_dwordx2 v[64:65], v[30:31], off
	global_load_dwordx2 v[60:61], v[32:33], off
	;; [unrolled: 1-line block ×14, first 2 shown]
                                        ; kill: killed $vgpr114 killed $vgpr115
                                        ; kill: killed $vgpr118 killed $vgpr119
                                        ; kill: killed $vgpr30 killed $vgpr31
                                        ; kill: killed $vgpr36 killed $vgpr37
                                        ; kill: killed $vgpr96 killed $vgpr97
                                        ; kill: killed $vgpr104 killed $vgpr105
                                        ; kill: killed $vgpr108 killed $vgpr109
                                        ; kill: killed $vgpr112 killed $vgpr113
                                        ; kill: killed $vgpr116 killed $vgpr117
                                        ; kill: killed $vgpr32 killed $vgpr33
                                        ; kill: killed $vgpr92 killed $vgpr93
                                        ; kill: killed $vgpr98 killed $vgpr99
                                        ; kill: killed $vgpr106 killed $vgpr107
                                        ; kill: killed $vgpr110 killed $vgpr111
	global_load_dwordx2 v[36:37], v[120:121], off
	global_load_dwordx2 v[32:33], v[122:123], off
	;; [unrolled: 1-line block ×14, first 2 shown]
                                        ; kill: killed $vgpr122 killed $vgpr123
                                        ; kill: killed $vgpr126 killed $vgpr127
                                        ; kill: killed $vgpr130 killed $vgpr131
                                        ; kill: killed $vgpr134 killed $vgpr135
                                        ; kill: killed $vgpr138 killed $vgpr139
                                        ; kill: killed $vgpr142 killed $vgpr143
                                        ; kill: killed $vgpr146 killed $vgpr147
                                        ; kill: killed $vgpr120 killed $vgpr121
                                        ; kill: killed $vgpr124 killed $vgpr125
                                        ; kill: killed $vgpr128 killed $vgpr129
                                        ; kill: killed $vgpr132 killed $vgpr133
                                        ; kill: killed $vgpr136 killed $vgpr137
                                        ; kill: killed $vgpr140 killed $vgpr141
                                        ; kill: killed $vgpr144 killed $vgpr145
	global_load_dwordx2 v[8:9], v[148:149], off
	global_load_dwordx2 v[0:1], v[150:151], off
	;; [unrolled: 1-line block ×3, first 2 shown]
	v_mul_lo_u32 v96, s0, v94
	v_lshl_add_u32 v98, v96, 3, 0
	v_add_u32_e32 v94, v98, v95
	s_waitcnt vmcnt(44)
	ds_write_b64 v94, v[88:89]
	s_waitcnt lgkmcnt(0)
	s_barrier
	ds_read_b64 v[94:95], v98
	s_cmp_lt_i32 s18, 2
	v_lshlrev_b32_e32 v103, 3, v96
	v_mov_b32_e32 v96, 0
	s_cbranch_scc1 .LBB88_6
; %bb.4:
	v_add3_u32 v97, v103, 0, 8
	s_mov_b32 s0, 1
	v_mov_b32_e32 v96, 0
.LBB88_5:                               ; =>This Inner Loop Header: Depth=1
	ds_read_b64 v[104:105], v97
	v_mov_b32_e32 v99, s0
	s_add_i32 s0, s0, 1
	v_add_u32_e32 v97, 8, v97
	s_cmp_eq_u32 s18, s0
	s_waitcnt lgkmcnt(0)
	v_cmp_lt_f64_e64 vcc, |v[94:95]|, |v[104:105]|
	v_cndmask_b32_e32 v95, v95, v105, vcc
	v_cndmask_b32_e32 v94, v94, v104, vcc
	v_cndmask_b32_e32 v96, v96, v99, vcc
	s_cbranch_scc0 .LBB88_5
.LBB88_6:
	v_cmp_ne_u32_e32 vcc, v102, v96
                                        ; implicit-def: $vgpr99
	s_and_saveexec_b64 s[0:1], vcc
	s_xor_b64 s[0:1], exec, s[0:1]
	s_cbranch_execz .LBB88_12
; %bb.7:
	v_cmp_eq_u32_e32 vcc, 0, v102
	s_and_saveexec_b64 s[2:3], vcc
	s_cbranch_execz .LBB88_11
; %bb.8:
	v_cmp_ne_u32_e32 vcc, 0, v96
	s_xor_b64 s[14:15], s[6:7], -1
	s_and_b64 s[16:17], s[14:15], vcc
	s_and_saveexec_b64 s[14:15], s[16:17]
	s_cbranch_execz .LBB88_10
; %bb.9:
	v_ashrrev_i32_e32 v97, 31, v96
	v_lshlrev_b64 v[104:105], 2, v[96:97]
	v_add_co_u32_e32 v104, vcc, v4, v104
	v_addc_co_u32_e32 v105, vcc, v5, v105, vcc
	flat_load_dword v97, v[104:105]
	flat_load_dword v99, v[4:5]
	s_waitcnt vmcnt(0) lgkmcnt(0)
	flat_store_dword v[4:5], v97
	flat_store_dword v[104:105], v99
.LBB88_10:
	s_or_b64 exec, exec, s[14:15]
	v_mov_b32_e32 v102, v96
.LBB88_11:
	s_or_b64 exec, exec, s[2:3]
	v_mov_b32_e32 v99, v102
                                        ; implicit-def: $vgpr102
.LBB88_12:
	s_or_saveexec_b64 s[0:1], s[0:1]
	v_mov_b32_e32 v97, v99
	s_xor_b64 exec, exec, s[0:1]
	s_cbranch_execz .LBB88_14
; %bb.13:
	v_mov_b32_e32 v99, 0
	v_mov_b32_e32 v97, v102
	s_waitcnt vmcnt(0)
	ds_write2_b64 v98, v[90:91], v[86:87] offset0:1 offset1:2
	ds_write2_b64 v98, v[84:85], v[82:83] offset0:3 offset1:4
	;; [unrolled: 1-line block ×22, first 2 shown]
.LBB88_14:
	s_or_b64 exec, exec, s[0:1]
	s_waitcnt lgkmcnt(0)
	v_cmp_eq_f64_e64 s[0:1], 0, v[94:95]
	v_cmp_lt_i32_e32 vcc, 0, v99
	s_barrier
	s_and_saveexec_b64 s[2:3], vcc
	s_cbranch_execz .LBB88_16
; %bb.15:
	v_div_scale_f64 v[104:105], s[14:15], v[94:95], v[94:95], 1.0
	v_rcp_f64_e32 v[106:107], v[104:105]
	v_div_scale_f64 v[108:109], vcc, 1.0, v[94:95], 1.0
	ds_read2_b64 v[112:115], v98 offset0:5 offset1:6
	v_fma_f64 v[110:111], -v[104:105], v[106:107], 1.0
	v_fmac_f64_e32 v[106:107], v[106:107], v[110:111]
	v_fma_f64 v[110:111], -v[104:105], v[106:107], 1.0
	v_fmac_f64_e32 v[106:107], v[106:107], v[110:111]
	v_mul_f64 v[110:111], v[108:109], v[106:107]
	v_fma_f64 v[104:105], -v[104:105], v[110:111], v[108:109]
	v_div_fmas_f64 v[104:105], v[104:105], v[106:107], v[110:111]
	v_div_fixup_f64 v[108:109], v[104:105], v[94:95], 1.0
	ds_read2_b64 v[104:107], v98 offset0:1 offset1:2
	v_cndmask_b32_e64 v95, v109, v95, s[0:1]
	v_cndmask_b32_e64 v94, v108, v94, s[0:1]
	ds_read2_b64 v[108:111], v98 offset0:3 offset1:4
	v_mul_f64 v[88:89], v[94:95], v[88:89]
	s_waitcnt vmcnt(0) lgkmcnt(0)
	v_fma_f64 v[90:91], -v[88:89], v[104:105], v[90:91]
	v_fma_f64 v[86:87], -v[88:89], v[106:107], v[86:87]
	ds_read2_b64 v[104:107], v98 offset0:7 offset1:8
	v_fma_f64 v[84:85], -v[88:89], v[108:109], v[84:85]
	v_fma_f64 v[82:83], -v[88:89], v[110:111], v[82:83]
	;; [unrolled: 1-line block ×3, first 2 shown]
	ds_read2_b64 v[108:111], v98 offset0:9 offset1:10
	v_fma_f64 v[78:79], -v[88:89], v[114:115], v[78:79]
	ds_read2_b64 v[112:115], v98 offset0:11 offset1:12
	s_waitcnt lgkmcnt(2)
	v_fma_f64 v[76:77], -v[88:89], v[104:105], v[76:77]
	v_fma_f64 v[74:75], -v[88:89], v[106:107], v[74:75]
	ds_read2_b64 v[104:107], v98 offset0:13 offset1:14
	s_waitcnt lgkmcnt(2)
	v_fma_f64 v[72:73], -v[88:89], v[108:109], v[72:73]
	v_fma_f64 v[70:71], -v[88:89], v[110:111], v[70:71]
	ds_read2_b64 v[108:111], v98 offset0:15 offset1:16
	s_waitcnt lgkmcnt(2)
	v_fma_f64 v[68:69], -v[88:89], v[112:113], v[68:69]
	v_fma_f64 v[66:67], -v[88:89], v[114:115], v[66:67]
	s_waitcnt lgkmcnt(1)
	v_fma_f64 v[62:63], -v[88:89], v[104:105], v[62:63]
	ds_read2_b64 v[112:115], v98 offset0:17 offset1:18
	v_fma_f64 v[64:65], -v[88:89], v[106:107], v[64:65]
	ds_read2_b64 v[104:107], v98 offset0:19 offset1:20
	s_waitcnt lgkmcnt(2)
	v_fma_f64 v[60:61], -v[88:89], v[108:109], v[60:61]
	v_fma_f64 v[58:59], -v[88:89], v[110:111], v[58:59]
	s_waitcnt lgkmcnt(1)
	v_fma_f64 v[56:57], -v[88:89], v[112:113], v[56:57]
	ds_read2_b64 v[108:111], v98 offset0:21 offset1:22
	v_fma_f64 v[54:55], -v[88:89], v[114:115], v[54:55]
	ds_read2_b64 v[112:115], v98 offset0:23 offset1:24
	s_waitcnt lgkmcnt(2)
	v_fma_f64 v[52:53], -v[88:89], v[104:105], v[52:53]
	v_fma_f64 v[50:51], -v[88:89], v[106:107], v[50:51]
	ds_read2_b64 v[104:107], v98 offset0:25 offset1:26
	s_waitcnt lgkmcnt(2)
	v_fma_f64 v[48:49], -v[88:89], v[108:109], v[48:49]
	v_fma_f64 v[46:47], -v[88:89], v[110:111], v[46:47]
	ds_read2_b64 v[108:111], v98 offset0:27 offset1:28
	s_waitcnt lgkmcnt(2)
	v_fma_f64 v[44:45], -v[88:89], v[112:113], v[44:45]
	v_fma_f64 v[42:43], -v[88:89], v[114:115], v[42:43]
	s_waitcnt lgkmcnt(1)
	v_fma_f64 v[40:41], -v[88:89], v[104:105], v[40:41]
	ds_read2_b64 v[112:115], v98 offset0:29 offset1:30
	v_fma_f64 v[38:39], -v[88:89], v[106:107], v[38:39]
	ds_read2_b64 v[104:107], v98 offset0:31 offset1:32
	s_waitcnt lgkmcnt(2)
	v_fma_f64 v[34:35], -v[88:89], v[108:109], v[34:35]
	v_fma_f64 v[36:37], -v[88:89], v[110:111], v[36:37]
	s_waitcnt lgkmcnt(1)
	v_fma_f64 v[32:33], -v[88:89], v[112:113], v[32:33]
	;; [unrolled: 24-line block ×3, first 2 shown]
	v_fma_f64 v[8:9], -v[88:89], v[114:115], v[8:9]
	s_waitcnt lgkmcnt(0)
	v_fma_f64 v[0:1], -v[88:89], v[104:105], v[0:1]
	v_fma_f64 v[92:93], -v[88:89], v[106:107], v[92:93]
.LBB88_16:
	s_or_b64 exec, exec, s[2:3]
	v_lshl_add_u32 v94, v99, 3, v98
	s_barrier
	s_waitcnt vmcnt(0)
	ds_write_b64 v94, v[90:91]
	s_waitcnt lgkmcnt(0)
	s_barrier
	ds_read_b64 v[94:95], v98 offset:8
	s_cmp_lt_i32 s18, 3
	v_mov_b32_e32 v96, 1
	s_cbranch_scc1 .LBB88_19
; %bb.17:
	v_add3_u32 v102, v103, 0, 16
	s_mov_b32 s2, 2
	v_mov_b32_e32 v96, 1
.LBB88_18:                              ; =>This Inner Loop Header: Depth=1
	ds_read_b64 v[104:105], v102
	v_mov_b32_e32 v106, s2
	s_add_i32 s2, s2, 1
	v_add_u32_e32 v102, 8, v102
	s_cmp_lg_u32 s18, s2
	s_waitcnt lgkmcnt(0)
	v_cmp_lt_f64_e64 vcc, |v[94:95]|, |v[104:105]|
	v_cndmask_b32_e32 v95, v95, v105, vcc
	v_cndmask_b32_e32 v94, v94, v104, vcc
	v_cndmask_b32_e32 v96, v96, v106, vcc
	s_cbranch_scc1 .LBB88_18
.LBB88_19:
	v_cmp_ne_u32_e32 vcc, v99, v96
	s_and_saveexec_b64 s[2:3], vcc
	s_xor_b64 s[2:3], exec, s[2:3]
	s_cbranch_execz .LBB88_25
; %bb.20:
	v_cmp_eq_u32_e32 vcc, 1, v99
	s_and_saveexec_b64 s[14:15], vcc
	s_cbranch_execz .LBB88_24
; %bb.21:
	v_cmp_ne_u32_e32 vcc, 1, v96
	s_xor_b64 s[16:17], s[6:7], -1
	s_and_b64 s[20:21], s[16:17], vcc
	s_and_saveexec_b64 s[16:17], s[20:21]
	s_cbranch_execz .LBB88_23
; %bb.22:
	v_ashrrev_i32_e32 v97, 31, v96
	v_lshlrev_b64 v[104:105], 2, v[96:97]
	v_add_co_u32_e32 v104, vcc, v4, v104
	v_addc_co_u32_e32 v105, vcc, v5, v105, vcc
	flat_load_dword v97, v[104:105]
	flat_load_dword v99, v[4:5] offset:4
	s_waitcnt vmcnt(0) lgkmcnt(0)
	flat_store_dword v[4:5], v97 offset:4
	flat_store_dword v[104:105], v99
.LBB88_23:
	s_or_b64 exec, exec, s[16:17]
	v_mov_b32_e32 v97, v96
	v_mov_b32_e32 v99, v96
.LBB88_24:
	s_or_b64 exec, exec, s[14:15]
.LBB88_25:
	s_andn2_saveexec_b64 s[2:3], s[2:3]
	s_cbranch_execz .LBB88_27
; %bb.26:
	v_mov_b32_e32 v104, v86
	v_mov_b32_e32 v105, v87
	v_mov_b32_e32 v106, v84
	v_mov_b32_e32 v107, v85
	ds_write2_b64 v98, v[104:105], v[106:107] offset0:2 offset1:3
	v_mov_b32_e32 v104, v82
	v_mov_b32_e32 v105, v83
	v_mov_b32_e32 v106, v80
	v_mov_b32_e32 v107, v81
	ds_write2_b64 v98, v[104:105], v[106:107] offset0:4 offset1:5
	;; [unrolled: 5-line block ×20, first 2 shown]
	v_mov_b32_e32 v104, v8
	v_mov_b32_e32 v105, v9
	v_mov_b32_e32 v106, v0
	v_mov_b32_e32 v107, v1
	v_mov_b32_e32 v99, 1
	ds_write2_b64 v98, v[104:105], v[106:107] offset0:42 offset1:43
	ds_write_b64 v98, v[92:93] offset:352
.LBB88_27:
	s_or_b64 exec, exec, s[2:3]
	s_waitcnt lgkmcnt(0)
	v_cmp_neq_f64_e64 s[2:3], 0, v[94:95]
	v_cmp_lt_i32_e32 vcc, 1, v99
	s_barrier
	s_and_saveexec_b64 s[14:15], vcc
	s_cbranch_execz .LBB88_29
; %bb.28:
	v_div_scale_f64 v[104:105], s[16:17], v[94:95], v[94:95], 1.0
	v_rcp_f64_e32 v[106:107], v[104:105]
	v_div_scale_f64 v[108:109], vcc, 1.0, v[94:95], 1.0
	ds_read2_b64 v[112:115], v98 offset0:6 offset1:7
	v_fma_f64 v[110:111], -v[104:105], v[106:107], 1.0
	v_fmac_f64_e32 v[106:107], v[106:107], v[110:111]
	v_fma_f64 v[110:111], -v[104:105], v[106:107], 1.0
	v_fmac_f64_e32 v[106:107], v[106:107], v[110:111]
	v_mul_f64 v[110:111], v[108:109], v[106:107]
	v_fma_f64 v[104:105], -v[104:105], v[110:111], v[108:109]
	v_div_fmas_f64 v[104:105], v[104:105], v[106:107], v[110:111]
	v_div_fixup_f64 v[108:109], v[104:105], v[94:95], 1.0
	ds_read2_b64 v[104:107], v98 offset0:2 offset1:3
	v_cndmask_b32_e64 v95, v95, v109, s[2:3]
	v_cndmask_b32_e64 v94, v94, v108, s[2:3]
	ds_read2_b64 v[108:111], v98 offset0:4 offset1:5
	v_mul_f64 v[90:91], v[94:95], v[90:91]
	s_waitcnt lgkmcnt(0)
	v_fma_f64 v[86:87], -v[90:91], v[104:105], v[86:87]
	v_fma_f64 v[84:85], -v[90:91], v[106:107], v[84:85]
	ds_read2_b64 v[104:107], v98 offset0:8 offset1:9
	v_fma_f64 v[82:83], -v[90:91], v[108:109], v[82:83]
	v_fma_f64 v[80:81], -v[90:91], v[110:111], v[80:81]
	v_fma_f64 v[78:79], -v[90:91], v[112:113], v[78:79]
	ds_read2_b64 v[108:111], v98 offset0:10 offset1:11
	v_fma_f64 v[76:77], -v[90:91], v[114:115], v[76:77]
	ds_read2_b64 v[112:115], v98 offset0:12 offset1:13
	s_waitcnt lgkmcnt(0)
	v_fma_f64 v[74:75], -v[90:91], v[104:105], v[74:75]
	v_fma_f64 v[72:73], -v[90:91], v[106:107], v[72:73]
	v_fma_f64 v[70:71], -v[90:91], v[108:109], v[70:71]
	ds_read2_b64 v[104:107], v98 offset0:14 offset1:15
	v_fma_f64 v[68:69], -v[90:91], v[110:111], v[68:69]
	ds_read2_b64 v[108:111], v98 offset0:16 offset1:17
	v_fma_f64 v[66:67], -v[90:91], v[112:113], v[66:67]
	v_fma_f64 v[62:63], -v[90:91], v[114:115], v[62:63]
	ds_read2_b64 v[112:115], v98 offset0:18 offset1:19
	s_waitcnt lgkmcnt(0)
	v_fma_f64 v[64:65], -v[90:91], v[104:105], v[64:65]
	v_fma_f64 v[60:61], -v[90:91], v[106:107], v[60:61]
	ds_read2_b64 v[104:107], v98 offset0:20 offset1:21
	v_fma_f64 v[58:59], -v[90:91], v[108:109], v[58:59]
	v_fma_f64 v[56:57], -v[90:91], v[110:111], v[56:57]
	v_fma_f64 v[54:55], -v[90:91], v[112:113], v[54:55]
	ds_read2_b64 v[108:111], v98 offset0:22 offset1:23
	v_fma_f64 v[52:53], -v[90:91], v[114:115], v[52:53]
	ds_read2_b64 v[112:115], v98 offset0:24 offset1:25
	s_waitcnt lgkmcnt(0)
	v_fma_f64 v[50:51], -v[90:91], v[104:105], v[50:51]
	v_fma_f64 v[48:49], -v[90:91], v[106:107], v[48:49]
	v_fma_f64 v[46:47], -v[90:91], v[108:109], v[46:47]
	ds_read2_b64 v[104:107], v98 offset0:26 offset1:27
	v_fma_f64 v[44:45], -v[90:91], v[110:111], v[44:45]
	ds_read2_b64 v[108:111], v98 offset0:28 offset1:29
	v_fma_f64 v[42:43], -v[90:91], v[112:113], v[42:43]
	v_fma_f64 v[40:41], -v[90:91], v[114:115], v[40:41]
	ds_read2_b64 v[112:115], v98 offset0:30 offset1:31
	;; [unrolled: 20-line block ×3, first 2 shown]
	ds_read_b64 v[94:95], v98 offset:352
	s_waitcnt lgkmcnt(0)
	v_fma_f64 v[14:15], -v[90:91], v[104:105], v[14:15]
	v_fma_f64 v[12:13], -v[90:91], v[106:107], v[12:13]
	;; [unrolled: 1-line block ×7, first 2 shown]
.LBB88_29:
	s_or_b64 exec, exec, s[14:15]
	v_lshl_add_u32 v94, v99, 3, v98
	s_barrier
	ds_write_b64 v94, v[86:87]
	s_waitcnt lgkmcnt(0)
	s_barrier
	ds_read_b64 v[94:95], v98 offset:16
	s_mov_b32 s9, 3
	s_cmp_lt_i32 s18, 4
	v_mov_b32_e32 v96, 2
	s_cbranch_scc1 .LBB88_32
; %bb.30:
	v_add3_u32 v102, v103, 0, 24
	v_mov_b32_e32 v96, 2
.LBB88_31:                              ; =>This Inner Loop Header: Depth=1
	ds_read_b64 v[104:105], v102
	v_mov_b32_e32 v106, s9
	s_add_i32 s9, s9, 1
	v_add_u32_e32 v102, 8, v102
	s_cmp_lg_u32 s18, s9
	s_waitcnt lgkmcnt(0)
	v_cmp_lt_f64_e64 vcc, |v[94:95]|, |v[104:105]|
	v_cndmask_b32_e32 v95, v95, v105, vcc
	v_cndmask_b32_e32 v94, v94, v104, vcc
	;; [unrolled: 1-line block ×3, first 2 shown]
	s_cbranch_scc1 .LBB88_31
.LBB88_32:
	v_cndmask_b32_e64 v102, 2, 1, s[0:1]
	v_cndmask_b32_e64 v104, 0, 1, s[0:1]
	;; [unrolled: 1-line block ×3, first 2 shown]
	s_waitcnt lgkmcnt(0)
	v_cmp_eq_f64_e32 vcc, 0, v[94:95]
	s_and_saveexec_b64 s[0:1], vcc
	s_xor_b64 s[0:1], exec, s[0:1]
; %bb.33:
	v_cmp_ne_u32_e32 vcc, 0, v102
	v_cndmask_b32_e32 v102, 3, v102, vcc
; %bb.34:
	s_andn2_saveexec_b64 s[0:1], s[0:1]
; %bb.35:
	v_div_scale_f64 v[104:105], s[2:3], v[94:95], v[94:95], 1.0
	v_rcp_f64_e32 v[106:107], v[104:105]
	v_div_scale_f64 v[108:109], vcc, 1.0, v[94:95], 1.0
	v_fma_f64 v[110:111], -v[104:105], v[106:107], 1.0
	v_fmac_f64_e32 v[106:107], v[106:107], v[110:111]
	v_fma_f64 v[110:111], -v[104:105], v[106:107], 1.0
	v_fmac_f64_e32 v[106:107], v[106:107], v[110:111]
	v_mul_f64 v[110:111], v[108:109], v[106:107]
	v_fma_f64 v[104:105], -v[104:105], v[110:111], v[108:109]
	v_div_fmas_f64 v[104:105], v[104:105], v[106:107], v[110:111]
	v_div_fixup_f64 v[94:95], v[104:105], v[94:95], 1.0
; %bb.36:
	s_or_b64 exec, exec, s[0:1]
	v_cmp_ne_u32_e32 vcc, v99, v96
	s_and_saveexec_b64 s[0:1], vcc
	s_xor_b64 s[0:1], exec, s[0:1]
	s_cbranch_execz .LBB88_42
; %bb.37:
	v_cmp_eq_u32_e32 vcc, 2, v99
	s_and_saveexec_b64 s[2:3], vcc
	s_cbranch_execz .LBB88_41
; %bb.38:
	v_cmp_ne_u32_e32 vcc, 2, v96
	s_xor_b64 s[14:15], s[6:7], -1
	s_and_b64 s[16:17], s[14:15], vcc
	s_and_saveexec_b64 s[14:15], s[16:17]
	s_cbranch_execz .LBB88_40
; %bb.39:
	v_ashrrev_i32_e32 v97, 31, v96
	v_lshlrev_b64 v[104:105], 2, v[96:97]
	v_add_co_u32_e32 v104, vcc, v4, v104
	v_addc_co_u32_e32 v105, vcc, v5, v105, vcc
	flat_load_dword v97, v[104:105]
	flat_load_dword v99, v[4:5] offset:8
	s_waitcnt vmcnt(0) lgkmcnt(0)
	flat_store_dword v[4:5], v97 offset:8
	flat_store_dword v[104:105], v99
.LBB88_40:
	s_or_b64 exec, exec, s[14:15]
	v_mov_b32_e32 v97, v96
	v_mov_b32_e32 v99, v96
.LBB88_41:
	s_or_b64 exec, exec, s[2:3]
.LBB88_42:
	s_andn2_saveexec_b64 s[0:1], s[0:1]
	s_cbranch_execz .LBB88_44
; %bb.43:
	v_mov_b32_e32 v99, 2
	ds_write2_b64 v98, v[84:85], v[82:83] offset0:3 offset1:4
	ds_write2_b64 v98, v[80:81], v[78:79] offset0:5 offset1:6
	;; [unrolled: 1-line block ×21, first 2 shown]
.LBB88_44:
	s_or_b64 exec, exec, s[0:1]
	v_cmp_lt_i32_e32 vcc, 2, v99
	s_waitcnt lgkmcnt(0)
	s_barrier
	s_and_saveexec_b64 s[0:1], vcc
	s_cbranch_execz .LBB88_46
; %bb.45:
	ds_read2_b64 v[104:107], v98 offset0:3 offset1:4
	ds_read2_b64 v[108:111], v98 offset0:5 offset1:6
	;; [unrolled: 1-line block ×3, first 2 shown]
	v_mul_f64 v[86:87], v[94:95], v[86:87]
	s_waitcnt lgkmcnt(0)
	v_fma_f64 v[84:85], -v[86:87], v[104:105], v[84:85]
	v_fma_f64 v[82:83], -v[86:87], v[106:107], v[82:83]
	ds_read2_b64 v[104:107], v98 offset0:9 offset1:10
	v_fma_f64 v[80:81], -v[86:87], v[108:109], v[80:81]
	v_fma_f64 v[78:79], -v[86:87], v[110:111], v[78:79]
	;; [unrolled: 1-line block ×3, first 2 shown]
	ds_read2_b64 v[108:111], v98 offset0:11 offset1:12
	v_fma_f64 v[74:75], -v[86:87], v[114:115], v[74:75]
	ds_read2_b64 v[112:115], v98 offset0:13 offset1:14
	s_waitcnt lgkmcnt(0)
	v_fma_f64 v[72:73], -v[86:87], v[104:105], v[72:73]
	v_fma_f64 v[70:71], -v[86:87], v[106:107], v[70:71]
	;; [unrolled: 1-line block ×3, first 2 shown]
	ds_read2_b64 v[104:107], v98 offset0:15 offset1:16
	v_fma_f64 v[66:67], -v[86:87], v[110:111], v[66:67]
	ds_read2_b64 v[108:111], v98 offset0:17 offset1:18
	v_fma_f64 v[62:63], -v[86:87], v[112:113], v[62:63]
	v_fma_f64 v[64:65], -v[86:87], v[114:115], v[64:65]
	ds_read2_b64 v[112:115], v98 offset0:19 offset1:20
	s_waitcnt lgkmcnt(0)
	v_fma_f64 v[60:61], -v[86:87], v[104:105], v[60:61]
	v_fma_f64 v[58:59], -v[86:87], v[106:107], v[58:59]
	ds_read2_b64 v[104:107], v98 offset0:21 offset1:22
	v_fma_f64 v[56:57], -v[86:87], v[108:109], v[56:57]
	v_fma_f64 v[54:55], -v[86:87], v[110:111], v[54:55]
	v_fma_f64 v[52:53], -v[86:87], v[112:113], v[52:53]
	ds_read2_b64 v[108:111], v98 offset0:23 offset1:24
	v_fma_f64 v[50:51], -v[86:87], v[114:115], v[50:51]
	ds_read2_b64 v[112:115], v98 offset0:25 offset1:26
	s_waitcnt lgkmcnt(0)
	v_fma_f64 v[48:49], -v[86:87], v[104:105], v[48:49]
	v_fma_f64 v[46:47], -v[86:87], v[106:107], v[46:47]
	;; [unrolled: 1-line block ×3, first 2 shown]
	ds_read2_b64 v[104:107], v98 offset0:27 offset1:28
	v_fma_f64 v[42:43], -v[86:87], v[110:111], v[42:43]
	ds_read2_b64 v[108:111], v98 offset0:29 offset1:30
	v_fma_f64 v[40:41], -v[86:87], v[112:113], v[40:41]
	v_fma_f64 v[38:39], -v[86:87], v[114:115], v[38:39]
	ds_read2_b64 v[112:115], v98 offset0:31 offset1:32
	s_waitcnt lgkmcnt(0)
	v_fma_f64 v[34:35], -v[86:87], v[104:105], v[34:35]
	v_fma_f64 v[36:37], -v[86:87], v[106:107], v[36:37]
	ds_read2_b64 v[104:107], v98 offset0:33 offset1:34
	v_fma_f64 v[32:33], -v[86:87], v[108:109], v[32:33]
	v_fma_f64 v[30:31], -v[86:87], v[110:111], v[30:31]
	;; [unrolled: 1-line block ×3, first 2 shown]
	ds_read2_b64 v[108:111], v98 offset0:35 offset1:36
	v_fma_f64 v[26:27], -v[86:87], v[114:115], v[26:27]
	ds_read2_b64 v[112:115], v98 offset0:37 offset1:38
	s_waitcnt lgkmcnt(0)
	v_fma_f64 v[24:25], -v[86:87], v[104:105], v[24:25]
	v_fma_f64 v[22:23], -v[86:87], v[106:107], v[22:23]
	;; [unrolled: 1-line block ×4, first 2 shown]
	ds_read2_b64 v[104:107], v98 offset0:39 offset1:40
	ds_read2_b64 v[108:111], v98 offset0:41 offset1:42
	v_fma_f64 v[16:17], -v[86:87], v[112:113], v[16:17]
	v_fma_f64 v[14:15], -v[86:87], v[114:115], v[14:15]
	ds_read2_b64 v[112:115], v98 offset0:43 offset1:44
	s_waitcnt lgkmcnt(0)
	v_fma_f64 v[12:13], -v[86:87], v[104:105], v[12:13]
	v_fma_f64 v[10:11], -v[86:87], v[106:107], v[10:11]
	;; [unrolled: 1-line block ×6, first 2 shown]
.LBB88_46:
	s_or_b64 exec, exec, s[0:1]
	v_lshl_add_u32 v94, v99, 3, v98
	s_barrier
	ds_write_b64 v94, v[84:85]
	s_waitcnt lgkmcnt(0)
	s_barrier
	ds_read_b64 v[94:95], v98 offset:24
	s_cmp_lt_i32 s18, 5
	v_mov_b32_e32 v96, 3
	s_cbranch_scc1 .LBB88_49
; %bb.47:
	v_add3_u32 v104, v103, 0, 32
	s_mov_b32 s0, 4
	v_mov_b32_e32 v96, 3
.LBB88_48:                              ; =>This Inner Loop Header: Depth=1
	ds_read_b64 v[106:107], v104
	v_mov_b32_e32 v105, s0
	s_add_i32 s0, s0, 1
	v_add_u32_e32 v104, 8, v104
	s_cmp_lg_u32 s18, s0
	s_waitcnt lgkmcnt(0)
	v_cmp_lt_f64_e64 vcc, |v[94:95]|, |v[106:107]|
	v_cndmask_b32_e32 v95, v95, v107, vcc
	v_cndmask_b32_e32 v94, v94, v106, vcc
	;; [unrolled: 1-line block ×3, first 2 shown]
	s_cbranch_scc1 .LBB88_48
.LBB88_49:
	s_waitcnt lgkmcnt(0)
	v_cmp_eq_f64_e32 vcc, 0, v[94:95]
	s_and_saveexec_b64 s[0:1], vcc
	s_xor_b64 s[0:1], exec, s[0:1]
; %bb.50:
	v_cmp_ne_u32_e32 vcc, 0, v102
	v_cndmask_b32_e32 v102, 4, v102, vcc
; %bb.51:
	s_andn2_saveexec_b64 s[0:1], s[0:1]
; %bb.52:
	v_div_scale_f64 v[104:105], s[2:3], v[94:95], v[94:95], 1.0
	v_rcp_f64_e32 v[106:107], v[104:105]
	v_div_scale_f64 v[108:109], vcc, 1.0, v[94:95], 1.0
	v_fma_f64 v[110:111], -v[104:105], v[106:107], 1.0
	v_fmac_f64_e32 v[106:107], v[106:107], v[110:111]
	v_fma_f64 v[110:111], -v[104:105], v[106:107], 1.0
	v_fmac_f64_e32 v[106:107], v[106:107], v[110:111]
	v_mul_f64 v[110:111], v[108:109], v[106:107]
	v_fma_f64 v[104:105], -v[104:105], v[110:111], v[108:109]
	v_div_fmas_f64 v[104:105], v[104:105], v[106:107], v[110:111]
	v_div_fixup_f64 v[94:95], v[104:105], v[94:95], 1.0
; %bb.53:
	s_or_b64 exec, exec, s[0:1]
	v_cmp_ne_u32_e32 vcc, v99, v96
	s_and_saveexec_b64 s[0:1], vcc
	s_xor_b64 s[0:1], exec, s[0:1]
	s_cbranch_execz .LBB88_59
; %bb.54:
	v_cmp_eq_u32_e32 vcc, 3, v99
	s_and_saveexec_b64 s[2:3], vcc
	s_cbranch_execz .LBB88_58
; %bb.55:
	v_cmp_ne_u32_e32 vcc, 3, v96
	s_xor_b64 s[14:15], s[6:7], -1
	s_and_b64 s[16:17], s[14:15], vcc
	s_and_saveexec_b64 s[14:15], s[16:17]
	s_cbranch_execz .LBB88_57
; %bb.56:
	v_ashrrev_i32_e32 v97, 31, v96
	v_lshlrev_b64 v[104:105], 2, v[96:97]
	v_add_co_u32_e32 v104, vcc, v4, v104
	v_addc_co_u32_e32 v105, vcc, v5, v105, vcc
	flat_load_dword v97, v[104:105]
	flat_load_dword v99, v[4:5] offset:12
	s_waitcnt vmcnt(0) lgkmcnt(0)
	flat_store_dword v[4:5], v97 offset:12
	flat_store_dword v[104:105], v99
.LBB88_57:
	s_or_b64 exec, exec, s[14:15]
	v_mov_b32_e32 v97, v96
	v_mov_b32_e32 v99, v96
.LBB88_58:
	s_or_b64 exec, exec, s[2:3]
.LBB88_59:
	s_andn2_saveexec_b64 s[0:1], s[0:1]
	s_cbranch_execz .LBB88_61
; %bb.60:
	v_mov_b32_e32 v104, v82
	v_mov_b32_e32 v105, v83
	v_mov_b32_e32 v106, v80
	v_mov_b32_e32 v107, v81
	ds_write2_b64 v98, v[104:105], v[106:107] offset0:4 offset1:5
	v_mov_b32_e32 v104, v78
	v_mov_b32_e32 v105, v79
	v_mov_b32_e32 v106, v76
	v_mov_b32_e32 v107, v77
	ds_write2_b64 v98, v[104:105], v[106:107] offset0:6 offset1:7
	;; [unrolled: 5-line block ×19, first 2 shown]
	v_mov_b32_e32 v104, v8
	v_mov_b32_e32 v105, v9
	;; [unrolled: 1-line block ×5, first 2 shown]
	ds_write2_b64 v98, v[104:105], v[106:107] offset0:42 offset1:43
	ds_write_b64 v98, v[92:93] offset:352
.LBB88_61:
	s_or_b64 exec, exec, s[0:1]
	v_cmp_lt_i32_e32 vcc, 3, v99
	s_waitcnt lgkmcnt(0)
	s_barrier
	s_and_saveexec_b64 s[0:1], vcc
	s_cbranch_execz .LBB88_63
; %bb.62:
	ds_read2_b64 v[104:107], v98 offset0:4 offset1:5
	ds_read2_b64 v[108:111], v98 offset0:6 offset1:7
	v_mul_f64 v[84:85], v[94:95], v[84:85]
	ds_read2_b64 v[112:115], v98 offset0:8 offset1:9
	ds_read_b64 v[94:95], v98 offset:352
	s_waitcnt lgkmcnt(0)
	v_fma_f64 v[82:83], -v[84:85], v[104:105], v[82:83]
	v_fma_f64 v[80:81], -v[84:85], v[106:107], v[80:81]
	ds_read2_b64 v[104:107], v98 offset0:10 offset1:11
	v_fma_f64 v[78:79], -v[84:85], v[108:109], v[78:79]
	v_fma_f64 v[76:77], -v[84:85], v[110:111], v[76:77]
	ds_read2_b64 v[108:111], v98 offset0:12 offset1:13
	;; [unrolled: 3-line block ×3, first 2 shown]
	s_waitcnt lgkmcnt(0)
	v_fma_f64 v[70:71], -v[84:85], v[104:105], v[70:71]
	v_fma_f64 v[68:69], -v[84:85], v[106:107], v[68:69]
	;; [unrolled: 1-line block ×3, first 2 shown]
	ds_read2_b64 v[104:107], v98 offset0:16 offset1:17
	v_fma_f64 v[62:63], -v[84:85], v[110:111], v[62:63]
	ds_read2_b64 v[108:111], v98 offset0:18 offset1:19
	v_fma_f64 v[64:65], -v[84:85], v[112:113], v[64:65]
	v_fma_f64 v[60:61], -v[84:85], v[114:115], v[60:61]
	s_waitcnt lgkmcnt(0)
	v_fma_f64 v[58:59], -v[84:85], v[104:105], v[58:59]
	ds_read2_b64 v[112:115], v98 offset0:20 offset1:21
	v_fma_f64 v[56:57], -v[84:85], v[106:107], v[56:57]
	ds_read2_b64 v[104:107], v98 offset0:22 offset1:23
	v_fma_f64 v[54:55], -v[84:85], v[108:109], v[54:55]
	v_fma_f64 v[52:53], -v[84:85], v[110:111], v[52:53]
	ds_read2_b64 v[108:111], v98 offset0:24 offset1:25
	s_waitcnt lgkmcnt(0)
	v_fma_f64 v[50:51], -v[84:85], v[112:113], v[50:51]
	v_fma_f64 v[48:49], -v[84:85], v[114:115], v[48:49]
	ds_read2_b64 v[112:115], v98 offset0:26 offset1:27
	v_fma_f64 v[46:47], -v[84:85], v[104:105], v[46:47]
	v_fma_f64 v[44:45], -v[84:85], v[106:107], v[44:45]
	;; [unrolled: 1-line block ×3, first 2 shown]
	ds_read2_b64 v[104:107], v98 offset0:28 offset1:29
	v_fma_f64 v[40:41], -v[84:85], v[110:111], v[40:41]
	ds_read2_b64 v[108:111], v98 offset0:30 offset1:31
	s_waitcnt lgkmcnt(0)
	v_fma_f64 v[38:39], -v[84:85], v[112:113], v[38:39]
	v_fma_f64 v[34:35], -v[84:85], v[114:115], v[34:35]
	;; [unrolled: 1-line block ×3, first 2 shown]
	ds_read2_b64 v[112:115], v98 offset0:32 offset1:33
	v_fma_f64 v[32:33], -v[84:85], v[106:107], v[32:33]
	ds_read2_b64 v[104:107], v98 offset0:34 offset1:35
	v_fma_f64 v[30:31], -v[84:85], v[108:109], v[30:31]
	v_fma_f64 v[28:29], -v[84:85], v[110:111], v[28:29]
	ds_read2_b64 v[108:111], v98 offset0:36 offset1:37
	s_waitcnt lgkmcnt(0)
	v_fma_f64 v[26:27], -v[84:85], v[112:113], v[26:27]
	v_fma_f64 v[24:25], -v[84:85], v[114:115], v[24:25]
	ds_read2_b64 v[112:115], v98 offset0:38 offset1:39
	v_fma_f64 v[22:23], -v[84:85], v[104:105], v[22:23]
	v_fma_f64 v[20:21], -v[84:85], v[106:107], v[20:21]
	;; [unrolled: 1-line block ×4, first 2 shown]
	ds_read2_b64 v[104:107], v98 offset0:40 offset1:41
	ds_read2_b64 v[108:111], v98 offset0:42 offset1:43
	s_waitcnt lgkmcnt(0)
	v_fma_f64 v[14:15], -v[84:85], v[112:113], v[14:15]
	v_fma_f64 v[12:13], -v[84:85], v[114:115], v[12:13]
	;; [unrolled: 1-line block ×7, first 2 shown]
.LBB88_63:
	s_or_b64 exec, exec, s[0:1]
	v_lshl_add_u32 v94, v99, 3, v98
	s_barrier
	ds_write_b64 v94, v[82:83]
	s_waitcnt lgkmcnt(0)
	s_barrier
	ds_read_b64 v[94:95], v98 offset:32
	s_cmp_lt_i32 s18, 6
	v_mov_b32_e32 v96, 4
	s_cbranch_scc1 .LBB88_66
; %bb.64:
	v_add3_u32 v104, v103, 0, 40
	s_mov_b32 s0, 5
	v_mov_b32_e32 v96, 4
.LBB88_65:                              ; =>This Inner Loop Header: Depth=1
	ds_read_b64 v[106:107], v104
	v_mov_b32_e32 v105, s0
	s_add_i32 s0, s0, 1
	v_add_u32_e32 v104, 8, v104
	s_cmp_lg_u32 s18, s0
	s_waitcnt lgkmcnt(0)
	v_cmp_lt_f64_e64 vcc, |v[94:95]|, |v[106:107]|
	v_cndmask_b32_e32 v95, v95, v107, vcc
	v_cndmask_b32_e32 v94, v94, v106, vcc
	;; [unrolled: 1-line block ×3, first 2 shown]
	s_cbranch_scc1 .LBB88_65
.LBB88_66:
	s_waitcnt lgkmcnt(0)
	v_cmp_eq_f64_e32 vcc, 0, v[94:95]
	s_and_saveexec_b64 s[0:1], vcc
	s_xor_b64 s[0:1], exec, s[0:1]
; %bb.67:
	v_cmp_ne_u32_e32 vcc, 0, v102
	v_cndmask_b32_e32 v102, 5, v102, vcc
; %bb.68:
	s_andn2_saveexec_b64 s[0:1], s[0:1]
; %bb.69:
	v_div_scale_f64 v[104:105], s[2:3], v[94:95], v[94:95], 1.0
	v_rcp_f64_e32 v[106:107], v[104:105]
	v_div_scale_f64 v[108:109], vcc, 1.0, v[94:95], 1.0
	v_fma_f64 v[110:111], -v[104:105], v[106:107], 1.0
	v_fmac_f64_e32 v[106:107], v[106:107], v[110:111]
	v_fma_f64 v[110:111], -v[104:105], v[106:107], 1.0
	v_fmac_f64_e32 v[106:107], v[106:107], v[110:111]
	v_mul_f64 v[110:111], v[108:109], v[106:107]
	v_fma_f64 v[104:105], -v[104:105], v[110:111], v[108:109]
	v_div_fmas_f64 v[104:105], v[104:105], v[106:107], v[110:111]
	v_div_fixup_f64 v[94:95], v[104:105], v[94:95], 1.0
; %bb.70:
	s_or_b64 exec, exec, s[0:1]
	v_cmp_ne_u32_e32 vcc, v99, v96
	s_and_saveexec_b64 s[0:1], vcc
	s_xor_b64 s[0:1], exec, s[0:1]
	s_cbranch_execz .LBB88_76
; %bb.71:
	v_cmp_eq_u32_e32 vcc, 4, v99
	s_and_saveexec_b64 s[2:3], vcc
	s_cbranch_execz .LBB88_75
; %bb.72:
	v_cmp_ne_u32_e32 vcc, 4, v96
	s_xor_b64 s[14:15], s[6:7], -1
	s_and_b64 s[16:17], s[14:15], vcc
	s_and_saveexec_b64 s[14:15], s[16:17]
	s_cbranch_execz .LBB88_74
; %bb.73:
	v_ashrrev_i32_e32 v97, 31, v96
	v_lshlrev_b64 v[104:105], 2, v[96:97]
	v_add_co_u32_e32 v104, vcc, v4, v104
	v_addc_co_u32_e32 v105, vcc, v5, v105, vcc
	flat_load_dword v97, v[104:105]
	flat_load_dword v99, v[4:5] offset:16
	s_waitcnt vmcnt(0) lgkmcnt(0)
	flat_store_dword v[4:5], v97 offset:16
	flat_store_dword v[104:105], v99
.LBB88_74:
	s_or_b64 exec, exec, s[14:15]
	v_mov_b32_e32 v97, v96
	v_mov_b32_e32 v99, v96
.LBB88_75:
	s_or_b64 exec, exec, s[2:3]
.LBB88_76:
	s_andn2_saveexec_b64 s[0:1], s[0:1]
	s_cbranch_execz .LBB88_78
; %bb.77:
	v_mov_b32_e32 v99, 4
	ds_write2_b64 v98, v[80:81], v[78:79] offset0:5 offset1:6
	ds_write2_b64 v98, v[76:77], v[74:75] offset0:7 offset1:8
	;; [unrolled: 1-line block ×20, first 2 shown]
.LBB88_78:
	s_or_b64 exec, exec, s[0:1]
	v_cmp_lt_i32_e32 vcc, 4, v99
	s_waitcnt lgkmcnt(0)
	s_barrier
	s_and_saveexec_b64 s[0:1], vcc
	s_cbranch_execz .LBB88_80
; %bb.79:
	ds_read2_b64 v[104:107], v98 offset0:5 offset1:6
	ds_read2_b64 v[108:111], v98 offset0:7 offset1:8
	v_mul_f64 v[82:83], v[94:95], v[82:83]
	ds_read2_b64 v[112:115], v98 offset0:9 offset1:10
	s_waitcnt lgkmcnt(0)
	v_fma_f64 v[80:81], -v[82:83], v[104:105], v[80:81]
	v_fma_f64 v[78:79], -v[82:83], v[106:107], v[78:79]
	ds_read2_b64 v[104:107], v98 offset0:11 offset1:12
	v_fma_f64 v[76:77], -v[82:83], v[108:109], v[76:77]
	v_fma_f64 v[74:75], -v[82:83], v[110:111], v[74:75]
	ds_read2_b64 v[108:111], v98 offset0:13 offset1:14
	v_fma_f64 v[72:73], -v[82:83], v[112:113], v[72:73]
	v_fma_f64 v[70:71], -v[82:83], v[114:115], v[70:71]
	ds_read2_b64 v[112:115], v98 offset0:15 offset1:16
	s_waitcnt lgkmcnt(0)
	v_fma_f64 v[68:69], -v[82:83], v[104:105], v[68:69]
	v_fma_f64 v[66:67], -v[82:83], v[106:107], v[66:67]
	v_fma_f64 v[62:63], -v[82:83], v[108:109], v[62:63]
	ds_read2_b64 v[104:107], v98 offset0:17 offset1:18
	v_fma_f64 v[64:65], -v[82:83], v[110:111], v[64:65]
	ds_read2_b64 v[108:111], v98 offset0:19 offset1:20
	v_fma_f64 v[60:61], -v[82:83], v[112:113], v[60:61]
	v_fma_f64 v[58:59], -v[82:83], v[114:115], v[58:59]
	s_waitcnt lgkmcnt(0)
	v_fma_f64 v[56:57], -v[82:83], v[104:105], v[56:57]
	ds_read2_b64 v[112:115], v98 offset0:21 offset1:22
	v_fma_f64 v[54:55], -v[82:83], v[106:107], v[54:55]
	ds_read2_b64 v[104:107], v98 offset0:23 offset1:24
	v_fma_f64 v[52:53], -v[82:83], v[108:109], v[52:53]
	v_fma_f64 v[50:51], -v[82:83], v[110:111], v[50:51]
	ds_read2_b64 v[108:111], v98 offset0:25 offset1:26
	s_waitcnt lgkmcnt(0)
	v_fma_f64 v[48:49], -v[82:83], v[112:113], v[48:49]
	v_fma_f64 v[46:47], -v[82:83], v[114:115], v[46:47]
	ds_read2_b64 v[112:115], v98 offset0:27 offset1:28
	v_fma_f64 v[44:45], -v[82:83], v[104:105], v[44:45]
	v_fma_f64 v[42:43], -v[82:83], v[106:107], v[42:43]
	;; [unrolled: 1-line block ×3, first 2 shown]
	ds_read2_b64 v[104:107], v98 offset0:29 offset1:30
	v_fma_f64 v[38:39], -v[82:83], v[110:111], v[38:39]
	ds_read2_b64 v[108:111], v98 offset0:31 offset1:32
	s_waitcnt lgkmcnt(0)
	v_fma_f64 v[34:35], -v[82:83], v[112:113], v[34:35]
	v_fma_f64 v[36:37], -v[82:83], v[114:115], v[36:37]
	;; [unrolled: 1-line block ×3, first 2 shown]
	ds_read2_b64 v[112:115], v98 offset0:33 offset1:34
	v_fma_f64 v[30:31], -v[82:83], v[106:107], v[30:31]
	ds_read2_b64 v[104:107], v98 offset0:35 offset1:36
	v_fma_f64 v[28:29], -v[82:83], v[108:109], v[28:29]
	v_fma_f64 v[26:27], -v[82:83], v[110:111], v[26:27]
	ds_read2_b64 v[108:111], v98 offset0:37 offset1:38
	s_waitcnt lgkmcnt(0)
	v_fma_f64 v[24:25], -v[82:83], v[112:113], v[24:25]
	v_fma_f64 v[22:23], -v[82:83], v[114:115], v[22:23]
	;; [unrolled: 1-line block ×4, first 2 shown]
	ds_read2_b64 v[104:107], v98 offset0:39 offset1:40
	v_fma_f64 v[16:17], -v[82:83], v[108:109], v[16:17]
	ds_read2_b64 v[112:115], v98 offset0:41 offset1:42
	v_fma_f64 v[14:15], -v[82:83], v[110:111], v[14:15]
	ds_read2_b64 v[108:111], v98 offset0:43 offset1:44
	s_waitcnt lgkmcnt(0)
	v_fma_f64 v[12:13], -v[82:83], v[104:105], v[12:13]
	v_fma_f64 v[10:11], -v[82:83], v[106:107], v[10:11]
	;; [unrolled: 1-line block ×6, first 2 shown]
.LBB88_80:
	s_or_b64 exec, exec, s[0:1]
	v_lshl_add_u32 v94, v99, 3, v98
	s_barrier
	ds_write_b64 v94, v[80:81]
	s_waitcnt lgkmcnt(0)
	s_barrier
	ds_read_b64 v[94:95], v98 offset:40
	s_cmp_lt_i32 s18, 7
	v_mov_b32_e32 v96, 5
	s_cbranch_scc1 .LBB88_83
; %bb.81:
	v_add3_u32 v104, v103, 0, 48
	s_mov_b32 s0, 6
	v_mov_b32_e32 v96, 5
.LBB88_82:                              ; =>This Inner Loop Header: Depth=1
	ds_read_b64 v[106:107], v104
	v_mov_b32_e32 v105, s0
	s_add_i32 s0, s0, 1
	v_add_u32_e32 v104, 8, v104
	s_cmp_lg_u32 s18, s0
	s_waitcnt lgkmcnt(0)
	v_cmp_lt_f64_e64 vcc, |v[94:95]|, |v[106:107]|
	v_cndmask_b32_e32 v95, v95, v107, vcc
	v_cndmask_b32_e32 v94, v94, v106, vcc
	;; [unrolled: 1-line block ×3, first 2 shown]
	s_cbranch_scc1 .LBB88_82
.LBB88_83:
	s_waitcnt lgkmcnt(0)
	v_cmp_eq_f64_e32 vcc, 0, v[94:95]
	s_and_saveexec_b64 s[0:1], vcc
	s_xor_b64 s[0:1], exec, s[0:1]
; %bb.84:
	v_cmp_ne_u32_e32 vcc, 0, v102
	v_cndmask_b32_e32 v102, 6, v102, vcc
; %bb.85:
	s_andn2_saveexec_b64 s[0:1], s[0:1]
; %bb.86:
	v_div_scale_f64 v[104:105], s[2:3], v[94:95], v[94:95], 1.0
	v_rcp_f64_e32 v[106:107], v[104:105]
	v_div_scale_f64 v[108:109], vcc, 1.0, v[94:95], 1.0
	v_fma_f64 v[110:111], -v[104:105], v[106:107], 1.0
	v_fmac_f64_e32 v[106:107], v[106:107], v[110:111]
	v_fma_f64 v[110:111], -v[104:105], v[106:107], 1.0
	v_fmac_f64_e32 v[106:107], v[106:107], v[110:111]
	v_mul_f64 v[110:111], v[108:109], v[106:107]
	v_fma_f64 v[104:105], -v[104:105], v[110:111], v[108:109]
	v_div_fmas_f64 v[104:105], v[104:105], v[106:107], v[110:111]
	v_div_fixup_f64 v[94:95], v[104:105], v[94:95], 1.0
; %bb.87:
	s_or_b64 exec, exec, s[0:1]
	v_cmp_ne_u32_e32 vcc, v99, v96
	s_and_saveexec_b64 s[0:1], vcc
	s_xor_b64 s[0:1], exec, s[0:1]
	s_cbranch_execz .LBB88_93
; %bb.88:
	v_cmp_eq_u32_e32 vcc, 5, v99
	s_and_saveexec_b64 s[2:3], vcc
	s_cbranch_execz .LBB88_92
; %bb.89:
	v_cmp_ne_u32_e32 vcc, 5, v96
	s_xor_b64 s[14:15], s[6:7], -1
	s_and_b64 s[16:17], s[14:15], vcc
	s_and_saveexec_b64 s[14:15], s[16:17]
	s_cbranch_execz .LBB88_91
; %bb.90:
	v_ashrrev_i32_e32 v97, 31, v96
	v_lshlrev_b64 v[104:105], 2, v[96:97]
	v_add_co_u32_e32 v104, vcc, v4, v104
	v_addc_co_u32_e32 v105, vcc, v5, v105, vcc
	flat_load_dword v97, v[104:105]
	flat_load_dword v99, v[4:5] offset:20
	s_waitcnt vmcnt(0) lgkmcnt(0)
	flat_store_dword v[4:5], v97 offset:20
	flat_store_dword v[104:105], v99
.LBB88_91:
	s_or_b64 exec, exec, s[14:15]
	v_mov_b32_e32 v97, v96
	v_mov_b32_e32 v99, v96
.LBB88_92:
	s_or_b64 exec, exec, s[2:3]
.LBB88_93:
	s_andn2_saveexec_b64 s[0:1], s[0:1]
	s_cbranch_execz .LBB88_95
; %bb.94:
	v_mov_b32_e32 v104, v78
	v_mov_b32_e32 v105, v79
	v_mov_b32_e32 v106, v76
	v_mov_b32_e32 v107, v77
	ds_write2_b64 v98, v[104:105], v[106:107] offset0:6 offset1:7
	v_mov_b32_e32 v104, v74
	v_mov_b32_e32 v105, v75
	v_mov_b32_e32 v106, v72
	v_mov_b32_e32 v107, v73
	ds_write2_b64 v98, v[104:105], v[106:107] offset0:8 offset1:9
	v_mov_b32_e32 v104, v70
	v_mov_b32_e32 v105, v71
	v_mov_b32_e32 v106, v68
	v_mov_b32_e32 v107, v69
	ds_write2_b64 v98, v[104:105], v[106:107] offset0:10 offset1:11
	v_mov_b32_e32 v104, v66
	v_mov_b32_e32 v105, v67
	v_mov_b32_e32 v106, v62
	v_mov_b32_e32 v107, v63
	ds_write2_b64 v98, v[104:105], v[106:107] offset0:12 offset1:13
	v_mov_b32_e32 v104, v64
	v_mov_b32_e32 v105, v65
	v_mov_b32_e32 v106, v60
	v_mov_b32_e32 v107, v61
	ds_write2_b64 v98, v[104:105], v[106:107] offset0:14 offset1:15
	v_mov_b32_e32 v104, v58
	v_mov_b32_e32 v105, v59
	v_mov_b32_e32 v106, v56
	v_mov_b32_e32 v107, v57
	ds_write2_b64 v98, v[104:105], v[106:107] offset0:16 offset1:17
	v_mov_b32_e32 v104, v54
	v_mov_b32_e32 v105, v55
	v_mov_b32_e32 v106, v52
	v_mov_b32_e32 v107, v53
	ds_write2_b64 v98, v[104:105], v[106:107] offset0:18 offset1:19
	v_mov_b32_e32 v104, v50
	v_mov_b32_e32 v105, v51
	v_mov_b32_e32 v106, v48
	v_mov_b32_e32 v107, v49
	ds_write2_b64 v98, v[104:105], v[106:107] offset0:20 offset1:21
	v_mov_b32_e32 v104, v46
	v_mov_b32_e32 v105, v47
	v_mov_b32_e32 v106, v44
	v_mov_b32_e32 v107, v45
	ds_write2_b64 v98, v[104:105], v[106:107] offset0:22 offset1:23
	v_mov_b32_e32 v104, v42
	v_mov_b32_e32 v105, v43
	v_mov_b32_e32 v106, v40
	v_mov_b32_e32 v107, v41
	ds_write2_b64 v98, v[104:105], v[106:107] offset0:24 offset1:25
	v_mov_b32_e32 v104, v38
	v_mov_b32_e32 v105, v39
	v_mov_b32_e32 v106, v34
	v_mov_b32_e32 v107, v35
	ds_write2_b64 v98, v[104:105], v[106:107] offset0:26 offset1:27
	v_mov_b32_e32 v104, v36
	v_mov_b32_e32 v105, v37
	v_mov_b32_e32 v106, v32
	v_mov_b32_e32 v107, v33
	ds_write2_b64 v98, v[104:105], v[106:107] offset0:28 offset1:29
	v_mov_b32_e32 v104, v30
	v_mov_b32_e32 v105, v31
	v_mov_b32_e32 v106, v28
	v_mov_b32_e32 v107, v29
	ds_write2_b64 v98, v[104:105], v[106:107] offset0:30 offset1:31
	v_mov_b32_e32 v104, v26
	v_mov_b32_e32 v105, v27
	v_mov_b32_e32 v106, v24
	v_mov_b32_e32 v107, v25
	ds_write2_b64 v98, v[104:105], v[106:107] offset0:32 offset1:33
	v_mov_b32_e32 v104, v22
	v_mov_b32_e32 v105, v23
	v_mov_b32_e32 v106, v20
	v_mov_b32_e32 v107, v21
	ds_write2_b64 v98, v[104:105], v[106:107] offset0:34 offset1:35
	v_mov_b32_e32 v104, v18
	v_mov_b32_e32 v105, v19
	v_mov_b32_e32 v106, v16
	v_mov_b32_e32 v107, v17
	ds_write2_b64 v98, v[104:105], v[106:107] offset0:36 offset1:37
	v_mov_b32_e32 v104, v14
	v_mov_b32_e32 v105, v15
	v_mov_b32_e32 v106, v12
	v_mov_b32_e32 v107, v13
	ds_write2_b64 v98, v[104:105], v[106:107] offset0:38 offset1:39
	v_mov_b32_e32 v104, v10
	v_mov_b32_e32 v105, v11
	v_mov_b32_e32 v106, v6
	v_mov_b32_e32 v107, v7
	ds_write2_b64 v98, v[104:105], v[106:107] offset0:40 offset1:41
	v_mov_b32_e32 v104, v8
	v_mov_b32_e32 v105, v9
	;; [unrolled: 1-line block ×5, first 2 shown]
	ds_write2_b64 v98, v[104:105], v[106:107] offset0:42 offset1:43
	ds_write_b64 v98, v[92:93] offset:352
.LBB88_95:
	s_or_b64 exec, exec, s[0:1]
	v_cmp_lt_i32_e32 vcc, 5, v99
	s_waitcnt lgkmcnt(0)
	s_barrier
	s_and_saveexec_b64 s[0:1], vcc
	s_cbranch_execz .LBB88_97
; %bb.96:
	ds_read2_b64 v[104:107], v98 offset0:6 offset1:7
	ds_read2_b64 v[108:111], v98 offset0:8 offset1:9
	v_mul_f64 v[80:81], v[94:95], v[80:81]
	ds_read2_b64 v[112:115], v98 offset0:10 offset1:11
	ds_read_b64 v[94:95], v98 offset:352
	s_waitcnt lgkmcnt(0)
	v_fma_f64 v[78:79], -v[80:81], v[104:105], v[78:79]
	v_fma_f64 v[76:77], -v[80:81], v[106:107], v[76:77]
	ds_read2_b64 v[104:107], v98 offset0:12 offset1:13
	v_fma_f64 v[74:75], -v[80:81], v[108:109], v[74:75]
	v_fma_f64 v[72:73], -v[80:81], v[110:111], v[72:73]
	;; [unrolled: 1-line block ×3, first 2 shown]
	ds_read2_b64 v[108:111], v98 offset0:14 offset1:15
	v_fma_f64 v[68:69], -v[80:81], v[114:115], v[68:69]
	ds_read2_b64 v[112:115], v98 offset0:16 offset1:17
	s_waitcnt lgkmcnt(0)
	v_fma_f64 v[66:67], -v[80:81], v[104:105], v[66:67]
	v_fma_f64 v[62:63], -v[80:81], v[106:107], v[62:63]
	ds_read2_b64 v[104:107], v98 offset0:18 offset1:19
	v_fma_f64 v[64:65], -v[80:81], v[108:109], v[64:65]
	v_fma_f64 v[60:61], -v[80:81], v[110:111], v[60:61]
	ds_read2_b64 v[108:111], v98 offset0:20 offset1:21
	v_fma_f64 v[58:59], -v[80:81], v[112:113], v[58:59]
	v_fma_f64 v[56:57], -v[80:81], v[114:115], v[56:57]
	s_waitcnt lgkmcnt(0)
	v_fma_f64 v[54:55], -v[80:81], v[104:105], v[54:55]
	ds_read2_b64 v[112:115], v98 offset0:22 offset1:23
	v_fma_f64 v[52:53], -v[80:81], v[106:107], v[52:53]
	ds_read2_b64 v[104:107], v98 offset0:24 offset1:25
	v_fma_f64 v[50:51], -v[80:81], v[108:109], v[50:51]
	v_fma_f64 v[48:49], -v[80:81], v[110:111], v[48:49]
	s_waitcnt lgkmcnt(0)
	v_fma_f64 v[46:47], -v[80:81], v[112:113], v[46:47]
	ds_read2_b64 v[108:111], v98 offset0:26 offset1:27
	v_fma_f64 v[44:45], -v[80:81], v[114:115], v[44:45]
	ds_read2_b64 v[112:115], v98 offset0:28 offset1:29
	v_fma_f64 v[42:43], -v[80:81], v[104:105], v[42:43]
	v_fma_f64 v[40:41], -v[80:81], v[106:107], v[40:41]
	ds_read2_b64 v[104:107], v98 offset0:30 offset1:31
	s_waitcnt lgkmcnt(0)
	v_fma_f64 v[38:39], -v[80:81], v[108:109], v[38:39]
	v_fma_f64 v[34:35], -v[80:81], v[110:111], v[34:35]
	ds_read2_b64 v[108:111], v98 offset0:32 offset1:33
	v_fma_f64 v[36:37], -v[80:81], v[112:113], v[36:37]
	v_fma_f64 v[32:33], -v[80:81], v[114:115], v[32:33]
	;; [unrolled: 1-line block ×3, first 2 shown]
	ds_read2_b64 v[112:115], v98 offset0:34 offset1:35
	v_fma_f64 v[28:29], -v[80:81], v[106:107], v[28:29]
	ds_read2_b64 v[104:107], v98 offset0:36 offset1:37
	s_waitcnt lgkmcnt(0)
	v_fma_f64 v[26:27], -v[80:81], v[108:109], v[26:27]
	v_fma_f64 v[24:25], -v[80:81], v[110:111], v[24:25]
	;; [unrolled: 1-line block ×3, first 2 shown]
	ds_read2_b64 v[108:111], v98 offset0:38 offset1:39
	v_fma_f64 v[20:21], -v[80:81], v[114:115], v[20:21]
	v_fma_f64 v[18:19], -v[80:81], v[104:105], v[18:19]
	;; [unrolled: 1-line block ×3, first 2 shown]
	ds_read2_b64 v[104:107], v98 offset0:40 offset1:41
	ds_read2_b64 v[112:115], v98 offset0:42 offset1:43
	s_waitcnt lgkmcnt(0)
	v_fma_f64 v[14:15], -v[80:81], v[108:109], v[14:15]
	v_fma_f64 v[12:13], -v[80:81], v[110:111], v[12:13]
	;; [unrolled: 1-line block ×7, first 2 shown]
.LBB88_97:
	s_or_b64 exec, exec, s[0:1]
	v_lshl_add_u32 v94, v99, 3, v98
	s_barrier
	ds_write_b64 v94, v[78:79]
	s_waitcnt lgkmcnt(0)
	s_barrier
	ds_read_b64 v[94:95], v98 offset:48
	s_cmp_lt_i32 s18, 8
	v_mov_b32_e32 v96, 6
	s_cbranch_scc1 .LBB88_100
; %bb.98:
	v_add3_u32 v104, v103, 0, 56
	s_mov_b32 s0, 7
	v_mov_b32_e32 v96, 6
.LBB88_99:                              ; =>This Inner Loop Header: Depth=1
	ds_read_b64 v[106:107], v104
	v_mov_b32_e32 v105, s0
	s_add_i32 s0, s0, 1
	v_add_u32_e32 v104, 8, v104
	s_cmp_lg_u32 s18, s0
	s_waitcnt lgkmcnt(0)
	v_cmp_lt_f64_e64 vcc, |v[94:95]|, |v[106:107]|
	v_cndmask_b32_e32 v95, v95, v107, vcc
	v_cndmask_b32_e32 v94, v94, v106, vcc
	;; [unrolled: 1-line block ×3, first 2 shown]
	s_cbranch_scc1 .LBB88_99
.LBB88_100:
	s_waitcnt lgkmcnt(0)
	v_cmp_eq_f64_e32 vcc, 0, v[94:95]
	s_and_saveexec_b64 s[0:1], vcc
	s_xor_b64 s[0:1], exec, s[0:1]
; %bb.101:
	v_cmp_ne_u32_e32 vcc, 0, v102
	v_cndmask_b32_e32 v102, 7, v102, vcc
; %bb.102:
	s_andn2_saveexec_b64 s[0:1], s[0:1]
; %bb.103:
	v_div_scale_f64 v[104:105], s[2:3], v[94:95], v[94:95], 1.0
	v_rcp_f64_e32 v[106:107], v[104:105]
	v_div_scale_f64 v[108:109], vcc, 1.0, v[94:95], 1.0
	v_fma_f64 v[110:111], -v[104:105], v[106:107], 1.0
	v_fmac_f64_e32 v[106:107], v[106:107], v[110:111]
	v_fma_f64 v[110:111], -v[104:105], v[106:107], 1.0
	v_fmac_f64_e32 v[106:107], v[106:107], v[110:111]
	v_mul_f64 v[110:111], v[108:109], v[106:107]
	v_fma_f64 v[104:105], -v[104:105], v[110:111], v[108:109]
	v_div_fmas_f64 v[104:105], v[104:105], v[106:107], v[110:111]
	v_div_fixup_f64 v[94:95], v[104:105], v[94:95], 1.0
; %bb.104:
	s_or_b64 exec, exec, s[0:1]
	v_cmp_ne_u32_e32 vcc, v99, v96
	s_and_saveexec_b64 s[0:1], vcc
	s_xor_b64 s[0:1], exec, s[0:1]
	s_cbranch_execz .LBB88_110
; %bb.105:
	v_cmp_eq_u32_e32 vcc, 6, v99
	s_and_saveexec_b64 s[2:3], vcc
	s_cbranch_execz .LBB88_109
; %bb.106:
	v_cmp_ne_u32_e32 vcc, 6, v96
	s_xor_b64 s[14:15], s[6:7], -1
	s_and_b64 s[16:17], s[14:15], vcc
	s_and_saveexec_b64 s[14:15], s[16:17]
	s_cbranch_execz .LBB88_108
; %bb.107:
	v_ashrrev_i32_e32 v97, 31, v96
	v_lshlrev_b64 v[104:105], 2, v[96:97]
	v_add_co_u32_e32 v104, vcc, v4, v104
	v_addc_co_u32_e32 v105, vcc, v5, v105, vcc
	flat_load_dword v97, v[104:105]
	flat_load_dword v99, v[4:5] offset:24
	s_waitcnt vmcnt(0) lgkmcnt(0)
	flat_store_dword v[4:5], v97 offset:24
	flat_store_dword v[104:105], v99
.LBB88_108:
	s_or_b64 exec, exec, s[14:15]
	v_mov_b32_e32 v97, v96
	v_mov_b32_e32 v99, v96
.LBB88_109:
	s_or_b64 exec, exec, s[2:3]
.LBB88_110:
	s_andn2_saveexec_b64 s[0:1], s[0:1]
	s_cbranch_execz .LBB88_112
; %bb.111:
	v_mov_b32_e32 v99, 6
	ds_write2_b64 v98, v[76:77], v[74:75] offset0:7 offset1:8
	ds_write2_b64 v98, v[72:73], v[70:71] offset0:9 offset1:10
	;; [unrolled: 1-line block ×19, first 2 shown]
.LBB88_112:
	s_or_b64 exec, exec, s[0:1]
	v_cmp_lt_i32_e32 vcc, 6, v99
	s_waitcnt lgkmcnt(0)
	s_barrier
	s_and_saveexec_b64 s[0:1], vcc
	s_cbranch_execz .LBB88_114
; %bb.113:
	ds_read2_b64 v[104:107], v98 offset0:7 offset1:8
	ds_read2_b64 v[108:111], v98 offset0:9 offset1:10
	v_mul_f64 v[78:79], v[94:95], v[78:79]
	ds_read2_b64 v[112:115], v98 offset0:11 offset1:12
	s_waitcnt lgkmcnt(0)
	v_fma_f64 v[76:77], -v[78:79], v[104:105], v[76:77]
	v_fma_f64 v[74:75], -v[78:79], v[106:107], v[74:75]
	ds_read2_b64 v[104:107], v98 offset0:13 offset1:14
	v_fma_f64 v[72:73], -v[78:79], v[108:109], v[72:73]
	v_fma_f64 v[70:71], -v[78:79], v[110:111], v[70:71]
	v_fma_f64 v[68:69], -v[78:79], v[112:113], v[68:69]
	ds_read2_b64 v[108:111], v98 offset0:15 offset1:16
	v_fma_f64 v[66:67], -v[78:79], v[114:115], v[66:67]
	ds_read2_b64 v[112:115], v98 offset0:17 offset1:18
	s_waitcnt lgkmcnt(0)
	v_fma_f64 v[62:63], -v[78:79], v[104:105], v[62:63]
	v_fma_f64 v[64:65], -v[78:79], v[106:107], v[64:65]
	ds_read2_b64 v[104:107], v98 offset0:19 offset1:20
	v_fma_f64 v[60:61], -v[78:79], v[108:109], v[60:61]
	v_fma_f64 v[58:59], -v[78:79], v[110:111], v[58:59]
	ds_read2_b64 v[108:111], v98 offset0:21 offset1:22
	v_fma_f64 v[56:57], -v[78:79], v[112:113], v[56:57]
	v_fma_f64 v[54:55], -v[78:79], v[114:115], v[54:55]
	s_waitcnt lgkmcnt(0)
	v_fma_f64 v[52:53], -v[78:79], v[104:105], v[52:53]
	ds_read2_b64 v[112:115], v98 offset0:23 offset1:24
	v_fma_f64 v[50:51], -v[78:79], v[106:107], v[50:51]
	ds_read2_b64 v[104:107], v98 offset0:25 offset1:26
	v_fma_f64 v[48:49], -v[78:79], v[108:109], v[48:49]
	v_fma_f64 v[46:47], -v[78:79], v[110:111], v[46:47]
	s_waitcnt lgkmcnt(0)
	v_fma_f64 v[44:45], -v[78:79], v[112:113], v[44:45]
	ds_read2_b64 v[108:111], v98 offset0:27 offset1:28
	v_fma_f64 v[42:43], -v[78:79], v[114:115], v[42:43]
	ds_read2_b64 v[112:115], v98 offset0:29 offset1:30
	v_fma_f64 v[40:41], -v[78:79], v[104:105], v[40:41]
	v_fma_f64 v[38:39], -v[78:79], v[106:107], v[38:39]
	ds_read2_b64 v[104:107], v98 offset0:31 offset1:32
	s_waitcnt lgkmcnt(0)
	v_fma_f64 v[34:35], -v[78:79], v[108:109], v[34:35]
	v_fma_f64 v[36:37], -v[78:79], v[110:111], v[36:37]
	ds_read2_b64 v[108:111], v98 offset0:33 offset1:34
	v_fma_f64 v[32:33], -v[78:79], v[112:113], v[32:33]
	v_fma_f64 v[30:31], -v[78:79], v[114:115], v[30:31]
	;; [unrolled: 1-line block ×3, first 2 shown]
	ds_read2_b64 v[112:115], v98 offset0:35 offset1:36
	v_fma_f64 v[26:27], -v[78:79], v[106:107], v[26:27]
	ds_read2_b64 v[104:107], v98 offset0:37 offset1:38
	s_waitcnt lgkmcnt(0)
	v_fma_f64 v[24:25], -v[78:79], v[108:109], v[24:25]
	v_fma_f64 v[22:23], -v[78:79], v[110:111], v[22:23]
	;; [unrolled: 1-line block ×4, first 2 shown]
	ds_read2_b64 v[108:111], v98 offset0:39 offset1:40
	ds_read2_b64 v[112:115], v98 offset0:41 offset1:42
	v_fma_f64 v[16:17], -v[78:79], v[104:105], v[16:17]
	v_fma_f64 v[14:15], -v[78:79], v[106:107], v[14:15]
	ds_read2_b64 v[104:107], v98 offset0:43 offset1:44
	s_waitcnt lgkmcnt(0)
	v_fma_f64 v[12:13], -v[78:79], v[108:109], v[12:13]
	v_fma_f64 v[10:11], -v[78:79], v[110:111], v[10:11]
	;; [unrolled: 1-line block ×6, first 2 shown]
.LBB88_114:
	s_or_b64 exec, exec, s[0:1]
	v_lshl_add_u32 v94, v99, 3, v98
	s_barrier
	ds_write_b64 v94, v[76:77]
	s_waitcnt lgkmcnt(0)
	s_barrier
	ds_read_b64 v[94:95], v98 offset:56
	s_cmp_lt_i32 s18, 9
	v_mov_b32_e32 v96, 7
	s_cbranch_scc1 .LBB88_117
; %bb.115:
	v_add3_u32 v103, v103, 0, 64
	s_mov_b32 s0, 8
	v_mov_b32_e32 v96, 7
.LBB88_116:                             ; =>This Inner Loop Header: Depth=1
	ds_read_b64 v[104:105], v103
	v_mov_b32_e32 v106, s0
	s_add_i32 s0, s0, 1
	v_add_u32_e32 v103, 8, v103
	s_cmp_lg_u32 s18, s0
	s_waitcnt lgkmcnt(0)
	v_cmp_lt_f64_e64 vcc, |v[94:95]|, |v[104:105]|
	v_cndmask_b32_e32 v95, v95, v105, vcc
	v_cndmask_b32_e32 v94, v94, v104, vcc
	;; [unrolled: 1-line block ×3, first 2 shown]
	s_cbranch_scc1 .LBB88_116
.LBB88_117:
	s_waitcnt lgkmcnt(0)
	v_cmp_eq_f64_e32 vcc, 0, v[94:95]
	s_and_saveexec_b64 s[0:1], vcc
	s_xor_b64 s[0:1], exec, s[0:1]
; %bb.118:
	v_cmp_ne_u32_e32 vcc, 0, v102
	v_cndmask_b32_e32 v102, 8, v102, vcc
; %bb.119:
	s_andn2_saveexec_b64 s[0:1], s[0:1]
; %bb.120:
	v_div_scale_f64 v[104:105], s[2:3], v[94:95], v[94:95], 1.0
	v_rcp_f64_e32 v[106:107], v[104:105]
	v_div_scale_f64 v[108:109], vcc, 1.0, v[94:95], 1.0
	v_fma_f64 v[110:111], -v[104:105], v[106:107], 1.0
	v_fmac_f64_e32 v[106:107], v[106:107], v[110:111]
	v_fma_f64 v[110:111], -v[104:105], v[106:107], 1.0
	v_fmac_f64_e32 v[106:107], v[106:107], v[110:111]
	v_mul_f64 v[110:111], v[108:109], v[106:107]
	v_fma_f64 v[104:105], -v[104:105], v[110:111], v[108:109]
	v_div_fmas_f64 v[104:105], v[104:105], v[106:107], v[110:111]
	v_div_fixup_f64 v[94:95], v[104:105], v[94:95], 1.0
; %bb.121:
	s_or_b64 exec, exec, s[0:1]
	v_cmp_ne_u32_e32 vcc, v99, v96
	s_and_saveexec_b64 s[0:1], vcc
	s_xor_b64 s[0:1], exec, s[0:1]
	s_cbranch_execz .LBB88_127
; %bb.122:
	v_cmp_eq_u32_e32 vcc, 7, v99
	s_and_saveexec_b64 s[2:3], vcc
	s_cbranch_execz .LBB88_126
; %bb.123:
	v_cmp_ne_u32_e32 vcc, 7, v96
	s_xor_b64 s[14:15], s[6:7], -1
	s_and_b64 s[16:17], s[14:15], vcc
	s_and_saveexec_b64 s[14:15], s[16:17]
	s_cbranch_execz .LBB88_125
; %bb.124:
	v_ashrrev_i32_e32 v97, 31, v96
	v_lshlrev_b64 v[104:105], 2, v[96:97]
	v_add_co_u32_e32 v104, vcc, v4, v104
	v_addc_co_u32_e32 v105, vcc, v5, v105, vcc
	flat_load_dword v97, v[104:105]
	flat_load_dword v99, v[4:5] offset:28
	s_waitcnt vmcnt(0) lgkmcnt(0)
	flat_store_dword v[4:5], v97 offset:28
	flat_store_dword v[104:105], v99
.LBB88_125:
	s_or_b64 exec, exec, s[14:15]
	v_mov_b32_e32 v97, v96
	v_mov_b32_e32 v99, v96
.LBB88_126:
	s_or_b64 exec, exec, s[2:3]
.LBB88_127:
	s_andn2_saveexec_b64 s[0:1], s[0:1]
	s_cbranch_execz .LBB88_129
; %bb.128:
	v_mov_b32_e32 v104, v74
	v_mov_b32_e32 v105, v75
	v_mov_b32_e32 v106, v72
	v_mov_b32_e32 v107, v73
	ds_write2_b64 v98, v[104:105], v[106:107] offset0:8 offset1:9
	v_mov_b32_e32 v104, v70
	v_mov_b32_e32 v105, v71
	v_mov_b32_e32 v106, v68
	v_mov_b32_e32 v107, v69
	ds_write2_b64 v98, v[104:105], v[106:107] offset0:10 offset1:11
	v_mov_b32_e32 v104, v66
	v_mov_b32_e32 v105, v67
	v_mov_b32_e32 v106, v62
	v_mov_b32_e32 v107, v63
	ds_write2_b64 v98, v[104:105], v[106:107] offset0:12 offset1:13
	v_mov_b32_e32 v104, v64
	v_mov_b32_e32 v105, v65
	v_mov_b32_e32 v106, v60
	v_mov_b32_e32 v107, v61
	ds_write2_b64 v98, v[104:105], v[106:107] offset0:14 offset1:15
	v_mov_b32_e32 v104, v58
	v_mov_b32_e32 v105, v59
	v_mov_b32_e32 v106, v56
	v_mov_b32_e32 v107, v57
	ds_write2_b64 v98, v[104:105], v[106:107] offset0:16 offset1:17
	v_mov_b32_e32 v104, v54
	v_mov_b32_e32 v105, v55
	v_mov_b32_e32 v106, v52
	v_mov_b32_e32 v107, v53
	ds_write2_b64 v98, v[104:105], v[106:107] offset0:18 offset1:19
	v_mov_b32_e32 v104, v50
	v_mov_b32_e32 v105, v51
	v_mov_b32_e32 v106, v48
	v_mov_b32_e32 v107, v49
	ds_write2_b64 v98, v[104:105], v[106:107] offset0:20 offset1:21
	v_mov_b32_e32 v104, v46
	v_mov_b32_e32 v105, v47
	v_mov_b32_e32 v106, v44
	v_mov_b32_e32 v107, v45
	ds_write2_b64 v98, v[104:105], v[106:107] offset0:22 offset1:23
	v_mov_b32_e32 v104, v42
	v_mov_b32_e32 v105, v43
	v_mov_b32_e32 v106, v40
	v_mov_b32_e32 v107, v41
	ds_write2_b64 v98, v[104:105], v[106:107] offset0:24 offset1:25
	v_mov_b32_e32 v104, v38
	v_mov_b32_e32 v105, v39
	v_mov_b32_e32 v106, v34
	v_mov_b32_e32 v107, v35
	ds_write2_b64 v98, v[104:105], v[106:107] offset0:26 offset1:27
	v_mov_b32_e32 v104, v36
	v_mov_b32_e32 v105, v37
	v_mov_b32_e32 v106, v32
	v_mov_b32_e32 v107, v33
	ds_write2_b64 v98, v[104:105], v[106:107] offset0:28 offset1:29
	v_mov_b32_e32 v104, v30
	v_mov_b32_e32 v105, v31
	v_mov_b32_e32 v106, v28
	v_mov_b32_e32 v107, v29
	ds_write2_b64 v98, v[104:105], v[106:107] offset0:30 offset1:31
	v_mov_b32_e32 v104, v26
	v_mov_b32_e32 v105, v27
	v_mov_b32_e32 v106, v24
	v_mov_b32_e32 v107, v25
	ds_write2_b64 v98, v[104:105], v[106:107] offset0:32 offset1:33
	v_mov_b32_e32 v104, v22
	v_mov_b32_e32 v105, v23
	v_mov_b32_e32 v106, v20
	v_mov_b32_e32 v107, v21
	ds_write2_b64 v98, v[104:105], v[106:107] offset0:34 offset1:35
	v_mov_b32_e32 v104, v18
	v_mov_b32_e32 v105, v19
	v_mov_b32_e32 v106, v16
	v_mov_b32_e32 v107, v17
	ds_write2_b64 v98, v[104:105], v[106:107] offset0:36 offset1:37
	v_mov_b32_e32 v104, v14
	v_mov_b32_e32 v105, v15
	v_mov_b32_e32 v106, v12
	v_mov_b32_e32 v107, v13
	ds_write2_b64 v98, v[104:105], v[106:107] offset0:38 offset1:39
	v_mov_b32_e32 v104, v10
	v_mov_b32_e32 v105, v11
	v_mov_b32_e32 v106, v6
	v_mov_b32_e32 v107, v7
	ds_write2_b64 v98, v[104:105], v[106:107] offset0:40 offset1:41
	v_mov_b32_e32 v104, v8
	v_mov_b32_e32 v105, v9
	;; [unrolled: 1-line block ×5, first 2 shown]
	ds_write2_b64 v98, v[104:105], v[106:107] offset0:42 offset1:43
	ds_write_b64 v98, v[92:93] offset:352
.LBB88_129:
	s_or_b64 exec, exec, s[0:1]
	v_cmp_lt_i32_e32 vcc, 7, v99
	s_waitcnt lgkmcnt(0)
	s_barrier
	s_and_saveexec_b64 s[0:1], vcc
	s_cbranch_execz .LBB88_131
; %bb.130:
	ds_read2_b64 v[104:107], v98 offset0:8 offset1:9
	ds_read2_b64 v[108:111], v98 offset0:10 offset1:11
	ds_read2_b64 v[112:115], v98 offset0:12 offset1:13
	v_mul_f64 v[76:77], v[94:95], v[76:77]
	ds_read_b64 v[94:95], v98 offset:352
	s_waitcnt lgkmcnt(0)
	v_fma_f64 v[74:75], -v[76:77], v[104:105], v[74:75]
	v_fma_f64 v[72:73], -v[76:77], v[106:107], v[72:73]
	ds_read2_b64 v[104:107], v98 offset0:14 offset1:15
	v_fma_f64 v[70:71], -v[76:77], v[108:109], v[70:71]
	v_fma_f64 v[68:69], -v[76:77], v[110:111], v[68:69]
	;; [unrolled: 1-line block ×3, first 2 shown]
	ds_read2_b64 v[108:111], v98 offset0:16 offset1:17
	v_fma_f64 v[62:63], -v[76:77], v[114:115], v[62:63]
	ds_read2_b64 v[112:115], v98 offset0:18 offset1:19
	s_waitcnt lgkmcnt(0)
	v_fma_f64 v[64:65], -v[76:77], v[104:105], v[64:65]
	v_fma_f64 v[60:61], -v[76:77], v[106:107], v[60:61]
	;; [unrolled: 1-line block ×3, first 2 shown]
	ds_read2_b64 v[104:107], v98 offset0:20 offset1:21
	v_fma_f64 v[56:57], -v[76:77], v[110:111], v[56:57]
	ds_read2_b64 v[108:111], v98 offset0:22 offset1:23
	v_fma_f64 v[54:55], -v[76:77], v[112:113], v[54:55]
	v_fma_f64 v[52:53], -v[76:77], v[114:115], v[52:53]
	ds_read2_b64 v[112:115], v98 offset0:24 offset1:25
	s_waitcnt lgkmcnt(0)
	v_fma_f64 v[50:51], -v[76:77], v[104:105], v[50:51]
	v_fma_f64 v[48:49], -v[76:77], v[106:107], v[48:49]
	ds_read2_b64 v[104:107], v98 offset0:26 offset1:27
	v_fma_f64 v[46:47], -v[76:77], v[108:109], v[46:47]
	v_fma_f64 v[44:45], -v[76:77], v[110:111], v[44:45]
	;; [unrolled: 1-line block ×3, first 2 shown]
	ds_read2_b64 v[108:111], v98 offset0:28 offset1:29
	v_fma_f64 v[40:41], -v[76:77], v[114:115], v[40:41]
	ds_read2_b64 v[112:115], v98 offset0:30 offset1:31
	s_waitcnt lgkmcnt(0)
	v_fma_f64 v[38:39], -v[76:77], v[104:105], v[38:39]
	v_fma_f64 v[34:35], -v[76:77], v[106:107], v[34:35]
	;; [unrolled: 1-line block ×3, first 2 shown]
	ds_read2_b64 v[104:107], v98 offset0:32 offset1:33
	v_fma_f64 v[32:33], -v[76:77], v[110:111], v[32:33]
	ds_read2_b64 v[108:111], v98 offset0:34 offset1:35
	v_fma_f64 v[30:31], -v[76:77], v[112:113], v[30:31]
	v_fma_f64 v[28:29], -v[76:77], v[114:115], v[28:29]
	ds_read2_b64 v[112:115], v98 offset0:36 offset1:37
	s_waitcnt lgkmcnt(0)
	v_fma_f64 v[26:27], -v[76:77], v[104:105], v[26:27]
	v_fma_f64 v[24:25], -v[76:77], v[106:107], v[24:25]
	ds_read2_b64 v[104:107], v98 offset0:38 offset1:39
	v_fma_f64 v[22:23], -v[76:77], v[108:109], v[22:23]
	v_fma_f64 v[20:21], -v[76:77], v[110:111], v[20:21]
	;; [unrolled: 1-line block ×4, first 2 shown]
	ds_read2_b64 v[108:111], v98 offset0:40 offset1:41
	ds_read2_b64 v[112:115], v98 offset0:42 offset1:43
	s_waitcnt lgkmcnt(0)
	v_fma_f64 v[14:15], -v[76:77], v[104:105], v[14:15]
	v_fma_f64 v[12:13], -v[76:77], v[106:107], v[12:13]
	;; [unrolled: 1-line block ×7, first 2 shown]
.LBB88_131:
	s_or_b64 exec, exec, s[0:1]
	v_lshl_add_u32 v94, v99, 3, v98
	s_barrier
	ds_write_b64 v94, v[74:75]
	s_waitcnt lgkmcnt(0)
	s_barrier
	ds_read_b64 v[94:95], v98 offset:64
	s_cmp_lt_i32 s18, 10
	v_mov_b32_e32 v96, 8
	s_cbranch_scc1 .LBB88_134
; %bb.132:
	v_add_u32_e32 v103, 0x48, v98
	s_mov_b32 s0, 9
	v_mov_b32_e32 v96, 8
.LBB88_133:                             ; =>This Inner Loop Header: Depth=1
	ds_read_b64 v[104:105], v103
	v_mov_b32_e32 v106, s0
	s_add_i32 s0, s0, 1
	v_add_u32_e32 v103, 8, v103
	s_cmp_lg_u32 s18, s0
	s_waitcnt lgkmcnt(0)
	v_cmp_lt_f64_e64 vcc, |v[94:95]|, |v[104:105]|
	v_cndmask_b32_e32 v95, v95, v105, vcc
	v_cndmask_b32_e32 v94, v94, v104, vcc
	;; [unrolled: 1-line block ×3, first 2 shown]
	s_cbranch_scc1 .LBB88_133
.LBB88_134:
	s_waitcnt lgkmcnt(0)
	v_cmp_eq_f64_e32 vcc, 0, v[94:95]
	s_and_saveexec_b64 s[0:1], vcc
	s_xor_b64 s[0:1], exec, s[0:1]
; %bb.135:
	v_cmp_ne_u32_e32 vcc, 0, v102
	v_cndmask_b32_e32 v102, 9, v102, vcc
; %bb.136:
	s_andn2_saveexec_b64 s[0:1], s[0:1]
; %bb.137:
	v_div_scale_f64 v[104:105], s[2:3], v[94:95], v[94:95], 1.0
	v_rcp_f64_e32 v[106:107], v[104:105]
	v_div_scale_f64 v[108:109], vcc, 1.0, v[94:95], 1.0
	v_fma_f64 v[110:111], -v[104:105], v[106:107], 1.0
	v_fmac_f64_e32 v[106:107], v[106:107], v[110:111]
	v_fma_f64 v[110:111], -v[104:105], v[106:107], 1.0
	v_fmac_f64_e32 v[106:107], v[106:107], v[110:111]
	v_mul_f64 v[110:111], v[108:109], v[106:107]
	v_fma_f64 v[104:105], -v[104:105], v[110:111], v[108:109]
	v_div_fmas_f64 v[104:105], v[104:105], v[106:107], v[110:111]
	v_div_fixup_f64 v[94:95], v[104:105], v[94:95], 1.0
; %bb.138:
	s_or_b64 exec, exec, s[0:1]
	v_cmp_ne_u32_e32 vcc, v99, v96
	s_and_saveexec_b64 s[0:1], vcc
	s_xor_b64 s[0:1], exec, s[0:1]
	s_cbranch_execz .LBB88_144
; %bb.139:
	v_cmp_eq_u32_e32 vcc, 8, v99
	s_and_saveexec_b64 s[2:3], vcc
	s_cbranch_execz .LBB88_143
; %bb.140:
	v_cmp_ne_u32_e32 vcc, 8, v96
	s_xor_b64 s[14:15], s[6:7], -1
	s_and_b64 s[16:17], s[14:15], vcc
	s_and_saveexec_b64 s[14:15], s[16:17]
	s_cbranch_execz .LBB88_142
; %bb.141:
	v_ashrrev_i32_e32 v97, 31, v96
	v_lshlrev_b64 v[104:105], 2, v[96:97]
	v_add_co_u32_e32 v104, vcc, v4, v104
	v_addc_co_u32_e32 v105, vcc, v5, v105, vcc
	flat_load_dword v97, v[104:105]
	flat_load_dword v99, v[4:5] offset:32
	s_waitcnt vmcnt(0) lgkmcnt(0)
	flat_store_dword v[4:5], v97 offset:32
	flat_store_dword v[104:105], v99
.LBB88_142:
	s_or_b64 exec, exec, s[14:15]
	v_mov_b32_e32 v97, v96
	v_mov_b32_e32 v99, v96
.LBB88_143:
	s_or_b64 exec, exec, s[2:3]
.LBB88_144:
	s_andn2_saveexec_b64 s[0:1], s[0:1]
	s_cbranch_execz .LBB88_146
; %bb.145:
	v_mov_b32_e32 v99, 8
	ds_write2_b64 v98, v[72:73], v[70:71] offset0:9 offset1:10
	ds_write2_b64 v98, v[68:69], v[66:67] offset0:11 offset1:12
	;; [unrolled: 1-line block ×18, first 2 shown]
.LBB88_146:
	s_or_b64 exec, exec, s[0:1]
	v_cmp_lt_i32_e32 vcc, 8, v99
	s_waitcnt lgkmcnt(0)
	s_barrier
	s_and_saveexec_b64 s[0:1], vcc
	s_cbranch_execz .LBB88_148
; %bb.147:
	ds_read2_b64 v[104:107], v98 offset0:9 offset1:10
	ds_read2_b64 v[108:111], v98 offset0:11 offset1:12
	;; [unrolled: 1-line block ×3, first 2 shown]
	v_mul_f64 v[74:75], v[94:95], v[74:75]
	s_waitcnt lgkmcnt(0)
	v_fma_f64 v[72:73], -v[74:75], v[104:105], v[72:73]
	v_fma_f64 v[70:71], -v[74:75], v[106:107], v[70:71]
	ds_read2_b64 v[104:107], v98 offset0:15 offset1:16
	v_fma_f64 v[68:69], -v[74:75], v[108:109], v[68:69]
	v_fma_f64 v[66:67], -v[74:75], v[110:111], v[66:67]
	;; [unrolled: 1-line block ×3, first 2 shown]
	ds_read2_b64 v[108:111], v98 offset0:17 offset1:18
	v_fma_f64 v[64:65], -v[74:75], v[114:115], v[64:65]
	ds_read2_b64 v[112:115], v98 offset0:19 offset1:20
	s_waitcnt lgkmcnt(0)
	v_fma_f64 v[60:61], -v[74:75], v[104:105], v[60:61]
	v_fma_f64 v[58:59], -v[74:75], v[106:107], v[58:59]
	;; [unrolled: 1-line block ×3, first 2 shown]
	ds_read2_b64 v[104:107], v98 offset0:21 offset1:22
	v_fma_f64 v[54:55], -v[74:75], v[110:111], v[54:55]
	ds_read2_b64 v[108:111], v98 offset0:23 offset1:24
	v_fma_f64 v[52:53], -v[74:75], v[112:113], v[52:53]
	v_fma_f64 v[50:51], -v[74:75], v[114:115], v[50:51]
	ds_read2_b64 v[112:115], v98 offset0:25 offset1:26
	s_waitcnt lgkmcnt(0)
	v_fma_f64 v[48:49], -v[74:75], v[104:105], v[48:49]
	v_fma_f64 v[46:47], -v[74:75], v[106:107], v[46:47]
	ds_read2_b64 v[104:107], v98 offset0:27 offset1:28
	v_fma_f64 v[44:45], -v[74:75], v[108:109], v[44:45]
	v_fma_f64 v[42:43], -v[74:75], v[110:111], v[42:43]
	;; [unrolled: 1-line block ×3, first 2 shown]
	ds_read2_b64 v[108:111], v98 offset0:29 offset1:30
	v_fma_f64 v[38:39], -v[74:75], v[114:115], v[38:39]
	ds_read2_b64 v[112:115], v98 offset0:31 offset1:32
	s_waitcnt lgkmcnt(0)
	v_fma_f64 v[34:35], -v[74:75], v[104:105], v[34:35]
	v_fma_f64 v[36:37], -v[74:75], v[106:107], v[36:37]
	;; [unrolled: 1-line block ×3, first 2 shown]
	ds_read2_b64 v[104:107], v98 offset0:33 offset1:34
	v_fma_f64 v[30:31], -v[74:75], v[110:111], v[30:31]
	ds_read2_b64 v[108:111], v98 offset0:35 offset1:36
	v_fma_f64 v[28:29], -v[74:75], v[112:113], v[28:29]
	v_fma_f64 v[26:27], -v[74:75], v[114:115], v[26:27]
	ds_read2_b64 v[112:115], v98 offset0:37 offset1:38
	s_waitcnt lgkmcnt(0)
	v_fma_f64 v[24:25], -v[74:75], v[104:105], v[24:25]
	v_fma_f64 v[22:23], -v[74:75], v[106:107], v[22:23]
	ds_read2_b64 v[104:107], v98 offset0:39 offset1:40
	v_fma_f64 v[20:21], -v[74:75], v[108:109], v[20:21]
	v_fma_f64 v[18:19], -v[74:75], v[110:111], v[18:19]
	;; [unrolled: 1-line block ×3, first 2 shown]
	ds_read2_b64 v[108:111], v98 offset0:41 offset1:42
	v_fma_f64 v[14:15], -v[74:75], v[114:115], v[14:15]
	ds_read2_b64 v[112:115], v98 offset0:43 offset1:44
	s_waitcnt lgkmcnt(0)
	v_fma_f64 v[12:13], -v[74:75], v[104:105], v[12:13]
	v_fma_f64 v[10:11], -v[74:75], v[106:107], v[10:11]
	;; [unrolled: 1-line block ×6, first 2 shown]
.LBB88_148:
	s_or_b64 exec, exec, s[0:1]
	v_lshl_add_u32 v94, v99, 3, v98
	s_barrier
	ds_write_b64 v94, v[72:73]
	s_waitcnt lgkmcnt(0)
	s_barrier
	ds_read_b64 v[94:95], v98 offset:72
	s_cmp_lt_i32 s18, 11
	v_mov_b32_e32 v96, 9
	s_cbranch_scc1 .LBB88_151
; %bb.149:
	v_add_u32_e32 v103, 0x50, v98
	s_mov_b32 s0, 10
	v_mov_b32_e32 v96, 9
.LBB88_150:                             ; =>This Inner Loop Header: Depth=1
	ds_read_b64 v[104:105], v103
	v_mov_b32_e32 v106, s0
	s_add_i32 s0, s0, 1
	v_add_u32_e32 v103, 8, v103
	s_cmp_lg_u32 s18, s0
	s_waitcnt lgkmcnt(0)
	v_cmp_lt_f64_e64 vcc, |v[94:95]|, |v[104:105]|
	v_cndmask_b32_e32 v95, v95, v105, vcc
	v_cndmask_b32_e32 v94, v94, v104, vcc
	;; [unrolled: 1-line block ×3, first 2 shown]
	s_cbranch_scc1 .LBB88_150
.LBB88_151:
	s_waitcnt lgkmcnt(0)
	v_cmp_eq_f64_e32 vcc, 0, v[94:95]
	s_and_saveexec_b64 s[0:1], vcc
	s_xor_b64 s[0:1], exec, s[0:1]
; %bb.152:
	v_cmp_ne_u32_e32 vcc, 0, v102
	v_cndmask_b32_e32 v102, 10, v102, vcc
; %bb.153:
	s_andn2_saveexec_b64 s[0:1], s[0:1]
; %bb.154:
	v_div_scale_f64 v[104:105], s[2:3], v[94:95], v[94:95], 1.0
	v_rcp_f64_e32 v[106:107], v[104:105]
	v_div_scale_f64 v[108:109], vcc, 1.0, v[94:95], 1.0
	v_fma_f64 v[110:111], -v[104:105], v[106:107], 1.0
	v_fmac_f64_e32 v[106:107], v[106:107], v[110:111]
	v_fma_f64 v[110:111], -v[104:105], v[106:107], 1.0
	v_fmac_f64_e32 v[106:107], v[106:107], v[110:111]
	v_mul_f64 v[110:111], v[108:109], v[106:107]
	v_fma_f64 v[104:105], -v[104:105], v[110:111], v[108:109]
	v_div_fmas_f64 v[104:105], v[104:105], v[106:107], v[110:111]
	v_div_fixup_f64 v[94:95], v[104:105], v[94:95], 1.0
; %bb.155:
	s_or_b64 exec, exec, s[0:1]
	v_cmp_ne_u32_e32 vcc, v99, v96
	s_and_saveexec_b64 s[0:1], vcc
	s_xor_b64 s[0:1], exec, s[0:1]
	s_cbranch_execz .LBB88_161
; %bb.156:
	v_cmp_eq_u32_e32 vcc, 9, v99
	s_and_saveexec_b64 s[2:3], vcc
	s_cbranch_execz .LBB88_160
; %bb.157:
	v_cmp_ne_u32_e32 vcc, 9, v96
	s_xor_b64 s[14:15], s[6:7], -1
	s_and_b64 s[16:17], s[14:15], vcc
	s_and_saveexec_b64 s[14:15], s[16:17]
	s_cbranch_execz .LBB88_159
; %bb.158:
	v_ashrrev_i32_e32 v97, 31, v96
	v_lshlrev_b64 v[104:105], 2, v[96:97]
	v_add_co_u32_e32 v104, vcc, v4, v104
	v_addc_co_u32_e32 v105, vcc, v5, v105, vcc
	flat_load_dword v97, v[104:105]
	flat_load_dword v99, v[4:5] offset:36
	s_waitcnt vmcnt(0) lgkmcnt(0)
	flat_store_dword v[4:5], v97 offset:36
	flat_store_dword v[104:105], v99
.LBB88_159:
	s_or_b64 exec, exec, s[14:15]
	v_mov_b32_e32 v97, v96
	v_mov_b32_e32 v99, v96
.LBB88_160:
	s_or_b64 exec, exec, s[2:3]
.LBB88_161:
	s_andn2_saveexec_b64 s[0:1], s[0:1]
	s_cbranch_execz .LBB88_163
; %bb.162:
	v_mov_b32_e32 v104, v70
	v_mov_b32_e32 v105, v71
	v_mov_b32_e32 v106, v68
	v_mov_b32_e32 v107, v69
	ds_write2_b64 v98, v[104:105], v[106:107] offset0:10 offset1:11
	v_mov_b32_e32 v104, v66
	v_mov_b32_e32 v105, v67
	v_mov_b32_e32 v106, v62
	v_mov_b32_e32 v107, v63
	ds_write2_b64 v98, v[104:105], v[106:107] offset0:12 offset1:13
	;; [unrolled: 5-line block ×16, first 2 shown]
	v_mov_b32_e32 v104, v8
	v_mov_b32_e32 v105, v9
	;; [unrolled: 1-line block ×5, first 2 shown]
	ds_write2_b64 v98, v[104:105], v[106:107] offset0:42 offset1:43
	ds_write_b64 v98, v[92:93] offset:352
.LBB88_163:
	s_or_b64 exec, exec, s[0:1]
	v_cmp_lt_i32_e32 vcc, 9, v99
	s_waitcnt lgkmcnt(0)
	s_barrier
	s_and_saveexec_b64 s[0:1], vcc
	s_cbranch_execz .LBB88_165
; %bb.164:
	ds_read2_b64 v[104:107], v98 offset0:10 offset1:11
	ds_read2_b64 v[108:111], v98 offset0:12 offset1:13
	v_mul_f64 v[72:73], v[94:95], v[72:73]
	ds_read2_b64 v[112:115], v98 offset0:14 offset1:15
	ds_read_b64 v[94:95], v98 offset:352
	s_waitcnt lgkmcnt(0)
	v_fma_f64 v[70:71], -v[72:73], v[104:105], v[70:71]
	v_fma_f64 v[68:69], -v[72:73], v[106:107], v[68:69]
	ds_read2_b64 v[104:107], v98 offset0:16 offset1:17
	v_fma_f64 v[66:67], -v[72:73], v[108:109], v[66:67]
	v_fma_f64 v[62:63], -v[72:73], v[110:111], v[62:63]
	ds_read2_b64 v[108:111], v98 offset0:18 offset1:19
	;; [unrolled: 3-line block ×3, first 2 shown]
	s_waitcnt lgkmcnt(0)
	v_fma_f64 v[58:59], -v[72:73], v[104:105], v[58:59]
	v_fma_f64 v[56:57], -v[72:73], v[106:107], v[56:57]
	;; [unrolled: 1-line block ×3, first 2 shown]
	ds_read2_b64 v[104:107], v98 offset0:22 offset1:23
	v_fma_f64 v[52:53], -v[72:73], v[110:111], v[52:53]
	ds_read2_b64 v[108:111], v98 offset0:24 offset1:25
	v_fma_f64 v[50:51], -v[72:73], v[112:113], v[50:51]
	v_fma_f64 v[48:49], -v[72:73], v[114:115], v[48:49]
	s_waitcnt lgkmcnt(0)
	v_fma_f64 v[46:47], -v[72:73], v[104:105], v[46:47]
	ds_read2_b64 v[112:115], v98 offset0:26 offset1:27
	v_fma_f64 v[44:45], -v[72:73], v[106:107], v[44:45]
	ds_read2_b64 v[104:107], v98 offset0:28 offset1:29
	v_fma_f64 v[42:43], -v[72:73], v[108:109], v[42:43]
	v_fma_f64 v[40:41], -v[72:73], v[110:111], v[40:41]
	ds_read2_b64 v[108:111], v98 offset0:30 offset1:31
	s_waitcnt lgkmcnt(0)
	v_fma_f64 v[38:39], -v[72:73], v[112:113], v[38:39]
	v_fma_f64 v[34:35], -v[72:73], v[114:115], v[34:35]
	ds_read2_b64 v[112:115], v98 offset0:32 offset1:33
	v_fma_f64 v[36:37], -v[72:73], v[104:105], v[36:37]
	v_fma_f64 v[32:33], -v[72:73], v[106:107], v[32:33]
	;; [unrolled: 1-line block ×3, first 2 shown]
	ds_read2_b64 v[104:107], v98 offset0:34 offset1:35
	v_fma_f64 v[28:29], -v[72:73], v[110:111], v[28:29]
	ds_read2_b64 v[108:111], v98 offset0:36 offset1:37
	s_waitcnt lgkmcnt(0)
	v_fma_f64 v[26:27], -v[72:73], v[112:113], v[26:27]
	v_fma_f64 v[24:25], -v[72:73], v[114:115], v[24:25]
	;; [unrolled: 1-line block ×3, first 2 shown]
	ds_read2_b64 v[112:115], v98 offset0:38 offset1:39
	v_fma_f64 v[20:21], -v[72:73], v[106:107], v[20:21]
	ds_read2_b64 v[104:107], v98 offset0:40 offset1:41
	v_fma_f64 v[18:19], -v[72:73], v[108:109], v[18:19]
	v_fma_f64 v[16:17], -v[72:73], v[110:111], v[16:17]
	ds_read2_b64 v[108:111], v98 offset0:42 offset1:43
	s_waitcnt lgkmcnt(0)
	v_fma_f64 v[14:15], -v[72:73], v[112:113], v[14:15]
	v_fma_f64 v[12:13], -v[72:73], v[114:115], v[12:13]
	;; [unrolled: 1-line block ×7, first 2 shown]
.LBB88_165:
	s_or_b64 exec, exec, s[0:1]
	v_lshl_add_u32 v94, v99, 3, v98
	s_barrier
	ds_write_b64 v94, v[70:71]
	s_waitcnt lgkmcnt(0)
	s_barrier
	ds_read_b64 v[94:95], v98 offset:80
	s_cmp_lt_i32 s18, 12
	v_mov_b32_e32 v96, 10
	s_cbranch_scc1 .LBB88_168
; %bb.166:
	v_add_u32_e32 v103, 0x58, v98
	s_mov_b32 s0, 11
	v_mov_b32_e32 v96, 10
.LBB88_167:                             ; =>This Inner Loop Header: Depth=1
	ds_read_b64 v[104:105], v103
	v_mov_b32_e32 v106, s0
	s_add_i32 s0, s0, 1
	v_add_u32_e32 v103, 8, v103
	s_cmp_lg_u32 s18, s0
	s_waitcnt lgkmcnt(0)
	v_cmp_lt_f64_e64 vcc, |v[94:95]|, |v[104:105]|
	v_cndmask_b32_e32 v95, v95, v105, vcc
	v_cndmask_b32_e32 v94, v94, v104, vcc
	;; [unrolled: 1-line block ×3, first 2 shown]
	s_cbranch_scc1 .LBB88_167
.LBB88_168:
	s_waitcnt lgkmcnt(0)
	v_cmp_eq_f64_e32 vcc, 0, v[94:95]
	s_and_saveexec_b64 s[0:1], vcc
	s_xor_b64 s[0:1], exec, s[0:1]
; %bb.169:
	v_cmp_ne_u32_e32 vcc, 0, v102
	v_cndmask_b32_e32 v102, 11, v102, vcc
; %bb.170:
	s_andn2_saveexec_b64 s[0:1], s[0:1]
; %bb.171:
	v_div_scale_f64 v[104:105], s[2:3], v[94:95], v[94:95], 1.0
	v_rcp_f64_e32 v[106:107], v[104:105]
	v_div_scale_f64 v[108:109], vcc, 1.0, v[94:95], 1.0
	v_fma_f64 v[110:111], -v[104:105], v[106:107], 1.0
	v_fmac_f64_e32 v[106:107], v[106:107], v[110:111]
	v_fma_f64 v[110:111], -v[104:105], v[106:107], 1.0
	v_fmac_f64_e32 v[106:107], v[106:107], v[110:111]
	v_mul_f64 v[110:111], v[108:109], v[106:107]
	v_fma_f64 v[104:105], -v[104:105], v[110:111], v[108:109]
	v_div_fmas_f64 v[104:105], v[104:105], v[106:107], v[110:111]
	v_div_fixup_f64 v[94:95], v[104:105], v[94:95], 1.0
; %bb.172:
	s_or_b64 exec, exec, s[0:1]
	v_cmp_ne_u32_e32 vcc, v99, v96
	s_and_saveexec_b64 s[0:1], vcc
	s_xor_b64 s[0:1], exec, s[0:1]
	s_cbranch_execz .LBB88_178
; %bb.173:
	v_cmp_eq_u32_e32 vcc, 10, v99
	s_and_saveexec_b64 s[2:3], vcc
	s_cbranch_execz .LBB88_177
; %bb.174:
	v_cmp_ne_u32_e32 vcc, 10, v96
	s_xor_b64 s[14:15], s[6:7], -1
	s_and_b64 s[16:17], s[14:15], vcc
	s_and_saveexec_b64 s[14:15], s[16:17]
	s_cbranch_execz .LBB88_176
; %bb.175:
	v_ashrrev_i32_e32 v97, 31, v96
	v_lshlrev_b64 v[104:105], 2, v[96:97]
	v_add_co_u32_e32 v104, vcc, v4, v104
	v_addc_co_u32_e32 v105, vcc, v5, v105, vcc
	flat_load_dword v97, v[104:105]
	flat_load_dword v99, v[4:5] offset:40
	s_waitcnt vmcnt(0) lgkmcnt(0)
	flat_store_dword v[4:5], v97 offset:40
	flat_store_dword v[104:105], v99
.LBB88_176:
	s_or_b64 exec, exec, s[14:15]
	v_mov_b32_e32 v97, v96
	v_mov_b32_e32 v99, v96
.LBB88_177:
	s_or_b64 exec, exec, s[2:3]
.LBB88_178:
	s_andn2_saveexec_b64 s[0:1], s[0:1]
	s_cbranch_execz .LBB88_180
; %bb.179:
	v_mov_b32_e32 v99, 10
	ds_write2_b64 v98, v[68:69], v[66:67] offset0:11 offset1:12
	ds_write2_b64 v98, v[62:63], v[64:65] offset0:13 offset1:14
	;; [unrolled: 1-line block ×17, first 2 shown]
.LBB88_180:
	s_or_b64 exec, exec, s[0:1]
	v_cmp_lt_i32_e32 vcc, 10, v99
	s_waitcnt lgkmcnt(0)
	s_barrier
	s_and_saveexec_b64 s[0:1], vcc
	s_cbranch_execz .LBB88_182
; %bb.181:
	ds_read2_b64 v[104:107], v98 offset0:11 offset1:12
	ds_read2_b64 v[108:111], v98 offset0:13 offset1:14
	v_mul_f64 v[70:71], v[94:95], v[70:71]
	ds_read2_b64 v[112:115], v98 offset0:15 offset1:16
	s_waitcnt lgkmcnt(0)
	v_fma_f64 v[68:69], -v[70:71], v[104:105], v[68:69]
	v_fma_f64 v[66:67], -v[70:71], v[106:107], v[66:67]
	ds_read2_b64 v[104:107], v98 offset0:17 offset1:18
	v_fma_f64 v[62:63], -v[70:71], v[108:109], v[62:63]
	v_fma_f64 v[64:65], -v[70:71], v[110:111], v[64:65]
	ds_read2_b64 v[108:111], v98 offset0:19 offset1:20
	;; [unrolled: 3-line block ×3, first 2 shown]
	s_waitcnt lgkmcnt(0)
	v_fma_f64 v[56:57], -v[70:71], v[104:105], v[56:57]
	v_fma_f64 v[54:55], -v[70:71], v[106:107], v[54:55]
	;; [unrolled: 1-line block ×3, first 2 shown]
	ds_read2_b64 v[104:107], v98 offset0:23 offset1:24
	v_fma_f64 v[50:51], -v[70:71], v[110:111], v[50:51]
	ds_read2_b64 v[108:111], v98 offset0:25 offset1:26
	v_fma_f64 v[48:49], -v[70:71], v[112:113], v[48:49]
	v_fma_f64 v[46:47], -v[70:71], v[114:115], v[46:47]
	s_waitcnt lgkmcnt(0)
	v_fma_f64 v[44:45], -v[70:71], v[104:105], v[44:45]
	ds_read2_b64 v[112:115], v98 offset0:27 offset1:28
	v_fma_f64 v[42:43], -v[70:71], v[106:107], v[42:43]
	ds_read2_b64 v[104:107], v98 offset0:29 offset1:30
	v_fma_f64 v[40:41], -v[70:71], v[108:109], v[40:41]
	v_fma_f64 v[38:39], -v[70:71], v[110:111], v[38:39]
	ds_read2_b64 v[108:111], v98 offset0:31 offset1:32
	s_waitcnt lgkmcnt(0)
	v_fma_f64 v[34:35], -v[70:71], v[112:113], v[34:35]
	v_fma_f64 v[36:37], -v[70:71], v[114:115], v[36:37]
	ds_read2_b64 v[112:115], v98 offset0:33 offset1:34
	v_fma_f64 v[32:33], -v[70:71], v[104:105], v[32:33]
	v_fma_f64 v[30:31], -v[70:71], v[106:107], v[30:31]
	;; [unrolled: 1-line block ×3, first 2 shown]
	ds_read2_b64 v[104:107], v98 offset0:35 offset1:36
	v_fma_f64 v[26:27], -v[70:71], v[110:111], v[26:27]
	ds_read2_b64 v[108:111], v98 offset0:37 offset1:38
	s_waitcnt lgkmcnt(0)
	v_fma_f64 v[24:25], -v[70:71], v[112:113], v[24:25]
	v_fma_f64 v[22:23], -v[70:71], v[114:115], v[22:23]
	;; [unrolled: 1-line block ×4, first 2 shown]
	ds_read2_b64 v[104:107], v98 offset0:39 offset1:40
	ds_read2_b64 v[112:115], v98 offset0:41 offset1:42
	v_fma_f64 v[16:17], -v[70:71], v[108:109], v[16:17]
	v_fma_f64 v[14:15], -v[70:71], v[110:111], v[14:15]
	ds_read2_b64 v[108:111], v98 offset0:43 offset1:44
	s_waitcnt lgkmcnt(0)
	v_fma_f64 v[12:13], -v[70:71], v[104:105], v[12:13]
	v_fma_f64 v[10:11], -v[70:71], v[106:107], v[10:11]
	;; [unrolled: 1-line block ×6, first 2 shown]
.LBB88_182:
	s_or_b64 exec, exec, s[0:1]
	v_lshl_add_u32 v94, v99, 3, v98
	s_barrier
	ds_write_b64 v94, v[68:69]
	s_waitcnt lgkmcnt(0)
	s_barrier
	ds_read_b64 v[94:95], v98 offset:88
	s_cmp_lt_i32 s18, 13
	v_mov_b32_e32 v96, 11
	s_cbranch_scc1 .LBB88_185
; %bb.183:
	v_add_u32_e32 v103, 0x60, v98
	s_mov_b32 s0, 12
	v_mov_b32_e32 v96, 11
.LBB88_184:                             ; =>This Inner Loop Header: Depth=1
	ds_read_b64 v[104:105], v103
	v_mov_b32_e32 v106, s0
	s_add_i32 s0, s0, 1
	v_add_u32_e32 v103, 8, v103
	s_cmp_lg_u32 s18, s0
	s_waitcnt lgkmcnt(0)
	v_cmp_lt_f64_e64 vcc, |v[94:95]|, |v[104:105]|
	v_cndmask_b32_e32 v95, v95, v105, vcc
	v_cndmask_b32_e32 v94, v94, v104, vcc
	;; [unrolled: 1-line block ×3, first 2 shown]
	s_cbranch_scc1 .LBB88_184
.LBB88_185:
	s_waitcnt lgkmcnt(0)
	v_cmp_eq_f64_e32 vcc, 0, v[94:95]
	s_and_saveexec_b64 s[0:1], vcc
	s_xor_b64 s[0:1], exec, s[0:1]
; %bb.186:
	v_cmp_ne_u32_e32 vcc, 0, v102
	v_cndmask_b32_e32 v102, 12, v102, vcc
; %bb.187:
	s_andn2_saveexec_b64 s[0:1], s[0:1]
; %bb.188:
	v_div_scale_f64 v[104:105], s[2:3], v[94:95], v[94:95], 1.0
	v_rcp_f64_e32 v[106:107], v[104:105]
	v_div_scale_f64 v[108:109], vcc, 1.0, v[94:95], 1.0
	v_fma_f64 v[110:111], -v[104:105], v[106:107], 1.0
	v_fmac_f64_e32 v[106:107], v[106:107], v[110:111]
	v_fma_f64 v[110:111], -v[104:105], v[106:107], 1.0
	v_fmac_f64_e32 v[106:107], v[106:107], v[110:111]
	v_mul_f64 v[110:111], v[108:109], v[106:107]
	v_fma_f64 v[104:105], -v[104:105], v[110:111], v[108:109]
	v_div_fmas_f64 v[104:105], v[104:105], v[106:107], v[110:111]
	v_div_fixup_f64 v[94:95], v[104:105], v[94:95], 1.0
; %bb.189:
	s_or_b64 exec, exec, s[0:1]
	v_cmp_ne_u32_e32 vcc, v99, v96
	s_and_saveexec_b64 s[0:1], vcc
	s_xor_b64 s[0:1], exec, s[0:1]
	s_cbranch_execz .LBB88_195
; %bb.190:
	v_cmp_eq_u32_e32 vcc, 11, v99
	s_and_saveexec_b64 s[2:3], vcc
	s_cbranch_execz .LBB88_194
; %bb.191:
	v_cmp_ne_u32_e32 vcc, 11, v96
	s_xor_b64 s[14:15], s[6:7], -1
	s_and_b64 s[16:17], s[14:15], vcc
	s_and_saveexec_b64 s[14:15], s[16:17]
	s_cbranch_execz .LBB88_193
; %bb.192:
	v_ashrrev_i32_e32 v97, 31, v96
	v_lshlrev_b64 v[104:105], 2, v[96:97]
	v_add_co_u32_e32 v104, vcc, v4, v104
	v_addc_co_u32_e32 v105, vcc, v5, v105, vcc
	flat_load_dword v97, v[104:105]
	flat_load_dword v99, v[4:5] offset:44
	s_waitcnt vmcnt(0) lgkmcnt(0)
	flat_store_dword v[4:5], v97 offset:44
	flat_store_dword v[104:105], v99
.LBB88_193:
	s_or_b64 exec, exec, s[14:15]
	v_mov_b32_e32 v97, v96
	v_mov_b32_e32 v99, v96
.LBB88_194:
	s_or_b64 exec, exec, s[2:3]
.LBB88_195:
	s_andn2_saveexec_b64 s[0:1], s[0:1]
	s_cbranch_execz .LBB88_197
; %bb.196:
	v_mov_b32_e32 v104, v66
	v_mov_b32_e32 v105, v67
	v_mov_b32_e32 v106, v62
	v_mov_b32_e32 v107, v63
	ds_write2_b64 v98, v[104:105], v[106:107] offset0:12 offset1:13
	v_mov_b32_e32 v104, v64
	v_mov_b32_e32 v105, v65
	v_mov_b32_e32 v106, v60
	v_mov_b32_e32 v107, v61
	ds_write2_b64 v98, v[104:105], v[106:107] offset0:14 offset1:15
	;; [unrolled: 5-line block ×15, first 2 shown]
	v_mov_b32_e32 v104, v8
	v_mov_b32_e32 v105, v9
	;; [unrolled: 1-line block ×5, first 2 shown]
	ds_write2_b64 v98, v[104:105], v[106:107] offset0:42 offset1:43
	ds_write_b64 v98, v[92:93] offset:352
.LBB88_197:
	s_or_b64 exec, exec, s[0:1]
	v_cmp_lt_i32_e32 vcc, 11, v99
	s_waitcnt lgkmcnt(0)
	s_barrier
	s_and_saveexec_b64 s[0:1], vcc
	s_cbranch_execz .LBB88_199
; %bb.198:
	ds_read2_b64 v[104:107], v98 offset0:12 offset1:13
	ds_read2_b64 v[108:111], v98 offset0:14 offset1:15
	v_mul_f64 v[68:69], v[94:95], v[68:69]
	ds_read2_b64 v[112:115], v98 offset0:16 offset1:17
	ds_read_b64 v[94:95], v98 offset:352
	s_waitcnt lgkmcnt(0)
	v_fma_f64 v[66:67], -v[68:69], v[104:105], v[66:67]
	v_fma_f64 v[62:63], -v[68:69], v[106:107], v[62:63]
	ds_read2_b64 v[104:107], v98 offset0:18 offset1:19
	v_fma_f64 v[64:65], -v[68:69], v[108:109], v[64:65]
	v_fma_f64 v[60:61], -v[68:69], v[110:111], v[60:61]
	;; [unrolled: 1-line block ×3, first 2 shown]
	ds_read2_b64 v[108:111], v98 offset0:20 offset1:21
	v_fma_f64 v[56:57], -v[68:69], v[114:115], v[56:57]
	ds_read2_b64 v[112:115], v98 offset0:22 offset1:23
	s_waitcnt lgkmcnt(0)
	v_fma_f64 v[54:55], -v[68:69], v[104:105], v[54:55]
	v_fma_f64 v[52:53], -v[68:69], v[106:107], v[52:53]
	ds_read2_b64 v[104:107], v98 offset0:24 offset1:25
	v_fma_f64 v[50:51], -v[68:69], v[108:109], v[50:51]
	v_fma_f64 v[48:49], -v[68:69], v[110:111], v[48:49]
	ds_read2_b64 v[108:111], v98 offset0:26 offset1:27
	v_fma_f64 v[46:47], -v[68:69], v[112:113], v[46:47]
	v_fma_f64 v[44:45], -v[68:69], v[114:115], v[44:45]
	s_waitcnt lgkmcnt(0)
	v_fma_f64 v[42:43], -v[68:69], v[104:105], v[42:43]
	ds_read2_b64 v[112:115], v98 offset0:28 offset1:29
	v_fma_f64 v[40:41], -v[68:69], v[106:107], v[40:41]
	ds_read2_b64 v[104:107], v98 offset0:30 offset1:31
	v_fma_f64 v[38:39], -v[68:69], v[108:109], v[38:39]
	v_fma_f64 v[34:35], -v[68:69], v[110:111], v[34:35]
	s_waitcnt lgkmcnt(0)
	v_fma_f64 v[36:37], -v[68:69], v[112:113], v[36:37]
	ds_read2_b64 v[108:111], v98 offset0:32 offset1:33
	v_fma_f64 v[32:33], -v[68:69], v[114:115], v[32:33]
	ds_read2_b64 v[112:115], v98 offset0:34 offset1:35
	v_fma_f64 v[30:31], -v[68:69], v[104:105], v[30:31]
	v_fma_f64 v[28:29], -v[68:69], v[106:107], v[28:29]
	ds_read2_b64 v[104:107], v98 offset0:36 offset1:37
	s_waitcnt lgkmcnt(0)
	v_fma_f64 v[26:27], -v[68:69], v[108:109], v[26:27]
	v_fma_f64 v[24:25], -v[68:69], v[110:111], v[24:25]
	ds_read2_b64 v[108:111], v98 offset0:38 offset1:39
	v_fma_f64 v[22:23], -v[68:69], v[112:113], v[22:23]
	v_fma_f64 v[20:21], -v[68:69], v[114:115], v[20:21]
	;; [unrolled: 1-line block ×4, first 2 shown]
	ds_read2_b64 v[104:107], v98 offset0:40 offset1:41
	ds_read2_b64 v[112:115], v98 offset0:42 offset1:43
	s_waitcnt lgkmcnt(0)
	v_fma_f64 v[14:15], -v[68:69], v[108:109], v[14:15]
	v_fma_f64 v[12:13], -v[68:69], v[110:111], v[12:13]
	;; [unrolled: 1-line block ×7, first 2 shown]
.LBB88_199:
	s_or_b64 exec, exec, s[0:1]
	v_lshl_add_u32 v94, v99, 3, v98
	s_barrier
	ds_write_b64 v94, v[66:67]
	s_waitcnt lgkmcnt(0)
	s_barrier
	ds_read_b64 v[94:95], v98 offset:96
	s_cmp_lt_i32 s18, 14
	v_mov_b32_e32 v96, 12
	s_cbranch_scc1 .LBB88_202
; %bb.200:
	v_add_u32_e32 v103, 0x68, v98
	s_mov_b32 s0, 13
	v_mov_b32_e32 v96, 12
.LBB88_201:                             ; =>This Inner Loop Header: Depth=1
	ds_read_b64 v[104:105], v103
	v_mov_b32_e32 v106, s0
	s_add_i32 s0, s0, 1
	v_add_u32_e32 v103, 8, v103
	s_cmp_lg_u32 s18, s0
	s_waitcnt lgkmcnt(0)
	v_cmp_lt_f64_e64 vcc, |v[94:95]|, |v[104:105]|
	v_cndmask_b32_e32 v95, v95, v105, vcc
	v_cndmask_b32_e32 v94, v94, v104, vcc
	;; [unrolled: 1-line block ×3, first 2 shown]
	s_cbranch_scc1 .LBB88_201
.LBB88_202:
	s_waitcnt lgkmcnt(0)
	v_cmp_eq_f64_e32 vcc, 0, v[94:95]
	s_and_saveexec_b64 s[0:1], vcc
	s_xor_b64 s[0:1], exec, s[0:1]
; %bb.203:
	v_cmp_ne_u32_e32 vcc, 0, v102
	v_cndmask_b32_e32 v102, 13, v102, vcc
; %bb.204:
	s_andn2_saveexec_b64 s[0:1], s[0:1]
; %bb.205:
	v_div_scale_f64 v[104:105], s[2:3], v[94:95], v[94:95], 1.0
	v_rcp_f64_e32 v[106:107], v[104:105]
	v_div_scale_f64 v[108:109], vcc, 1.0, v[94:95], 1.0
	v_fma_f64 v[110:111], -v[104:105], v[106:107], 1.0
	v_fmac_f64_e32 v[106:107], v[106:107], v[110:111]
	v_fma_f64 v[110:111], -v[104:105], v[106:107], 1.0
	v_fmac_f64_e32 v[106:107], v[106:107], v[110:111]
	v_mul_f64 v[110:111], v[108:109], v[106:107]
	v_fma_f64 v[104:105], -v[104:105], v[110:111], v[108:109]
	v_div_fmas_f64 v[104:105], v[104:105], v[106:107], v[110:111]
	v_div_fixup_f64 v[94:95], v[104:105], v[94:95], 1.0
; %bb.206:
	s_or_b64 exec, exec, s[0:1]
	v_cmp_ne_u32_e32 vcc, v99, v96
	s_and_saveexec_b64 s[0:1], vcc
	s_xor_b64 s[0:1], exec, s[0:1]
	s_cbranch_execz .LBB88_212
; %bb.207:
	v_cmp_eq_u32_e32 vcc, 12, v99
	s_and_saveexec_b64 s[2:3], vcc
	s_cbranch_execz .LBB88_211
; %bb.208:
	v_cmp_ne_u32_e32 vcc, 12, v96
	s_xor_b64 s[14:15], s[6:7], -1
	s_and_b64 s[16:17], s[14:15], vcc
	s_and_saveexec_b64 s[14:15], s[16:17]
	s_cbranch_execz .LBB88_210
; %bb.209:
	v_ashrrev_i32_e32 v97, 31, v96
	v_lshlrev_b64 v[104:105], 2, v[96:97]
	v_add_co_u32_e32 v104, vcc, v4, v104
	v_addc_co_u32_e32 v105, vcc, v5, v105, vcc
	flat_load_dword v97, v[104:105]
	flat_load_dword v99, v[4:5] offset:48
	s_waitcnt vmcnt(0) lgkmcnt(0)
	flat_store_dword v[4:5], v97 offset:48
	flat_store_dword v[104:105], v99
.LBB88_210:
	s_or_b64 exec, exec, s[14:15]
	v_mov_b32_e32 v97, v96
	v_mov_b32_e32 v99, v96
.LBB88_211:
	s_or_b64 exec, exec, s[2:3]
.LBB88_212:
	s_andn2_saveexec_b64 s[0:1], s[0:1]
	s_cbranch_execz .LBB88_214
; %bb.213:
	v_mov_b32_e32 v99, 12
	ds_write2_b64 v98, v[62:63], v[64:65] offset0:13 offset1:14
	ds_write2_b64 v98, v[60:61], v[58:59] offset0:15 offset1:16
	;; [unrolled: 1-line block ×16, first 2 shown]
.LBB88_214:
	s_or_b64 exec, exec, s[0:1]
	v_cmp_lt_i32_e32 vcc, 12, v99
	s_waitcnt lgkmcnt(0)
	s_barrier
	s_and_saveexec_b64 s[0:1], vcc
	s_cbranch_execz .LBB88_216
; %bb.215:
	ds_read2_b64 v[104:107], v98 offset0:13 offset1:14
	ds_read2_b64 v[108:111], v98 offset0:15 offset1:16
	v_mul_f64 v[66:67], v[94:95], v[66:67]
	ds_read2_b64 v[112:115], v98 offset0:17 offset1:18
	s_waitcnt lgkmcnt(0)
	v_fma_f64 v[62:63], -v[66:67], v[104:105], v[62:63]
	v_fma_f64 v[64:65], -v[66:67], v[106:107], v[64:65]
	ds_read2_b64 v[104:107], v98 offset0:19 offset1:20
	v_fma_f64 v[60:61], -v[66:67], v[108:109], v[60:61]
	v_fma_f64 v[58:59], -v[66:67], v[110:111], v[58:59]
	;; [unrolled: 1-line block ×3, first 2 shown]
	ds_read2_b64 v[108:111], v98 offset0:21 offset1:22
	v_fma_f64 v[54:55], -v[66:67], v[114:115], v[54:55]
	ds_read2_b64 v[112:115], v98 offset0:23 offset1:24
	s_waitcnt lgkmcnt(0)
	v_fma_f64 v[52:53], -v[66:67], v[104:105], v[52:53]
	v_fma_f64 v[50:51], -v[66:67], v[106:107], v[50:51]
	ds_read2_b64 v[104:107], v98 offset0:25 offset1:26
	v_fma_f64 v[48:49], -v[66:67], v[108:109], v[48:49]
	v_fma_f64 v[46:47], -v[66:67], v[110:111], v[46:47]
	ds_read2_b64 v[108:111], v98 offset0:27 offset1:28
	v_fma_f64 v[44:45], -v[66:67], v[112:113], v[44:45]
	v_fma_f64 v[42:43], -v[66:67], v[114:115], v[42:43]
	s_waitcnt lgkmcnt(0)
	v_fma_f64 v[40:41], -v[66:67], v[104:105], v[40:41]
	ds_read2_b64 v[112:115], v98 offset0:29 offset1:30
	v_fma_f64 v[38:39], -v[66:67], v[106:107], v[38:39]
	ds_read2_b64 v[104:107], v98 offset0:31 offset1:32
	v_fma_f64 v[34:35], -v[66:67], v[108:109], v[34:35]
	v_fma_f64 v[36:37], -v[66:67], v[110:111], v[36:37]
	s_waitcnt lgkmcnt(0)
	v_fma_f64 v[32:33], -v[66:67], v[112:113], v[32:33]
	ds_read2_b64 v[108:111], v98 offset0:33 offset1:34
	v_fma_f64 v[30:31], -v[66:67], v[114:115], v[30:31]
	ds_read2_b64 v[112:115], v98 offset0:35 offset1:36
	v_fma_f64 v[28:29], -v[66:67], v[104:105], v[28:29]
	v_fma_f64 v[26:27], -v[66:67], v[106:107], v[26:27]
	ds_read2_b64 v[104:107], v98 offset0:37 offset1:38
	s_waitcnt lgkmcnt(0)
	v_fma_f64 v[24:25], -v[66:67], v[108:109], v[24:25]
	v_fma_f64 v[22:23], -v[66:67], v[110:111], v[22:23]
	ds_read2_b64 v[108:111], v98 offset0:39 offset1:40
	v_fma_f64 v[20:21], -v[66:67], v[112:113], v[20:21]
	v_fma_f64 v[18:19], -v[66:67], v[114:115], v[18:19]
	;; [unrolled: 1-line block ×3, first 2 shown]
	ds_read2_b64 v[112:115], v98 offset0:41 offset1:42
	v_fma_f64 v[14:15], -v[66:67], v[106:107], v[14:15]
	ds_read2_b64 v[104:107], v98 offset0:43 offset1:44
	s_waitcnt lgkmcnt(0)
	v_fma_f64 v[12:13], -v[66:67], v[108:109], v[12:13]
	v_fma_f64 v[10:11], -v[66:67], v[110:111], v[10:11]
	;; [unrolled: 1-line block ×6, first 2 shown]
.LBB88_216:
	s_or_b64 exec, exec, s[0:1]
	v_lshl_add_u32 v94, v99, 3, v98
	s_barrier
	ds_write_b64 v94, v[62:63]
	s_waitcnt lgkmcnt(0)
	s_barrier
	ds_read_b64 v[94:95], v98 offset:104
	s_cmp_lt_i32 s18, 15
	v_mov_b32_e32 v96, 13
	s_cbranch_scc1 .LBB88_219
; %bb.217:
	v_add_u32_e32 v103, 0x70, v98
	s_mov_b32 s0, 14
	v_mov_b32_e32 v96, 13
.LBB88_218:                             ; =>This Inner Loop Header: Depth=1
	ds_read_b64 v[104:105], v103
	v_mov_b32_e32 v106, s0
	s_add_i32 s0, s0, 1
	v_add_u32_e32 v103, 8, v103
	s_cmp_lg_u32 s18, s0
	s_waitcnt lgkmcnt(0)
	v_cmp_lt_f64_e64 vcc, |v[94:95]|, |v[104:105]|
	v_cndmask_b32_e32 v95, v95, v105, vcc
	v_cndmask_b32_e32 v94, v94, v104, vcc
	;; [unrolled: 1-line block ×3, first 2 shown]
	s_cbranch_scc1 .LBB88_218
.LBB88_219:
	s_waitcnt lgkmcnt(0)
	v_cmp_eq_f64_e32 vcc, 0, v[94:95]
	s_and_saveexec_b64 s[0:1], vcc
	s_xor_b64 s[0:1], exec, s[0:1]
; %bb.220:
	v_cmp_ne_u32_e32 vcc, 0, v102
	v_cndmask_b32_e32 v102, 14, v102, vcc
; %bb.221:
	s_andn2_saveexec_b64 s[0:1], s[0:1]
; %bb.222:
	v_div_scale_f64 v[104:105], s[2:3], v[94:95], v[94:95], 1.0
	v_rcp_f64_e32 v[106:107], v[104:105]
	v_div_scale_f64 v[108:109], vcc, 1.0, v[94:95], 1.0
	v_fma_f64 v[110:111], -v[104:105], v[106:107], 1.0
	v_fmac_f64_e32 v[106:107], v[106:107], v[110:111]
	v_fma_f64 v[110:111], -v[104:105], v[106:107], 1.0
	v_fmac_f64_e32 v[106:107], v[106:107], v[110:111]
	v_mul_f64 v[110:111], v[108:109], v[106:107]
	v_fma_f64 v[104:105], -v[104:105], v[110:111], v[108:109]
	v_div_fmas_f64 v[104:105], v[104:105], v[106:107], v[110:111]
	v_div_fixup_f64 v[94:95], v[104:105], v[94:95], 1.0
; %bb.223:
	s_or_b64 exec, exec, s[0:1]
	v_cmp_ne_u32_e32 vcc, v99, v96
	s_and_saveexec_b64 s[0:1], vcc
	s_xor_b64 s[0:1], exec, s[0:1]
	s_cbranch_execz .LBB88_229
; %bb.224:
	v_cmp_eq_u32_e32 vcc, 13, v99
	s_and_saveexec_b64 s[2:3], vcc
	s_cbranch_execz .LBB88_228
; %bb.225:
	v_cmp_ne_u32_e32 vcc, 13, v96
	s_xor_b64 s[14:15], s[6:7], -1
	s_and_b64 s[16:17], s[14:15], vcc
	s_and_saveexec_b64 s[14:15], s[16:17]
	s_cbranch_execz .LBB88_227
; %bb.226:
	v_ashrrev_i32_e32 v97, 31, v96
	v_lshlrev_b64 v[104:105], 2, v[96:97]
	v_add_co_u32_e32 v104, vcc, v4, v104
	v_addc_co_u32_e32 v105, vcc, v5, v105, vcc
	flat_load_dword v97, v[104:105]
	flat_load_dword v99, v[4:5] offset:52
	s_waitcnt vmcnt(0) lgkmcnt(0)
	flat_store_dword v[4:5], v97 offset:52
	flat_store_dword v[104:105], v99
.LBB88_227:
	s_or_b64 exec, exec, s[14:15]
	v_mov_b32_e32 v97, v96
	v_mov_b32_e32 v99, v96
.LBB88_228:
	s_or_b64 exec, exec, s[2:3]
.LBB88_229:
	s_andn2_saveexec_b64 s[0:1], s[0:1]
	s_cbranch_execz .LBB88_231
; %bb.230:
	v_mov_b32_e32 v104, v64
	v_mov_b32_e32 v105, v65
	v_mov_b32_e32 v106, v60
	v_mov_b32_e32 v107, v61
	ds_write2_b64 v98, v[104:105], v[106:107] offset0:14 offset1:15
	v_mov_b32_e32 v104, v58
	v_mov_b32_e32 v105, v59
	v_mov_b32_e32 v106, v56
	v_mov_b32_e32 v107, v57
	ds_write2_b64 v98, v[104:105], v[106:107] offset0:16 offset1:17
	;; [unrolled: 5-line block ×14, first 2 shown]
	v_mov_b32_e32 v104, v8
	v_mov_b32_e32 v105, v9
	;; [unrolled: 1-line block ×5, first 2 shown]
	ds_write2_b64 v98, v[104:105], v[106:107] offset0:42 offset1:43
	ds_write_b64 v98, v[92:93] offset:352
.LBB88_231:
	s_or_b64 exec, exec, s[0:1]
	v_cmp_lt_i32_e32 vcc, 13, v99
	s_waitcnt lgkmcnt(0)
	s_barrier
	s_and_saveexec_b64 s[0:1], vcc
	s_cbranch_execz .LBB88_233
; %bb.232:
	ds_read2_b64 v[104:107], v98 offset0:14 offset1:15
	ds_read2_b64 v[108:111], v98 offset0:16 offset1:17
	ds_read2_b64 v[112:115], v98 offset0:18 offset1:19
	v_mul_f64 v[62:63], v[94:95], v[62:63]
	ds_read_b64 v[94:95], v98 offset:352
	s_waitcnt lgkmcnt(0)
	v_fma_f64 v[64:65], -v[62:63], v[104:105], v[64:65]
	v_fma_f64 v[60:61], -v[62:63], v[106:107], v[60:61]
	ds_read2_b64 v[104:107], v98 offset0:20 offset1:21
	v_fma_f64 v[58:59], -v[62:63], v[108:109], v[58:59]
	v_fma_f64 v[56:57], -v[62:63], v[110:111], v[56:57]
	;; [unrolled: 1-line block ×3, first 2 shown]
	ds_read2_b64 v[108:111], v98 offset0:22 offset1:23
	v_fma_f64 v[52:53], -v[62:63], v[114:115], v[52:53]
	ds_read2_b64 v[112:115], v98 offset0:24 offset1:25
	s_waitcnt lgkmcnt(0)
	v_fma_f64 v[50:51], -v[62:63], v[104:105], v[50:51]
	v_fma_f64 v[48:49], -v[62:63], v[106:107], v[48:49]
	;; [unrolled: 1-line block ×3, first 2 shown]
	ds_read2_b64 v[104:107], v98 offset0:26 offset1:27
	v_fma_f64 v[44:45], -v[62:63], v[110:111], v[44:45]
	ds_read2_b64 v[108:111], v98 offset0:28 offset1:29
	v_fma_f64 v[42:43], -v[62:63], v[112:113], v[42:43]
	v_fma_f64 v[40:41], -v[62:63], v[114:115], v[40:41]
	ds_read2_b64 v[112:115], v98 offset0:30 offset1:31
	s_waitcnt lgkmcnt(0)
	v_fma_f64 v[38:39], -v[62:63], v[104:105], v[38:39]
	v_fma_f64 v[34:35], -v[62:63], v[106:107], v[34:35]
	ds_read2_b64 v[104:107], v98 offset0:32 offset1:33
	v_fma_f64 v[36:37], -v[62:63], v[108:109], v[36:37]
	v_fma_f64 v[32:33], -v[62:63], v[110:111], v[32:33]
	;; [unrolled: 1-line block ×3, first 2 shown]
	ds_read2_b64 v[108:111], v98 offset0:34 offset1:35
	v_fma_f64 v[28:29], -v[62:63], v[114:115], v[28:29]
	ds_read2_b64 v[112:115], v98 offset0:36 offset1:37
	s_waitcnt lgkmcnt(0)
	v_fma_f64 v[26:27], -v[62:63], v[104:105], v[26:27]
	v_fma_f64 v[24:25], -v[62:63], v[106:107], v[24:25]
	;; [unrolled: 1-line block ×3, first 2 shown]
	ds_read2_b64 v[104:107], v98 offset0:38 offset1:39
	v_fma_f64 v[20:21], -v[62:63], v[110:111], v[20:21]
	ds_read2_b64 v[108:111], v98 offset0:40 offset1:41
	v_fma_f64 v[18:19], -v[62:63], v[112:113], v[18:19]
	v_fma_f64 v[16:17], -v[62:63], v[114:115], v[16:17]
	ds_read2_b64 v[112:115], v98 offset0:42 offset1:43
	s_waitcnt lgkmcnt(0)
	v_fma_f64 v[14:15], -v[62:63], v[104:105], v[14:15]
	v_fma_f64 v[12:13], -v[62:63], v[106:107], v[12:13]
	;; [unrolled: 1-line block ×7, first 2 shown]
.LBB88_233:
	s_or_b64 exec, exec, s[0:1]
	v_lshl_add_u32 v94, v99, 3, v98
	s_barrier
	ds_write_b64 v94, v[64:65]
	s_waitcnt lgkmcnt(0)
	s_barrier
	ds_read_b64 v[94:95], v98 offset:112
	s_cmp_lt_i32 s18, 16
	v_mov_b32_e32 v96, 14
	s_cbranch_scc1 .LBB88_236
; %bb.234:
	v_add_u32_e32 v103, 0x78, v98
	s_mov_b32 s0, 15
	v_mov_b32_e32 v96, 14
.LBB88_235:                             ; =>This Inner Loop Header: Depth=1
	ds_read_b64 v[104:105], v103
	v_mov_b32_e32 v106, s0
	s_add_i32 s0, s0, 1
	v_add_u32_e32 v103, 8, v103
	s_cmp_lg_u32 s18, s0
	s_waitcnt lgkmcnt(0)
	v_cmp_lt_f64_e64 vcc, |v[94:95]|, |v[104:105]|
	v_cndmask_b32_e32 v95, v95, v105, vcc
	v_cndmask_b32_e32 v94, v94, v104, vcc
	;; [unrolled: 1-line block ×3, first 2 shown]
	s_cbranch_scc1 .LBB88_235
.LBB88_236:
	s_waitcnt lgkmcnt(0)
	v_cmp_eq_f64_e32 vcc, 0, v[94:95]
	s_and_saveexec_b64 s[0:1], vcc
	s_xor_b64 s[0:1], exec, s[0:1]
; %bb.237:
	v_cmp_ne_u32_e32 vcc, 0, v102
	v_cndmask_b32_e32 v102, 15, v102, vcc
; %bb.238:
	s_andn2_saveexec_b64 s[0:1], s[0:1]
; %bb.239:
	v_div_scale_f64 v[104:105], s[2:3], v[94:95], v[94:95], 1.0
	v_rcp_f64_e32 v[106:107], v[104:105]
	v_div_scale_f64 v[108:109], vcc, 1.0, v[94:95], 1.0
	v_fma_f64 v[110:111], -v[104:105], v[106:107], 1.0
	v_fmac_f64_e32 v[106:107], v[106:107], v[110:111]
	v_fma_f64 v[110:111], -v[104:105], v[106:107], 1.0
	v_fmac_f64_e32 v[106:107], v[106:107], v[110:111]
	v_mul_f64 v[110:111], v[108:109], v[106:107]
	v_fma_f64 v[104:105], -v[104:105], v[110:111], v[108:109]
	v_div_fmas_f64 v[104:105], v[104:105], v[106:107], v[110:111]
	v_div_fixup_f64 v[94:95], v[104:105], v[94:95], 1.0
; %bb.240:
	s_or_b64 exec, exec, s[0:1]
	v_cmp_ne_u32_e32 vcc, v99, v96
	s_and_saveexec_b64 s[0:1], vcc
	s_xor_b64 s[0:1], exec, s[0:1]
	s_cbranch_execz .LBB88_246
; %bb.241:
	v_cmp_eq_u32_e32 vcc, 14, v99
	s_and_saveexec_b64 s[2:3], vcc
	s_cbranch_execz .LBB88_245
; %bb.242:
	v_cmp_ne_u32_e32 vcc, 14, v96
	s_xor_b64 s[14:15], s[6:7], -1
	s_and_b64 s[16:17], s[14:15], vcc
	s_and_saveexec_b64 s[14:15], s[16:17]
	s_cbranch_execz .LBB88_244
; %bb.243:
	v_ashrrev_i32_e32 v97, 31, v96
	v_lshlrev_b64 v[104:105], 2, v[96:97]
	v_add_co_u32_e32 v104, vcc, v4, v104
	v_addc_co_u32_e32 v105, vcc, v5, v105, vcc
	flat_load_dword v97, v[104:105]
	flat_load_dword v99, v[4:5] offset:56
	s_waitcnt vmcnt(0) lgkmcnt(0)
	flat_store_dword v[4:5], v97 offset:56
	flat_store_dword v[104:105], v99
.LBB88_244:
	s_or_b64 exec, exec, s[14:15]
	v_mov_b32_e32 v97, v96
	v_mov_b32_e32 v99, v96
.LBB88_245:
	s_or_b64 exec, exec, s[2:3]
.LBB88_246:
	s_andn2_saveexec_b64 s[0:1], s[0:1]
	s_cbranch_execz .LBB88_248
; %bb.247:
	v_mov_b32_e32 v99, 14
	ds_write2_b64 v98, v[60:61], v[58:59] offset0:15 offset1:16
	ds_write2_b64 v98, v[56:57], v[54:55] offset0:17 offset1:18
	;; [unrolled: 1-line block ×15, first 2 shown]
.LBB88_248:
	s_or_b64 exec, exec, s[0:1]
	v_cmp_lt_i32_e32 vcc, 14, v99
	s_waitcnt lgkmcnt(0)
	s_barrier
	s_and_saveexec_b64 s[0:1], vcc
	s_cbranch_execz .LBB88_250
; %bb.249:
	ds_read2_b64 v[104:107], v98 offset0:15 offset1:16
	ds_read2_b64 v[108:111], v98 offset0:17 offset1:18
	ds_read2_b64 v[112:115], v98 offset0:19 offset1:20
	v_mul_f64 v[64:65], v[94:95], v[64:65]
	s_waitcnt lgkmcnt(0)
	v_fma_f64 v[60:61], -v[64:65], v[104:105], v[60:61]
	v_fma_f64 v[58:59], -v[64:65], v[106:107], v[58:59]
	ds_read2_b64 v[104:107], v98 offset0:21 offset1:22
	v_fma_f64 v[56:57], -v[64:65], v[108:109], v[56:57]
	v_fma_f64 v[54:55], -v[64:65], v[110:111], v[54:55]
	;; [unrolled: 1-line block ×3, first 2 shown]
	ds_read2_b64 v[108:111], v98 offset0:23 offset1:24
	v_fma_f64 v[50:51], -v[64:65], v[114:115], v[50:51]
	ds_read2_b64 v[112:115], v98 offset0:25 offset1:26
	s_waitcnt lgkmcnt(0)
	v_fma_f64 v[48:49], -v[64:65], v[104:105], v[48:49]
	v_fma_f64 v[46:47], -v[64:65], v[106:107], v[46:47]
	;; [unrolled: 1-line block ×3, first 2 shown]
	ds_read2_b64 v[104:107], v98 offset0:27 offset1:28
	v_fma_f64 v[42:43], -v[64:65], v[110:111], v[42:43]
	ds_read2_b64 v[108:111], v98 offset0:29 offset1:30
	v_fma_f64 v[40:41], -v[64:65], v[112:113], v[40:41]
	v_fma_f64 v[38:39], -v[64:65], v[114:115], v[38:39]
	ds_read2_b64 v[112:115], v98 offset0:31 offset1:32
	s_waitcnt lgkmcnt(0)
	v_fma_f64 v[34:35], -v[64:65], v[104:105], v[34:35]
	v_fma_f64 v[36:37], -v[64:65], v[106:107], v[36:37]
	ds_read2_b64 v[104:107], v98 offset0:33 offset1:34
	v_fma_f64 v[32:33], -v[64:65], v[108:109], v[32:33]
	v_fma_f64 v[30:31], -v[64:65], v[110:111], v[30:31]
	;; [unrolled: 1-line block ×3, first 2 shown]
	ds_read2_b64 v[108:111], v98 offset0:35 offset1:36
	v_fma_f64 v[26:27], -v[64:65], v[114:115], v[26:27]
	ds_read2_b64 v[112:115], v98 offset0:37 offset1:38
	s_waitcnt lgkmcnt(0)
	v_fma_f64 v[24:25], -v[64:65], v[104:105], v[24:25]
	v_fma_f64 v[22:23], -v[64:65], v[106:107], v[22:23]
	;; [unrolled: 1-line block ×4, first 2 shown]
	ds_read2_b64 v[104:107], v98 offset0:39 offset1:40
	ds_read2_b64 v[108:111], v98 offset0:41 offset1:42
	v_fma_f64 v[16:17], -v[64:65], v[112:113], v[16:17]
	v_fma_f64 v[14:15], -v[64:65], v[114:115], v[14:15]
	ds_read2_b64 v[112:115], v98 offset0:43 offset1:44
	s_waitcnt lgkmcnt(0)
	v_fma_f64 v[12:13], -v[64:65], v[104:105], v[12:13]
	v_fma_f64 v[10:11], -v[64:65], v[106:107], v[10:11]
	;; [unrolled: 1-line block ×6, first 2 shown]
.LBB88_250:
	s_or_b64 exec, exec, s[0:1]
	v_lshl_add_u32 v94, v99, 3, v98
	s_barrier
	ds_write_b64 v94, v[60:61]
	s_waitcnt lgkmcnt(0)
	s_barrier
	ds_read_b64 v[94:95], v98 offset:120
	s_cmp_lt_i32 s18, 17
	v_mov_b32_e32 v96, 15
	s_cbranch_scc1 .LBB88_253
; %bb.251:
	v_add_u32_e32 v103, 0x80, v98
	s_mov_b32 s0, 16
	v_mov_b32_e32 v96, 15
.LBB88_252:                             ; =>This Inner Loop Header: Depth=1
	ds_read_b64 v[104:105], v103
	v_mov_b32_e32 v106, s0
	s_add_i32 s0, s0, 1
	v_add_u32_e32 v103, 8, v103
	s_cmp_lg_u32 s18, s0
	s_waitcnt lgkmcnt(0)
	v_cmp_lt_f64_e64 vcc, |v[94:95]|, |v[104:105]|
	v_cndmask_b32_e32 v95, v95, v105, vcc
	v_cndmask_b32_e32 v94, v94, v104, vcc
	;; [unrolled: 1-line block ×3, first 2 shown]
	s_cbranch_scc1 .LBB88_252
.LBB88_253:
	s_waitcnt lgkmcnt(0)
	v_cmp_eq_f64_e32 vcc, 0, v[94:95]
	s_and_saveexec_b64 s[0:1], vcc
	s_xor_b64 s[0:1], exec, s[0:1]
; %bb.254:
	v_cmp_ne_u32_e32 vcc, 0, v102
	v_cndmask_b32_e32 v102, 16, v102, vcc
; %bb.255:
	s_andn2_saveexec_b64 s[0:1], s[0:1]
; %bb.256:
	v_div_scale_f64 v[104:105], s[2:3], v[94:95], v[94:95], 1.0
	v_rcp_f64_e32 v[106:107], v[104:105]
	v_div_scale_f64 v[108:109], vcc, 1.0, v[94:95], 1.0
	v_fma_f64 v[110:111], -v[104:105], v[106:107], 1.0
	v_fmac_f64_e32 v[106:107], v[106:107], v[110:111]
	v_fma_f64 v[110:111], -v[104:105], v[106:107], 1.0
	v_fmac_f64_e32 v[106:107], v[106:107], v[110:111]
	v_mul_f64 v[110:111], v[108:109], v[106:107]
	v_fma_f64 v[104:105], -v[104:105], v[110:111], v[108:109]
	v_div_fmas_f64 v[104:105], v[104:105], v[106:107], v[110:111]
	v_div_fixup_f64 v[94:95], v[104:105], v[94:95], 1.0
; %bb.257:
	s_or_b64 exec, exec, s[0:1]
	v_cmp_ne_u32_e32 vcc, v99, v96
	s_and_saveexec_b64 s[0:1], vcc
	s_xor_b64 s[0:1], exec, s[0:1]
	s_cbranch_execz .LBB88_263
; %bb.258:
	v_cmp_eq_u32_e32 vcc, 15, v99
	s_and_saveexec_b64 s[2:3], vcc
	s_cbranch_execz .LBB88_262
; %bb.259:
	v_cmp_ne_u32_e32 vcc, 15, v96
	s_xor_b64 s[14:15], s[6:7], -1
	s_and_b64 s[16:17], s[14:15], vcc
	s_and_saveexec_b64 s[14:15], s[16:17]
	s_cbranch_execz .LBB88_261
; %bb.260:
	v_ashrrev_i32_e32 v97, 31, v96
	v_lshlrev_b64 v[104:105], 2, v[96:97]
	v_add_co_u32_e32 v104, vcc, v4, v104
	v_addc_co_u32_e32 v105, vcc, v5, v105, vcc
	flat_load_dword v97, v[104:105]
	flat_load_dword v99, v[4:5] offset:60
	s_waitcnt vmcnt(0) lgkmcnt(0)
	flat_store_dword v[4:5], v97 offset:60
	flat_store_dword v[104:105], v99
.LBB88_261:
	s_or_b64 exec, exec, s[14:15]
	v_mov_b32_e32 v97, v96
	v_mov_b32_e32 v99, v96
.LBB88_262:
	s_or_b64 exec, exec, s[2:3]
.LBB88_263:
	s_andn2_saveexec_b64 s[0:1], s[0:1]
	s_cbranch_execz .LBB88_265
; %bb.264:
	v_mov_b32_e32 v104, v58
	v_mov_b32_e32 v105, v59
	v_mov_b32_e32 v106, v56
	v_mov_b32_e32 v107, v57
	ds_write2_b64 v98, v[104:105], v[106:107] offset0:16 offset1:17
	v_mov_b32_e32 v104, v54
	v_mov_b32_e32 v105, v55
	v_mov_b32_e32 v106, v52
	v_mov_b32_e32 v107, v53
	ds_write2_b64 v98, v[104:105], v[106:107] offset0:18 offset1:19
	;; [unrolled: 5-line block ×13, first 2 shown]
	v_mov_b32_e32 v104, v8
	v_mov_b32_e32 v105, v9
	;; [unrolled: 1-line block ×5, first 2 shown]
	ds_write2_b64 v98, v[104:105], v[106:107] offset0:42 offset1:43
	ds_write_b64 v98, v[92:93] offset:352
.LBB88_265:
	s_or_b64 exec, exec, s[0:1]
	v_cmp_lt_i32_e32 vcc, 15, v99
	s_waitcnt lgkmcnt(0)
	s_barrier
	s_and_saveexec_b64 s[0:1], vcc
	s_cbranch_execz .LBB88_267
; %bb.266:
	ds_read2_b64 v[104:107], v98 offset0:16 offset1:17
	ds_read2_b64 v[108:111], v98 offset0:18 offset1:19
	v_mul_f64 v[60:61], v[94:95], v[60:61]
	ds_read2_b64 v[112:115], v98 offset0:20 offset1:21
	ds_read_b64 v[94:95], v98 offset:352
	s_waitcnt lgkmcnt(0)
	v_fma_f64 v[58:59], -v[60:61], v[104:105], v[58:59]
	v_fma_f64 v[56:57], -v[60:61], v[106:107], v[56:57]
	ds_read2_b64 v[104:107], v98 offset0:22 offset1:23
	v_fma_f64 v[54:55], -v[60:61], v[108:109], v[54:55]
	v_fma_f64 v[52:53], -v[60:61], v[110:111], v[52:53]
	ds_read2_b64 v[108:111], v98 offset0:24 offset1:25
	;; [unrolled: 3-line block ×3, first 2 shown]
	s_waitcnt lgkmcnt(0)
	v_fma_f64 v[46:47], -v[60:61], v[104:105], v[46:47]
	v_fma_f64 v[44:45], -v[60:61], v[106:107], v[44:45]
	;; [unrolled: 1-line block ×3, first 2 shown]
	ds_read2_b64 v[104:107], v98 offset0:28 offset1:29
	v_fma_f64 v[40:41], -v[60:61], v[110:111], v[40:41]
	ds_read2_b64 v[108:111], v98 offset0:30 offset1:31
	v_fma_f64 v[38:39], -v[60:61], v[112:113], v[38:39]
	v_fma_f64 v[34:35], -v[60:61], v[114:115], v[34:35]
	s_waitcnt lgkmcnt(0)
	v_fma_f64 v[36:37], -v[60:61], v[104:105], v[36:37]
	ds_read2_b64 v[112:115], v98 offset0:32 offset1:33
	v_fma_f64 v[32:33], -v[60:61], v[106:107], v[32:33]
	ds_read2_b64 v[104:107], v98 offset0:34 offset1:35
	v_fma_f64 v[30:31], -v[60:61], v[108:109], v[30:31]
	v_fma_f64 v[28:29], -v[60:61], v[110:111], v[28:29]
	ds_read2_b64 v[108:111], v98 offset0:36 offset1:37
	s_waitcnt lgkmcnt(0)
	v_fma_f64 v[26:27], -v[60:61], v[112:113], v[26:27]
	v_fma_f64 v[24:25], -v[60:61], v[114:115], v[24:25]
	ds_read2_b64 v[112:115], v98 offset0:38 offset1:39
	v_fma_f64 v[22:23], -v[60:61], v[104:105], v[22:23]
	v_fma_f64 v[20:21], -v[60:61], v[106:107], v[20:21]
	;; [unrolled: 1-line block ×4, first 2 shown]
	ds_read2_b64 v[104:107], v98 offset0:40 offset1:41
	ds_read2_b64 v[108:111], v98 offset0:42 offset1:43
	s_waitcnt lgkmcnt(0)
	v_fma_f64 v[14:15], -v[60:61], v[112:113], v[14:15]
	v_fma_f64 v[12:13], -v[60:61], v[114:115], v[12:13]
	;; [unrolled: 1-line block ×7, first 2 shown]
.LBB88_267:
	s_or_b64 exec, exec, s[0:1]
	v_lshl_add_u32 v94, v99, 3, v98
	s_barrier
	ds_write_b64 v94, v[58:59]
	s_waitcnt lgkmcnt(0)
	s_barrier
	ds_read_b64 v[94:95], v98 offset:128
	s_cmp_lt_i32 s18, 18
	v_mov_b32_e32 v96, 16
	s_cbranch_scc1 .LBB88_270
; %bb.268:
	v_add_u32_e32 v103, 0x88, v98
	s_mov_b32 s0, 17
	v_mov_b32_e32 v96, 16
.LBB88_269:                             ; =>This Inner Loop Header: Depth=1
	ds_read_b64 v[104:105], v103
	v_mov_b32_e32 v106, s0
	s_add_i32 s0, s0, 1
	v_add_u32_e32 v103, 8, v103
	s_cmp_lg_u32 s18, s0
	s_waitcnt lgkmcnt(0)
	v_cmp_lt_f64_e64 vcc, |v[94:95]|, |v[104:105]|
	v_cndmask_b32_e32 v95, v95, v105, vcc
	v_cndmask_b32_e32 v94, v94, v104, vcc
	;; [unrolled: 1-line block ×3, first 2 shown]
	s_cbranch_scc1 .LBB88_269
.LBB88_270:
	s_waitcnt lgkmcnt(0)
	v_cmp_eq_f64_e32 vcc, 0, v[94:95]
	s_and_saveexec_b64 s[0:1], vcc
	s_xor_b64 s[0:1], exec, s[0:1]
; %bb.271:
	v_cmp_ne_u32_e32 vcc, 0, v102
	v_cndmask_b32_e32 v102, 17, v102, vcc
; %bb.272:
	s_andn2_saveexec_b64 s[0:1], s[0:1]
; %bb.273:
	v_div_scale_f64 v[104:105], s[2:3], v[94:95], v[94:95], 1.0
	v_rcp_f64_e32 v[106:107], v[104:105]
	v_div_scale_f64 v[108:109], vcc, 1.0, v[94:95], 1.0
	v_fma_f64 v[110:111], -v[104:105], v[106:107], 1.0
	v_fmac_f64_e32 v[106:107], v[106:107], v[110:111]
	v_fma_f64 v[110:111], -v[104:105], v[106:107], 1.0
	v_fmac_f64_e32 v[106:107], v[106:107], v[110:111]
	v_mul_f64 v[110:111], v[108:109], v[106:107]
	v_fma_f64 v[104:105], -v[104:105], v[110:111], v[108:109]
	v_div_fmas_f64 v[104:105], v[104:105], v[106:107], v[110:111]
	v_div_fixup_f64 v[94:95], v[104:105], v[94:95], 1.0
; %bb.274:
	s_or_b64 exec, exec, s[0:1]
	v_cmp_ne_u32_e32 vcc, v99, v96
	s_and_saveexec_b64 s[0:1], vcc
	s_xor_b64 s[0:1], exec, s[0:1]
	s_cbranch_execz .LBB88_280
; %bb.275:
	v_cmp_eq_u32_e32 vcc, 16, v99
	s_and_saveexec_b64 s[2:3], vcc
	s_cbranch_execz .LBB88_279
; %bb.276:
	v_cmp_ne_u32_e32 vcc, 16, v96
	s_xor_b64 s[14:15], s[6:7], -1
	s_and_b64 s[16:17], s[14:15], vcc
	s_and_saveexec_b64 s[14:15], s[16:17]
	s_cbranch_execz .LBB88_278
; %bb.277:
	v_ashrrev_i32_e32 v97, 31, v96
	v_lshlrev_b64 v[104:105], 2, v[96:97]
	v_add_co_u32_e32 v104, vcc, v4, v104
	v_addc_co_u32_e32 v105, vcc, v5, v105, vcc
	flat_load_dword v97, v[104:105]
	flat_load_dword v99, v[4:5] offset:64
	s_waitcnt vmcnt(0) lgkmcnt(0)
	flat_store_dword v[4:5], v97 offset:64
	flat_store_dword v[104:105], v99
.LBB88_278:
	s_or_b64 exec, exec, s[14:15]
	v_mov_b32_e32 v97, v96
	v_mov_b32_e32 v99, v96
.LBB88_279:
	s_or_b64 exec, exec, s[2:3]
.LBB88_280:
	s_andn2_saveexec_b64 s[0:1], s[0:1]
	s_cbranch_execz .LBB88_282
; %bb.281:
	v_mov_b32_e32 v99, 16
	ds_write2_b64 v98, v[56:57], v[54:55] offset0:17 offset1:18
	ds_write2_b64 v98, v[52:53], v[50:51] offset0:19 offset1:20
	;; [unrolled: 1-line block ×14, first 2 shown]
.LBB88_282:
	s_or_b64 exec, exec, s[0:1]
	v_cmp_lt_i32_e32 vcc, 16, v99
	s_waitcnt lgkmcnt(0)
	s_barrier
	s_and_saveexec_b64 s[0:1], vcc
	s_cbranch_execz .LBB88_284
; %bb.283:
	ds_read2_b64 v[104:107], v98 offset0:17 offset1:18
	ds_read2_b64 v[108:111], v98 offset0:19 offset1:20
	v_mul_f64 v[58:59], v[94:95], v[58:59]
	ds_read2_b64 v[112:115], v98 offset0:21 offset1:22
	s_waitcnt lgkmcnt(0)
	v_fma_f64 v[56:57], -v[58:59], v[104:105], v[56:57]
	v_fma_f64 v[54:55], -v[58:59], v[106:107], v[54:55]
	ds_read2_b64 v[104:107], v98 offset0:23 offset1:24
	v_fma_f64 v[52:53], -v[58:59], v[108:109], v[52:53]
	v_fma_f64 v[50:51], -v[58:59], v[110:111], v[50:51]
	ds_read2_b64 v[108:111], v98 offset0:25 offset1:26
	;; [unrolled: 3-line block ×3, first 2 shown]
	s_waitcnt lgkmcnt(0)
	v_fma_f64 v[44:45], -v[58:59], v[104:105], v[44:45]
	v_fma_f64 v[42:43], -v[58:59], v[106:107], v[42:43]
	;; [unrolled: 1-line block ×3, first 2 shown]
	ds_read2_b64 v[104:107], v98 offset0:29 offset1:30
	v_fma_f64 v[38:39], -v[58:59], v[110:111], v[38:39]
	ds_read2_b64 v[108:111], v98 offset0:31 offset1:32
	v_fma_f64 v[34:35], -v[58:59], v[112:113], v[34:35]
	v_fma_f64 v[36:37], -v[58:59], v[114:115], v[36:37]
	s_waitcnt lgkmcnt(0)
	v_fma_f64 v[32:33], -v[58:59], v[104:105], v[32:33]
	ds_read2_b64 v[112:115], v98 offset0:33 offset1:34
	v_fma_f64 v[30:31], -v[58:59], v[106:107], v[30:31]
	ds_read2_b64 v[104:107], v98 offset0:35 offset1:36
	v_fma_f64 v[28:29], -v[58:59], v[108:109], v[28:29]
	v_fma_f64 v[26:27], -v[58:59], v[110:111], v[26:27]
	ds_read2_b64 v[108:111], v98 offset0:37 offset1:38
	s_waitcnt lgkmcnt(0)
	v_fma_f64 v[24:25], -v[58:59], v[112:113], v[24:25]
	v_fma_f64 v[22:23], -v[58:59], v[114:115], v[22:23]
	;; [unrolled: 1-line block ×4, first 2 shown]
	ds_read2_b64 v[104:107], v98 offset0:39 offset1:40
	v_fma_f64 v[16:17], -v[58:59], v[108:109], v[16:17]
	ds_read2_b64 v[112:115], v98 offset0:41 offset1:42
	v_fma_f64 v[14:15], -v[58:59], v[110:111], v[14:15]
	ds_read2_b64 v[108:111], v98 offset0:43 offset1:44
	s_waitcnt lgkmcnt(0)
	v_fma_f64 v[12:13], -v[58:59], v[104:105], v[12:13]
	v_fma_f64 v[10:11], -v[58:59], v[106:107], v[10:11]
	;; [unrolled: 1-line block ×6, first 2 shown]
.LBB88_284:
	s_or_b64 exec, exec, s[0:1]
	v_lshl_add_u32 v94, v99, 3, v98
	s_barrier
	ds_write_b64 v94, v[56:57]
	s_waitcnt lgkmcnt(0)
	s_barrier
	ds_read_b64 v[94:95], v98 offset:136
	s_cmp_lt_i32 s18, 19
	v_mov_b32_e32 v96, 17
	s_cbranch_scc1 .LBB88_287
; %bb.285:
	v_add_u32_e32 v103, 0x90, v98
	s_mov_b32 s0, 18
	v_mov_b32_e32 v96, 17
.LBB88_286:                             ; =>This Inner Loop Header: Depth=1
	ds_read_b64 v[104:105], v103
	v_mov_b32_e32 v106, s0
	s_add_i32 s0, s0, 1
	v_add_u32_e32 v103, 8, v103
	s_cmp_lg_u32 s18, s0
	s_waitcnt lgkmcnt(0)
	v_cmp_lt_f64_e64 vcc, |v[94:95]|, |v[104:105]|
	v_cndmask_b32_e32 v95, v95, v105, vcc
	v_cndmask_b32_e32 v94, v94, v104, vcc
	;; [unrolled: 1-line block ×3, first 2 shown]
	s_cbranch_scc1 .LBB88_286
.LBB88_287:
	s_waitcnt lgkmcnt(0)
	v_cmp_eq_f64_e32 vcc, 0, v[94:95]
	s_and_saveexec_b64 s[0:1], vcc
	s_xor_b64 s[0:1], exec, s[0:1]
; %bb.288:
	v_cmp_ne_u32_e32 vcc, 0, v102
	v_cndmask_b32_e32 v102, 18, v102, vcc
; %bb.289:
	s_andn2_saveexec_b64 s[0:1], s[0:1]
; %bb.290:
	v_div_scale_f64 v[104:105], s[2:3], v[94:95], v[94:95], 1.0
	v_rcp_f64_e32 v[106:107], v[104:105]
	v_div_scale_f64 v[108:109], vcc, 1.0, v[94:95], 1.0
	v_fma_f64 v[110:111], -v[104:105], v[106:107], 1.0
	v_fmac_f64_e32 v[106:107], v[106:107], v[110:111]
	v_fma_f64 v[110:111], -v[104:105], v[106:107], 1.0
	v_fmac_f64_e32 v[106:107], v[106:107], v[110:111]
	v_mul_f64 v[110:111], v[108:109], v[106:107]
	v_fma_f64 v[104:105], -v[104:105], v[110:111], v[108:109]
	v_div_fmas_f64 v[104:105], v[104:105], v[106:107], v[110:111]
	v_div_fixup_f64 v[94:95], v[104:105], v[94:95], 1.0
; %bb.291:
	s_or_b64 exec, exec, s[0:1]
	v_cmp_ne_u32_e32 vcc, v99, v96
	s_and_saveexec_b64 s[0:1], vcc
	s_xor_b64 s[0:1], exec, s[0:1]
	s_cbranch_execz .LBB88_297
; %bb.292:
	v_cmp_eq_u32_e32 vcc, 17, v99
	s_and_saveexec_b64 s[2:3], vcc
	s_cbranch_execz .LBB88_296
; %bb.293:
	v_cmp_ne_u32_e32 vcc, 17, v96
	s_xor_b64 s[14:15], s[6:7], -1
	s_and_b64 s[16:17], s[14:15], vcc
	s_and_saveexec_b64 s[14:15], s[16:17]
	s_cbranch_execz .LBB88_295
; %bb.294:
	v_ashrrev_i32_e32 v97, 31, v96
	v_lshlrev_b64 v[104:105], 2, v[96:97]
	v_add_co_u32_e32 v104, vcc, v4, v104
	v_addc_co_u32_e32 v105, vcc, v5, v105, vcc
	flat_load_dword v97, v[104:105]
	flat_load_dword v99, v[4:5] offset:68
	s_waitcnt vmcnt(0) lgkmcnt(0)
	flat_store_dword v[4:5], v97 offset:68
	flat_store_dword v[104:105], v99
.LBB88_295:
	s_or_b64 exec, exec, s[14:15]
	v_mov_b32_e32 v97, v96
	v_mov_b32_e32 v99, v96
.LBB88_296:
	s_or_b64 exec, exec, s[2:3]
.LBB88_297:
	s_andn2_saveexec_b64 s[0:1], s[0:1]
	s_cbranch_execz .LBB88_299
; %bb.298:
	v_mov_b32_e32 v104, v54
	v_mov_b32_e32 v105, v55
	v_mov_b32_e32 v106, v52
	v_mov_b32_e32 v107, v53
	ds_write2_b64 v98, v[104:105], v[106:107] offset0:18 offset1:19
	v_mov_b32_e32 v104, v50
	v_mov_b32_e32 v105, v51
	v_mov_b32_e32 v106, v48
	v_mov_b32_e32 v107, v49
	ds_write2_b64 v98, v[104:105], v[106:107] offset0:20 offset1:21
	;; [unrolled: 5-line block ×12, first 2 shown]
	v_mov_b32_e32 v104, v8
	v_mov_b32_e32 v105, v9
	;; [unrolled: 1-line block ×5, first 2 shown]
	ds_write2_b64 v98, v[104:105], v[106:107] offset0:42 offset1:43
	ds_write_b64 v98, v[92:93] offset:352
.LBB88_299:
	s_or_b64 exec, exec, s[0:1]
	v_cmp_lt_i32_e32 vcc, 17, v99
	s_waitcnt lgkmcnt(0)
	s_barrier
	s_and_saveexec_b64 s[0:1], vcc
	s_cbranch_execz .LBB88_301
; %bb.300:
	ds_read2_b64 v[104:107], v98 offset0:18 offset1:19
	ds_read2_b64 v[108:111], v98 offset0:20 offset1:21
	v_mul_f64 v[56:57], v[94:95], v[56:57]
	ds_read2_b64 v[112:115], v98 offset0:22 offset1:23
	ds_read_b64 v[94:95], v98 offset:352
	s_waitcnt lgkmcnt(0)
	v_fma_f64 v[54:55], -v[56:57], v[104:105], v[54:55]
	v_fma_f64 v[52:53], -v[56:57], v[106:107], v[52:53]
	ds_read2_b64 v[104:107], v98 offset0:24 offset1:25
	v_fma_f64 v[50:51], -v[56:57], v[108:109], v[50:51]
	v_fma_f64 v[48:49], -v[56:57], v[110:111], v[48:49]
	;; [unrolled: 1-line block ×3, first 2 shown]
	ds_read2_b64 v[108:111], v98 offset0:26 offset1:27
	v_fma_f64 v[44:45], -v[56:57], v[114:115], v[44:45]
	ds_read2_b64 v[112:115], v98 offset0:28 offset1:29
	s_waitcnt lgkmcnt(0)
	v_fma_f64 v[42:43], -v[56:57], v[104:105], v[42:43]
	v_fma_f64 v[40:41], -v[56:57], v[106:107], v[40:41]
	ds_read2_b64 v[104:107], v98 offset0:30 offset1:31
	v_fma_f64 v[38:39], -v[56:57], v[108:109], v[38:39]
	v_fma_f64 v[34:35], -v[56:57], v[110:111], v[34:35]
	ds_read2_b64 v[108:111], v98 offset0:32 offset1:33
	v_fma_f64 v[36:37], -v[56:57], v[112:113], v[36:37]
	v_fma_f64 v[32:33], -v[56:57], v[114:115], v[32:33]
	s_waitcnt lgkmcnt(0)
	v_fma_f64 v[30:31], -v[56:57], v[104:105], v[30:31]
	ds_read2_b64 v[112:115], v98 offset0:34 offset1:35
	v_fma_f64 v[28:29], -v[56:57], v[106:107], v[28:29]
	ds_read2_b64 v[104:107], v98 offset0:36 offset1:37
	v_fma_f64 v[26:27], -v[56:57], v[108:109], v[26:27]
	v_fma_f64 v[24:25], -v[56:57], v[110:111], v[24:25]
	s_waitcnt lgkmcnt(0)
	v_fma_f64 v[22:23], -v[56:57], v[112:113], v[22:23]
	ds_read2_b64 v[108:111], v98 offset0:38 offset1:39
	v_fma_f64 v[20:21], -v[56:57], v[114:115], v[20:21]
	v_fma_f64 v[18:19], -v[56:57], v[104:105], v[18:19]
	;; [unrolled: 1-line block ×3, first 2 shown]
	ds_read2_b64 v[104:107], v98 offset0:40 offset1:41
	ds_read2_b64 v[112:115], v98 offset0:42 offset1:43
	s_waitcnt lgkmcnt(0)
	v_fma_f64 v[14:15], -v[56:57], v[108:109], v[14:15]
	v_fma_f64 v[12:13], -v[56:57], v[110:111], v[12:13]
	;; [unrolled: 1-line block ×7, first 2 shown]
.LBB88_301:
	s_or_b64 exec, exec, s[0:1]
	v_lshl_add_u32 v94, v99, 3, v98
	s_barrier
	ds_write_b64 v94, v[54:55]
	s_waitcnt lgkmcnt(0)
	s_barrier
	ds_read_b64 v[94:95], v98 offset:144
	s_cmp_lt_i32 s18, 20
	v_mov_b32_e32 v96, 18
	s_cbranch_scc1 .LBB88_304
; %bb.302:
	v_add_u32_e32 v103, 0x98, v98
	s_mov_b32 s0, 19
	v_mov_b32_e32 v96, 18
.LBB88_303:                             ; =>This Inner Loop Header: Depth=1
	ds_read_b64 v[104:105], v103
	v_mov_b32_e32 v106, s0
	s_add_i32 s0, s0, 1
	v_add_u32_e32 v103, 8, v103
	s_cmp_lg_u32 s18, s0
	s_waitcnt lgkmcnt(0)
	v_cmp_lt_f64_e64 vcc, |v[94:95]|, |v[104:105]|
	v_cndmask_b32_e32 v95, v95, v105, vcc
	v_cndmask_b32_e32 v94, v94, v104, vcc
	;; [unrolled: 1-line block ×3, first 2 shown]
	s_cbranch_scc1 .LBB88_303
.LBB88_304:
	s_waitcnt lgkmcnt(0)
	v_cmp_eq_f64_e32 vcc, 0, v[94:95]
	s_and_saveexec_b64 s[0:1], vcc
	s_xor_b64 s[0:1], exec, s[0:1]
; %bb.305:
	v_cmp_ne_u32_e32 vcc, 0, v102
	v_cndmask_b32_e32 v102, 19, v102, vcc
; %bb.306:
	s_andn2_saveexec_b64 s[0:1], s[0:1]
; %bb.307:
	v_div_scale_f64 v[104:105], s[2:3], v[94:95], v[94:95], 1.0
	v_rcp_f64_e32 v[106:107], v[104:105]
	v_div_scale_f64 v[108:109], vcc, 1.0, v[94:95], 1.0
	v_fma_f64 v[110:111], -v[104:105], v[106:107], 1.0
	v_fmac_f64_e32 v[106:107], v[106:107], v[110:111]
	v_fma_f64 v[110:111], -v[104:105], v[106:107], 1.0
	v_fmac_f64_e32 v[106:107], v[106:107], v[110:111]
	v_mul_f64 v[110:111], v[108:109], v[106:107]
	v_fma_f64 v[104:105], -v[104:105], v[110:111], v[108:109]
	v_div_fmas_f64 v[104:105], v[104:105], v[106:107], v[110:111]
	v_div_fixup_f64 v[94:95], v[104:105], v[94:95], 1.0
; %bb.308:
	s_or_b64 exec, exec, s[0:1]
	v_cmp_ne_u32_e32 vcc, v99, v96
	s_and_saveexec_b64 s[0:1], vcc
	s_xor_b64 s[0:1], exec, s[0:1]
	s_cbranch_execz .LBB88_314
; %bb.309:
	v_cmp_eq_u32_e32 vcc, 18, v99
	s_and_saveexec_b64 s[2:3], vcc
	s_cbranch_execz .LBB88_313
; %bb.310:
	v_cmp_ne_u32_e32 vcc, 18, v96
	s_xor_b64 s[14:15], s[6:7], -1
	s_and_b64 s[16:17], s[14:15], vcc
	s_and_saveexec_b64 s[14:15], s[16:17]
	s_cbranch_execz .LBB88_312
; %bb.311:
	v_ashrrev_i32_e32 v97, 31, v96
	v_lshlrev_b64 v[104:105], 2, v[96:97]
	v_add_co_u32_e32 v104, vcc, v4, v104
	v_addc_co_u32_e32 v105, vcc, v5, v105, vcc
	flat_load_dword v97, v[104:105]
	flat_load_dword v99, v[4:5] offset:72
	s_waitcnt vmcnt(0) lgkmcnt(0)
	flat_store_dword v[4:5], v97 offset:72
	flat_store_dword v[104:105], v99
.LBB88_312:
	s_or_b64 exec, exec, s[14:15]
	v_mov_b32_e32 v97, v96
	v_mov_b32_e32 v99, v96
.LBB88_313:
	s_or_b64 exec, exec, s[2:3]
.LBB88_314:
	s_andn2_saveexec_b64 s[0:1], s[0:1]
	s_cbranch_execz .LBB88_316
; %bb.315:
	v_mov_b32_e32 v99, 18
	ds_write2_b64 v98, v[52:53], v[50:51] offset0:19 offset1:20
	ds_write2_b64 v98, v[48:49], v[46:47] offset0:21 offset1:22
	;; [unrolled: 1-line block ×13, first 2 shown]
.LBB88_316:
	s_or_b64 exec, exec, s[0:1]
	v_cmp_lt_i32_e32 vcc, 18, v99
	s_waitcnt lgkmcnt(0)
	s_barrier
	s_and_saveexec_b64 s[0:1], vcc
	s_cbranch_execz .LBB88_318
; %bb.317:
	ds_read2_b64 v[104:107], v98 offset0:19 offset1:20
	ds_read2_b64 v[108:111], v98 offset0:21 offset1:22
	v_mul_f64 v[54:55], v[94:95], v[54:55]
	ds_read2_b64 v[112:115], v98 offset0:23 offset1:24
	s_waitcnt lgkmcnt(0)
	v_fma_f64 v[52:53], -v[54:55], v[104:105], v[52:53]
	v_fma_f64 v[50:51], -v[54:55], v[106:107], v[50:51]
	ds_read2_b64 v[104:107], v98 offset0:25 offset1:26
	v_fma_f64 v[48:49], -v[54:55], v[108:109], v[48:49]
	v_fma_f64 v[46:47], -v[54:55], v[110:111], v[46:47]
	;; [unrolled: 1-line block ×3, first 2 shown]
	ds_read2_b64 v[108:111], v98 offset0:27 offset1:28
	v_fma_f64 v[42:43], -v[54:55], v[114:115], v[42:43]
	ds_read2_b64 v[112:115], v98 offset0:29 offset1:30
	s_waitcnt lgkmcnt(0)
	v_fma_f64 v[40:41], -v[54:55], v[104:105], v[40:41]
	v_fma_f64 v[38:39], -v[54:55], v[106:107], v[38:39]
	ds_read2_b64 v[104:107], v98 offset0:31 offset1:32
	v_fma_f64 v[34:35], -v[54:55], v[108:109], v[34:35]
	v_fma_f64 v[36:37], -v[54:55], v[110:111], v[36:37]
	ds_read2_b64 v[108:111], v98 offset0:33 offset1:34
	v_fma_f64 v[32:33], -v[54:55], v[112:113], v[32:33]
	v_fma_f64 v[30:31], -v[54:55], v[114:115], v[30:31]
	s_waitcnt lgkmcnt(0)
	v_fma_f64 v[28:29], -v[54:55], v[104:105], v[28:29]
	ds_read2_b64 v[112:115], v98 offset0:35 offset1:36
	v_fma_f64 v[26:27], -v[54:55], v[106:107], v[26:27]
	ds_read2_b64 v[104:107], v98 offset0:37 offset1:38
	v_fma_f64 v[24:25], -v[54:55], v[108:109], v[24:25]
	v_fma_f64 v[22:23], -v[54:55], v[110:111], v[22:23]
	s_waitcnt lgkmcnt(0)
	v_fma_f64 v[20:21], -v[54:55], v[112:113], v[20:21]
	v_fma_f64 v[18:19], -v[54:55], v[114:115], v[18:19]
	ds_read2_b64 v[108:111], v98 offset0:39 offset1:40
	ds_read2_b64 v[112:115], v98 offset0:41 offset1:42
	v_fma_f64 v[16:17], -v[54:55], v[104:105], v[16:17]
	v_fma_f64 v[14:15], -v[54:55], v[106:107], v[14:15]
	ds_read2_b64 v[104:107], v98 offset0:43 offset1:44
	s_waitcnt lgkmcnt(0)
	v_fma_f64 v[12:13], -v[54:55], v[108:109], v[12:13]
	v_fma_f64 v[10:11], -v[54:55], v[110:111], v[10:11]
	;; [unrolled: 1-line block ×6, first 2 shown]
.LBB88_318:
	s_or_b64 exec, exec, s[0:1]
	v_lshl_add_u32 v94, v99, 3, v98
	s_barrier
	ds_write_b64 v94, v[52:53]
	s_waitcnt lgkmcnt(0)
	s_barrier
	ds_read_b64 v[94:95], v98 offset:152
	s_cmp_lt_i32 s18, 21
	v_mov_b32_e32 v96, 19
	s_cbranch_scc1 .LBB88_321
; %bb.319:
	v_add_u32_e32 v103, 0xa0, v98
	s_mov_b32 s0, 20
	v_mov_b32_e32 v96, 19
.LBB88_320:                             ; =>This Inner Loop Header: Depth=1
	ds_read_b64 v[104:105], v103
	v_mov_b32_e32 v106, s0
	s_add_i32 s0, s0, 1
	v_add_u32_e32 v103, 8, v103
	s_cmp_lg_u32 s18, s0
	s_waitcnt lgkmcnt(0)
	v_cmp_lt_f64_e64 vcc, |v[94:95]|, |v[104:105]|
	v_cndmask_b32_e32 v95, v95, v105, vcc
	v_cndmask_b32_e32 v94, v94, v104, vcc
	v_cndmask_b32_e32 v96, v96, v106, vcc
	s_cbranch_scc1 .LBB88_320
.LBB88_321:
	s_waitcnt lgkmcnt(0)
	v_cmp_eq_f64_e32 vcc, 0, v[94:95]
	s_and_saveexec_b64 s[0:1], vcc
	s_xor_b64 s[0:1], exec, s[0:1]
; %bb.322:
	v_cmp_ne_u32_e32 vcc, 0, v102
	v_cndmask_b32_e32 v102, 20, v102, vcc
; %bb.323:
	s_andn2_saveexec_b64 s[0:1], s[0:1]
; %bb.324:
	v_div_scale_f64 v[104:105], s[2:3], v[94:95], v[94:95], 1.0
	v_rcp_f64_e32 v[106:107], v[104:105]
	v_div_scale_f64 v[108:109], vcc, 1.0, v[94:95], 1.0
	v_fma_f64 v[110:111], -v[104:105], v[106:107], 1.0
	v_fmac_f64_e32 v[106:107], v[106:107], v[110:111]
	v_fma_f64 v[110:111], -v[104:105], v[106:107], 1.0
	v_fmac_f64_e32 v[106:107], v[106:107], v[110:111]
	v_mul_f64 v[110:111], v[108:109], v[106:107]
	v_fma_f64 v[104:105], -v[104:105], v[110:111], v[108:109]
	v_div_fmas_f64 v[104:105], v[104:105], v[106:107], v[110:111]
	v_div_fixup_f64 v[94:95], v[104:105], v[94:95], 1.0
; %bb.325:
	s_or_b64 exec, exec, s[0:1]
	v_cmp_ne_u32_e32 vcc, v99, v96
	s_and_saveexec_b64 s[0:1], vcc
	s_xor_b64 s[0:1], exec, s[0:1]
	s_cbranch_execz .LBB88_331
; %bb.326:
	v_cmp_eq_u32_e32 vcc, 19, v99
	s_and_saveexec_b64 s[2:3], vcc
	s_cbranch_execz .LBB88_330
; %bb.327:
	v_cmp_ne_u32_e32 vcc, 19, v96
	s_xor_b64 s[14:15], s[6:7], -1
	s_and_b64 s[16:17], s[14:15], vcc
	s_and_saveexec_b64 s[14:15], s[16:17]
	s_cbranch_execz .LBB88_329
; %bb.328:
	v_ashrrev_i32_e32 v97, 31, v96
	v_lshlrev_b64 v[104:105], 2, v[96:97]
	v_add_co_u32_e32 v104, vcc, v4, v104
	v_addc_co_u32_e32 v105, vcc, v5, v105, vcc
	flat_load_dword v97, v[104:105]
	flat_load_dword v99, v[4:5] offset:76
	s_waitcnt vmcnt(0) lgkmcnt(0)
	flat_store_dword v[4:5], v97 offset:76
	flat_store_dword v[104:105], v99
.LBB88_329:
	s_or_b64 exec, exec, s[14:15]
	v_mov_b32_e32 v97, v96
	v_mov_b32_e32 v99, v96
.LBB88_330:
	s_or_b64 exec, exec, s[2:3]
.LBB88_331:
	s_andn2_saveexec_b64 s[0:1], s[0:1]
	s_cbranch_execz .LBB88_333
; %bb.332:
	v_mov_b32_e32 v104, v50
	v_mov_b32_e32 v105, v51
	v_mov_b32_e32 v106, v48
	v_mov_b32_e32 v107, v49
	ds_write2_b64 v98, v[104:105], v[106:107] offset0:20 offset1:21
	v_mov_b32_e32 v104, v46
	v_mov_b32_e32 v105, v47
	v_mov_b32_e32 v106, v44
	v_mov_b32_e32 v107, v45
	ds_write2_b64 v98, v[104:105], v[106:107] offset0:22 offset1:23
	;; [unrolled: 5-line block ×11, first 2 shown]
	v_mov_b32_e32 v104, v8
	v_mov_b32_e32 v105, v9
	;; [unrolled: 1-line block ×5, first 2 shown]
	ds_write2_b64 v98, v[104:105], v[106:107] offset0:42 offset1:43
	ds_write_b64 v98, v[92:93] offset:352
.LBB88_333:
	s_or_b64 exec, exec, s[0:1]
	v_cmp_lt_i32_e32 vcc, 19, v99
	s_waitcnt lgkmcnt(0)
	s_barrier
	s_and_saveexec_b64 s[0:1], vcc
	s_cbranch_execz .LBB88_335
; %bb.334:
	ds_read2_b64 v[104:107], v98 offset0:20 offset1:21
	ds_read2_b64 v[108:111], v98 offset0:22 offset1:23
	;; [unrolled: 1-line block ×3, first 2 shown]
	v_mul_f64 v[52:53], v[94:95], v[52:53]
	ds_read_b64 v[94:95], v98 offset:352
	s_waitcnt lgkmcnt(0)
	v_fma_f64 v[50:51], -v[52:53], v[104:105], v[50:51]
	v_fma_f64 v[48:49], -v[52:53], v[106:107], v[48:49]
	ds_read2_b64 v[104:107], v98 offset0:26 offset1:27
	v_fma_f64 v[46:47], -v[52:53], v[108:109], v[46:47]
	v_fma_f64 v[44:45], -v[52:53], v[110:111], v[44:45]
	;; [unrolled: 1-line block ×3, first 2 shown]
	ds_read2_b64 v[108:111], v98 offset0:28 offset1:29
	v_fma_f64 v[40:41], -v[52:53], v[114:115], v[40:41]
	ds_read2_b64 v[112:115], v98 offset0:30 offset1:31
	s_waitcnt lgkmcnt(0)
	v_fma_f64 v[38:39], -v[52:53], v[104:105], v[38:39]
	v_fma_f64 v[34:35], -v[52:53], v[106:107], v[34:35]
	;; [unrolled: 1-line block ×3, first 2 shown]
	ds_read2_b64 v[104:107], v98 offset0:32 offset1:33
	v_fma_f64 v[32:33], -v[52:53], v[110:111], v[32:33]
	ds_read2_b64 v[108:111], v98 offset0:34 offset1:35
	v_fma_f64 v[30:31], -v[52:53], v[112:113], v[30:31]
	v_fma_f64 v[28:29], -v[52:53], v[114:115], v[28:29]
	ds_read2_b64 v[112:115], v98 offset0:36 offset1:37
	s_waitcnt lgkmcnt(0)
	v_fma_f64 v[26:27], -v[52:53], v[104:105], v[26:27]
	v_fma_f64 v[24:25], -v[52:53], v[106:107], v[24:25]
	ds_read2_b64 v[104:107], v98 offset0:38 offset1:39
	v_fma_f64 v[22:23], -v[52:53], v[108:109], v[22:23]
	v_fma_f64 v[20:21], -v[52:53], v[110:111], v[20:21]
	;; [unrolled: 1-line block ×4, first 2 shown]
	ds_read2_b64 v[108:111], v98 offset0:40 offset1:41
	ds_read2_b64 v[112:115], v98 offset0:42 offset1:43
	s_waitcnt lgkmcnt(0)
	v_fma_f64 v[14:15], -v[52:53], v[104:105], v[14:15]
	v_fma_f64 v[12:13], -v[52:53], v[106:107], v[12:13]
	;; [unrolled: 1-line block ×7, first 2 shown]
.LBB88_335:
	s_or_b64 exec, exec, s[0:1]
	v_lshl_add_u32 v94, v99, 3, v98
	s_barrier
	ds_write_b64 v94, v[50:51]
	s_waitcnt lgkmcnt(0)
	s_barrier
	ds_read_b64 v[94:95], v98 offset:160
	s_cmp_lt_i32 s18, 22
	v_mov_b32_e32 v96, 20
	s_cbranch_scc1 .LBB88_338
; %bb.336:
	v_add_u32_e32 v103, 0xa8, v98
	s_mov_b32 s0, 21
	v_mov_b32_e32 v96, 20
.LBB88_337:                             ; =>This Inner Loop Header: Depth=1
	ds_read_b64 v[104:105], v103
	v_mov_b32_e32 v106, s0
	s_add_i32 s0, s0, 1
	v_add_u32_e32 v103, 8, v103
	s_cmp_lg_u32 s18, s0
	s_waitcnt lgkmcnt(0)
	v_cmp_lt_f64_e64 vcc, |v[94:95]|, |v[104:105]|
	v_cndmask_b32_e32 v95, v95, v105, vcc
	v_cndmask_b32_e32 v94, v94, v104, vcc
	v_cndmask_b32_e32 v96, v96, v106, vcc
	s_cbranch_scc1 .LBB88_337
.LBB88_338:
	s_waitcnt lgkmcnt(0)
	v_cmp_eq_f64_e32 vcc, 0, v[94:95]
	s_and_saveexec_b64 s[0:1], vcc
	s_xor_b64 s[0:1], exec, s[0:1]
; %bb.339:
	v_cmp_ne_u32_e32 vcc, 0, v102
	v_cndmask_b32_e32 v102, 21, v102, vcc
; %bb.340:
	s_andn2_saveexec_b64 s[0:1], s[0:1]
; %bb.341:
	v_div_scale_f64 v[104:105], s[2:3], v[94:95], v[94:95], 1.0
	v_rcp_f64_e32 v[106:107], v[104:105]
	v_div_scale_f64 v[108:109], vcc, 1.0, v[94:95], 1.0
	v_fma_f64 v[110:111], -v[104:105], v[106:107], 1.0
	v_fmac_f64_e32 v[106:107], v[106:107], v[110:111]
	v_fma_f64 v[110:111], -v[104:105], v[106:107], 1.0
	v_fmac_f64_e32 v[106:107], v[106:107], v[110:111]
	v_mul_f64 v[110:111], v[108:109], v[106:107]
	v_fma_f64 v[104:105], -v[104:105], v[110:111], v[108:109]
	v_div_fmas_f64 v[104:105], v[104:105], v[106:107], v[110:111]
	v_div_fixup_f64 v[94:95], v[104:105], v[94:95], 1.0
; %bb.342:
	s_or_b64 exec, exec, s[0:1]
	v_cmp_ne_u32_e32 vcc, v99, v96
	s_and_saveexec_b64 s[0:1], vcc
	s_xor_b64 s[0:1], exec, s[0:1]
	s_cbranch_execz .LBB88_348
; %bb.343:
	v_cmp_eq_u32_e32 vcc, 20, v99
	s_and_saveexec_b64 s[2:3], vcc
	s_cbranch_execz .LBB88_347
; %bb.344:
	v_cmp_ne_u32_e32 vcc, 20, v96
	s_xor_b64 s[14:15], s[6:7], -1
	s_and_b64 s[16:17], s[14:15], vcc
	s_and_saveexec_b64 s[14:15], s[16:17]
	s_cbranch_execz .LBB88_346
; %bb.345:
	v_ashrrev_i32_e32 v97, 31, v96
	v_lshlrev_b64 v[104:105], 2, v[96:97]
	v_add_co_u32_e32 v104, vcc, v4, v104
	v_addc_co_u32_e32 v105, vcc, v5, v105, vcc
	flat_load_dword v97, v[104:105]
	flat_load_dword v99, v[4:5] offset:80
	s_waitcnt vmcnt(0) lgkmcnt(0)
	flat_store_dword v[4:5], v97 offset:80
	flat_store_dword v[104:105], v99
.LBB88_346:
	s_or_b64 exec, exec, s[14:15]
	v_mov_b32_e32 v97, v96
	v_mov_b32_e32 v99, v96
.LBB88_347:
	s_or_b64 exec, exec, s[2:3]
.LBB88_348:
	s_andn2_saveexec_b64 s[0:1], s[0:1]
	s_cbranch_execz .LBB88_350
; %bb.349:
	v_mov_b32_e32 v99, 20
	ds_write2_b64 v98, v[48:49], v[46:47] offset0:21 offset1:22
	ds_write2_b64 v98, v[44:45], v[42:43] offset0:23 offset1:24
	;; [unrolled: 1-line block ×12, first 2 shown]
.LBB88_350:
	s_or_b64 exec, exec, s[0:1]
	v_cmp_lt_i32_e32 vcc, 20, v99
	s_waitcnt lgkmcnt(0)
	s_barrier
	s_and_saveexec_b64 s[0:1], vcc
	s_cbranch_execz .LBB88_352
; %bb.351:
	ds_read2_b64 v[104:107], v98 offset0:21 offset1:22
	ds_read2_b64 v[108:111], v98 offset0:23 offset1:24
	;; [unrolled: 1-line block ×3, first 2 shown]
	v_mul_f64 v[50:51], v[94:95], v[50:51]
	s_waitcnt lgkmcnt(0)
	v_fma_f64 v[48:49], -v[50:51], v[104:105], v[48:49]
	v_fma_f64 v[46:47], -v[50:51], v[106:107], v[46:47]
	ds_read2_b64 v[104:107], v98 offset0:27 offset1:28
	v_fma_f64 v[44:45], -v[50:51], v[108:109], v[44:45]
	v_fma_f64 v[42:43], -v[50:51], v[110:111], v[42:43]
	v_fma_f64 v[40:41], -v[50:51], v[112:113], v[40:41]
	ds_read2_b64 v[108:111], v98 offset0:29 offset1:30
	v_fma_f64 v[38:39], -v[50:51], v[114:115], v[38:39]
	ds_read2_b64 v[112:115], v98 offset0:31 offset1:32
	s_waitcnt lgkmcnt(0)
	v_fma_f64 v[34:35], -v[50:51], v[104:105], v[34:35]
	v_fma_f64 v[36:37], -v[50:51], v[106:107], v[36:37]
	;; [unrolled: 1-line block ×3, first 2 shown]
	ds_read2_b64 v[104:107], v98 offset0:33 offset1:34
	v_fma_f64 v[30:31], -v[50:51], v[110:111], v[30:31]
	ds_read2_b64 v[108:111], v98 offset0:35 offset1:36
	v_fma_f64 v[28:29], -v[50:51], v[112:113], v[28:29]
	v_fma_f64 v[26:27], -v[50:51], v[114:115], v[26:27]
	ds_read2_b64 v[112:115], v98 offset0:37 offset1:38
	s_waitcnt lgkmcnt(0)
	v_fma_f64 v[24:25], -v[50:51], v[104:105], v[24:25]
	v_fma_f64 v[22:23], -v[50:51], v[106:107], v[22:23]
	ds_read2_b64 v[104:107], v98 offset0:39 offset1:40
	v_fma_f64 v[20:21], -v[50:51], v[108:109], v[20:21]
	v_fma_f64 v[18:19], -v[50:51], v[110:111], v[18:19]
	;; [unrolled: 1-line block ×3, first 2 shown]
	ds_read2_b64 v[108:111], v98 offset0:41 offset1:42
	v_fma_f64 v[14:15], -v[50:51], v[114:115], v[14:15]
	ds_read2_b64 v[112:115], v98 offset0:43 offset1:44
	s_waitcnt lgkmcnt(0)
	v_fma_f64 v[12:13], -v[50:51], v[104:105], v[12:13]
	v_fma_f64 v[10:11], -v[50:51], v[106:107], v[10:11]
	;; [unrolled: 1-line block ×6, first 2 shown]
.LBB88_352:
	s_or_b64 exec, exec, s[0:1]
	v_lshl_add_u32 v94, v99, 3, v98
	s_barrier
	ds_write_b64 v94, v[48:49]
	s_waitcnt lgkmcnt(0)
	s_barrier
	ds_read_b64 v[94:95], v98 offset:168
	s_cmp_lt_i32 s18, 23
	v_mov_b32_e32 v96, 21
	s_cbranch_scc1 .LBB88_355
; %bb.353:
	v_add_u32_e32 v103, 0xb0, v98
	s_mov_b32 s0, 22
	v_mov_b32_e32 v96, 21
.LBB88_354:                             ; =>This Inner Loop Header: Depth=1
	ds_read_b64 v[104:105], v103
	v_mov_b32_e32 v106, s0
	s_add_i32 s0, s0, 1
	v_add_u32_e32 v103, 8, v103
	s_cmp_lg_u32 s18, s0
	s_waitcnt lgkmcnt(0)
	v_cmp_lt_f64_e64 vcc, |v[94:95]|, |v[104:105]|
	v_cndmask_b32_e32 v95, v95, v105, vcc
	v_cndmask_b32_e32 v94, v94, v104, vcc
	;; [unrolled: 1-line block ×3, first 2 shown]
	s_cbranch_scc1 .LBB88_354
.LBB88_355:
	s_waitcnt lgkmcnt(0)
	v_cmp_eq_f64_e32 vcc, 0, v[94:95]
	s_and_saveexec_b64 s[0:1], vcc
	s_xor_b64 s[0:1], exec, s[0:1]
; %bb.356:
	v_cmp_ne_u32_e32 vcc, 0, v102
	v_cndmask_b32_e32 v102, 22, v102, vcc
; %bb.357:
	s_andn2_saveexec_b64 s[0:1], s[0:1]
; %bb.358:
	v_div_scale_f64 v[104:105], s[2:3], v[94:95], v[94:95], 1.0
	v_rcp_f64_e32 v[106:107], v[104:105]
	v_div_scale_f64 v[108:109], vcc, 1.0, v[94:95], 1.0
	v_fma_f64 v[110:111], -v[104:105], v[106:107], 1.0
	v_fmac_f64_e32 v[106:107], v[106:107], v[110:111]
	v_fma_f64 v[110:111], -v[104:105], v[106:107], 1.0
	v_fmac_f64_e32 v[106:107], v[106:107], v[110:111]
	v_mul_f64 v[110:111], v[108:109], v[106:107]
	v_fma_f64 v[104:105], -v[104:105], v[110:111], v[108:109]
	v_div_fmas_f64 v[104:105], v[104:105], v[106:107], v[110:111]
	v_div_fixup_f64 v[94:95], v[104:105], v[94:95], 1.0
; %bb.359:
	s_or_b64 exec, exec, s[0:1]
	v_cmp_ne_u32_e32 vcc, v99, v96
	s_and_saveexec_b64 s[0:1], vcc
	s_xor_b64 s[0:1], exec, s[0:1]
	s_cbranch_execz .LBB88_365
; %bb.360:
	v_cmp_eq_u32_e32 vcc, 21, v99
	s_and_saveexec_b64 s[2:3], vcc
	s_cbranch_execz .LBB88_364
; %bb.361:
	v_cmp_ne_u32_e32 vcc, 21, v96
	s_xor_b64 s[14:15], s[6:7], -1
	s_and_b64 s[16:17], s[14:15], vcc
	s_and_saveexec_b64 s[14:15], s[16:17]
	s_cbranch_execz .LBB88_363
; %bb.362:
	v_ashrrev_i32_e32 v97, 31, v96
	v_lshlrev_b64 v[104:105], 2, v[96:97]
	v_add_co_u32_e32 v104, vcc, v4, v104
	v_addc_co_u32_e32 v105, vcc, v5, v105, vcc
	flat_load_dword v97, v[104:105]
	flat_load_dword v99, v[4:5] offset:84
	s_waitcnt vmcnt(0) lgkmcnt(0)
	flat_store_dword v[4:5], v97 offset:84
	flat_store_dword v[104:105], v99
.LBB88_363:
	s_or_b64 exec, exec, s[14:15]
	v_mov_b32_e32 v97, v96
	v_mov_b32_e32 v99, v96
.LBB88_364:
	s_or_b64 exec, exec, s[2:3]
.LBB88_365:
	s_andn2_saveexec_b64 s[0:1], s[0:1]
	s_cbranch_execz .LBB88_367
; %bb.366:
	v_mov_b32_e32 v104, v46
	v_mov_b32_e32 v105, v47
	v_mov_b32_e32 v106, v44
	v_mov_b32_e32 v107, v45
	ds_write2_b64 v98, v[104:105], v[106:107] offset0:22 offset1:23
	v_mov_b32_e32 v104, v42
	v_mov_b32_e32 v105, v43
	v_mov_b32_e32 v106, v40
	v_mov_b32_e32 v107, v41
	ds_write2_b64 v98, v[104:105], v[106:107] offset0:24 offset1:25
	;; [unrolled: 5-line block ×10, first 2 shown]
	v_mov_b32_e32 v104, v8
	v_mov_b32_e32 v105, v9
	;; [unrolled: 1-line block ×5, first 2 shown]
	ds_write2_b64 v98, v[104:105], v[106:107] offset0:42 offset1:43
	ds_write_b64 v98, v[92:93] offset:352
.LBB88_367:
	s_or_b64 exec, exec, s[0:1]
	v_cmp_lt_i32_e32 vcc, 21, v99
	s_waitcnt lgkmcnt(0)
	s_barrier
	s_and_saveexec_b64 s[0:1], vcc
	s_cbranch_execz .LBB88_369
; %bb.368:
	ds_read2_b64 v[104:107], v98 offset0:22 offset1:23
	ds_read2_b64 v[108:111], v98 offset0:24 offset1:25
	v_mul_f64 v[48:49], v[94:95], v[48:49]
	ds_read2_b64 v[112:115], v98 offset0:26 offset1:27
	ds_read_b64 v[94:95], v98 offset:352
	s_waitcnt lgkmcnt(0)
	v_fma_f64 v[46:47], -v[48:49], v[104:105], v[46:47]
	v_fma_f64 v[44:45], -v[48:49], v[106:107], v[44:45]
	ds_read2_b64 v[104:107], v98 offset0:28 offset1:29
	v_fma_f64 v[42:43], -v[48:49], v[108:109], v[42:43]
	v_fma_f64 v[40:41], -v[48:49], v[110:111], v[40:41]
	ds_read2_b64 v[108:111], v98 offset0:30 offset1:31
	;; [unrolled: 3-line block ×3, first 2 shown]
	s_waitcnt lgkmcnt(0)
	v_fma_f64 v[36:37], -v[48:49], v[104:105], v[36:37]
	v_fma_f64 v[32:33], -v[48:49], v[106:107], v[32:33]
	;; [unrolled: 1-line block ×3, first 2 shown]
	ds_read2_b64 v[104:107], v98 offset0:34 offset1:35
	v_fma_f64 v[28:29], -v[48:49], v[110:111], v[28:29]
	ds_read2_b64 v[108:111], v98 offset0:36 offset1:37
	v_fma_f64 v[26:27], -v[48:49], v[112:113], v[26:27]
	v_fma_f64 v[24:25], -v[48:49], v[114:115], v[24:25]
	s_waitcnt lgkmcnt(0)
	v_fma_f64 v[22:23], -v[48:49], v[104:105], v[22:23]
	ds_read2_b64 v[112:115], v98 offset0:38 offset1:39
	v_fma_f64 v[20:21], -v[48:49], v[106:107], v[20:21]
	ds_read2_b64 v[104:107], v98 offset0:40 offset1:41
	v_fma_f64 v[18:19], -v[48:49], v[108:109], v[18:19]
	v_fma_f64 v[16:17], -v[48:49], v[110:111], v[16:17]
	ds_read2_b64 v[108:111], v98 offset0:42 offset1:43
	s_waitcnt lgkmcnt(0)
	v_fma_f64 v[14:15], -v[48:49], v[112:113], v[14:15]
	v_fma_f64 v[12:13], -v[48:49], v[114:115], v[12:13]
	;; [unrolled: 1-line block ×7, first 2 shown]
.LBB88_369:
	s_or_b64 exec, exec, s[0:1]
	v_lshl_add_u32 v94, v99, 3, v98
	s_barrier
	ds_write_b64 v94, v[46:47]
	s_waitcnt lgkmcnt(0)
	s_barrier
	ds_read_b64 v[94:95], v98 offset:176
	s_cmp_lt_i32 s18, 24
	v_mov_b32_e32 v96, 22
	s_cbranch_scc1 .LBB88_372
; %bb.370:
	v_add_u32_e32 v103, 0xb8, v98
	s_mov_b32 s0, 23
	v_mov_b32_e32 v96, 22
.LBB88_371:                             ; =>This Inner Loop Header: Depth=1
	ds_read_b64 v[104:105], v103
	v_mov_b32_e32 v106, s0
	s_add_i32 s0, s0, 1
	v_add_u32_e32 v103, 8, v103
	s_cmp_lg_u32 s18, s0
	s_waitcnt lgkmcnt(0)
	v_cmp_lt_f64_e64 vcc, |v[94:95]|, |v[104:105]|
	v_cndmask_b32_e32 v95, v95, v105, vcc
	v_cndmask_b32_e32 v94, v94, v104, vcc
	v_cndmask_b32_e32 v96, v96, v106, vcc
	s_cbranch_scc1 .LBB88_371
.LBB88_372:
	s_waitcnt lgkmcnt(0)
	v_cmp_eq_f64_e32 vcc, 0, v[94:95]
	s_and_saveexec_b64 s[0:1], vcc
	s_xor_b64 s[0:1], exec, s[0:1]
; %bb.373:
	v_cmp_ne_u32_e32 vcc, 0, v102
	v_cndmask_b32_e32 v102, 23, v102, vcc
; %bb.374:
	s_andn2_saveexec_b64 s[0:1], s[0:1]
; %bb.375:
	v_div_scale_f64 v[104:105], s[2:3], v[94:95], v[94:95], 1.0
	v_rcp_f64_e32 v[106:107], v[104:105]
	v_div_scale_f64 v[108:109], vcc, 1.0, v[94:95], 1.0
	v_fma_f64 v[110:111], -v[104:105], v[106:107], 1.0
	v_fmac_f64_e32 v[106:107], v[106:107], v[110:111]
	v_fma_f64 v[110:111], -v[104:105], v[106:107], 1.0
	v_fmac_f64_e32 v[106:107], v[106:107], v[110:111]
	v_mul_f64 v[110:111], v[108:109], v[106:107]
	v_fma_f64 v[104:105], -v[104:105], v[110:111], v[108:109]
	v_div_fmas_f64 v[104:105], v[104:105], v[106:107], v[110:111]
	v_div_fixup_f64 v[94:95], v[104:105], v[94:95], 1.0
; %bb.376:
	s_or_b64 exec, exec, s[0:1]
	v_cmp_ne_u32_e32 vcc, v99, v96
	s_and_saveexec_b64 s[0:1], vcc
	s_xor_b64 s[0:1], exec, s[0:1]
	s_cbranch_execz .LBB88_382
; %bb.377:
	v_cmp_eq_u32_e32 vcc, 22, v99
	s_and_saveexec_b64 s[2:3], vcc
	s_cbranch_execz .LBB88_381
; %bb.378:
	v_cmp_ne_u32_e32 vcc, 22, v96
	s_xor_b64 s[14:15], s[6:7], -1
	s_and_b64 s[16:17], s[14:15], vcc
	s_and_saveexec_b64 s[14:15], s[16:17]
	s_cbranch_execz .LBB88_380
; %bb.379:
	v_ashrrev_i32_e32 v97, 31, v96
	v_lshlrev_b64 v[104:105], 2, v[96:97]
	v_add_co_u32_e32 v104, vcc, v4, v104
	v_addc_co_u32_e32 v105, vcc, v5, v105, vcc
	flat_load_dword v97, v[104:105]
	flat_load_dword v99, v[4:5] offset:88
	s_waitcnt vmcnt(0) lgkmcnt(0)
	flat_store_dword v[4:5], v97 offset:88
	flat_store_dword v[104:105], v99
.LBB88_380:
	s_or_b64 exec, exec, s[14:15]
	v_mov_b32_e32 v97, v96
	v_mov_b32_e32 v99, v96
.LBB88_381:
	s_or_b64 exec, exec, s[2:3]
.LBB88_382:
	s_andn2_saveexec_b64 s[0:1], s[0:1]
	s_cbranch_execz .LBB88_384
; %bb.383:
	v_mov_b32_e32 v99, 22
	ds_write2_b64 v98, v[44:45], v[42:43] offset0:23 offset1:24
	ds_write2_b64 v98, v[40:41], v[38:39] offset0:25 offset1:26
	;; [unrolled: 1-line block ×11, first 2 shown]
.LBB88_384:
	s_or_b64 exec, exec, s[0:1]
	v_cmp_lt_i32_e32 vcc, 22, v99
	s_waitcnt lgkmcnt(0)
	s_barrier
	s_and_saveexec_b64 s[0:1], vcc
	s_cbranch_execz .LBB88_386
; %bb.385:
	ds_read2_b64 v[104:107], v98 offset0:23 offset1:24
	ds_read2_b64 v[108:111], v98 offset0:25 offset1:26
	v_mul_f64 v[46:47], v[94:95], v[46:47]
	ds_read2_b64 v[112:115], v98 offset0:27 offset1:28
	s_waitcnt lgkmcnt(0)
	v_fma_f64 v[44:45], -v[46:47], v[104:105], v[44:45]
	v_fma_f64 v[42:43], -v[46:47], v[106:107], v[42:43]
	ds_read2_b64 v[104:107], v98 offset0:29 offset1:30
	v_fma_f64 v[40:41], -v[46:47], v[108:109], v[40:41]
	v_fma_f64 v[38:39], -v[46:47], v[110:111], v[38:39]
	ds_read2_b64 v[108:111], v98 offset0:31 offset1:32
	;; [unrolled: 3-line block ×3, first 2 shown]
	s_waitcnt lgkmcnt(0)
	v_fma_f64 v[32:33], -v[46:47], v[104:105], v[32:33]
	v_fma_f64 v[30:31], -v[46:47], v[106:107], v[30:31]
	;; [unrolled: 1-line block ×3, first 2 shown]
	ds_read2_b64 v[104:107], v98 offset0:35 offset1:36
	v_fma_f64 v[26:27], -v[46:47], v[110:111], v[26:27]
	ds_read2_b64 v[108:111], v98 offset0:37 offset1:38
	v_fma_f64 v[24:25], -v[46:47], v[112:113], v[24:25]
	v_fma_f64 v[22:23], -v[46:47], v[114:115], v[22:23]
	s_waitcnt lgkmcnt(0)
	v_fma_f64 v[20:21], -v[46:47], v[104:105], v[20:21]
	v_fma_f64 v[18:19], -v[46:47], v[106:107], v[18:19]
	ds_read2_b64 v[104:107], v98 offset0:39 offset1:40
	ds_read2_b64 v[112:115], v98 offset0:41 offset1:42
	v_fma_f64 v[16:17], -v[46:47], v[108:109], v[16:17]
	v_fma_f64 v[14:15], -v[46:47], v[110:111], v[14:15]
	ds_read2_b64 v[108:111], v98 offset0:43 offset1:44
	s_waitcnt lgkmcnt(0)
	v_fma_f64 v[12:13], -v[46:47], v[104:105], v[12:13]
	v_fma_f64 v[10:11], -v[46:47], v[106:107], v[10:11]
	;; [unrolled: 1-line block ×6, first 2 shown]
.LBB88_386:
	s_or_b64 exec, exec, s[0:1]
	v_lshl_add_u32 v94, v99, 3, v98
	s_barrier
	ds_write_b64 v94, v[44:45]
	s_waitcnt lgkmcnt(0)
	s_barrier
	ds_read_b64 v[94:95], v98 offset:184
	s_cmp_lt_i32 s18, 25
	v_mov_b32_e32 v96, 23
	s_cbranch_scc1 .LBB88_389
; %bb.387:
	v_add_u32_e32 v103, 0xc0, v98
	s_mov_b32 s0, 24
	v_mov_b32_e32 v96, 23
.LBB88_388:                             ; =>This Inner Loop Header: Depth=1
	ds_read_b64 v[104:105], v103
	v_mov_b32_e32 v106, s0
	s_add_i32 s0, s0, 1
	v_add_u32_e32 v103, 8, v103
	s_cmp_lg_u32 s18, s0
	s_waitcnt lgkmcnt(0)
	v_cmp_lt_f64_e64 vcc, |v[94:95]|, |v[104:105]|
	v_cndmask_b32_e32 v95, v95, v105, vcc
	v_cndmask_b32_e32 v94, v94, v104, vcc
	;; [unrolled: 1-line block ×3, first 2 shown]
	s_cbranch_scc1 .LBB88_388
.LBB88_389:
	s_waitcnt lgkmcnt(0)
	v_cmp_eq_f64_e32 vcc, 0, v[94:95]
	s_and_saveexec_b64 s[0:1], vcc
	s_xor_b64 s[0:1], exec, s[0:1]
; %bb.390:
	v_cmp_ne_u32_e32 vcc, 0, v102
	v_cndmask_b32_e32 v102, 24, v102, vcc
; %bb.391:
	s_andn2_saveexec_b64 s[0:1], s[0:1]
; %bb.392:
	v_div_scale_f64 v[104:105], s[2:3], v[94:95], v[94:95], 1.0
	v_rcp_f64_e32 v[106:107], v[104:105]
	v_div_scale_f64 v[108:109], vcc, 1.0, v[94:95], 1.0
	v_fma_f64 v[110:111], -v[104:105], v[106:107], 1.0
	v_fmac_f64_e32 v[106:107], v[106:107], v[110:111]
	v_fma_f64 v[110:111], -v[104:105], v[106:107], 1.0
	v_fmac_f64_e32 v[106:107], v[106:107], v[110:111]
	v_mul_f64 v[110:111], v[108:109], v[106:107]
	v_fma_f64 v[104:105], -v[104:105], v[110:111], v[108:109]
	v_div_fmas_f64 v[104:105], v[104:105], v[106:107], v[110:111]
	v_div_fixup_f64 v[94:95], v[104:105], v[94:95], 1.0
; %bb.393:
	s_or_b64 exec, exec, s[0:1]
	v_cmp_ne_u32_e32 vcc, v99, v96
	s_and_saveexec_b64 s[0:1], vcc
	s_xor_b64 s[0:1], exec, s[0:1]
	s_cbranch_execz .LBB88_399
; %bb.394:
	v_cmp_eq_u32_e32 vcc, 23, v99
	s_and_saveexec_b64 s[2:3], vcc
	s_cbranch_execz .LBB88_398
; %bb.395:
	v_cmp_ne_u32_e32 vcc, 23, v96
	s_xor_b64 s[14:15], s[6:7], -1
	s_and_b64 s[16:17], s[14:15], vcc
	s_and_saveexec_b64 s[14:15], s[16:17]
	s_cbranch_execz .LBB88_397
; %bb.396:
	v_ashrrev_i32_e32 v97, 31, v96
	v_lshlrev_b64 v[104:105], 2, v[96:97]
	v_add_co_u32_e32 v104, vcc, v4, v104
	v_addc_co_u32_e32 v105, vcc, v5, v105, vcc
	flat_load_dword v97, v[104:105]
	flat_load_dword v99, v[4:5] offset:92
	s_waitcnt vmcnt(0) lgkmcnt(0)
	flat_store_dword v[4:5], v97 offset:92
	flat_store_dword v[104:105], v99
.LBB88_397:
	s_or_b64 exec, exec, s[14:15]
	v_mov_b32_e32 v97, v96
	v_mov_b32_e32 v99, v96
.LBB88_398:
	s_or_b64 exec, exec, s[2:3]
.LBB88_399:
	s_andn2_saveexec_b64 s[0:1], s[0:1]
	s_cbranch_execz .LBB88_401
; %bb.400:
	v_mov_b32_e32 v104, v42
	v_mov_b32_e32 v105, v43
	v_mov_b32_e32 v106, v40
	v_mov_b32_e32 v107, v41
	ds_write2_b64 v98, v[104:105], v[106:107] offset0:24 offset1:25
	v_mov_b32_e32 v104, v38
	v_mov_b32_e32 v105, v39
	v_mov_b32_e32 v106, v34
	v_mov_b32_e32 v107, v35
	ds_write2_b64 v98, v[104:105], v[106:107] offset0:26 offset1:27
	;; [unrolled: 5-line block ×9, first 2 shown]
	v_mov_b32_e32 v104, v8
	v_mov_b32_e32 v105, v9
	;; [unrolled: 1-line block ×5, first 2 shown]
	ds_write2_b64 v98, v[104:105], v[106:107] offset0:42 offset1:43
	ds_write_b64 v98, v[92:93] offset:352
.LBB88_401:
	s_or_b64 exec, exec, s[0:1]
	v_cmp_lt_i32_e32 vcc, 23, v99
	s_waitcnt lgkmcnt(0)
	s_barrier
	s_and_saveexec_b64 s[0:1], vcc
	s_cbranch_execz .LBB88_403
; %bb.402:
	ds_read2_b64 v[104:107], v98 offset0:24 offset1:25
	ds_read2_b64 v[108:111], v98 offset0:26 offset1:27
	v_mul_f64 v[44:45], v[94:95], v[44:45]
	ds_read2_b64 v[112:115], v98 offset0:28 offset1:29
	ds_read_b64 v[94:95], v98 offset:352
	s_waitcnt lgkmcnt(0)
	v_fma_f64 v[42:43], -v[44:45], v[104:105], v[42:43]
	v_fma_f64 v[40:41], -v[44:45], v[106:107], v[40:41]
	ds_read2_b64 v[104:107], v98 offset0:30 offset1:31
	v_fma_f64 v[38:39], -v[44:45], v[108:109], v[38:39]
	v_fma_f64 v[34:35], -v[44:45], v[110:111], v[34:35]
	;; [unrolled: 1-line block ×3, first 2 shown]
	ds_read2_b64 v[108:111], v98 offset0:32 offset1:33
	v_fma_f64 v[32:33], -v[44:45], v[114:115], v[32:33]
	ds_read2_b64 v[112:115], v98 offset0:34 offset1:35
	s_waitcnt lgkmcnt(0)
	v_fma_f64 v[30:31], -v[44:45], v[104:105], v[30:31]
	v_fma_f64 v[28:29], -v[44:45], v[106:107], v[28:29]
	ds_read2_b64 v[104:107], v98 offset0:36 offset1:37
	v_fma_f64 v[26:27], -v[44:45], v[108:109], v[26:27]
	v_fma_f64 v[24:25], -v[44:45], v[110:111], v[24:25]
	ds_read2_b64 v[108:111], v98 offset0:38 offset1:39
	v_fma_f64 v[22:23], -v[44:45], v[112:113], v[22:23]
	v_fma_f64 v[20:21], -v[44:45], v[114:115], v[20:21]
	s_waitcnt lgkmcnt(0)
	v_fma_f64 v[18:19], -v[44:45], v[104:105], v[18:19]
	v_fma_f64 v[16:17], -v[44:45], v[106:107], v[16:17]
	ds_read2_b64 v[104:107], v98 offset0:40 offset1:41
	ds_read2_b64 v[112:115], v98 offset0:42 offset1:43
	v_fma_f64 v[14:15], -v[44:45], v[108:109], v[14:15]
	v_fma_f64 v[12:13], -v[44:45], v[110:111], v[12:13]
	;; [unrolled: 1-line block ×3, first 2 shown]
	s_waitcnt lgkmcnt(0)
	v_fma_f64 v[10:11], -v[44:45], v[104:105], v[10:11]
	v_fma_f64 v[6:7], -v[44:45], v[106:107], v[6:7]
	;; [unrolled: 1-line block ×4, first 2 shown]
.LBB88_403:
	s_or_b64 exec, exec, s[0:1]
	v_lshl_add_u32 v94, v99, 3, v98
	s_barrier
	ds_write_b64 v94, v[42:43]
	s_waitcnt lgkmcnt(0)
	s_barrier
	ds_read_b64 v[94:95], v98 offset:192
	s_cmp_lt_i32 s18, 26
	v_mov_b32_e32 v96, 24
	s_cbranch_scc1 .LBB88_406
; %bb.404:
	v_add_u32_e32 v103, 0xc8, v98
	s_mov_b32 s0, 25
	v_mov_b32_e32 v96, 24
.LBB88_405:                             ; =>This Inner Loop Header: Depth=1
	ds_read_b64 v[104:105], v103
	v_mov_b32_e32 v106, s0
	s_add_i32 s0, s0, 1
	v_add_u32_e32 v103, 8, v103
	s_cmp_lg_u32 s18, s0
	s_waitcnt lgkmcnt(0)
	v_cmp_lt_f64_e64 vcc, |v[94:95]|, |v[104:105]|
	v_cndmask_b32_e32 v95, v95, v105, vcc
	v_cndmask_b32_e32 v94, v94, v104, vcc
	;; [unrolled: 1-line block ×3, first 2 shown]
	s_cbranch_scc1 .LBB88_405
.LBB88_406:
	s_waitcnt lgkmcnt(0)
	v_cmp_eq_f64_e32 vcc, 0, v[94:95]
	s_and_saveexec_b64 s[0:1], vcc
	s_xor_b64 s[0:1], exec, s[0:1]
; %bb.407:
	v_cmp_ne_u32_e32 vcc, 0, v102
	v_cndmask_b32_e32 v102, 25, v102, vcc
; %bb.408:
	s_andn2_saveexec_b64 s[0:1], s[0:1]
; %bb.409:
	v_div_scale_f64 v[104:105], s[2:3], v[94:95], v[94:95], 1.0
	v_rcp_f64_e32 v[106:107], v[104:105]
	v_div_scale_f64 v[108:109], vcc, 1.0, v[94:95], 1.0
	v_fma_f64 v[110:111], -v[104:105], v[106:107], 1.0
	v_fmac_f64_e32 v[106:107], v[106:107], v[110:111]
	v_fma_f64 v[110:111], -v[104:105], v[106:107], 1.0
	v_fmac_f64_e32 v[106:107], v[106:107], v[110:111]
	v_mul_f64 v[110:111], v[108:109], v[106:107]
	v_fma_f64 v[104:105], -v[104:105], v[110:111], v[108:109]
	v_div_fmas_f64 v[104:105], v[104:105], v[106:107], v[110:111]
	v_div_fixup_f64 v[94:95], v[104:105], v[94:95], 1.0
; %bb.410:
	s_or_b64 exec, exec, s[0:1]
	v_cmp_ne_u32_e32 vcc, v99, v96
	s_and_saveexec_b64 s[0:1], vcc
	s_xor_b64 s[0:1], exec, s[0:1]
	s_cbranch_execz .LBB88_416
; %bb.411:
	v_cmp_eq_u32_e32 vcc, 24, v99
	s_and_saveexec_b64 s[2:3], vcc
	s_cbranch_execz .LBB88_415
; %bb.412:
	v_cmp_ne_u32_e32 vcc, 24, v96
	s_xor_b64 s[14:15], s[6:7], -1
	s_and_b64 s[16:17], s[14:15], vcc
	s_and_saveexec_b64 s[14:15], s[16:17]
	s_cbranch_execz .LBB88_414
; %bb.413:
	v_ashrrev_i32_e32 v97, 31, v96
	v_lshlrev_b64 v[104:105], 2, v[96:97]
	v_add_co_u32_e32 v104, vcc, v4, v104
	v_addc_co_u32_e32 v105, vcc, v5, v105, vcc
	flat_load_dword v97, v[104:105]
	flat_load_dword v99, v[4:5] offset:96
	s_waitcnt vmcnt(0) lgkmcnt(0)
	flat_store_dword v[4:5], v97 offset:96
	flat_store_dword v[104:105], v99
.LBB88_414:
	s_or_b64 exec, exec, s[14:15]
	v_mov_b32_e32 v97, v96
	v_mov_b32_e32 v99, v96
.LBB88_415:
	s_or_b64 exec, exec, s[2:3]
.LBB88_416:
	s_andn2_saveexec_b64 s[0:1], s[0:1]
	s_cbranch_execz .LBB88_418
; %bb.417:
	v_mov_b32_e32 v99, 24
	ds_write2_b64 v98, v[40:41], v[38:39] offset0:25 offset1:26
	ds_write2_b64 v98, v[34:35], v[36:37] offset0:27 offset1:28
	;; [unrolled: 1-line block ×10, first 2 shown]
.LBB88_418:
	s_or_b64 exec, exec, s[0:1]
	v_cmp_lt_i32_e32 vcc, 24, v99
	s_waitcnt lgkmcnt(0)
	s_barrier
	s_and_saveexec_b64 s[0:1], vcc
	s_cbranch_execz .LBB88_420
; %bb.419:
	ds_read2_b64 v[104:107], v98 offset0:25 offset1:26
	ds_read2_b64 v[108:111], v98 offset0:27 offset1:28
	v_mul_f64 v[42:43], v[94:95], v[42:43]
	ds_read2_b64 v[112:115], v98 offset0:29 offset1:30
	s_waitcnt lgkmcnt(0)
	v_fma_f64 v[40:41], -v[42:43], v[104:105], v[40:41]
	v_fma_f64 v[38:39], -v[42:43], v[106:107], v[38:39]
	ds_read2_b64 v[104:107], v98 offset0:31 offset1:32
	v_fma_f64 v[34:35], -v[42:43], v[108:109], v[34:35]
	v_fma_f64 v[36:37], -v[42:43], v[110:111], v[36:37]
	;; [unrolled: 1-line block ×3, first 2 shown]
	ds_read2_b64 v[108:111], v98 offset0:33 offset1:34
	v_fma_f64 v[30:31], -v[42:43], v[114:115], v[30:31]
	ds_read2_b64 v[112:115], v98 offset0:35 offset1:36
	s_waitcnt lgkmcnt(0)
	v_fma_f64 v[28:29], -v[42:43], v[104:105], v[28:29]
	v_fma_f64 v[26:27], -v[42:43], v[106:107], v[26:27]
	ds_read2_b64 v[104:107], v98 offset0:37 offset1:38
	v_fma_f64 v[24:25], -v[42:43], v[108:109], v[24:25]
	v_fma_f64 v[22:23], -v[42:43], v[110:111], v[22:23]
	ds_read2_b64 v[108:111], v98 offset0:39 offset1:40
	v_fma_f64 v[20:21], -v[42:43], v[112:113], v[20:21]
	v_fma_f64 v[18:19], -v[42:43], v[114:115], v[18:19]
	s_waitcnt lgkmcnt(0)
	v_fma_f64 v[16:17], -v[42:43], v[104:105], v[16:17]
	ds_read2_b64 v[112:115], v98 offset0:41 offset1:42
	v_fma_f64 v[14:15], -v[42:43], v[106:107], v[14:15]
	ds_read2_b64 v[104:107], v98 offset0:43 offset1:44
	v_fma_f64 v[12:13], -v[42:43], v[108:109], v[12:13]
	v_fma_f64 v[10:11], -v[42:43], v[110:111], v[10:11]
	s_waitcnt lgkmcnt(0)
	v_fma_f64 v[6:7], -v[42:43], v[112:113], v[6:7]
	v_fma_f64 v[8:9], -v[42:43], v[114:115], v[8:9]
	v_fma_f64 v[0:1], -v[42:43], v[104:105], v[0:1]
	v_fma_f64 v[92:93], -v[42:43], v[106:107], v[92:93]
.LBB88_420:
	s_or_b64 exec, exec, s[0:1]
	v_lshl_add_u32 v94, v99, 3, v98
	s_barrier
	ds_write_b64 v94, v[40:41]
	s_waitcnt lgkmcnt(0)
	s_barrier
	ds_read_b64 v[94:95], v98 offset:200
	s_cmp_lt_i32 s18, 27
	v_mov_b32_e32 v96, 25
	s_cbranch_scc1 .LBB88_423
; %bb.421:
	v_add_u32_e32 v103, 0xd0, v98
	s_mov_b32 s0, 26
	v_mov_b32_e32 v96, 25
.LBB88_422:                             ; =>This Inner Loop Header: Depth=1
	ds_read_b64 v[104:105], v103
	v_mov_b32_e32 v106, s0
	s_add_i32 s0, s0, 1
	v_add_u32_e32 v103, 8, v103
	s_cmp_lg_u32 s18, s0
	s_waitcnt lgkmcnt(0)
	v_cmp_lt_f64_e64 vcc, |v[94:95]|, |v[104:105]|
	v_cndmask_b32_e32 v95, v95, v105, vcc
	v_cndmask_b32_e32 v94, v94, v104, vcc
	;; [unrolled: 1-line block ×3, first 2 shown]
	s_cbranch_scc1 .LBB88_422
.LBB88_423:
	s_waitcnt lgkmcnt(0)
	v_cmp_eq_f64_e32 vcc, 0, v[94:95]
	s_and_saveexec_b64 s[0:1], vcc
	s_xor_b64 s[0:1], exec, s[0:1]
; %bb.424:
	v_cmp_ne_u32_e32 vcc, 0, v102
	v_cndmask_b32_e32 v102, 26, v102, vcc
; %bb.425:
	s_andn2_saveexec_b64 s[0:1], s[0:1]
; %bb.426:
	v_div_scale_f64 v[104:105], s[2:3], v[94:95], v[94:95], 1.0
	v_rcp_f64_e32 v[106:107], v[104:105]
	v_div_scale_f64 v[108:109], vcc, 1.0, v[94:95], 1.0
	v_fma_f64 v[110:111], -v[104:105], v[106:107], 1.0
	v_fmac_f64_e32 v[106:107], v[106:107], v[110:111]
	v_fma_f64 v[110:111], -v[104:105], v[106:107], 1.0
	v_fmac_f64_e32 v[106:107], v[106:107], v[110:111]
	v_mul_f64 v[110:111], v[108:109], v[106:107]
	v_fma_f64 v[104:105], -v[104:105], v[110:111], v[108:109]
	v_div_fmas_f64 v[104:105], v[104:105], v[106:107], v[110:111]
	v_div_fixup_f64 v[94:95], v[104:105], v[94:95], 1.0
; %bb.427:
	s_or_b64 exec, exec, s[0:1]
	v_cmp_ne_u32_e32 vcc, v99, v96
	s_and_saveexec_b64 s[0:1], vcc
	s_xor_b64 s[0:1], exec, s[0:1]
	s_cbranch_execz .LBB88_433
; %bb.428:
	v_cmp_eq_u32_e32 vcc, 25, v99
	s_and_saveexec_b64 s[2:3], vcc
	s_cbranch_execz .LBB88_432
; %bb.429:
	v_cmp_ne_u32_e32 vcc, 25, v96
	s_xor_b64 s[14:15], s[6:7], -1
	s_and_b64 s[16:17], s[14:15], vcc
	s_and_saveexec_b64 s[14:15], s[16:17]
	s_cbranch_execz .LBB88_431
; %bb.430:
	v_ashrrev_i32_e32 v97, 31, v96
	v_lshlrev_b64 v[104:105], 2, v[96:97]
	v_add_co_u32_e32 v104, vcc, v4, v104
	v_addc_co_u32_e32 v105, vcc, v5, v105, vcc
	flat_load_dword v97, v[104:105]
	flat_load_dword v99, v[4:5] offset:100
	s_waitcnt vmcnt(0) lgkmcnt(0)
	flat_store_dword v[4:5], v97 offset:100
	flat_store_dword v[104:105], v99
.LBB88_431:
	s_or_b64 exec, exec, s[14:15]
	v_mov_b32_e32 v97, v96
	v_mov_b32_e32 v99, v96
.LBB88_432:
	s_or_b64 exec, exec, s[2:3]
.LBB88_433:
	s_andn2_saveexec_b64 s[0:1], s[0:1]
	s_cbranch_execz .LBB88_435
; %bb.434:
	v_mov_b32_e32 v104, v38
	v_mov_b32_e32 v105, v39
	v_mov_b32_e32 v106, v34
	v_mov_b32_e32 v107, v35
	ds_write2_b64 v98, v[104:105], v[106:107] offset0:26 offset1:27
	v_mov_b32_e32 v104, v36
	v_mov_b32_e32 v105, v37
	v_mov_b32_e32 v106, v32
	v_mov_b32_e32 v107, v33
	ds_write2_b64 v98, v[104:105], v[106:107] offset0:28 offset1:29
	;; [unrolled: 5-line block ×8, first 2 shown]
	v_mov_b32_e32 v104, v8
	v_mov_b32_e32 v105, v9
	v_mov_b32_e32 v106, v0
	v_mov_b32_e32 v107, v1
	v_mov_b32_e32 v99, 25
	ds_write2_b64 v98, v[104:105], v[106:107] offset0:42 offset1:43
	ds_write_b64 v98, v[92:93] offset:352
.LBB88_435:
	s_or_b64 exec, exec, s[0:1]
	v_cmp_lt_i32_e32 vcc, 25, v99
	s_waitcnt lgkmcnt(0)
	s_barrier
	s_and_saveexec_b64 s[0:1], vcc
	s_cbranch_execz .LBB88_437
; %bb.436:
	ds_read2_b64 v[104:107], v98 offset0:26 offset1:27
	ds_read2_b64 v[108:111], v98 offset0:28 offset1:29
	;; [unrolled: 1-line block ×3, first 2 shown]
	v_mul_f64 v[40:41], v[94:95], v[40:41]
	ds_read_b64 v[94:95], v98 offset:352
	s_waitcnt lgkmcnt(0)
	v_fma_f64 v[38:39], -v[40:41], v[104:105], v[38:39]
	v_fma_f64 v[34:35], -v[40:41], v[106:107], v[34:35]
	ds_read2_b64 v[104:107], v98 offset0:32 offset1:33
	v_fma_f64 v[36:37], -v[40:41], v[108:109], v[36:37]
	v_fma_f64 v[32:33], -v[40:41], v[110:111], v[32:33]
	;; [unrolled: 1-line block ×3, first 2 shown]
	ds_read2_b64 v[108:111], v98 offset0:34 offset1:35
	v_fma_f64 v[28:29], -v[40:41], v[114:115], v[28:29]
	ds_read2_b64 v[112:115], v98 offset0:36 offset1:37
	s_waitcnt lgkmcnt(0)
	v_fma_f64 v[26:27], -v[40:41], v[104:105], v[26:27]
	v_fma_f64 v[24:25], -v[40:41], v[106:107], v[24:25]
	;; [unrolled: 1-line block ×3, first 2 shown]
	ds_read2_b64 v[104:107], v98 offset0:38 offset1:39
	v_fma_f64 v[20:21], -v[40:41], v[110:111], v[20:21]
	ds_read2_b64 v[108:111], v98 offset0:40 offset1:41
	v_fma_f64 v[18:19], -v[40:41], v[112:113], v[18:19]
	v_fma_f64 v[16:17], -v[40:41], v[114:115], v[16:17]
	ds_read2_b64 v[112:115], v98 offset0:42 offset1:43
	s_waitcnt lgkmcnt(0)
	v_fma_f64 v[14:15], -v[40:41], v[104:105], v[14:15]
	v_fma_f64 v[12:13], -v[40:41], v[106:107], v[12:13]
	;; [unrolled: 1-line block ×7, first 2 shown]
.LBB88_437:
	s_or_b64 exec, exec, s[0:1]
	v_lshl_add_u32 v94, v99, 3, v98
	s_barrier
	ds_write_b64 v94, v[38:39]
	s_waitcnt lgkmcnt(0)
	s_barrier
	ds_read_b64 v[94:95], v98 offset:208
	s_cmp_lt_i32 s18, 28
	v_mov_b32_e32 v96, 26
	s_cbranch_scc1 .LBB88_440
; %bb.438:
	v_add_u32_e32 v103, 0xd8, v98
	s_mov_b32 s0, 27
	v_mov_b32_e32 v96, 26
.LBB88_439:                             ; =>This Inner Loop Header: Depth=1
	ds_read_b64 v[104:105], v103
	v_mov_b32_e32 v106, s0
	s_add_i32 s0, s0, 1
	v_add_u32_e32 v103, 8, v103
	s_cmp_lg_u32 s18, s0
	s_waitcnt lgkmcnt(0)
	v_cmp_lt_f64_e64 vcc, |v[94:95]|, |v[104:105]|
	v_cndmask_b32_e32 v95, v95, v105, vcc
	v_cndmask_b32_e32 v94, v94, v104, vcc
	;; [unrolled: 1-line block ×3, first 2 shown]
	s_cbranch_scc1 .LBB88_439
.LBB88_440:
	s_waitcnt lgkmcnt(0)
	v_cmp_eq_f64_e32 vcc, 0, v[94:95]
	s_and_saveexec_b64 s[0:1], vcc
	s_xor_b64 s[0:1], exec, s[0:1]
; %bb.441:
	v_cmp_ne_u32_e32 vcc, 0, v102
	v_cndmask_b32_e32 v102, 27, v102, vcc
; %bb.442:
	s_andn2_saveexec_b64 s[0:1], s[0:1]
; %bb.443:
	v_div_scale_f64 v[104:105], s[2:3], v[94:95], v[94:95], 1.0
	v_rcp_f64_e32 v[106:107], v[104:105]
	v_div_scale_f64 v[108:109], vcc, 1.0, v[94:95], 1.0
	v_fma_f64 v[110:111], -v[104:105], v[106:107], 1.0
	v_fmac_f64_e32 v[106:107], v[106:107], v[110:111]
	v_fma_f64 v[110:111], -v[104:105], v[106:107], 1.0
	v_fmac_f64_e32 v[106:107], v[106:107], v[110:111]
	v_mul_f64 v[110:111], v[108:109], v[106:107]
	v_fma_f64 v[104:105], -v[104:105], v[110:111], v[108:109]
	v_div_fmas_f64 v[104:105], v[104:105], v[106:107], v[110:111]
	v_div_fixup_f64 v[94:95], v[104:105], v[94:95], 1.0
; %bb.444:
	s_or_b64 exec, exec, s[0:1]
	v_cmp_ne_u32_e32 vcc, v99, v96
	s_and_saveexec_b64 s[0:1], vcc
	s_xor_b64 s[0:1], exec, s[0:1]
	s_cbranch_execz .LBB88_450
; %bb.445:
	v_cmp_eq_u32_e32 vcc, 26, v99
	s_and_saveexec_b64 s[2:3], vcc
	s_cbranch_execz .LBB88_449
; %bb.446:
	v_cmp_ne_u32_e32 vcc, 26, v96
	s_xor_b64 s[14:15], s[6:7], -1
	s_and_b64 s[16:17], s[14:15], vcc
	s_and_saveexec_b64 s[14:15], s[16:17]
	s_cbranch_execz .LBB88_448
; %bb.447:
	v_ashrrev_i32_e32 v97, 31, v96
	v_lshlrev_b64 v[104:105], 2, v[96:97]
	v_add_co_u32_e32 v104, vcc, v4, v104
	v_addc_co_u32_e32 v105, vcc, v5, v105, vcc
	flat_load_dword v97, v[104:105]
	flat_load_dword v99, v[4:5] offset:104
	s_waitcnt vmcnt(0) lgkmcnt(0)
	flat_store_dword v[4:5], v97 offset:104
	flat_store_dword v[104:105], v99
.LBB88_448:
	s_or_b64 exec, exec, s[14:15]
	v_mov_b32_e32 v97, v96
	v_mov_b32_e32 v99, v96
.LBB88_449:
	s_or_b64 exec, exec, s[2:3]
.LBB88_450:
	s_andn2_saveexec_b64 s[0:1], s[0:1]
	s_cbranch_execz .LBB88_452
; %bb.451:
	v_mov_b32_e32 v99, 26
	ds_write2_b64 v98, v[34:35], v[36:37] offset0:27 offset1:28
	ds_write2_b64 v98, v[32:33], v[30:31] offset0:29 offset1:30
	;; [unrolled: 1-line block ×9, first 2 shown]
.LBB88_452:
	s_or_b64 exec, exec, s[0:1]
	v_cmp_lt_i32_e32 vcc, 26, v99
	s_waitcnt lgkmcnt(0)
	s_barrier
	s_and_saveexec_b64 s[0:1], vcc
	s_cbranch_execz .LBB88_454
; %bb.453:
	ds_read2_b64 v[104:107], v98 offset0:27 offset1:28
	ds_read2_b64 v[108:111], v98 offset0:29 offset1:30
	;; [unrolled: 1-line block ×3, first 2 shown]
	v_mul_f64 v[38:39], v[94:95], v[38:39]
	s_waitcnt lgkmcnt(0)
	v_fma_f64 v[34:35], -v[38:39], v[104:105], v[34:35]
	v_fma_f64 v[36:37], -v[38:39], v[106:107], v[36:37]
	ds_read2_b64 v[104:107], v98 offset0:33 offset1:34
	v_fma_f64 v[32:33], -v[38:39], v[108:109], v[32:33]
	v_fma_f64 v[30:31], -v[38:39], v[110:111], v[30:31]
	;; [unrolled: 1-line block ×3, first 2 shown]
	ds_read2_b64 v[108:111], v98 offset0:35 offset1:36
	v_fma_f64 v[26:27], -v[38:39], v[114:115], v[26:27]
	ds_read2_b64 v[112:115], v98 offset0:37 offset1:38
	s_waitcnt lgkmcnt(0)
	v_fma_f64 v[24:25], -v[38:39], v[104:105], v[24:25]
	v_fma_f64 v[22:23], -v[38:39], v[106:107], v[22:23]
	;; [unrolled: 1-line block ×4, first 2 shown]
	ds_read2_b64 v[104:107], v98 offset0:39 offset1:40
	ds_read2_b64 v[108:111], v98 offset0:41 offset1:42
	v_fma_f64 v[16:17], -v[38:39], v[112:113], v[16:17]
	v_fma_f64 v[14:15], -v[38:39], v[114:115], v[14:15]
	ds_read2_b64 v[112:115], v98 offset0:43 offset1:44
	s_waitcnt lgkmcnt(0)
	v_fma_f64 v[12:13], -v[38:39], v[104:105], v[12:13]
	v_fma_f64 v[10:11], -v[38:39], v[106:107], v[10:11]
	;; [unrolled: 1-line block ×6, first 2 shown]
.LBB88_454:
	s_or_b64 exec, exec, s[0:1]
	v_lshl_add_u32 v94, v99, 3, v98
	s_barrier
	ds_write_b64 v94, v[34:35]
	s_waitcnt lgkmcnt(0)
	s_barrier
	ds_read_b64 v[94:95], v98 offset:216
	s_cmp_lt_i32 s18, 29
	v_mov_b32_e32 v96, 27
	s_cbranch_scc1 .LBB88_457
; %bb.455:
	v_add_u32_e32 v103, 0xe0, v98
	s_mov_b32 s0, 28
	v_mov_b32_e32 v96, 27
.LBB88_456:                             ; =>This Inner Loop Header: Depth=1
	ds_read_b64 v[104:105], v103
	v_mov_b32_e32 v106, s0
	s_add_i32 s0, s0, 1
	v_add_u32_e32 v103, 8, v103
	s_cmp_lg_u32 s18, s0
	s_waitcnt lgkmcnt(0)
	v_cmp_lt_f64_e64 vcc, |v[94:95]|, |v[104:105]|
	v_cndmask_b32_e32 v95, v95, v105, vcc
	v_cndmask_b32_e32 v94, v94, v104, vcc
	v_cndmask_b32_e32 v96, v96, v106, vcc
	s_cbranch_scc1 .LBB88_456
.LBB88_457:
	s_waitcnt lgkmcnt(0)
	v_cmp_eq_f64_e32 vcc, 0, v[94:95]
	s_and_saveexec_b64 s[0:1], vcc
	s_xor_b64 s[0:1], exec, s[0:1]
; %bb.458:
	v_cmp_ne_u32_e32 vcc, 0, v102
	v_cndmask_b32_e32 v102, 28, v102, vcc
; %bb.459:
	s_andn2_saveexec_b64 s[0:1], s[0:1]
; %bb.460:
	v_div_scale_f64 v[104:105], s[2:3], v[94:95], v[94:95], 1.0
	v_rcp_f64_e32 v[106:107], v[104:105]
	v_div_scale_f64 v[108:109], vcc, 1.0, v[94:95], 1.0
	v_fma_f64 v[110:111], -v[104:105], v[106:107], 1.0
	v_fmac_f64_e32 v[106:107], v[106:107], v[110:111]
	v_fma_f64 v[110:111], -v[104:105], v[106:107], 1.0
	v_fmac_f64_e32 v[106:107], v[106:107], v[110:111]
	v_mul_f64 v[110:111], v[108:109], v[106:107]
	v_fma_f64 v[104:105], -v[104:105], v[110:111], v[108:109]
	v_div_fmas_f64 v[104:105], v[104:105], v[106:107], v[110:111]
	v_div_fixup_f64 v[94:95], v[104:105], v[94:95], 1.0
; %bb.461:
	s_or_b64 exec, exec, s[0:1]
	v_cmp_ne_u32_e32 vcc, v99, v96
	s_and_saveexec_b64 s[0:1], vcc
	s_xor_b64 s[0:1], exec, s[0:1]
	s_cbranch_execz .LBB88_467
; %bb.462:
	v_cmp_eq_u32_e32 vcc, 27, v99
	s_and_saveexec_b64 s[2:3], vcc
	s_cbranch_execz .LBB88_466
; %bb.463:
	v_cmp_ne_u32_e32 vcc, 27, v96
	s_xor_b64 s[14:15], s[6:7], -1
	s_and_b64 s[16:17], s[14:15], vcc
	s_and_saveexec_b64 s[14:15], s[16:17]
	s_cbranch_execz .LBB88_465
; %bb.464:
	v_ashrrev_i32_e32 v97, 31, v96
	v_lshlrev_b64 v[104:105], 2, v[96:97]
	v_add_co_u32_e32 v104, vcc, v4, v104
	v_addc_co_u32_e32 v105, vcc, v5, v105, vcc
	flat_load_dword v97, v[104:105]
	flat_load_dword v99, v[4:5] offset:108
	s_waitcnt vmcnt(0) lgkmcnt(0)
	flat_store_dword v[4:5], v97 offset:108
	flat_store_dword v[104:105], v99
.LBB88_465:
	s_or_b64 exec, exec, s[14:15]
	v_mov_b32_e32 v97, v96
	v_mov_b32_e32 v99, v96
.LBB88_466:
	s_or_b64 exec, exec, s[2:3]
.LBB88_467:
	s_andn2_saveexec_b64 s[0:1], s[0:1]
	s_cbranch_execz .LBB88_469
; %bb.468:
	v_mov_b32_e32 v104, v36
	v_mov_b32_e32 v105, v37
	v_mov_b32_e32 v106, v32
	v_mov_b32_e32 v107, v33
	ds_write2_b64 v98, v[104:105], v[106:107] offset0:28 offset1:29
	v_mov_b32_e32 v104, v30
	v_mov_b32_e32 v105, v31
	v_mov_b32_e32 v106, v28
	v_mov_b32_e32 v107, v29
	ds_write2_b64 v98, v[104:105], v[106:107] offset0:30 offset1:31
	;; [unrolled: 5-line block ×7, first 2 shown]
	v_mov_b32_e32 v104, v8
	v_mov_b32_e32 v105, v9
	;; [unrolled: 1-line block ×5, first 2 shown]
	ds_write2_b64 v98, v[104:105], v[106:107] offset0:42 offset1:43
	ds_write_b64 v98, v[92:93] offset:352
.LBB88_469:
	s_or_b64 exec, exec, s[0:1]
	v_cmp_lt_i32_e32 vcc, 27, v99
	s_waitcnt lgkmcnt(0)
	s_barrier
	s_and_saveexec_b64 s[0:1], vcc
	s_cbranch_execz .LBB88_471
; %bb.470:
	ds_read2_b64 v[104:107], v98 offset0:28 offset1:29
	ds_read2_b64 v[108:111], v98 offset0:30 offset1:31
	v_mul_f64 v[34:35], v[94:95], v[34:35]
	ds_read2_b64 v[112:115], v98 offset0:32 offset1:33
	ds_read_b64 v[94:95], v98 offset:352
	s_waitcnt lgkmcnt(0)
	v_fma_f64 v[36:37], -v[34:35], v[104:105], v[36:37]
	v_fma_f64 v[32:33], -v[34:35], v[106:107], v[32:33]
	ds_read2_b64 v[104:107], v98 offset0:34 offset1:35
	v_fma_f64 v[30:31], -v[34:35], v[108:109], v[30:31]
	v_fma_f64 v[28:29], -v[34:35], v[110:111], v[28:29]
	ds_read2_b64 v[108:111], v98 offset0:36 offset1:37
	;; [unrolled: 3-line block ×3, first 2 shown]
	s_waitcnt lgkmcnt(0)
	v_fma_f64 v[22:23], -v[34:35], v[104:105], v[22:23]
	v_fma_f64 v[20:21], -v[34:35], v[106:107], v[20:21]
	;; [unrolled: 1-line block ×4, first 2 shown]
	ds_read2_b64 v[104:107], v98 offset0:40 offset1:41
	ds_read2_b64 v[108:111], v98 offset0:42 offset1:43
	v_fma_f64 v[14:15], -v[34:35], v[112:113], v[14:15]
	v_fma_f64 v[12:13], -v[34:35], v[114:115], v[12:13]
	;; [unrolled: 1-line block ×3, first 2 shown]
	s_waitcnt lgkmcnt(0)
	v_fma_f64 v[10:11], -v[34:35], v[104:105], v[10:11]
	v_fma_f64 v[6:7], -v[34:35], v[106:107], v[6:7]
	;; [unrolled: 1-line block ×4, first 2 shown]
.LBB88_471:
	s_or_b64 exec, exec, s[0:1]
	v_lshl_add_u32 v94, v99, 3, v98
	s_barrier
	ds_write_b64 v94, v[36:37]
	s_waitcnt lgkmcnt(0)
	s_barrier
	ds_read_b64 v[94:95], v98 offset:224
	s_cmp_lt_i32 s18, 30
	v_mov_b32_e32 v96, 28
	s_cbranch_scc1 .LBB88_474
; %bb.472:
	v_add_u32_e32 v103, 0xe8, v98
	s_mov_b32 s0, 29
	v_mov_b32_e32 v96, 28
.LBB88_473:                             ; =>This Inner Loop Header: Depth=1
	ds_read_b64 v[104:105], v103
	v_mov_b32_e32 v106, s0
	s_add_i32 s0, s0, 1
	v_add_u32_e32 v103, 8, v103
	s_cmp_lg_u32 s18, s0
	s_waitcnt lgkmcnt(0)
	v_cmp_lt_f64_e64 vcc, |v[94:95]|, |v[104:105]|
	v_cndmask_b32_e32 v95, v95, v105, vcc
	v_cndmask_b32_e32 v94, v94, v104, vcc
	;; [unrolled: 1-line block ×3, first 2 shown]
	s_cbranch_scc1 .LBB88_473
.LBB88_474:
	s_waitcnt lgkmcnt(0)
	v_cmp_eq_f64_e32 vcc, 0, v[94:95]
	s_and_saveexec_b64 s[0:1], vcc
	s_xor_b64 s[0:1], exec, s[0:1]
; %bb.475:
	v_cmp_ne_u32_e32 vcc, 0, v102
	v_cndmask_b32_e32 v102, 29, v102, vcc
; %bb.476:
	s_andn2_saveexec_b64 s[0:1], s[0:1]
; %bb.477:
	v_div_scale_f64 v[104:105], s[2:3], v[94:95], v[94:95], 1.0
	v_rcp_f64_e32 v[106:107], v[104:105]
	v_div_scale_f64 v[108:109], vcc, 1.0, v[94:95], 1.0
	v_fma_f64 v[110:111], -v[104:105], v[106:107], 1.0
	v_fmac_f64_e32 v[106:107], v[106:107], v[110:111]
	v_fma_f64 v[110:111], -v[104:105], v[106:107], 1.0
	v_fmac_f64_e32 v[106:107], v[106:107], v[110:111]
	v_mul_f64 v[110:111], v[108:109], v[106:107]
	v_fma_f64 v[104:105], -v[104:105], v[110:111], v[108:109]
	v_div_fmas_f64 v[104:105], v[104:105], v[106:107], v[110:111]
	v_div_fixup_f64 v[94:95], v[104:105], v[94:95], 1.0
; %bb.478:
	s_or_b64 exec, exec, s[0:1]
	v_cmp_ne_u32_e32 vcc, v99, v96
	s_and_saveexec_b64 s[0:1], vcc
	s_xor_b64 s[0:1], exec, s[0:1]
	s_cbranch_execz .LBB88_484
; %bb.479:
	v_cmp_eq_u32_e32 vcc, 28, v99
	s_and_saveexec_b64 s[2:3], vcc
	s_cbranch_execz .LBB88_483
; %bb.480:
	v_cmp_ne_u32_e32 vcc, 28, v96
	s_xor_b64 s[14:15], s[6:7], -1
	s_and_b64 s[16:17], s[14:15], vcc
	s_and_saveexec_b64 s[14:15], s[16:17]
	s_cbranch_execz .LBB88_482
; %bb.481:
	v_ashrrev_i32_e32 v97, 31, v96
	v_lshlrev_b64 v[104:105], 2, v[96:97]
	v_add_co_u32_e32 v104, vcc, v4, v104
	v_addc_co_u32_e32 v105, vcc, v5, v105, vcc
	flat_load_dword v97, v[104:105]
	flat_load_dword v99, v[4:5] offset:112
	s_waitcnt vmcnt(0) lgkmcnt(0)
	flat_store_dword v[4:5], v97 offset:112
	flat_store_dword v[104:105], v99
.LBB88_482:
	s_or_b64 exec, exec, s[14:15]
	v_mov_b32_e32 v97, v96
	v_mov_b32_e32 v99, v96
.LBB88_483:
	s_or_b64 exec, exec, s[2:3]
.LBB88_484:
	s_andn2_saveexec_b64 s[0:1], s[0:1]
	s_cbranch_execz .LBB88_486
; %bb.485:
	v_mov_b32_e32 v99, 28
	ds_write2_b64 v98, v[32:33], v[30:31] offset0:29 offset1:30
	ds_write2_b64 v98, v[28:29], v[26:27] offset0:31 offset1:32
	;; [unrolled: 1-line block ×8, first 2 shown]
.LBB88_486:
	s_or_b64 exec, exec, s[0:1]
	v_cmp_lt_i32_e32 vcc, 28, v99
	s_waitcnt lgkmcnt(0)
	s_barrier
	s_and_saveexec_b64 s[0:1], vcc
	s_cbranch_execz .LBB88_488
; %bb.487:
	ds_read2_b64 v[104:107], v98 offset0:29 offset1:30
	ds_read2_b64 v[108:111], v98 offset0:31 offset1:32
	v_mul_f64 v[36:37], v[94:95], v[36:37]
	ds_read2_b64 v[112:115], v98 offset0:33 offset1:34
	s_waitcnt lgkmcnt(0)
	v_fma_f64 v[32:33], -v[36:37], v[104:105], v[32:33]
	v_fma_f64 v[30:31], -v[36:37], v[106:107], v[30:31]
	ds_read2_b64 v[104:107], v98 offset0:35 offset1:36
	v_fma_f64 v[28:29], -v[36:37], v[108:109], v[28:29]
	v_fma_f64 v[26:27], -v[36:37], v[110:111], v[26:27]
	ds_read2_b64 v[108:111], v98 offset0:37 offset1:38
	v_fma_f64 v[24:25], -v[36:37], v[112:113], v[24:25]
	v_fma_f64 v[22:23], -v[36:37], v[114:115], v[22:23]
	s_waitcnt lgkmcnt(0)
	v_fma_f64 v[20:21], -v[36:37], v[104:105], v[20:21]
	v_fma_f64 v[18:19], -v[36:37], v[106:107], v[18:19]
	ds_read2_b64 v[104:107], v98 offset0:39 offset1:40
	v_fma_f64 v[16:17], -v[36:37], v[108:109], v[16:17]
	ds_read2_b64 v[112:115], v98 offset0:41 offset1:42
	;; [unrolled: 2-line block ×3, first 2 shown]
	s_waitcnt lgkmcnt(0)
	v_fma_f64 v[12:13], -v[36:37], v[104:105], v[12:13]
	v_fma_f64 v[10:11], -v[36:37], v[106:107], v[10:11]
	;; [unrolled: 1-line block ×6, first 2 shown]
.LBB88_488:
	s_or_b64 exec, exec, s[0:1]
	v_lshl_add_u32 v94, v99, 3, v98
	s_barrier
	ds_write_b64 v94, v[32:33]
	s_waitcnt lgkmcnt(0)
	s_barrier
	ds_read_b64 v[94:95], v98 offset:232
	s_cmp_lt_i32 s18, 31
	v_mov_b32_e32 v96, 29
	s_cbranch_scc1 .LBB88_491
; %bb.489:
	v_add_u32_e32 v103, 0xf0, v98
	s_mov_b32 s0, 30
	v_mov_b32_e32 v96, 29
.LBB88_490:                             ; =>This Inner Loop Header: Depth=1
	ds_read_b64 v[104:105], v103
	v_mov_b32_e32 v106, s0
	s_add_i32 s0, s0, 1
	v_add_u32_e32 v103, 8, v103
	s_cmp_lg_u32 s18, s0
	s_waitcnt lgkmcnt(0)
	v_cmp_lt_f64_e64 vcc, |v[94:95]|, |v[104:105]|
	v_cndmask_b32_e32 v95, v95, v105, vcc
	v_cndmask_b32_e32 v94, v94, v104, vcc
	;; [unrolled: 1-line block ×3, first 2 shown]
	s_cbranch_scc1 .LBB88_490
.LBB88_491:
	s_waitcnt lgkmcnt(0)
	v_cmp_eq_f64_e32 vcc, 0, v[94:95]
	s_and_saveexec_b64 s[0:1], vcc
	s_xor_b64 s[0:1], exec, s[0:1]
; %bb.492:
	v_cmp_ne_u32_e32 vcc, 0, v102
	v_cndmask_b32_e32 v102, 30, v102, vcc
; %bb.493:
	s_andn2_saveexec_b64 s[0:1], s[0:1]
; %bb.494:
	v_div_scale_f64 v[104:105], s[2:3], v[94:95], v[94:95], 1.0
	v_rcp_f64_e32 v[106:107], v[104:105]
	v_div_scale_f64 v[108:109], vcc, 1.0, v[94:95], 1.0
	v_fma_f64 v[110:111], -v[104:105], v[106:107], 1.0
	v_fmac_f64_e32 v[106:107], v[106:107], v[110:111]
	v_fma_f64 v[110:111], -v[104:105], v[106:107], 1.0
	v_fmac_f64_e32 v[106:107], v[106:107], v[110:111]
	v_mul_f64 v[110:111], v[108:109], v[106:107]
	v_fma_f64 v[104:105], -v[104:105], v[110:111], v[108:109]
	v_div_fmas_f64 v[104:105], v[104:105], v[106:107], v[110:111]
	v_div_fixup_f64 v[94:95], v[104:105], v[94:95], 1.0
; %bb.495:
	s_or_b64 exec, exec, s[0:1]
	v_cmp_ne_u32_e32 vcc, v99, v96
	s_and_saveexec_b64 s[0:1], vcc
	s_xor_b64 s[0:1], exec, s[0:1]
	s_cbranch_execz .LBB88_501
; %bb.496:
	v_cmp_eq_u32_e32 vcc, 29, v99
	s_and_saveexec_b64 s[2:3], vcc
	s_cbranch_execz .LBB88_500
; %bb.497:
	v_cmp_ne_u32_e32 vcc, 29, v96
	s_xor_b64 s[14:15], s[6:7], -1
	s_and_b64 s[16:17], s[14:15], vcc
	s_and_saveexec_b64 s[14:15], s[16:17]
	s_cbranch_execz .LBB88_499
; %bb.498:
	v_ashrrev_i32_e32 v97, 31, v96
	v_lshlrev_b64 v[104:105], 2, v[96:97]
	v_add_co_u32_e32 v104, vcc, v4, v104
	v_addc_co_u32_e32 v105, vcc, v5, v105, vcc
	flat_load_dword v97, v[104:105]
	flat_load_dword v99, v[4:5] offset:116
	s_waitcnt vmcnt(0) lgkmcnt(0)
	flat_store_dword v[4:5], v97 offset:116
	flat_store_dword v[104:105], v99
.LBB88_499:
	s_or_b64 exec, exec, s[14:15]
	v_mov_b32_e32 v97, v96
	v_mov_b32_e32 v99, v96
.LBB88_500:
	s_or_b64 exec, exec, s[2:3]
.LBB88_501:
	s_andn2_saveexec_b64 s[0:1], s[0:1]
	s_cbranch_execz .LBB88_503
; %bb.502:
	v_mov_b32_e32 v104, v30
	v_mov_b32_e32 v105, v31
	v_mov_b32_e32 v106, v28
	v_mov_b32_e32 v107, v29
	ds_write2_b64 v98, v[104:105], v[106:107] offset0:30 offset1:31
	v_mov_b32_e32 v104, v26
	v_mov_b32_e32 v105, v27
	v_mov_b32_e32 v106, v24
	v_mov_b32_e32 v107, v25
	ds_write2_b64 v98, v[104:105], v[106:107] offset0:32 offset1:33
	;; [unrolled: 5-line block ×6, first 2 shown]
	v_mov_b32_e32 v104, v8
	v_mov_b32_e32 v105, v9
	;; [unrolled: 1-line block ×5, first 2 shown]
	ds_write2_b64 v98, v[104:105], v[106:107] offset0:42 offset1:43
	ds_write_b64 v98, v[92:93] offset:352
.LBB88_503:
	s_or_b64 exec, exec, s[0:1]
	v_cmp_lt_i32_e32 vcc, 29, v99
	s_waitcnt lgkmcnt(0)
	s_barrier
	s_and_saveexec_b64 s[0:1], vcc
	s_cbranch_execz .LBB88_505
; %bb.504:
	ds_read2_b64 v[104:107], v98 offset0:30 offset1:31
	ds_read2_b64 v[108:111], v98 offset0:32 offset1:33
	v_mul_f64 v[32:33], v[94:95], v[32:33]
	ds_read2_b64 v[112:115], v98 offset0:34 offset1:35
	ds_read_b64 v[94:95], v98 offset:352
	s_waitcnt lgkmcnt(0)
	v_fma_f64 v[30:31], -v[32:33], v[104:105], v[30:31]
	v_fma_f64 v[28:29], -v[32:33], v[106:107], v[28:29]
	ds_read2_b64 v[104:107], v98 offset0:36 offset1:37
	v_fma_f64 v[26:27], -v[32:33], v[108:109], v[26:27]
	v_fma_f64 v[24:25], -v[32:33], v[110:111], v[24:25]
	v_fma_f64 v[22:23], -v[32:33], v[112:113], v[22:23]
	ds_read2_b64 v[108:111], v98 offset0:38 offset1:39
	v_fma_f64 v[20:21], -v[32:33], v[114:115], v[20:21]
	s_waitcnt lgkmcnt(0)
	v_fma_f64 v[18:19], -v[32:33], v[104:105], v[18:19]
	v_fma_f64 v[16:17], -v[32:33], v[106:107], v[16:17]
	ds_read2_b64 v[104:107], v98 offset0:40 offset1:41
	ds_read2_b64 v[112:115], v98 offset0:42 offset1:43
	v_fma_f64 v[14:15], -v[32:33], v[108:109], v[14:15]
	v_fma_f64 v[12:13], -v[32:33], v[110:111], v[12:13]
	;; [unrolled: 1-line block ×3, first 2 shown]
	s_waitcnt lgkmcnt(0)
	v_fma_f64 v[10:11], -v[32:33], v[104:105], v[10:11]
	v_fma_f64 v[6:7], -v[32:33], v[106:107], v[6:7]
	;; [unrolled: 1-line block ×4, first 2 shown]
.LBB88_505:
	s_or_b64 exec, exec, s[0:1]
	v_lshl_add_u32 v94, v99, 3, v98
	s_barrier
	ds_write_b64 v94, v[30:31]
	s_waitcnt lgkmcnt(0)
	s_barrier
	ds_read_b64 v[94:95], v98 offset:240
	s_cmp_lt_i32 s18, 32
	v_mov_b32_e32 v96, 30
	s_cbranch_scc1 .LBB88_508
; %bb.506:
	v_add_u32_e32 v103, 0xf8, v98
	s_mov_b32 s0, 31
	v_mov_b32_e32 v96, 30
.LBB88_507:                             ; =>This Inner Loop Header: Depth=1
	ds_read_b64 v[104:105], v103
	v_mov_b32_e32 v106, s0
	s_add_i32 s0, s0, 1
	v_add_u32_e32 v103, 8, v103
	s_cmp_lg_u32 s18, s0
	s_waitcnt lgkmcnt(0)
	v_cmp_lt_f64_e64 vcc, |v[94:95]|, |v[104:105]|
	v_cndmask_b32_e32 v95, v95, v105, vcc
	v_cndmask_b32_e32 v94, v94, v104, vcc
	;; [unrolled: 1-line block ×3, first 2 shown]
	s_cbranch_scc1 .LBB88_507
.LBB88_508:
	s_waitcnt lgkmcnt(0)
	v_cmp_eq_f64_e32 vcc, 0, v[94:95]
	s_and_saveexec_b64 s[0:1], vcc
	s_xor_b64 s[0:1], exec, s[0:1]
; %bb.509:
	v_cmp_ne_u32_e32 vcc, 0, v102
	v_cndmask_b32_e32 v102, 31, v102, vcc
; %bb.510:
	s_andn2_saveexec_b64 s[0:1], s[0:1]
; %bb.511:
	v_div_scale_f64 v[104:105], s[2:3], v[94:95], v[94:95], 1.0
	v_rcp_f64_e32 v[106:107], v[104:105]
	v_div_scale_f64 v[108:109], vcc, 1.0, v[94:95], 1.0
	v_fma_f64 v[110:111], -v[104:105], v[106:107], 1.0
	v_fmac_f64_e32 v[106:107], v[106:107], v[110:111]
	v_fma_f64 v[110:111], -v[104:105], v[106:107], 1.0
	v_fmac_f64_e32 v[106:107], v[106:107], v[110:111]
	v_mul_f64 v[110:111], v[108:109], v[106:107]
	v_fma_f64 v[104:105], -v[104:105], v[110:111], v[108:109]
	v_div_fmas_f64 v[104:105], v[104:105], v[106:107], v[110:111]
	v_div_fixup_f64 v[94:95], v[104:105], v[94:95], 1.0
; %bb.512:
	s_or_b64 exec, exec, s[0:1]
	v_cmp_ne_u32_e32 vcc, v99, v96
	s_and_saveexec_b64 s[0:1], vcc
	s_xor_b64 s[0:1], exec, s[0:1]
	s_cbranch_execz .LBB88_518
; %bb.513:
	v_cmp_eq_u32_e32 vcc, 30, v99
	s_and_saveexec_b64 s[2:3], vcc
	s_cbranch_execz .LBB88_517
; %bb.514:
	v_cmp_ne_u32_e32 vcc, 30, v96
	s_xor_b64 s[14:15], s[6:7], -1
	s_and_b64 s[16:17], s[14:15], vcc
	s_and_saveexec_b64 s[14:15], s[16:17]
	s_cbranch_execz .LBB88_516
; %bb.515:
	v_ashrrev_i32_e32 v97, 31, v96
	v_lshlrev_b64 v[104:105], 2, v[96:97]
	v_add_co_u32_e32 v104, vcc, v4, v104
	v_addc_co_u32_e32 v105, vcc, v5, v105, vcc
	flat_load_dword v97, v[104:105]
	flat_load_dword v99, v[4:5] offset:120
	s_waitcnt vmcnt(0) lgkmcnt(0)
	flat_store_dword v[4:5], v97 offset:120
	flat_store_dword v[104:105], v99
.LBB88_516:
	s_or_b64 exec, exec, s[14:15]
	v_mov_b32_e32 v97, v96
	v_mov_b32_e32 v99, v96
.LBB88_517:
	s_or_b64 exec, exec, s[2:3]
.LBB88_518:
	s_andn2_saveexec_b64 s[0:1], s[0:1]
	s_cbranch_execz .LBB88_520
; %bb.519:
	v_mov_b32_e32 v99, 30
	ds_write2_b64 v98, v[28:29], v[26:27] offset0:31 offset1:32
	ds_write2_b64 v98, v[24:25], v[22:23] offset0:33 offset1:34
	ds_write2_b64 v98, v[20:21], v[18:19] offset0:35 offset1:36
	ds_write2_b64 v98, v[16:17], v[14:15] offset0:37 offset1:38
	ds_write2_b64 v98, v[12:13], v[10:11] offset0:39 offset1:40
	ds_write2_b64 v98, v[6:7], v[8:9] offset0:41 offset1:42
	ds_write2_b64 v98, v[0:1], v[92:93] offset0:43 offset1:44
.LBB88_520:
	s_or_b64 exec, exec, s[0:1]
	v_cmp_lt_i32_e32 vcc, 30, v99
	s_waitcnt lgkmcnt(0)
	s_barrier
	s_and_saveexec_b64 s[0:1], vcc
	s_cbranch_execz .LBB88_522
; %bb.521:
	ds_read2_b64 v[104:107], v98 offset0:31 offset1:32
	ds_read2_b64 v[108:111], v98 offset0:33 offset1:34
	v_mul_f64 v[30:31], v[94:95], v[30:31]
	ds_read2_b64 v[112:115], v98 offset0:35 offset1:36
	s_waitcnt lgkmcnt(0)
	v_fma_f64 v[28:29], -v[30:31], v[104:105], v[28:29]
	v_fma_f64 v[26:27], -v[30:31], v[106:107], v[26:27]
	ds_read2_b64 v[104:107], v98 offset0:37 offset1:38
	v_fma_f64 v[24:25], -v[30:31], v[108:109], v[24:25]
	v_fma_f64 v[22:23], -v[30:31], v[110:111], v[22:23]
	;; [unrolled: 1-line block ×4, first 2 shown]
	ds_read2_b64 v[108:111], v98 offset0:39 offset1:40
	ds_read2_b64 v[112:115], v98 offset0:41 offset1:42
	s_waitcnt lgkmcnt(0)
	v_fma_f64 v[16:17], -v[30:31], v[104:105], v[16:17]
	v_fma_f64 v[14:15], -v[30:31], v[106:107], v[14:15]
	ds_read2_b64 v[104:107], v98 offset0:43 offset1:44
	v_fma_f64 v[12:13], -v[30:31], v[108:109], v[12:13]
	v_fma_f64 v[10:11], -v[30:31], v[110:111], v[10:11]
	;; [unrolled: 1-line block ×4, first 2 shown]
	s_waitcnt lgkmcnt(0)
	v_fma_f64 v[0:1], -v[30:31], v[104:105], v[0:1]
	v_fma_f64 v[92:93], -v[30:31], v[106:107], v[92:93]
.LBB88_522:
	s_or_b64 exec, exec, s[0:1]
	v_lshl_add_u32 v94, v99, 3, v98
	s_barrier
	ds_write_b64 v94, v[28:29]
	s_waitcnt lgkmcnt(0)
	s_barrier
	ds_read_b64 v[94:95], v98 offset:248
	s_cmp_lt_i32 s18, 33
	v_mov_b32_e32 v96, 31
	s_cbranch_scc1 .LBB88_525
; %bb.523:
	v_add_u32_e32 v103, 0x100, v98
	s_mov_b32 s0, 32
	v_mov_b32_e32 v96, 31
.LBB88_524:                             ; =>This Inner Loop Header: Depth=1
	ds_read_b64 v[104:105], v103
	v_mov_b32_e32 v106, s0
	s_add_i32 s0, s0, 1
	v_add_u32_e32 v103, 8, v103
	s_cmp_lg_u32 s18, s0
	s_waitcnt lgkmcnt(0)
	v_cmp_lt_f64_e64 vcc, |v[94:95]|, |v[104:105]|
	v_cndmask_b32_e32 v95, v95, v105, vcc
	v_cndmask_b32_e32 v94, v94, v104, vcc
	;; [unrolled: 1-line block ×3, first 2 shown]
	s_cbranch_scc1 .LBB88_524
.LBB88_525:
	s_waitcnt lgkmcnt(0)
	v_cmp_eq_f64_e32 vcc, 0, v[94:95]
	s_and_saveexec_b64 s[0:1], vcc
	s_xor_b64 s[0:1], exec, s[0:1]
; %bb.526:
	v_cmp_ne_u32_e32 vcc, 0, v102
	v_cndmask_b32_e32 v102, 32, v102, vcc
; %bb.527:
	s_andn2_saveexec_b64 s[0:1], s[0:1]
; %bb.528:
	v_div_scale_f64 v[104:105], s[2:3], v[94:95], v[94:95], 1.0
	v_rcp_f64_e32 v[106:107], v[104:105]
	v_div_scale_f64 v[108:109], vcc, 1.0, v[94:95], 1.0
	v_fma_f64 v[110:111], -v[104:105], v[106:107], 1.0
	v_fmac_f64_e32 v[106:107], v[106:107], v[110:111]
	v_fma_f64 v[110:111], -v[104:105], v[106:107], 1.0
	v_fmac_f64_e32 v[106:107], v[106:107], v[110:111]
	v_mul_f64 v[110:111], v[108:109], v[106:107]
	v_fma_f64 v[104:105], -v[104:105], v[110:111], v[108:109]
	v_div_fmas_f64 v[104:105], v[104:105], v[106:107], v[110:111]
	v_div_fixup_f64 v[94:95], v[104:105], v[94:95], 1.0
; %bb.529:
	s_or_b64 exec, exec, s[0:1]
	v_cmp_ne_u32_e32 vcc, v99, v96
	s_and_saveexec_b64 s[0:1], vcc
	s_xor_b64 s[0:1], exec, s[0:1]
	s_cbranch_execz .LBB88_535
; %bb.530:
	v_cmp_eq_u32_e32 vcc, 31, v99
	s_and_saveexec_b64 s[2:3], vcc
	s_cbranch_execz .LBB88_534
; %bb.531:
	v_cmp_ne_u32_e32 vcc, 31, v96
	s_xor_b64 s[14:15], s[6:7], -1
	s_and_b64 s[16:17], s[14:15], vcc
	s_and_saveexec_b64 s[14:15], s[16:17]
	s_cbranch_execz .LBB88_533
; %bb.532:
	v_ashrrev_i32_e32 v97, 31, v96
	v_lshlrev_b64 v[104:105], 2, v[96:97]
	v_add_co_u32_e32 v104, vcc, v4, v104
	v_addc_co_u32_e32 v105, vcc, v5, v105, vcc
	flat_load_dword v97, v[104:105]
	flat_load_dword v99, v[4:5] offset:124
	s_waitcnt vmcnt(0) lgkmcnt(0)
	flat_store_dword v[4:5], v97 offset:124
	flat_store_dword v[104:105], v99
.LBB88_533:
	s_or_b64 exec, exec, s[14:15]
	v_mov_b32_e32 v97, v96
	v_mov_b32_e32 v99, v96
.LBB88_534:
	s_or_b64 exec, exec, s[2:3]
.LBB88_535:
	s_andn2_saveexec_b64 s[0:1], s[0:1]
	s_cbranch_execz .LBB88_537
; %bb.536:
	v_mov_b32_e32 v104, v26
	v_mov_b32_e32 v105, v27
	v_mov_b32_e32 v106, v24
	v_mov_b32_e32 v107, v25
	ds_write2_b64 v98, v[104:105], v[106:107] offset0:32 offset1:33
	v_mov_b32_e32 v104, v22
	v_mov_b32_e32 v105, v23
	v_mov_b32_e32 v106, v20
	v_mov_b32_e32 v107, v21
	ds_write2_b64 v98, v[104:105], v[106:107] offset0:34 offset1:35
	;; [unrolled: 5-line block ×5, first 2 shown]
	v_mov_b32_e32 v104, v8
	v_mov_b32_e32 v105, v9
	;; [unrolled: 1-line block ×5, first 2 shown]
	ds_write2_b64 v98, v[104:105], v[106:107] offset0:42 offset1:43
	ds_write_b64 v98, v[92:93] offset:352
.LBB88_537:
	s_or_b64 exec, exec, s[0:1]
	v_cmp_lt_i32_e32 vcc, 31, v99
	s_waitcnt lgkmcnt(0)
	s_barrier
	s_and_saveexec_b64 s[0:1], vcc
	s_cbranch_execz .LBB88_539
; %bb.538:
	ds_read2_b64 v[104:107], v98 offset0:32 offset1:33
	ds_read2_b64 v[108:111], v98 offset0:34 offset1:35
	;; [unrolled: 1-line block ×3, first 2 shown]
	v_mul_f64 v[28:29], v[94:95], v[28:29]
	ds_read_b64 v[94:95], v98 offset:352
	s_waitcnt lgkmcnt(0)
	v_fma_f64 v[26:27], -v[28:29], v[104:105], v[26:27]
	v_fma_f64 v[24:25], -v[28:29], v[106:107], v[24:25]
	ds_read2_b64 v[104:107], v98 offset0:38 offset1:39
	v_fma_f64 v[22:23], -v[28:29], v[108:109], v[22:23]
	v_fma_f64 v[20:21], -v[28:29], v[110:111], v[20:21]
	;; [unrolled: 1-line block ×4, first 2 shown]
	ds_read2_b64 v[108:111], v98 offset0:40 offset1:41
	ds_read2_b64 v[112:115], v98 offset0:42 offset1:43
	s_waitcnt lgkmcnt(0)
	v_fma_f64 v[14:15], -v[28:29], v[104:105], v[14:15]
	v_fma_f64 v[12:13], -v[28:29], v[106:107], v[12:13]
	;; [unrolled: 1-line block ×7, first 2 shown]
.LBB88_539:
	s_or_b64 exec, exec, s[0:1]
	v_lshl_add_u32 v94, v99, 3, v98
	s_barrier
	ds_write_b64 v94, v[26:27]
	s_waitcnt lgkmcnt(0)
	s_barrier
	ds_read_b64 v[94:95], v98 offset:256
	s_cmp_lt_i32 s18, 34
	v_mov_b32_e32 v96, 32
	s_cbranch_scc1 .LBB88_542
; %bb.540:
	v_add_u32_e32 v103, 0x108, v98
	s_mov_b32 s0, 33
	v_mov_b32_e32 v96, 32
.LBB88_541:                             ; =>This Inner Loop Header: Depth=1
	ds_read_b64 v[104:105], v103
	v_mov_b32_e32 v106, s0
	s_add_i32 s0, s0, 1
	v_add_u32_e32 v103, 8, v103
	s_cmp_lg_u32 s18, s0
	s_waitcnt lgkmcnt(0)
	v_cmp_lt_f64_e64 vcc, |v[94:95]|, |v[104:105]|
	v_cndmask_b32_e32 v95, v95, v105, vcc
	v_cndmask_b32_e32 v94, v94, v104, vcc
	;; [unrolled: 1-line block ×3, first 2 shown]
	s_cbranch_scc1 .LBB88_541
.LBB88_542:
	s_waitcnt lgkmcnt(0)
	v_cmp_eq_f64_e32 vcc, 0, v[94:95]
	s_and_saveexec_b64 s[0:1], vcc
	s_xor_b64 s[0:1], exec, s[0:1]
; %bb.543:
	v_cmp_ne_u32_e32 vcc, 0, v102
	v_cndmask_b32_e32 v102, 33, v102, vcc
; %bb.544:
	s_andn2_saveexec_b64 s[0:1], s[0:1]
; %bb.545:
	v_div_scale_f64 v[104:105], s[2:3], v[94:95], v[94:95], 1.0
	v_rcp_f64_e32 v[106:107], v[104:105]
	v_div_scale_f64 v[108:109], vcc, 1.0, v[94:95], 1.0
	v_fma_f64 v[110:111], -v[104:105], v[106:107], 1.0
	v_fmac_f64_e32 v[106:107], v[106:107], v[110:111]
	v_fma_f64 v[110:111], -v[104:105], v[106:107], 1.0
	v_fmac_f64_e32 v[106:107], v[106:107], v[110:111]
	v_mul_f64 v[110:111], v[108:109], v[106:107]
	v_fma_f64 v[104:105], -v[104:105], v[110:111], v[108:109]
	v_div_fmas_f64 v[104:105], v[104:105], v[106:107], v[110:111]
	v_div_fixup_f64 v[94:95], v[104:105], v[94:95], 1.0
; %bb.546:
	s_or_b64 exec, exec, s[0:1]
	v_cmp_ne_u32_e32 vcc, v99, v96
	s_and_saveexec_b64 s[0:1], vcc
	s_xor_b64 s[0:1], exec, s[0:1]
	s_cbranch_execz .LBB88_552
; %bb.547:
	v_cmp_eq_u32_e32 vcc, 32, v99
	s_and_saveexec_b64 s[2:3], vcc
	s_cbranch_execz .LBB88_551
; %bb.548:
	v_cmp_ne_u32_e32 vcc, 32, v96
	s_xor_b64 s[14:15], s[6:7], -1
	s_and_b64 s[16:17], s[14:15], vcc
	s_and_saveexec_b64 s[14:15], s[16:17]
	s_cbranch_execz .LBB88_550
; %bb.549:
	v_ashrrev_i32_e32 v97, 31, v96
	v_lshlrev_b64 v[104:105], 2, v[96:97]
	v_add_co_u32_e32 v104, vcc, v4, v104
	v_addc_co_u32_e32 v105, vcc, v5, v105, vcc
	flat_load_dword v97, v[104:105]
	flat_load_dword v99, v[4:5] offset:128
	s_waitcnt vmcnt(0) lgkmcnt(0)
	flat_store_dword v[4:5], v97 offset:128
	flat_store_dword v[104:105], v99
.LBB88_550:
	s_or_b64 exec, exec, s[14:15]
	v_mov_b32_e32 v97, v96
	v_mov_b32_e32 v99, v96
.LBB88_551:
	s_or_b64 exec, exec, s[2:3]
.LBB88_552:
	s_andn2_saveexec_b64 s[0:1], s[0:1]
	s_cbranch_execz .LBB88_554
; %bb.553:
	v_mov_b32_e32 v99, 32
	ds_write2_b64 v98, v[24:25], v[22:23] offset0:33 offset1:34
	ds_write2_b64 v98, v[20:21], v[18:19] offset0:35 offset1:36
	;; [unrolled: 1-line block ×6, first 2 shown]
.LBB88_554:
	s_or_b64 exec, exec, s[0:1]
	v_cmp_lt_i32_e32 vcc, 32, v99
	s_waitcnt lgkmcnt(0)
	s_barrier
	s_and_saveexec_b64 s[0:1], vcc
	s_cbranch_execz .LBB88_556
; %bb.555:
	ds_read2_b64 v[104:107], v98 offset0:33 offset1:34
	ds_read2_b64 v[108:111], v98 offset0:35 offset1:36
	;; [unrolled: 1-line block ×3, first 2 shown]
	v_mul_f64 v[26:27], v[94:95], v[26:27]
	s_waitcnt lgkmcnt(0)
	v_fma_f64 v[24:25], -v[26:27], v[104:105], v[24:25]
	v_fma_f64 v[22:23], -v[26:27], v[106:107], v[22:23]
	ds_read2_b64 v[104:107], v98 offset0:39 offset1:40
	v_fma_f64 v[20:21], -v[26:27], v[108:109], v[20:21]
	v_fma_f64 v[18:19], -v[26:27], v[110:111], v[18:19]
	;; [unrolled: 1-line block ×3, first 2 shown]
	ds_read2_b64 v[108:111], v98 offset0:41 offset1:42
	v_fma_f64 v[14:15], -v[26:27], v[114:115], v[14:15]
	ds_read2_b64 v[112:115], v98 offset0:43 offset1:44
	s_waitcnt lgkmcnt(0)
	v_fma_f64 v[12:13], -v[26:27], v[104:105], v[12:13]
	v_fma_f64 v[10:11], -v[26:27], v[106:107], v[10:11]
	v_fma_f64 v[6:7], -v[26:27], v[108:109], v[6:7]
	v_fma_f64 v[8:9], -v[26:27], v[110:111], v[8:9]
	v_fma_f64 v[0:1], -v[26:27], v[112:113], v[0:1]
	v_fma_f64 v[92:93], -v[26:27], v[114:115], v[92:93]
.LBB88_556:
	s_or_b64 exec, exec, s[0:1]
	v_lshl_add_u32 v94, v99, 3, v98
	s_barrier
	ds_write_b64 v94, v[24:25]
	s_waitcnt lgkmcnt(0)
	s_barrier
	ds_read_b64 v[94:95], v98 offset:264
	s_cmp_lt_i32 s18, 35
	v_mov_b32_e32 v96, 33
	s_cbranch_scc1 .LBB88_559
; %bb.557:
	v_add_u32_e32 v103, 0x110, v98
	s_mov_b32 s0, 34
	v_mov_b32_e32 v96, 33
.LBB88_558:                             ; =>This Inner Loop Header: Depth=1
	ds_read_b64 v[104:105], v103
	v_mov_b32_e32 v106, s0
	s_add_i32 s0, s0, 1
	v_add_u32_e32 v103, 8, v103
	s_cmp_lg_u32 s18, s0
	s_waitcnt lgkmcnt(0)
	v_cmp_lt_f64_e64 vcc, |v[94:95]|, |v[104:105]|
	v_cndmask_b32_e32 v95, v95, v105, vcc
	v_cndmask_b32_e32 v94, v94, v104, vcc
	;; [unrolled: 1-line block ×3, first 2 shown]
	s_cbranch_scc1 .LBB88_558
.LBB88_559:
	s_waitcnt lgkmcnt(0)
	v_cmp_eq_f64_e32 vcc, 0, v[94:95]
	s_and_saveexec_b64 s[0:1], vcc
	s_xor_b64 s[0:1], exec, s[0:1]
; %bb.560:
	v_cmp_ne_u32_e32 vcc, 0, v102
	v_cndmask_b32_e32 v102, 34, v102, vcc
; %bb.561:
	s_andn2_saveexec_b64 s[0:1], s[0:1]
; %bb.562:
	v_div_scale_f64 v[104:105], s[2:3], v[94:95], v[94:95], 1.0
	v_rcp_f64_e32 v[106:107], v[104:105]
	v_div_scale_f64 v[108:109], vcc, 1.0, v[94:95], 1.0
	v_fma_f64 v[110:111], -v[104:105], v[106:107], 1.0
	v_fmac_f64_e32 v[106:107], v[106:107], v[110:111]
	v_fma_f64 v[110:111], -v[104:105], v[106:107], 1.0
	v_fmac_f64_e32 v[106:107], v[106:107], v[110:111]
	v_mul_f64 v[110:111], v[108:109], v[106:107]
	v_fma_f64 v[104:105], -v[104:105], v[110:111], v[108:109]
	v_div_fmas_f64 v[104:105], v[104:105], v[106:107], v[110:111]
	v_div_fixup_f64 v[94:95], v[104:105], v[94:95], 1.0
; %bb.563:
	s_or_b64 exec, exec, s[0:1]
	v_cmp_ne_u32_e32 vcc, v99, v96
	s_and_saveexec_b64 s[0:1], vcc
	s_xor_b64 s[0:1], exec, s[0:1]
	s_cbranch_execz .LBB88_569
; %bb.564:
	v_cmp_eq_u32_e32 vcc, 33, v99
	s_and_saveexec_b64 s[2:3], vcc
	s_cbranch_execz .LBB88_568
; %bb.565:
	v_cmp_ne_u32_e32 vcc, 33, v96
	s_xor_b64 s[14:15], s[6:7], -1
	s_and_b64 s[16:17], s[14:15], vcc
	s_and_saveexec_b64 s[14:15], s[16:17]
	s_cbranch_execz .LBB88_567
; %bb.566:
	v_ashrrev_i32_e32 v97, 31, v96
	v_lshlrev_b64 v[104:105], 2, v[96:97]
	v_add_co_u32_e32 v104, vcc, v4, v104
	v_addc_co_u32_e32 v105, vcc, v5, v105, vcc
	flat_load_dword v97, v[104:105]
	flat_load_dword v99, v[4:5] offset:132
	s_waitcnt vmcnt(0) lgkmcnt(0)
	flat_store_dword v[4:5], v97 offset:132
	flat_store_dword v[104:105], v99
.LBB88_567:
	s_or_b64 exec, exec, s[14:15]
	v_mov_b32_e32 v97, v96
	v_mov_b32_e32 v99, v96
.LBB88_568:
	s_or_b64 exec, exec, s[2:3]
.LBB88_569:
	s_andn2_saveexec_b64 s[0:1], s[0:1]
	s_cbranch_execz .LBB88_571
; %bb.570:
	v_mov_b32_e32 v104, v22
	v_mov_b32_e32 v105, v23
	v_mov_b32_e32 v106, v20
	v_mov_b32_e32 v107, v21
	ds_write2_b64 v98, v[104:105], v[106:107] offset0:34 offset1:35
	v_mov_b32_e32 v104, v18
	v_mov_b32_e32 v105, v19
	v_mov_b32_e32 v106, v16
	v_mov_b32_e32 v107, v17
	ds_write2_b64 v98, v[104:105], v[106:107] offset0:36 offset1:37
	;; [unrolled: 5-line block ×4, first 2 shown]
	v_mov_b32_e32 v104, v8
	v_mov_b32_e32 v105, v9
	;; [unrolled: 1-line block ×5, first 2 shown]
	ds_write2_b64 v98, v[104:105], v[106:107] offset0:42 offset1:43
	ds_write_b64 v98, v[92:93] offset:352
.LBB88_571:
	s_or_b64 exec, exec, s[0:1]
	v_cmp_lt_i32_e32 vcc, 33, v99
	s_waitcnt lgkmcnt(0)
	s_barrier
	s_and_saveexec_b64 s[0:1], vcc
	s_cbranch_execz .LBB88_573
; %bb.572:
	ds_read2_b64 v[104:107], v98 offset0:34 offset1:35
	ds_read2_b64 v[108:111], v98 offset0:36 offset1:37
	v_mul_f64 v[24:25], v[94:95], v[24:25]
	ds_read2_b64 v[112:115], v98 offset0:38 offset1:39
	ds_read_b64 v[94:95], v98 offset:352
	s_waitcnt lgkmcnt(0)
	v_fma_f64 v[22:23], -v[24:25], v[104:105], v[22:23]
	v_fma_f64 v[20:21], -v[24:25], v[106:107], v[20:21]
	ds_read2_b64 v[104:107], v98 offset0:40 offset1:41
	v_fma_f64 v[18:19], -v[24:25], v[108:109], v[18:19]
	v_fma_f64 v[16:17], -v[24:25], v[110:111], v[16:17]
	ds_read2_b64 v[108:111], v98 offset0:42 offset1:43
	v_fma_f64 v[14:15], -v[24:25], v[112:113], v[14:15]
	v_fma_f64 v[12:13], -v[24:25], v[114:115], v[12:13]
	s_waitcnt lgkmcnt(0)
	v_fma_f64 v[10:11], -v[24:25], v[104:105], v[10:11]
	v_fma_f64 v[6:7], -v[24:25], v[106:107], v[6:7]
	;; [unrolled: 1-line block ×5, first 2 shown]
.LBB88_573:
	s_or_b64 exec, exec, s[0:1]
	v_lshl_add_u32 v94, v99, 3, v98
	s_barrier
	ds_write_b64 v94, v[22:23]
	s_waitcnt lgkmcnt(0)
	s_barrier
	ds_read_b64 v[94:95], v98 offset:272
	s_cmp_lt_i32 s18, 36
	v_mov_b32_e32 v96, 34
	s_cbranch_scc1 .LBB88_576
; %bb.574:
	v_add_u32_e32 v103, 0x118, v98
	s_mov_b32 s0, 35
	v_mov_b32_e32 v96, 34
.LBB88_575:                             ; =>This Inner Loop Header: Depth=1
	ds_read_b64 v[104:105], v103
	v_mov_b32_e32 v106, s0
	s_add_i32 s0, s0, 1
	v_add_u32_e32 v103, 8, v103
	s_cmp_lg_u32 s18, s0
	s_waitcnt lgkmcnt(0)
	v_cmp_lt_f64_e64 vcc, |v[94:95]|, |v[104:105]|
	v_cndmask_b32_e32 v95, v95, v105, vcc
	v_cndmask_b32_e32 v94, v94, v104, vcc
	;; [unrolled: 1-line block ×3, first 2 shown]
	s_cbranch_scc1 .LBB88_575
.LBB88_576:
	s_waitcnt lgkmcnt(0)
	v_cmp_eq_f64_e32 vcc, 0, v[94:95]
	s_and_saveexec_b64 s[0:1], vcc
	s_xor_b64 s[0:1], exec, s[0:1]
; %bb.577:
	v_cmp_ne_u32_e32 vcc, 0, v102
	v_cndmask_b32_e32 v102, 35, v102, vcc
; %bb.578:
	s_andn2_saveexec_b64 s[0:1], s[0:1]
; %bb.579:
	v_div_scale_f64 v[104:105], s[2:3], v[94:95], v[94:95], 1.0
	v_rcp_f64_e32 v[106:107], v[104:105]
	v_div_scale_f64 v[108:109], vcc, 1.0, v[94:95], 1.0
	v_fma_f64 v[110:111], -v[104:105], v[106:107], 1.0
	v_fmac_f64_e32 v[106:107], v[106:107], v[110:111]
	v_fma_f64 v[110:111], -v[104:105], v[106:107], 1.0
	v_fmac_f64_e32 v[106:107], v[106:107], v[110:111]
	v_mul_f64 v[110:111], v[108:109], v[106:107]
	v_fma_f64 v[104:105], -v[104:105], v[110:111], v[108:109]
	v_div_fmas_f64 v[104:105], v[104:105], v[106:107], v[110:111]
	v_div_fixup_f64 v[94:95], v[104:105], v[94:95], 1.0
; %bb.580:
	s_or_b64 exec, exec, s[0:1]
	v_cmp_ne_u32_e32 vcc, v99, v96
	s_and_saveexec_b64 s[0:1], vcc
	s_xor_b64 s[0:1], exec, s[0:1]
	s_cbranch_execz .LBB88_586
; %bb.581:
	v_cmp_eq_u32_e32 vcc, 34, v99
	s_and_saveexec_b64 s[2:3], vcc
	s_cbranch_execz .LBB88_585
; %bb.582:
	v_cmp_ne_u32_e32 vcc, 34, v96
	s_xor_b64 s[14:15], s[6:7], -1
	s_and_b64 s[16:17], s[14:15], vcc
	s_and_saveexec_b64 s[14:15], s[16:17]
	s_cbranch_execz .LBB88_584
; %bb.583:
	v_ashrrev_i32_e32 v97, 31, v96
	v_lshlrev_b64 v[104:105], 2, v[96:97]
	v_add_co_u32_e32 v104, vcc, v4, v104
	v_addc_co_u32_e32 v105, vcc, v5, v105, vcc
	flat_load_dword v97, v[104:105]
	flat_load_dword v99, v[4:5] offset:136
	s_waitcnt vmcnt(0) lgkmcnt(0)
	flat_store_dword v[4:5], v97 offset:136
	flat_store_dword v[104:105], v99
.LBB88_584:
	s_or_b64 exec, exec, s[14:15]
	v_mov_b32_e32 v97, v96
	v_mov_b32_e32 v99, v96
.LBB88_585:
	s_or_b64 exec, exec, s[2:3]
.LBB88_586:
	s_andn2_saveexec_b64 s[0:1], s[0:1]
	s_cbranch_execz .LBB88_588
; %bb.587:
	v_mov_b32_e32 v99, 34
	ds_write2_b64 v98, v[20:21], v[18:19] offset0:35 offset1:36
	ds_write2_b64 v98, v[16:17], v[14:15] offset0:37 offset1:38
	;; [unrolled: 1-line block ×5, first 2 shown]
.LBB88_588:
	s_or_b64 exec, exec, s[0:1]
	v_cmp_lt_i32_e32 vcc, 34, v99
	s_waitcnt lgkmcnt(0)
	s_barrier
	s_and_saveexec_b64 s[0:1], vcc
	s_cbranch_execz .LBB88_590
; %bb.589:
	ds_read2_b64 v[104:107], v98 offset0:35 offset1:36
	ds_read2_b64 v[108:111], v98 offset0:37 offset1:38
	v_mul_f64 v[22:23], v[94:95], v[22:23]
	ds_read2_b64 v[112:115], v98 offset0:41 offset1:42
	s_waitcnt lgkmcnt(0)
	v_fma_f64 v[20:21], -v[22:23], v[104:105], v[20:21]
	v_fma_f64 v[18:19], -v[22:23], v[106:107], v[18:19]
	ds_read2_b64 v[104:107], v98 offset0:39 offset1:40
	v_fma_f64 v[16:17], -v[22:23], v[108:109], v[16:17]
	v_fma_f64 v[14:15], -v[22:23], v[110:111], v[14:15]
	ds_read2_b64 v[108:111], v98 offset0:43 offset1:44
	v_fma_f64 v[6:7], -v[22:23], v[112:113], v[6:7]
	s_waitcnt lgkmcnt(0)
	v_fma_f64 v[12:13], -v[22:23], v[104:105], v[12:13]
	v_fma_f64 v[10:11], -v[22:23], v[106:107], v[10:11]
	;; [unrolled: 1-line block ×5, first 2 shown]
.LBB88_590:
	s_or_b64 exec, exec, s[0:1]
	v_lshl_add_u32 v94, v99, 3, v98
	s_barrier
	ds_write_b64 v94, v[20:21]
	s_waitcnt lgkmcnt(0)
	s_barrier
	ds_read_b64 v[94:95], v98 offset:280
	s_cmp_lt_i32 s18, 37
	v_mov_b32_e32 v96, 35
	s_cbranch_scc1 .LBB88_593
; %bb.591:
	v_add_u32_e32 v103, 0x120, v98
	s_mov_b32 s0, 36
	v_mov_b32_e32 v96, 35
.LBB88_592:                             ; =>This Inner Loop Header: Depth=1
	ds_read_b64 v[104:105], v103
	v_mov_b32_e32 v106, s0
	s_add_i32 s0, s0, 1
	v_add_u32_e32 v103, 8, v103
	s_cmp_lg_u32 s18, s0
	s_waitcnt lgkmcnt(0)
	v_cmp_lt_f64_e64 vcc, |v[94:95]|, |v[104:105]|
	v_cndmask_b32_e32 v95, v95, v105, vcc
	v_cndmask_b32_e32 v94, v94, v104, vcc
	;; [unrolled: 1-line block ×3, first 2 shown]
	s_cbranch_scc1 .LBB88_592
.LBB88_593:
	s_waitcnt lgkmcnt(0)
	v_cmp_eq_f64_e32 vcc, 0, v[94:95]
	s_and_saveexec_b64 s[0:1], vcc
	s_xor_b64 s[0:1], exec, s[0:1]
; %bb.594:
	v_cmp_ne_u32_e32 vcc, 0, v102
	v_cndmask_b32_e32 v102, 36, v102, vcc
; %bb.595:
	s_andn2_saveexec_b64 s[0:1], s[0:1]
; %bb.596:
	v_div_scale_f64 v[104:105], s[2:3], v[94:95], v[94:95], 1.0
	v_rcp_f64_e32 v[106:107], v[104:105]
	v_div_scale_f64 v[108:109], vcc, 1.0, v[94:95], 1.0
	v_fma_f64 v[110:111], -v[104:105], v[106:107], 1.0
	v_fmac_f64_e32 v[106:107], v[106:107], v[110:111]
	v_fma_f64 v[110:111], -v[104:105], v[106:107], 1.0
	v_fmac_f64_e32 v[106:107], v[106:107], v[110:111]
	v_mul_f64 v[110:111], v[108:109], v[106:107]
	v_fma_f64 v[104:105], -v[104:105], v[110:111], v[108:109]
	v_div_fmas_f64 v[104:105], v[104:105], v[106:107], v[110:111]
	v_div_fixup_f64 v[94:95], v[104:105], v[94:95], 1.0
; %bb.597:
	s_or_b64 exec, exec, s[0:1]
	v_cmp_ne_u32_e32 vcc, v99, v96
	s_and_saveexec_b64 s[0:1], vcc
	s_xor_b64 s[0:1], exec, s[0:1]
	s_cbranch_execz .LBB88_603
; %bb.598:
	v_cmp_eq_u32_e32 vcc, 35, v99
	s_and_saveexec_b64 s[2:3], vcc
	s_cbranch_execz .LBB88_602
; %bb.599:
	v_cmp_ne_u32_e32 vcc, 35, v96
	s_xor_b64 s[14:15], s[6:7], -1
	s_and_b64 s[16:17], s[14:15], vcc
	s_and_saveexec_b64 s[14:15], s[16:17]
	s_cbranch_execz .LBB88_601
; %bb.600:
	v_ashrrev_i32_e32 v97, 31, v96
	v_lshlrev_b64 v[104:105], 2, v[96:97]
	v_add_co_u32_e32 v104, vcc, v4, v104
	v_addc_co_u32_e32 v105, vcc, v5, v105, vcc
	flat_load_dword v97, v[104:105]
	flat_load_dword v99, v[4:5] offset:140
	s_waitcnt vmcnt(0) lgkmcnt(0)
	flat_store_dword v[4:5], v97 offset:140
	flat_store_dword v[104:105], v99
.LBB88_601:
	s_or_b64 exec, exec, s[14:15]
	v_mov_b32_e32 v97, v96
	v_mov_b32_e32 v99, v96
.LBB88_602:
	s_or_b64 exec, exec, s[2:3]
.LBB88_603:
	s_andn2_saveexec_b64 s[0:1], s[0:1]
	s_cbranch_execz .LBB88_605
; %bb.604:
	v_mov_b32_e32 v104, v18
	v_mov_b32_e32 v105, v19
	v_mov_b32_e32 v106, v16
	v_mov_b32_e32 v107, v17
	ds_write2_b64 v98, v[104:105], v[106:107] offset0:36 offset1:37
	v_mov_b32_e32 v104, v14
	v_mov_b32_e32 v105, v15
	v_mov_b32_e32 v106, v12
	v_mov_b32_e32 v107, v13
	ds_write2_b64 v98, v[104:105], v[106:107] offset0:38 offset1:39
	;; [unrolled: 5-line block ×3, first 2 shown]
	v_mov_b32_e32 v104, v8
	v_mov_b32_e32 v105, v9
	;; [unrolled: 1-line block ×5, first 2 shown]
	ds_write2_b64 v98, v[104:105], v[106:107] offset0:42 offset1:43
	ds_write_b64 v98, v[92:93] offset:352
.LBB88_605:
	s_or_b64 exec, exec, s[0:1]
	v_cmp_lt_i32_e32 vcc, 35, v99
	s_waitcnt lgkmcnt(0)
	s_barrier
	s_and_saveexec_b64 s[0:1], vcc
	s_cbranch_execz .LBB88_607
; %bb.606:
	ds_read2_b64 v[104:107], v98 offset0:36 offset1:37
	ds_read2_b64 v[108:111], v98 offset0:38 offset1:39
	v_mul_f64 v[20:21], v[94:95], v[20:21]
	ds_read_b64 v[94:95], v98 offset:352
	ds_read2_b64 v[112:115], v98 offset0:42 offset1:43
	s_waitcnt lgkmcnt(0)
	v_fma_f64 v[18:19], -v[20:21], v[104:105], v[18:19]
	v_fma_f64 v[16:17], -v[20:21], v[106:107], v[16:17]
	ds_read2_b64 v[104:107], v98 offset0:40 offset1:41
	v_fma_f64 v[14:15], -v[20:21], v[108:109], v[14:15]
	v_fma_f64 v[12:13], -v[20:21], v[110:111], v[12:13]
	;; [unrolled: 1-line block ×4, first 2 shown]
	s_waitcnt lgkmcnt(0)
	v_fma_f64 v[10:11], -v[20:21], v[104:105], v[10:11]
	v_fma_f64 v[6:7], -v[20:21], v[106:107], v[6:7]
	;; [unrolled: 1-line block ×3, first 2 shown]
.LBB88_607:
	s_or_b64 exec, exec, s[0:1]
	v_lshl_add_u32 v94, v99, 3, v98
	s_barrier
	ds_write_b64 v94, v[18:19]
	s_waitcnt lgkmcnt(0)
	s_barrier
	ds_read_b64 v[94:95], v98 offset:288
	s_cmp_lt_i32 s18, 38
	v_mov_b32_e32 v96, 36
	s_cbranch_scc1 .LBB88_610
; %bb.608:
	v_add_u32_e32 v103, 0x128, v98
	s_mov_b32 s0, 37
	v_mov_b32_e32 v96, 36
.LBB88_609:                             ; =>This Inner Loop Header: Depth=1
	ds_read_b64 v[104:105], v103
	v_mov_b32_e32 v106, s0
	s_add_i32 s0, s0, 1
	v_add_u32_e32 v103, 8, v103
	s_cmp_lg_u32 s18, s0
	s_waitcnt lgkmcnt(0)
	v_cmp_lt_f64_e64 vcc, |v[94:95]|, |v[104:105]|
	v_cndmask_b32_e32 v95, v95, v105, vcc
	v_cndmask_b32_e32 v94, v94, v104, vcc
	;; [unrolled: 1-line block ×3, first 2 shown]
	s_cbranch_scc1 .LBB88_609
.LBB88_610:
	s_waitcnt lgkmcnt(0)
	v_cmp_eq_f64_e32 vcc, 0, v[94:95]
	s_and_saveexec_b64 s[0:1], vcc
	s_xor_b64 s[0:1], exec, s[0:1]
; %bb.611:
	v_cmp_ne_u32_e32 vcc, 0, v102
	v_cndmask_b32_e32 v102, 37, v102, vcc
; %bb.612:
	s_andn2_saveexec_b64 s[0:1], s[0:1]
; %bb.613:
	v_div_scale_f64 v[104:105], s[2:3], v[94:95], v[94:95], 1.0
	v_rcp_f64_e32 v[106:107], v[104:105]
	v_div_scale_f64 v[108:109], vcc, 1.0, v[94:95], 1.0
	v_fma_f64 v[110:111], -v[104:105], v[106:107], 1.0
	v_fmac_f64_e32 v[106:107], v[106:107], v[110:111]
	v_fma_f64 v[110:111], -v[104:105], v[106:107], 1.0
	v_fmac_f64_e32 v[106:107], v[106:107], v[110:111]
	v_mul_f64 v[110:111], v[108:109], v[106:107]
	v_fma_f64 v[104:105], -v[104:105], v[110:111], v[108:109]
	v_div_fmas_f64 v[104:105], v[104:105], v[106:107], v[110:111]
	v_div_fixup_f64 v[94:95], v[104:105], v[94:95], 1.0
; %bb.614:
	s_or_b64 exec, exec, s[0:1]
	v_cmp_ne_u32_e32 vcc, v99, v96
	s_and_saveexec_b64 s[0:1], vcc
	s_xor_b64 s[0:1], exec, s[0:1]
	s_cbranch_execz .LBB88_620
; %bb.615:
	v_cmp_eq_u32_e32 vcc, 36, v99
	s_and_saveexec_b64 s[2:3], vcc
	s_cbranch_execz .LBB88_619
; %bb.616:
	v_cmp_ne_u32_e32 vcc, 36, v96
	s_xor_b64 s[14:15], s[6:7], -1
	s_and_b64 s[16:17], s[14:15], vcc
	s_and_saveexec_b64 s[14:15], s[16:17]
	s_cbranch_execz .LBB88_618
; %bb.617:
	v_ashrrev_i32_e32 v97, 31, v96
	v_lshlrev_b64 v[104:105], 2, v[96:97]
	v_add_co_u32_e32 v104, vcc, v4, v104
	v_addc_co_u32_e32 v105, vcc, v5, v105, vcc
	flat_load_dword v97, v[104:105]
	flat_load_dword v99, v[4:5] offset:144
	s_waitcnt vmcnt(0) lgkmcnt(0)
	flat_store_dword v[4:5], v97 offset:144
	flat_store_dword v[104:105], v99
.LBB88_618:
	s_or_b64 exec, exec, s[14:15]
	v_mov_b32_e32 v97, v96
	v_mov_b32_e32 v99, v96
.LBB88_619:
	s_or_b64 exec, exec, s[2:3]
.LBB88_620:
	s_andn2_saveexec_b64 s[0:1], s[0:1]
	s_cbranch_execz .LBB88_622
; %bb.621:
	v_mov_b32_e32 v99, 36
	ds_write2_b64 v98, v[16:17], v[14:15] offset0:37 offset1:38
	ds_write2_b64 v98, v[12:13], v[10:11] offset0:39 offset1:40
	;; [unrolled: 1-line block ×4, first 2 shown]
.LBB88_622:
	s_or_b64 exec, exec, s[0:1]
	v_cmp_lt_i32_e32 vcc, 36, v99
	s_waitcnt lgkmcnt(0)
	s_barrier
	s_and_saveexec_b64 s[0:1], vcc
	s_cbranch_execz .LBB88_624
; %bb.623:
	ds_read2_b64 v[104:107], v98 offset0:37 offset1:38
	ds_read2_b64 v[108:111], v98 offset0:39 offset1:40
	v_mul_f64 v[18:19], v[94:95], v[18:19]
	ds_read2_b64 v[112:115], v98 offset0:41 offset1:42
	s_waitcnt lgkmcnt(0)
	v_fma_f64 v[16:17], -v[18:19], v[104:105], v[16:17]
	v_fma_f64 v[14:15], -v[18:19], v[106:107], v[14:15]
	ds_read2_b64 v[104:107], v98 offset0:43 offset1:44
	v_fma_f64 v[12:13], -v[18:19], v[108:109], v[12:13]
	v_fma_f64 v[10:11], -v[18:19], v[110:111], v[10:11]
	;; [unrolled: 1-line block ×4, first 2 shown]
	s_waitcnt lgkmcnt(0)
	v_fma_f64 v[0:1], -v[18:19], v[104:105], v[0:1]
	v_fma_f64 v[92:93], -v[18:19], v[106:107], v[92:93]
.LBB88_624:
	s_or_b64 exec, exec, s[0:1]
	v_lshl_add_u32 v94, v99, 3, v98
	s_barrier
	ds_write_b64 v94, v[16:17]
	s_waitcnt lgkmcnt(0)
	s_barrier
	ds_read_b64 v[94:95], v98 offset:296
	s_cmp_lt_i32 s18, 39
	v_mov_b32_e32 v96, 37
	s_cbranch_scc1 .LBB88_627
; %bb.625:
	v_add_u32_e32 v103, 0x130, v98
	s_mov_b32 s0, 38
	v_mov_b32_e32 v96, 37
.LBB88_626:                             ; =>This Inner Loop Header: Depth=1
	ds_read_b64 v[104:105], v103
	v_mov_b32_e32 v106, s0
	s_add_i32 s0, s0, 1
	v_add_u32_e32 v103, 8, v103
	s_cmp_lg_u32 s18, s0
	s_waitcnt lgkmcnt(0)
	v_cmp_lt_f64_e64 vcc, |v[94:95]|, |v[104:105]|
	v_cndmask_b32_e32 v95, v95, v105, vcc
	v_cndmask_b32_e32 v94, v94, v104, vcc
	;; [unrolled: 1-line block ×3, first 2 shown]
	s_cbranch_scc1 .LBB88_626
.LBB88_627:
	s_waitcnt lgkmcnt(0)
	v_cmp_eq_f64_e32 vcc, 0, v[94:95]
	s_and_saveexec_b64 s[0:1], vcc
	s_xor_b64 s[0:1], exec, s[0:1]
; %bb.628:
	v_cmp_ne_u32_e32 vcc, 0, v102
	v_cndmask_b32_e32 v102, 38, v102, vcc
; %bb.629:
	s_andn2_saveexec_b64 s[0:1], s[0:1]
; %bb.630:
	v_div_scale_f64 v[104:105], s[2:3], v[94:95], v[94:95], 1.0
	v_rcp_f64_e32 v[106:107], v[104:105]
	v_div_scale_f64 v[108:109], vcc, 1.0, v[94:95], 1.0
	v_fma_f64 v[110:111], -v[104:105], v[106:107], 1.0
	v_fmac_f64_e32 v[106:107], v[106:107], v[110:111]
	v_fma_f64 v[110:111], -v[104:105], v[106:107], 1.0
	v_fmac_f64_e32 v[106:107], v[106:107], v[110:111]
	v_mul_f64 v[110:111], v[108:109], v[106:107]
	v_fma_f64 v[104:105], -v[104:105], v[110:111], v[108:109]
	v_div_fmas_f64 v[104:105], v[104:105], v[106:107], v[110:111]
	v_div_fixup_f64 v[94:95], v[104:105], v[94:95], 1.0
; %bb.631:
	s_or_b64 exec, exec, s[0:1]
	v_cmp_ne_u32_e32 vcc, v99, v96
	s_and_saveexec_b64 s[0:1], vcc
	s_xor_b64 s[0:1], exec, s[0:1]
	s_cbranch_execz .LBB88_637
; %bb.632:
	v_cmp_eq_u32_e32 vcc, 37, v99
	s_and_saveexec_b64 s[2:3], vcc
	s_cbranch_execz .LBB88_636
; %bb.633:
	v_cmp_ne_u32_e32 vcc, 37, v96
	s_xor_b64 s[14:15], s[6:7], -1
	s_and_b64 s[16:17], s[14:15], vcc
	s_and_saveexec_b64 s[14:15], s[16:17]
	s_cbranch_execz .LBB88_635
; %bb.634:
	v_ashrrev_i32_e32 v97, 31, v96
	v_lshlrev_b64 v[104:105], 2, v[96:97]
	v_add_co_u32_e32 v104, vcc, v4, v104
	v_addc_co_u32_e32 v105, vcc, v5, v105, vcc
	flat_load_dword v97, v[104:105]
	flat_load_dword v99, v[4:5] offset:148
	s_waitcnt vmcnt(0) lgkmcnt(0)
	flat_store_dword v[4:5], v97 offset:148
	flat_store_dword v[104:105], v99
.LBB88_635:
	s_or_b64 exec, exec, s[14:15]
	v_mov_b32_e32 v97, v96
	v_mov_b32_e32 v99, v96
.LBB88_636:
	s_or_b64 exec, exec, s[2:3]
.LBB88_637:
	s_andn2_saveexec_b64 s[0:1], s[0:1]
	s_cbranch_execz .LBB88_639
; %bb.638:
	v_mov_b32_e32 v104, v14
	v_mov_b32_e32 v105, v15
	;; [unrolled: 1-line block ×4, first 2 shown]
	ds_write2_b64 v98, v[104:105], v[106:107] offset0:38 offset1:39
	v_mov_b32_e32 v104, v10
	v_mov_b32_e32 v105, v11
	;; [unrolled: 1-line block ×4, first 2 shown]
	ds_write2_b64 v98, v[104:105], v[106:107] offset0:40 offset1:41
	v_mov_b32_e32 v104, v8
	v_mov_b32_e32 v105, v9
	;; [unrolled: 1-line block ×5, first 2 shown]
	ds_write2_b64 v98, v[104:105], v[106:107] offset0:42 offset1:43
	ds_write_b64 v98, v[92:93] offset:352
.LBB88_639:
	s_or_b64 exec, exec, s[0:1]
	v_cmp_lt_i32_e32 vcc, 37, v99
	s_waitcnt lgkmcnt(0)
	s_barrier
	s_and_saveexec_b64 s[0:1], vcc
	s_cbranch_execz .LBB88_641
; %bb.640:
	ds_read2_b64 v[104:107], v98 offset0:38 offset1:39
	ds_read2_b64 v[108:111], v98 offset0:40 offset1:41
	v_mul_f64 v[16:17], v[94:95], v[16:17]
	ds_read2_b64 v[112:115], v98 offset0:42 offset1:43
	ds_read_b64 v[94:95], v98 offset:352
	s_waitcnt lgkmcnt(0)
	v_fma_f64 v[14:15], -v[16:17], v[104:105], v[14:15]
	v_fma_f64 v[12:13], -v[16:17], v[106:107], v[12:13]
	;; [unrolled: 1-line block ×7, first 2 shown]
.LBB88_641:
	s_or_b64 exec, exec, s[0:1]
	v_lshl_add_u32 v94, v99, 3, v98
	s_barrier
	ds_write_b64 v94, v[14:15]
	s_waitcnt lgkmcnt(0)
	s_barrier
	ds_read_b64 v[94:95], v98 offset:304
	s_cmp_lt_i32 s18, 40
	v_mov_b32_e32 v96, 38
	s_cbranch_scc1 .LBB88_644
; %bb.642:
	v_add_u32_e32 v103, 0x138, v98
	s_mov_b32 s0, 39
	v_mov_b32_e32 v96, 38
.LBB88_643:                             ; =>This Inner Loop Header: Depth=1
	ds_read_b64 v[104:105], v103
	v_mov_b32_e32 v106, s0
	s_add_i32 s0, s0, 1
	v_add_u32_e32 v103, 8, v103
	s_cmp_lg_u32 s18, s0
	s_waitcnt lgkmcnt(0)
	v_cmp_lt_f64_e64 vcc, |v[94:95]|, |v[104:105]|
	v_cndmask_b32_e32 v95, v95, v105, vcc
	v_cndmask_b32_e32 v94, v94, v104, vcc
	;; [unrolled: 1-line block ×3, first 2 shown]
	s_cbranch_scc1 .LBB88_643
.LBB88_644:
	s_waitcnt lgkmcnt(0)
	v_cmp_eq_f64_e32 vcc, 0, v[94:95]
	s_and_saveexec_b64 s[0:1], vcc
	s_xor_b64 s[0:1], exec, s[0:1]
; %bb.645:
	v_cmp_ne_u32_e32 vcc, 0, v102
	v_cndmask_b32_e32 v102, 39, v102, vcc
; %bb.646:
	s_andn2_saveexec_b64 s[0:1], s[0:1]
; %bb.647:
	v_div_scale_f64 v[104:105], s[2:3], v[94:95], v[94:95], 1.0
	v_rcp_f64_e32 v[106:107], v[104:105]
	v_div_scale_f64 v[108:109], vcc, 1.0, v[94:95], 1.0
	v_fma_f64 v[110:111], -v[104:105], v[106:107], 1.0
	v_fmac_f64_e32 v[106:107], v[106:107], v[110:111]
	v_fma_f64 v[110:111], -v[104:105], v[106:107], 1.0
	v_fmac_f64_e32 v[106:107], v[106:107], v[110:111]
	v_mul_f64 v[110:111], v[108:109], v[106:107]
	v_fma_f64 v[104:105], -v[104:105], v[110:111], v[108:109]
	v_div_fmas_f64 v[104:105], v[104:105], v[106:107], v[110:111]
	v_div_fixup_f64 v[94:95], v[104:105], v[94:95], 1.0
; %bb.648:
	s_or_b64 exec, exec, s[0:1]
	v_cmp_ne_u32_e32 vcc, v99, v96
	s_and_saveexec_b64 s[0:1], vcc
	s_xor_b64 s[0:1], exec, s[0:1]
	s_cbranch_execz .LBB88_654
; %bb.649:
	v_cmp_eq_u32_e32 vcc, 38, v99
	s_and_saveexec_b64 s[2:3], vcc
	s_cbranch_execz .LBB88_653
; %bb.650:
	v_cmp_ne_u32_e32 vcc, 38, v96
	s_xor_b64 s[14:15], s[6:7], -1
	s_and_b64 s[16:17], s[14:15], vcc
	s_and_saveexec_b64 s[14:15], s[16:17]
	s_cbranch_execz .LBB88_652
; %bb.651:
	v_ashrrev_i32_e32 v97, 31, v96
	v_lshlrev_b64 v[104:105], 2, v[96:97]
	v_add_co_u32_e32 v104, vcc, v4, v104
	v_addc_co_u32_e32 v105, vcc, v5, v105, vcc
	flat_load_dword v97, v[104:105]
	flat_load_dword v99, v[4:5] offset:152
	s_waitcnt vmcnt(0) lgkmcnt(0)
	flat_store_dword v[4:5], v97 offset:152
	flat_store_dword v[104:105], v99
.LBB88_652:
	s_or_b64 exec, exec, s[14:15]
	v_mov_b32_e32 v97, v96
	v_mov_b32_e32 v99, v96
.LBB88_653:
	s_or_b64 exec, exec, s[2:3]
.LBB88_654:
	s_andn2_saveexec_b64 s[0:1], s[0:1]
	s_cbranch_execz .LBB88_656
; %bb.655:
	v_mov_b32_e32 v99, 38
	ds_write2_b64 v98, v[12:13], v[10:11] offset0:39 offset1:40
	ds_write2_b64 v98, v[6:7], v[8:9] offset0:41 offset1:42
	;; [unrolled: 1-line block ×3, first 2 shown]
.LBB88_656:
	s_or_b64 exec, exec, s[0:1]
	v_cmp_lt_i32_e32 vcc, 38, v99
	s_waitcnt lgkmcnt(0)
	s_barrier
	s_and_saveexec_b64 s[0:1], vcc
	s_cbranch_execz .LBB88_658
; %bb.657:
	ds_read2_b64 v[104:107], v98 offset0:39 offset1:40
	ds_read2_b64 v[108:111], v98 offset0:41 offset1:42
	;; [unrolled: 1-line block ×3, first 2 shown]
	v_mul_f64 v[14:15], v[94:95], v[14:15]
	s_waitcnt lgkmcnt(0)
	v_fma_f64 v[12:13], -v[14:15], v[104:105], v[12:13]
	v_fma_f64 v[10:11], -v[14:15], v[106:107], v[10:11]
	;; [unrolled: 1-line block ×6, first 2 shown]
.LBB88_658:
	s_or_b64 exec, exec, s[0:1]
	v_lshl_add_u32 v94, v99, 3, v98
	s_barrier
	ds_write_b64 v94, v[12:13]
	s_waitcnt lgkmcnt(0)
	s_barrier
	ds_read_b64 v[94:95], v98 offset:312
	s_cmp_lt_i32 s18, 41
	v_mov_b32_e32 v96, 39
	s_cbranch_scc1 .LBB88_661
; %bb.659:
	v_add_u32_e32 v103, 0x140, v98
	s_mov_b32 s0, 40
	v_mov_b32_e32 v96, 39
.LBB88_660:                             ; =>This Inner Loop Header: Depth=1
	ds_read_b64 v[104:105], v103
	v_mov_b32_e32 v106, s0
	s_add_i32 s0, s0, 1
	v_add_u32_e32 v103, 8, v103
	s_cmp_lg_u32 s18, s0
	s_waitcnt lgkmcnt(0)
	v_cmp_lt_f64_e64 vcc, |v[94:95]|, |v[104:105]|
	v_cndmask_b32_e32 v95, v95, v105, vcc
	v_cndmask_b32_e32 v94, v94, v104, vcc
	v_cndmask_b32_e32 v96, v96, v106, vcc
	s_cbranch_scc1 .LBB88_660
.LBB88_661:
	s_waitcnt lgkmcnt(0)
	v_cmp_eq_f64_e32 vcc, 0, v[94:95]
	s_and_saveexec_b64 s[0:1], vcc
	s_xor_b64 s[0:1], exec, s[0:1]
; %bb.662:
	v_cmp_ne_u32_e32 vcc, 0, v102
	v_cndmask_b32_e32 v102, 40, v102, vcc
; %bb.663:
	s_andn2_saveexec_b64 s[0:1], s[0:1]
; %bb.664:
	v_div_scale_f64 v[104:105], s[2:3], v[94:95], v[94:95], 1.0
	v_rcp_f64_e32 v[106:107], v[104:105]
	v_div_scale_f64 v[108:109], vcc, 1.0, v[94:95], 1.0
	v_fma_f64 v[110:111], -v[104:105], v[106:107], 1.0
	v_fmac_f64_e32 v[106:107], v[106:107], v[110:111]
	v_fma_f64 v[110:111], -v[104:105], v[106:107], 1.0
	v_fmac_f64_e32 v[106:107], v[106:107], v[110:111]
	v_mul_f64 v[110:111], v[108:109], v[106:107]
	v_fma_f64 v[104:105], -v[104:105], v[110:111], v[108:109]
	v_div_fmas_f64 v[104:105], v[104:105], v[106:107], v[110:111]
	v_div_fixup_f64 v[94:95], v[104:105], v[94:95], 1.0
; %bb.665:
	s_or_b64 exec, exec, s[0:1]
	v_cmp_ne_u32_e32 vcc, v99, v96
	s_and_saveexec_b64 s[0:1], vcc
	s_xor_b64 s[0:1], exec, s[0:1]
	s_cbranch_execz .LBB88_671
; %bb.666:
	v_cmp_eq_u32_e32 vcc, 39, v99
	s_and_saveexec_b64 s[2:3], vcc
	s_cbranch_execz .LBB88_670
; %bb.667:
	v_cmp_ne_u32_e32 vcc, 39, v96
	s_xor_b64 s[14:15], s[6:7], -1
	s_and_b64 s[16:17], s[14:15], vcc
	s_and_saveexec_b64 s[14:15], s[16:17]
	s_cbranch_execz .LBB88_669
; %bb.668:
	v_ashrrev_i32_e32 v97, 31, v96
	v_lshlrev_b64 v[104:105], 2, v[96:97]
	v_add_co_u32_e32 v104, vcc, v4, v104
	v_addc_co_u32_e32 v105, vcc, v5, v105, vcc
	flat_load_dword v97, v[104:105]
	flat_load_dword v99, v[4:5] offset:156
	s_waitcnt vmcnt(0) lgkmcnt(0)
	flat_store_dword v[4:5], v97 offset:156
	flat_store_dword v[104:105], v99
.LBB88_669:
	s_or_b64 exec, exec, s[14:15]
	v_mov_b32_e32 v97, v96
	v_mov_b32_e32 v99, v96
.LBB88_670:
	s_or_b64 exec, exec, s[2:3]
.LBB88_671:
	s_andn2_saveexec_b64 s[0:1], s[0:1]
	s_cbranch_execz .LBB88_673
; %bb.672:
	v_mov_b32_e32 v104, v10
	v_mov_b32_e32 v105, v11
	;; [unrolled: 1-line block ×4, first 2 shown]
	ds_write2_b64 v98, v[104:105], v[106:107] offset0:40 offset1:41
	v_mov_b32_e32 v104, v8
	v_mov_b32_e32 v105, v9
	;; [unrolled: 1-line block ×5, first 2 shown]
	ds_write2_b64 v98, v[104:105], v[106:107] offset0:42 offset1:43
	ds_write_b64 v98, v[92:93] offset:352
.LBB88_673:
	s_or_b64 exec, exec, s[0:1]
	v_cmp_lt_i32_e32 vcc, 39, v99
	s_waitcnt lgkmcnt(0)
	s_barrier
	s_and_saveexec_b64 s[0:1], vcc
	s_cbranch_execz .LBB88_675
; %bb.674:
	ds_read2_b64 v[104:107], v98 offset0:40 offset1:41
	ds_read2_b64 v[108:111], v98 offset0:42 offset1:43
	v_mul_f64 v[12:13], v[94:95], v[12:13]
	ds_read_b64 v[94:95], v98 offset:352
	s_waitcnt lgkmcnt(0)
	v_fma_f64 v[10:11], -v[12:13], v[104:105], v[10:11]
	v_fma_f64 v[6:7], -v[12:13], v[106:107], v[6:7]
	;; [unrolled: 1-line block ×5, first 2 shown]
.LBB88_675:
	s_or_b64 exec, exec, s[0:1]
	v_lshl_add_u32 v94, v99, 3, v98
	s_barrier
	ds_write_b64 v94, v[10:11]
	s_waitcnt lgkmcnt(0)
	s_barrier
	ds_read_b64 v[94:95], v98 offset:320
	s_cmp_lt_i32 s18, 42
	v_mov_b32_e32 v96, 40
	s_cbranch_scc1 .LBB88_678
; %bb.676:
	v_add_u32_e32 v103, 0x148, v98
	s_mov_b32 s0, 41
	v_mov_b32_e32 v96, 40
.LBB88_677:                             ; =>This Inner Loop Header: Depth=1
	ds_read_b64 v[104:105], v103
	v_mov_b32_e32 v106, s0
	s_add_i32 s0, s0, 1
	v_add_u32_e32 v103, 8, v103
	s_cmp_lg_u32 s18, s0
	s_waitcnt lgkmcnt(0)
	v_cmp_lt_f64_e64 vcc, |v[94:95]|, |v[104:105]|
	v_cndmask_b32_e32 v95, v95, v105, vcc
	v_cndmask_b32_e32 v94, v94, v104, vcc
	;; [unrolled: 1-line block ×3, first 2 shown]
	s_cbranch_scc1 .LBB88_677
.LBB88_678:
	s_waitcnt lgkmcnt(0)
	v_cmp_eq_f64_e32 vcc, 0, v[94:95]
	s_and_saveexec_b64 s[0:1], vcc
	s_xor_b64 s[0:1], exec, s[0:1]
; %bb.679:
	v_cmp_ne_u32_e32 vcc, 0, v102
	v_cndmask_b32_e32 v102, 41, v102, vcc
; %bb.680:
	s_andn2_saveexec_b64 s[0:1], s[0:1]
; %bb.681:
	v_div_scale_f64 v[104:105], s[2:3], v[94:95], v[94:95], 1.0
	v_rcp_f64_e32 v[106:107], v[104:105]
	v_div_scale_f64 v[108:109], vcc, 1.0, v[94:95], 1.0
	v_fma_f64 v[110:111], -v[104:105], v[106:107], 1.0
	v_fmac_f64_e32 v[106:107], v[106:107], v[110:111]
	v_fma_f64 v[110:111], -v[104:105], v[106:107], 1.0
	v_fmac_f64_e32 v[106:107], v[106:107], v[110:111]
	v_mul_f64 v[110:111], v[108:109], v[106:107]
	v_fma_f64 v[104:105], -v[104:105], v[110:111], v[108:109]
	v_div_fmas_f64 v[104:105], v[104:105], v[106:107], v[110:111]
	v_div_fixup_f64 v[94:95], v[104:105], v[94:95], 1.0
; %bb.682:
	s_or_b64 exec, exec, s[0:1]
	v_cmp_ne_u32_e32 vcc, v99, v96
	s_and_saveexec_b64 s[0:1], vcc
	s_xor_b64 s[0:1], exec, s[0:1]
	s_cbranch_execz .LBB88_688
; %bb.683:
	v_cmp_eq_u32_e32 vcc, 40, v99
	s_and_saveexec_b64 s[2:3], vcc
	s_cbranch_execz .LBB88_687
; %bb.684:
	v_cmp_ne_u32_e32 vcc, 40, v96
	s_xor_b64 s[14:15], s[6:7], -1
	s_and_b64 s[16:17], s[14:15], vcc
	s_and_saveexec_b64 s[14:15], s[16:17]
	s_cbranch_execz .LBB88_686
; %bb.685:
	v_ashrrev_i32_e32 v97, 31, v96
	v_lshlrev_b64 v[104:105], 2, v[96:97]
	v_add_co_u32_e32 v104, vcc, v4, v104
	v_addc_co_u32_e32 v105, vcc, v5, v105, vcc
	flat_load_dword v97, v[104:105]
	flat_load_dword v99, v[4:5] offset:160
	s_waitcnt vmcnt(0) lgkmcnt(0)
	flat_store_dword v[4:5], v97 offset:160
	flat_store_dword v[104:105], v99
.LBB88_686:
	s_or_b64 exec, exec, s[14:15]
	v_mov_b32_e32 v97, v96
	v_mov_b32_e32 v99, v96
.LBB88_687:
	s_or_b64 exec, exec, s[2:3]
.LBB88_688:
	s_andn2_saveexec_b64 s[0:1], s[0:1]
	s_cbranch_execz .LBB88_690
; %bb.689:
	v_mov_b32_e32 v99, 40
	ds_write2_b64 v98, v[6:7], v[8:9] offset0:41 offset1:42
	ds_write2_b64 v98, v[0:1], v[92:93] offset0:43 offset1:44
.LBB88_690:
	s_or_b64 exec, exec, s[0:1]
	v_cmp_lt_i32_e32 vcc, 40, v99
	s_waitcnt lgkmcnt(0)
	s_barrier
	s_and_saveexec_b64 s[0:1], vcc
	s_cbranch_execz .LBB88_692
; %bb.691:
	ds_read2_b64 v[104:107], v98 offset0:41 offset1:42
	ds_read2_b64 v[108:111], v98 offset0:43 offset1:44
	v_mul_f64 v[10:11], v[94:95], v[10:11]
	s_waitcnt lgkmcnt(0)
	v_fma_f64 v[6:7], -v[10:11], v[104:105], v[6:7]
	v_fma_f64 v[8:9], -v[10:11], v[106:107], v[8:9]
	;; [unrolled: 1-line block ×4, first 2 shown]
.LBB88_692:
	s_or_b64 exec, exec, s[0:1]
	v_lshl_add_u32 v94, v99, 3, v98
	s_barrier
	ds_write_b64 v94, v[6:7]
	s_waitcnt lgkmcnt(0)
	s_barrier
	ds_read_b64 v[94:95], v98 offset:328
	s_cmp_lt_i32 s18, 43
	v_mov_b32_e32 v96, 41
	s_cbranch_scc1 .LBB88_695
; %bb.693:
	v_add_u32_e32 v103, 0x150, v98
	s_mov_b32 s0, 42
	v_mov_b32_e32 v96, 41
.LBB88_694:                             ; =>This Inner Loop Header: Depth=1
	ds_read_b64 v[104:105], v103
	v_mov_b32_e32 v106, s0
	s_add_i32 s0, s0, 1
	v_add_u32_e32 v103, 8, v103
	s_cmp_lg_u32 s18, s0
	s_waitcnt lgkmcnt(0)
	v_cmp_lt_f64_e64 vcc, |v[94:95]|, |v[104:105]|
	v_cndmask_b32_e32 v95, v95, v105, vcc
	v_cndmask_b32_e32 v94, v94, v104, vcc
	;; [unrolled: 1-line block ×3, first 2 shown]
	s_cbranch_scc1 .LBB88_694
.LBB88_695:
	s_waitcnt lgkmcnt(0)
	v_cmp_eq_f64_e32 vcc, 0, v[94:95]
	s_and_saveexec_b64 s[0:1], vcc
	s_xor_b64 s[0:1], exec, s[0:1]
; %bb.696:
	v_cmp_ne_u32_e32 vcc, 0, v102
	v_cndmask_b32_e32 v102, 42, v102, vcc
; %bb.697:
	s_andn2_saveexec_b64 s[0:1], s[0:1]
; %bb.698:
	v_div_scale_f64 v[104:105], s[2:3], v[94:95], v[94:95], 1.0
	v_rcp_f64_e32 v[106:107], v[104:105]
	v_div_scale_f64 v[108:109], vcc, 1.0, v[94:95], 1.0
	v_fma_f64 v[110:111], -v[104:105], v[106:107], 1.0
	v_fmac_f64_e32 v[106:107], v[106:107], v[110:111]
	v_fma_f64 v[110:111], -v[104:105], v[106:107], 1.0
	v_fmac_f64_e32 v[106:107], v[106:107], v[110:111]
	v_mul_f64 v[110:111], v[108:109], v[106:107]
	v_fma_f64 v[104:105], -v[104:105], v[110:111], v[108:109]
	v_div_fmas_f64 v[104:105], v[104:105], v[106:107], v[110:111]
	v_div_fixup_f64 v[94:95], v[104:105], v[94:95], 1.0
; %bb.699:
	s_or_b64 exec, exec, s[0:1]
	v_cmp_ne_u32_e32 vcc, v99, v96
	s_and_saveexec_b64 s[0:1], vcc
	s_xor_b64 s[0:1], exec, s[0:1]
	s_cbranch_execz .LBB88_705
; %bb.700:
	v_cmp_eq_u32_e32 vcc, 41, v99
	s_and_saveexec_b64 s[2:3], vcc
	s_cbranch_execz .LBB88_704
; %bb.701:
	v_cmp_ne_u32_e32 vcc, 41, v96
	s_xor_b64 s[14:15], s[6:7], -1
	s_and_b64 s[16:17], s[14:15], vcc
	s_and_saveexec_b64 s[14:15], s[16:17]
	s_cbranch_execz .LBB88_703
; %bb.702:
	v_ashrrev_i32_e32 v97, 31, v96
	v_lshlrev_b64 v[104:105], 2, v[96:97]
	v_add_co_u32_e32 v104, vcc, v4, v104
	v_addc_co_u32_e32 v105, vcc, v5, v105, vcc
	flat_load_dword v97, v[104:105]
	flat_load_dword v99, v[4:5] offset:164
	s_waitcnt vmcnt(0) lgkmcnt(0)
	flat_store_dword v[4:5], v97 offset:164
	flat_store_dword v[104:105], v99
.LBB88_703:
	s_or_b64 exec, exec, s[14:15]
	v_mov_b32_e32 v97, v96
	v_mov_b32_e32 v99, v96
.LBB88_704:
	s_or_b64 exec, exec, s[2:3]
.LBB88_705:
	s_andn2_saveexec_b64 s[0:1], s[0:1]
	s_cbranch_execz .LBB88_707
; %bb.706:
	v_mov_b32_e32 v104, v8
	v_mov_b32_e32 v105, v9
	;; [unrolled: 1-line block ×5, first 2 shown]
	ds_write2_b64 v98, v[104:105], v[106:107] offset0:42 offset1:43
	ds_write_b64 v98, v[92:93] offset:352
.LBB88_707:
	s_or_b64 exec, exec, s[0:1]
	v_cmp_lt_i32_e32 vcc, 41, v99
	s_waitcnt lgkmcnt(0)
	s_barrier
	s_and_saveexec_b64 s[0:1], vcc
	s_cbranch_execz .LBB88_709
; %bb.708:
	ds_read2_b64 v[104:107], v98 offset0:42 offset1:43
	ds_read_b64 v[108:109], v98 offset:352
	v_mul_f64 v[6:7], v[94:95], v[6:7]
	s_waitcnt lgkmcnt(0)
	v_fma_f64 v[8:9], -v[6:7], v[104:105], v[8:9]
	v_fma_f64 v[0:1], -v[6:7], v[106:107], v[0:1]
	;; [unrolled: 1-line block ×3, first 2 shown]
.LBB88_709:
	s_or_b64 exec, exec, s[0:1]
	v_lshl_add_u32 v94, v99, 3, v98
	s_barrier
	ds_write_b64 v94, v[8:9]
	s_waitcnt lgkmcnt(0)
	s_barrier
	ds_read_b64 v[94:95], v98 offset:336
	s_cmp_lt_i32 s18, 44
	v_mov_b32_e32 v96, 42
	s_cbranch_scc1 .LBB88_712
; %bb.710:
	v_add_u32_e32 v103, 0x158, v98
	s_mov_b32 s0, 43
	v_mov_b32_e32 v96, 42
.LBB88_711:                             ; =>This Inner Loop Header: Depth=1
	ds_read_b64 v[104:105], v103
	v_mov_b32_e32 v106, s0
	s_add_i32 s0, s0, 1
	v_add_u32_e32 v103, 8, v103
	s_cmp_lg_u32 s18, s0
	s_waitcnt lgkmcnt(0)
	v_cmp_lt_f64_e64 vcc, |v[94:95]|, |v[104:105]|
	v_cndmask_b32_e32 v95, v95, v105, vcc
	v_cndmask_b32_e32 v94, v94, v104, vcc
	;; [unrolled: 1-line block ×3, first 2 shown]
	s_cbranch_scc1 .LBB88_711
.LBB88_712:
	s_waitcnt lgkmcnt(0)
	v_cmp_eq_f64_e32 vcc, 0, v[94:95]
	s_and_saveexec_b64 s[0:1], vcc
	s_xor_b64 s[0:1], exec, s[0:1]
; %bb.713:
	v_cmp_ne_u32_e32 vcc, 0, v102
	v_cndmask_b32_e32 v102, 43, v102, vcc
; %bb.714:
	s_andn2_saveexec_b64 s[0:1], s[0:1]
; %bb.715:
	v_div_scale_f64 v[104:105], s[2:3], v[94:95], v[94:95], 1.0
	v_rcp_f64_e32 v[106:107], v[104:105]
	v_div_scale_f64 v[108:109], vcc, 1.0, v[94:95], 1.0
	v_fma_f64 v[110:111], -v[104:105], v[106:107], 1.0
	v_fmac_f64_e32 v[106:107], v[106:107], v[110:111]
	v_fma_f64 v[110:111], -v[104:105], v[106:107], 1.0
	v_fmac_f64_e32 v[106:107], v[106:107], v[110:111]
	v_mul_f64 v[110:111], v[108:109], v[106:107]
	v_fma_f64 v[104:105], -v[104:105], v[110:111], v[108:109]
	v_div_fmas_f64 v[104:105], v[104:105], v[106:107], v[110:111]
	v_div_fixup_f64 v[94:95], v[104:105], v[94:95], 1.0
; %bb.716:
	s_or_b64 exec, exec, s[0:1]
	v_cmp_ne_u32_e32 vcc, v99, v96
	s_and_saveexec_b64 s[0:1], vcc
	s_xor_b64 s[0:1], exec, s[0:1]
	s_cbranch_execz .LBB88_722
; %bb.717:
	v_cmp_eq_u32_e32 vcc, 42, v99
	s_and_saveexec_b64 s[2:3], vcc
	s_cbranch_execz .LBB88_721
; %bb.718:
	v_cmp_ne_u32_e32 vcc, 42, v96
	s_xor_b64 s[14:15], s[6:7], -1
	s_and_b64 s[16:17], s[14:15], vcc
	s_and_saveexec_b64 s[14:15], s[16:17]
	s_cbranch_execz .LBB88_720
; %bb.719:
	v_ashrrev_i32_e32 v97, 31, v96
	v_lshlrev_b64 v[104:105], 2, v[96:97]
	v_add_co_u32_e32 v104, vcc, v4, v104
	v_addc_co_u32_e32 v105, vcc, v5, v105, vcc
	flat_load_dword v97, v[104:105]
	flat_load_dword v99, v[4:5] offset:168
	s_waitcnt vmcnt(0) lgkmcnt(0)
	flat_store_dword v[4:5], v97 offset:168
	flat_store_dword v[104:105], v99
.LBB88_720:
	s_or_b64 exec, exec, s[14:15]
	v_mov_b32_e32 v97, v96
	v_mov_b32_e32 v99, v96
.LBB88_721:
	s_or_b64 exec, exec, s[2:3]
.LBB88_722:
	s_andn2_saveexec_b64 s[0:1], s[0:1]
	s_cbranch_execz .LBB88_724
; %bb.723:
	v_mov_b32_e32 v99, 42
	ds_write2_b64 v98, v[0:1], v[92:93] offset0:43 offset1:44
.LBB88_724:
	s_or_b64 exec, exec, s[0:1]
	v_cmp_lt_i32_e32 vcc, 42, v99
	s_waitcnt lgkmcnt(0)
	s_barrier
	s_and_saveexec_b64 s[0:1], vcc
	s_cbranch_execz .LBB88_726
; %bb.725:
	ds_read2_b64 v[104:107], v98 offset0:43 offset1:44
	v_mul_f64 v[8:9], v[94:95], v[8:9]
	s_waitcnt lgkmcnt(0)
	v_fma_f64 v[0:1], -v[8:9], v[104:105], v[0:1]
	v_fma_f64 v[92:93], -v[8:9], v[106:107], v[92:93]
.LBB88_726:
	s_or_b64 exec, exec, s[0:1]
	v_lshl_add_u32 v94, v99, 3, v98
	s_barrier
	ds_write_b64 v94, v[0:1]
	s_waitcnt lgkmcnt(0)
	s_barrier
	ds_read_b64 v[94:95], v98 offset:344
	s_cmp_lt_i32 s18, 45
	v_mov_b32_e32 v96, 43
	s_cbranch_scc1 .LBB88_729
; %bb.727:
	v_add_u32_e32 v103, 0x160, v98
	s_mov_b32 s0, 44
	v_mov_b32_e32 v96, 43
.LBB88_728:                             ; =>This Inner Loop Header: Depth=1
	ds_read_b64 v[104:105], v103
	v_mov_b32_e32 v106, s0
	s_add_i32 s0, s0, 1
	v_add_u32_e32 v103, 8, v103
	s_cmp_lg_u32 s18, s0
	s_waitcnt lgkmcnt(0)
	v_cmp_lt_f64_e64 vcc, |v[94:95]|, |v[104:105]|
	v_cndmask_b32_e32 v95, v95, v105, vcc
	v_cndmask_b32_e32 v94, v94, v104, vcc
	;; [unrolled: 1-line block ×3, first 2 shown]
	s_cbranch_scc1 .LBB88_728
.LBB88_729:
	s_waitcnt lgkmcnt(0)
	v_cmp_eq_f64_e32 vcc, 0, v[94:95]
	s_and_saveexec_b64 s[0:1], vcc
	s_xor_b64 s[0:1], exec, s[0:1]
; %bb.730:
	v_cmp_ne_u32_e32 vcc, 0, v102
	v_cndmask_b32_e32 v102, 44, v102, vcc
; %bb.731:
	s_andn2_saveexec_b64 s[0:1], s[0:1]
; %bb.732:
	v_div_scale_f64 v[104:105], s[2:3], v[94:95], v[94:95], 1.0
	v_rcp_f64_e32 v[106:107], v[104:105]
	v_div_scale_f64 v[108:109], vcc, 1.0, v[94:95], 1.0
	v_fma_f64 v[110:111], -v[104:105], v[106:107], 1.0
	v_fmac_f64_e32 v[106:107], v[106:107], v[110:111]
	v_fma_f64 v[110:111], -v[104:105], v[106:107], 1.0
	v_fmac_f64_e32 v[106:107], v[106:107], v[110:111]
	v_mul_f64 v[110:111], v[108:109], v[106:107]
	v_fma_f64 v[104:105], -v[104:105], v[110:111], v[108:109]
	v_div_fmas_f64 v[104:105], v[104:105], v[106:107], v[110:111]
	v_div_fixup_f64 v[94:95], v[104:105], v[94:95], 1.0
; %bb.733:
	s_or_b64 exec, exec, s[0:1]
	v_cmp_ne_u32_e32 vcc, v99, v96
	s_and_saveexec_b64 s[0:1], vcc
	s_xor_b64 s[0:1], exec, s[0:1]
	s_cbranch_execz .LBB88_739
; %bb.734:
	v_cmp_eq_u32_e32 vcc, 43, v99
	s_and_saveexec_b64 s[2:3], vcc
	s_cbranch_execz .LBB88_738
; %bb.735:
	v_cmp_ne_u32_e32 vcc, 43, v96
	s_xor_b64 s[14:15], s[6:7], -1
	s_and_b64 s[16:17], s[14:15], vcc
	s_and_saveexec_b64 s[14:15], s[16:17]
	s_cbranch_execz .LBB88_737
; %bb.736:
	v_ashrrev_i32_e32 v97, 31, v96
	v_lshlrev_b64 v[104:105], 2, v[96:97]
	v_add_co_u32_e32 v104, vcc, v4, v104
	v_addc_co_u32_e32 v105, vcc, v5, v105, vcc
	flat_load_dword v97, v[104:105]
	flat_load_dword v99, v[4:5] offset:172
	s_waitcnt vmcnt(0) lgkmcnt(0)
	flat_store_dword v[4:5], v97 offset:172
	flat_store_dword v[104:105], v99
.LBB88_737:
	s_or_b64 exec, exec, s[14:15]
	v_mov_b32_e32 v97, v96
	v_mov_b32_e32 v99, v96
.LBB88_738:
	s_or_b64 exec, exec, s[2:3]
.LBB88_739:
	s_andn2_saveexec_b64 s[0:1], s[0:1]
	s_cbranch_execz .LBB88_741
; %bb.740:
	v_mov_b32_e32 v99, 43
	ds_write_b64 v98, v[92:93] offset:352
.LBB88_741:
	s_or_b64 exec, exec, s[0:1]
	v_cmp_lt_i32_e32 vcc, 43, v99
	s_waitcnt lgkmcnt(0)
	s_barrier
	s_and_saveexec_b64 s[0:1], vcc
	s_cbranch_execz .LBB88_743
; %bb.742:
	ds_read_b64 v[104:105], v98 offset:352
	v_mul_f64 v[0:1], v[94:95], v[0:1]
	s_waitcnt lgkmcnt(0)
	v_fma_f64 v[92:93], -v[0:1], v[104:105], v[92:93]
.LBB88_743:
	s_or_b64 exec, exec, s[0:1]
	v_lshl_add_u32 v94, v99, 3, v98
	s_barrier
	ds_write_b64 v94, v[92:93]
	s_waitcnt lgkmcnt(0)
	s_barrier
	ds_read_b64 v[94:95], v98 offset:352
	s_cmp_lt_i32 s18, 46
	v_mov_b32_e32 v96, 44
	s_cbranch_scc1 .LBB88_746
; %bb.744:
	v_add_u32_e32 v98, 0x168, v98
	s_mov_b32 s0, 45
	v_mov_b32_e32 v96, 44
.LBB88_745:                             ; =>This Inner Loop Header: Depth=1
	ds_read_b64 v[104:105], v98
	v_mov_b32_e32 v103, s0
	s_add_i32 s0, s0, 1
	v_add_u32_e32 v98, 8, v98
	s_cmp_lg_u32 s18, s0
	s_waitcnt lgkmcnt(0)
	v_cmp_lt_f64_e64 vcc, |v[94:95]|, |v[104:105]|
	v_cndmask_b32_e32 v95, v95, v105, vcc
	v_cndmask_b32_e32 v94, v94, v104, vcc
	;; [unrolled: 1-line block ×3, first 2 shown]
	s_cbranch_scc1 .LBB88_745
.LBB88_746:
	s_waitcnt lgkmcnt(0)
	v_cmp_eq_f64_e32 vcc, 0, v[94:95]
	s_and_saveexec_b64 s[0:1], vcc
	s_xor_b64 s[0:1], exec, s[0:1]
; %bb.747:
	v_cmp_ne_u32_e32 vcc, 0, v102
	v_cndmask_b32_e32 v102, 45, v102, vcc
; %bb.748:
	s_andn2_saveexec_b64 s[0:1], s[0:1]
; %bb.749:
	v_div_scale_f64 v[104:105], s[2:3], v[94:95], v[94:95], 1.0
	v_rcp_f64_e32 v[106:107], v[104:105]
	v_div_scale_f64 v[108:109], vcc, 1.0, v[94:95], 1.0
	v_fma_f64 v[110:111], -v[104:105], v[106:107], 1.0
	v_fmac_f64_e32 v[106:107], v[106:107], v[110:111]
	v_fma_f64 v[110:111], -v[104:105], v[106:107], 1.0
	v_fmac_f64_e32 v[106:107], v[106:107], v[110:111]
	v_mul_f64 v[110:111], v[108:109], v[106:107]
	v_fma_f64 v[104:105], -v[104:105], v[110:111], v[108:109]
	v_div_fmas_f64 v[104:105], v[104:105], v[106:107], v[110:111]
	v_div_fixup_f64 v[94:95], v[104:105], v[94:95], 1.0
; %bb.750:
	s_or_b64 exec, exec, s[0:1]
	v_cmp_ne_u32_e32 vcc, v99, v96
	v_mov_b32_e32 v98, 44
	s_and_saveexec_b64 s[0:1], vcc
	s_cbranch_execz .LBB88_756
; %bb.751:
	v_cmp_eq_u32_e32 vcc, 44, v99
	s_and_saveexec_b64 s[2:3], vcc
	s_cbranch_execz .LBB88_755
; %bb.752:
	v_cmp_ne_u32_e32 vcc, 44, v96
	s_xor_b64 s[6:7], s[6:7], -1
	s_and_b64 s[14:15], s[6:7], vcc
	s_and_saveexec_b64 s[6:7], s[14:15]
	s_cbranch_execz .LBB88_754
; %bb.753:
	v_ashrrev_i32_e32 v97, 31, v96
	v_lshlrev_b64 v[98:99], 2, v[96:97]
	v_add_co_u32_e32 v98, vcc, v4, v98
	v_addc_co_u32_e32 v99, vcc, v5, v99, vcc
	flat_load_dword v97, v[98:99]
	flat_load_dword v103, v[4:5] offset:176
	s_waitcnt vmcnt(0) lgkmcnt(0)
	flat_store_dword v[4:5], v97 offset:176
	flat_store_dword v[98:99], v103
.LBB88_754:
	s_or_b64 exec, exec, s[6:7]
	v_mov_b32_e32 v97, v96
	v_mov_b32_e32 v99, v96
.LBB88_755:
	s_or_b64 exec, exec, s[2:3]
	v_mov_b32_e32 v98, v99
.LBB88_756:
	s_or_b64 exec, exec, s[0:1]
	s_load_dwordx8 s[0:7], s[4:5], 0x28
	v_cmp_gt_i32_e32 vcc, 45, v98
	v_ashrrev_i32_e32 v99, 31, v98
	s_waitcnt lgkmcnt(0)
	s_barrier
	s_barrier
	s_and_saveexec_b64 s[14:15], vcc
	s_cbranch_execz .LBB88_758
; %bb.757:
	v_mul_lo_u32 v96, v3, s4
	v_mul_lo_u32 v103, v2, s5
	v_mad_u64_u32 v[4:5], s[4:5], v2, s4, 0
	s_lshl_b64 s[2:3], s[2:3], 2
	v_add3_u32 v5, v5, v103, v96
	s_add_u32 s0, s2, s0
	v_lshlrev_b64 v[4:5], 2, v[4:5]
	s_addc_u32 s1, s3, s1
	v_mov_b32_e32 v96, s1
	v_add_co_u32_e32 v103, vcc, s0, v4
	v_addc_co_u32_e32 v96, vcc, v96, v5, vcc
	v_lshlrev_b64 v[4:5], 2, v[98:99]
	v_add_co_u32_e32 v4, vcc, v103, v4
	v_addc_co_u32_e32 v5, vcc, v96, v5, vcc
	v_add3_u32 v96, v97, s13, 1
	global_store_dword v[4:5], v96, off
.LBB88_758:
	s_or_b64 exec, exec, s[14:15]
	v_cmp_eq_u32_e32 vcc, 0, v98
	s_and_saveexec_b64 s[2:3], vcc
	s_cbranch_execz .LBB88_761
; %bb.759:
	v_lshlrev_b64 v[2:3], 2, v[2:3]
	v_mov_b32_e32 v4, s7
	v_add_co_u32_e32 v2, vcc, s6, v2
	v_addc_co_u32_e32 v3, vcc, v4, v3, vcc
	global_load_dword v4, v[2:3], off
	v_cmp_lt_i32_e64 s[0:1], 0, v102
	s_waitcnt vmcnt(0)
	v_cmp_eq_u32_e32 vcc, 0, v4
	s_and_b64 s[0:1], vcc, s[0:1]
	s_and_b64 exec, exec, s[0:1]
	s_cbranch_execz .LBB88_761
; %bb.760:
	v_add_u32_e32 v4, s13, v102
	global_store_dword v[2:3], v4, off
.LBB88_761:
	s_or_b64 exec, exec, s[2:3]
	v_mul_f64 v[2:3], v[94:95], v[92:93]
	v_cmp_lt_i32_e32 vcc, 44, v98
	v_lshlrev_b64 v[4:5], 3, v[98:99]
	v_cndmask_b32_e32 v3, v93, v3, vcc
	v_cndmask_b32_e32 v2, v92, v2, vcc
	v_add_co_u32_e32 v4, vcc, v100, v4
	v_addc_co_u32_e32 v5, vcc, v101, v5, vcc
	global_store_dwordx2 v[4:5], v[88:89], off
	v_mov_b32_e32 v88, s11
	v_add_co_u32_e32 v4, vcc, s10, v4
	v_addc_co_u32_e32 v5, vcc, v5, v88, vcc
	global_store_dwordx2 v[4:5], v[90:91], off
	v_add_u32_e32 v4, s12, v98
	v_ashrrev_i32_e32 v5, 31, v4
	v_lshlrev_b64 v[88:89], 3, v[4:5]
	v_add_co_u32_e32 v88, vcc, v100, v88
	v_add_u32_e32 v4, s8, v4
	v_addc_co_u32_e32 v89, vcc, v101, v89, vcc
	v_ashrrev_i32_e32 v5, 31, v4
	global_store_dwordx2 v[88:89], v[86:87], off
	v_lshlrev_b64 v[86:87], 3, v[4:5]
	v_add_co_u32_e32 v86, vcc, v100, v86
	v_add_u32_e32 v4, s8, v4
	v_addc_co_u32_e32 v87, vcc, v101, v87, vcc
	v_ashrrev_i32_e32 v5, 31, v4
	global_store_dwordx2 v[86:87], v[84:85], off
	;; [unrolled: 6-line block ×41, first 2 shown]
	v_lshlrev_b64 v[6:7], 3, v[4:5]
	v_add_co_u32_e32 v6, vcc, v100, v6
	v_addc_co_u32_e32 v7, vcc, v101, v7, vcc
	global_store_dwordx2 v[6:7], v[0:1], off
	v_add_u32_e32 v0, s8, v4
	v_ashrrev_i32_e32 v1, 31, v0
	v_lshlrev_b64 v[0:1], 3, v[0:1]
	v_add_co_u32_e32 v0, vcc, v100, v0
	v_addc_co_u32_e32 v1, vcc, v101, v1, vcc
	global_store_dwordx2 v[0:1], v[2:3], off
.LBB88_762:
	s_endpgm
	.section	.rodata,"a",@progbits
	.p2align	6, 0x0
	.amdhsa_kernel _ZN9rocsolver6v33100L18getf2_small_kernelILi45EdiiPKPdEEvT1_T3_lS5_lPS5_llPT2_S5_S5_S7_l
		.amdhsa_group_segment_fixed_size 0
		.amdhsa_private_segment_fixed_size 0
		.amdhsa_kernarg_size 352
		.amdhsa_user_sgpr_count 6
		.amdhsa_user_sgpr_private_segment_buffer 1
		.amdhsa_user_sgpr_dispatch_ptr 0
		.amdhsa_user_sgpr_queue_ptr 0
		.amdhsa_user_sgpr_kernarg_segment_ptr 1
		.amdhsa_user_sgpr_dispatch_id 0
		.amdhsa_user_sgpr_flat_scratch_init 0
		.amdhsa_user_sgpr_kernarg_preload_length 0
		.amdhsa_user_sgpr_kernarg_preload_offset 0
		.amdhsa_user_sgpr_private_segment_size 0
		.amdhsa_uses_dynamic_stack 0
		.amdhsa_system_sgpr_private_segment_wavefront_offset 0
		.amdhsa_system_sgpr_workgroup_id_x 1
		.amdhsa_system_sgpr_workgroup_id_y 1
		.amdhsa_system_sgpr_workgroup_id_z 0
		.amdhsa_system_sgpr_workgroup_info 0
		.amdhsa_system_vgpr_workitem_id 1
		.amdhsa_next_free_vgpr 154
		.amdhsa_next_free_sgpr 22
		.amdhsa_accum_offset 156
		.amdhsa_reserve_vcc 1
		.amdhsa_reserve_flat_scratch 0
		.amdhsa_float_round_mode_32 0
		.amdhsa_float_round_mode_16_64 0
		.amdhsa_float_denorm_mode_32 3
		.amdhsa_float_denorm_mode_16_64 3
		.amdhsa_dx10_clamp 1
		.amdhsa_ieee_mode 1
		.amdhsa_fp16_overflow 0
		.amdhsa_tg_split 0
		.amdhsa_exception_fp_ieee_invalid_op 0
		.amdhsa_exception_fp_denorm_src 0
		.amdhsa_exception_fp_ieee_div_zero 0
		.amdhsa_exception_fp_ieee_overflow 0
		.amdhsa_exception_fp_ieee_underflow 0
		.amdhsa_exception_fp_ieee_inexact 0
		.amdhsa_exception_int_div_zero 0
	.end_amdhsa_kernel
	.section	.text._ZN9rocsolver6v33100L18getf2_small_kernelILi45EdiiPKPdEEvT1_T3_lS5_lPS5_llPT2_S5_S5_S7_l,"axG",@progbits,_ZN9rocsolver6v33100L18getf2_small_kernelILi45EdiiPKPdEEvT1_T3_lS5_lPS5_llPT2_S5_S5_S7_l,comdat
.Lfunc_end88:
	.size	_ZN9rocsolver6v33100L18getf2_small_kernelILi45EdiiPKPdEEvT1_T3_lS5_lPS5_llPT2_S5_S5_S7_l, .Lfunc_end88-_ZN9rocsolver6v33100L18getf2_small_kernelILi45EdiiPKPdEEvT1_T3_lS5_lPS5_llPT2_S5_S5_S7_l
                                        ; -- End function
	.section	.AMDGPU.csdata,"",@progbits
; Kernel info:
; codeLenInByte = 41436
; NumSgprs: 26
; NumVgprs: 154
; NumAgprs: 0
; TotalNumVgprs: 154
; ScratchSize: 0
; MemoryBound: 0
; FloatMode: 240
; IeeeMode: 1
; LDSByteSize: 0 bytes/workgroup (compile time only)
; SGPRBlocks: 3
; VGPRBlocks: 19
; NumSGPRsForWavesPerEU: 26
; NumVGPRsForWavesPerEU: 154
; AccumOffset: 156
; Occupancy: 3
; WaveLimiterHint : 1
; COMPUTE_PGM_RSRC2:SCRATCH_EN: 0
; COMPUTE_PGM_RSRC2:USER_SGPR: 6
; COMPUTE_PGM_RSRC2:TRAP_HANDLER: 0
; COMPUTE_PGM_RSRC2:TGID_X_EN: 1
; COMPUTE_PGM_RSRC2:TGID_Y_EN: 1
; COMPUTE_PGM_RSRC2:TGID_Z_EN: 0
; COMPUTE_PGM_RSRC2:TIDIG_COMP_CNT: 1
; COMPUTE_PGM_RSRC3_GFX90A:ACCUM_OFFSET: 38
; COMPUTE_PGM_RSRC3_GFX90A:TG_SPLIT: 0
	.section	.text._ZN9rocsolver6v33100L23getf2_npvt_small_kernelILi45EdiiPKPdEEvT1_T3_lS5_lPT2_S5_S5_,"axG",@progbits,_ZN9rocsolver6v33100L23getf2_npvt_small_kernelILi45EdiiPKPdEEvT1_T3_lS5_lPT2_S5_S5_,comdat
	.globl	_ZN9rocsolver6v33100L23getf2_npvt_small_kernelILi45EdiiPKPdEEvT1_T3_lS5_lPT2_S5_S5_ ; -- Begin function _ZN9rocsolver6v33100L23getf2_npvt_small_kernelILi45EdiiPKPdEEvT1_T3_lS5_lPT2_S5_S5_
	.p2align	8
	.type	_ZN9rocsolver6v33100L23getf2_npvt_small_kernelILi45EdiiPKPdEEvT1_T3_lS5_lPT2_S5_S5_,@function
_ZN9rocsolver6v33100L23getf2_npvt_small_kernelILi45EdiiPKPdEEvT1_T3_lS5_lPT2_S5_S5_: ; @_ZN9rocsolver6v33100L23getf2_npvt_small_kernelILi45EdiiPKPdEEvT1_T3_lS5_lPT2_S5_S5_
; %bb.0:
	s_mov_b64 s[18:19], s[2:3]
	s_mov_b64 s[16:17], s[0:1]
	s_add_u32 s16, s16, s8
	s_load_dword s0, s[4:5], 0x44
	s_load_dwordx2 s[8:9], s[4:5], 0x30
	s_addc_u32 s17, s17, 0
	v_bfe_u32 v182, v0, 10, 10
	s_waitcnt lgkmcnt(0)
	s_lshr_b32 s6, s0, 16
	s_mul_i32 s7, s7, s6
	v_add_u32_e32 v2, s7, v182
	v_cmp_gt_i32_e32 vcc, s8, v2
	s_and_saveexec_b64 s[0:1], vcc
	s_cbranch_execz .LBB89_228
; %bb.1:
	s_load_dwordx4 s[12:15], s[4:5], 0x8
	s_load_dword s0, s[4:5], 0x18
	v_ashrrev_i32_e32 v3, 31, v2
	v_lshlrev_b64 v[4:5], 3, v[2:3]
	v_and_b32_e32 v198, 0x3ff, v0
	s_waitcnt lgkmcnt(0)
	v_mov_b32_e32 v1, s13
	v_add_co_u32_e32 v4, vcc, s12, v4
	v_addc_co_u32_e32 v5, vcc, v1, v5, vcc
	global_load_dwordx2 v[4:5], v[4:5], off
	s_add_i32 s1, s0, s0
	s_lshl_b64 s[2:3], s[14:15], 3
	v_add_u32_e32 v0, s1, v198
	v_mov_b32_e32 v25, s3
	v_ashrrev_i32_e32 v1, 31, v0
	v_add_u32_e32 v6, s0, v0
	v_lshlrev_b64 v[0:1], 3, v[0:1]
	v_ashrrev_i32_e32 v7, 31, v6
	v_add_u32_e32 v8, s0, v6
	v_lshlrev_b64 v[6:7], 3, v[6:7]
	;; [unrolled: 3-line block ×10, first 2 shown]
	v_add_u32_e32 v26, s0, v24
	v_ashrrev_i32_e32 v27, 31, v26
	v_add_u32_e32 v28, s0, v26
	v_ashrrev_i32_e32 v29, 31, v28
	v_add_u32_e32 v30, s0, v28
	v_ashrrev_i32_e32 v31, 31, v30
	v_add_u32_e32 v32, s0, v30
	v_ashrrev_i32_e32 v33, 31, v32
	v_add_u32_e32 v34, s0, v32
	v_ashrrev_i32_e32 v35, 31, v34
	v_add_u32_e32 v36, s0, v34
	v_ashrrev_i32_e32 v37, 31, v36
	v_add_u32_e32 v38, s0, v36
	v_ashrrev_i32_e32 v39, 31, v38
	v_add_u32_e32 v40, s0, v38
	v_ashrrev_i32_e32 v41, 31, v40
	v_add_u32_e32 v42, s0, v40
	v_ashrrev_i32_e32 v43, 31, v42
	v_add_u32_e32 v44, s0, v42
	v_ashrrev_i32_e32 v45, 31, v44
	v_add_u32_e32 v46, s0, v44
	v_ashrrev_i32_e32 v47, 31, v46
	v_add_u32_e32 v48, s0, v46
	v_ashrrev_i32_e32 v49, 31, v48
	v_add_u32_e32 v50, s0, v48
	v_ashrrev_i32_e32 v51, 31, v50
	v_add_u32_e32 v52, s0, v50
	v_ashrrev_i32_e32 v53, 31, v52
	v_add_u32_e32 v54, s0, v52
	v_ashrrev_i32_e32 v55, 31, v54
	v_add_u32_e32 v56, s0, v54
	v_ashrrev_i32_e32 v57, 31, v56
	v_add_u32_e32 v58, s0, v56
	v_ashrrev_i32_e32 v59, 31, v58
	v_add_u32_e32 v60, s0, v58
	v_ashrrev_i32_e32 v61, 31, v60
	v_add_u32_e32 v62, s0, v60
	v_ashrrev_i32_e32 v63, 31, v62
	v_add_u32_e32 v64, s0, v62
	v_ashrrev_i32_e32 v65, 31, v64
	v_add_u32_e32 v66, s0, v64
	v_ashrrev_i32_e32 v67, 31, v66
	v_add_u32_e32 v68, s0, v66
	v_ashrrev_i32_e32 v69, 31, v68
	v_add_u32_e32 v70, s0, v68
	s_waitcnt vmcnt(0)
	v_add_co_u32_e32 v88, vcc, s2, v4
	v_addc_co_u32_e32 v89, vcc, v5, v25, vcc
	v_add_co_u32_e32 v204, vcc, v88, v0
	v_addc_co_u32_e32 v205, vcc, v89, v1, vcc
	;; [unrolled: 2-line block ×10, first 2 shown]
	v_add_co_u32_e32 v20, vcc, v88, v22
	v_ashrrev_i32_e32 v25, 31, v24
	v_addc_co_u32_e32 v21, vcc, v89, v23, vcc
	v_lshlrev_b64 v[22:23], 3, v[24:25]
	v_add_co_u32_e32 v0, vcc, v88, v22
	v_addc_co_u32_e32 v1, vcc, v89, v23, vcc
	v_lshlrev_b64 v[24:25], 3, v[26:27]
	v_add_co_u32_e32 v22, vcc, v88, v24
	;; [unrolled: 3-line block ×23, first 2 shown]
	v_ashrrev_i32_e32 v71, 31, v70
	v_addc_co_u32_e32 v65, vcc, v89, v67, vcc
	v_lshlrev_b64 v[68:69], 3, v[70:71]
	v_add_u32_e32 v72, s0, v70
	v_add_co_u32_e32 v66, vcc, v88, v68
	v_ashrrev_i32_e32 v73, 31, v72
	v_addc_co_u32_e32 v67, vcc, v89, v69, vcc
	v_lshlrev_b64 v[70:71], 3, v[72:73]
	v_add_u32_e32 v74, s0, v72
	v_add_co_u32_e32 v68, vcc, v88, v70
	;; [unrolled: 5-line block ×9, first 2 shown]
	v_ashrrev_i32_e32 v87, 31, v86
	v_addc_co_u32_e32 v83, vcc, v89, v85, vcc
	v_lshlrev_b64 v[86:87], 3, v[86:87]
	v_add_co_u32_e32 v84, vcc, v88, v86
	v_addc_co_u32_e32 v85, vcc, v89, v87, vcc
	v_lshlrev_b32_e32 v90, 3, v198
	v_add_co_u32_e32 v88, vcc, v88, v90
	s_ashr_i32 s1, s0, 31
	v_addc_co_u32_e32 v89, vcc, 0, v89, vcc
	s_lshl_b64 s[0:1], s[0:1], 3
	v_mov_b32_e32 v91, s1
	v_add_co_u32_e32 v86, vcc, s0, v88
	v_addc_co_u32_e32 v87, vcc, v89, v91, vcc
	buffer_store_dword v88, off, s[16:19], 0 offset:8 ; 4-byte Folded Spill
	s_nop 0
	buffer_store_dword v89, off, s[16:19], 0 offset:12 ; 4-byte Folded Spill
	global_load_dwordx2 v[92:93], v[88:89], off
	global_load_dwordx2 v[136:137], v[86:87], off
	;; [unrolled: 1-line block ×17, first 2 shown]
	s_waitcnt vmcnt(0)
	buffer_store_dword v88, off, s[16:19], 0 ; 4-byte Folded Spill
	s_nop 0
	buffer_store_dword v89, off, s[16:19], 0 offset:4 ; 4-byte Folded Spill
	global_load_dwordx2 v[120:121], v[30:31], off
	global_load_dwordx2 v[162:163], v[32:33], off
	;; [unrolled: 1-line block ×28, first 2 shown]
	s_mulk_i32 s6, 0x168
	s_movk_i32 s0, 0x168
	s_add_i32 s1, s6, 0
	v_mad_u32_u24 v197, v182, s0, 0
	v_lshl_add_u32 v196, v182, 3, s1
	v_cmp_ne_u32_e64 s[2:3], 0, v198
	v_cmp_eq_u32_e64 s[0:1], 0, v198
	s_and_saveexec_b64 s[6:7], s[0:1]
	s_cbranch_execz .LBB89_4
; %bb.2:
	ds_write_b64 v196, v[92:93]
	ds_write2_b64 v197, v[136:137], v[178:179] offset0:1 offset1:2
	ds_write2_b64 v197, v[134:135], v[176:177] offset0:3 offset1:4
	;; [unrolled: 1-line block ×7, first 2 shown]
	buffer_load_dword v88, off, s[16:19], 0 ; 4-byte Folded Reload
	buffer_load_dword v89, off, s[16:19], 0 offset:4 ; 4-byte Folded Reload
	s_waitcnt vmcnt(0)
	ds_write2_b64 v197, v[122:123], v[88:89] offset0:15 offset1:16
	ds_write2_b64 v197, v[120:121], v[162:163] offset0:17 offset1:18
	;; [unrolled: 1-line block ×15, first 2 shown]
	ds_read_b64 v[182:183], v196
	s_waitcnt lgkmcnt(0)
	v_cmp_neq_f64_e32 vcc, 0, v[182:183]
	s_and_b64 exec, exec, vcc
	s_cbranch_execz .LBB89_4
; %bb.3:
	v_div_scale_f64 v[184:185], s[10:11], v[182:183], v[182:183], 1.0
	v_rcp_f64_e32 v[186:187], v[184:185]
	v_div_scale_f64 v[188:189], vcc, 1.0, v[182:183], 1.0
	v_fma_f64 v[190:191], -v[184:185], v[186:187], 1.0
	v_fmac_f64_e32 v[186:187], v[186:187], v[190:191]
	v_fma_f64 v[190:191], -v[184:185], v[186:187], 1.0
	v_fmac_f64_e32 v[186:187], v[186:187], v[190:191]
	v_mul_f64 v[190:191], v[188:189], v[186:187]
	v_fma_f64 v[184:185], -v[184:185], v[190:191], v[188:189]
	v_div_fmas_f64 v[184:185], v[184:185], v[186:187], v[190:191]
	v_div_fixup_f64 v[182:183], v[184:185], v[182:183], 1.0
	ds_write_b64 v196, v[182:183]
.LBB89_4:
	s_or_b64 exec, exec, s[6:7]
	s_waitcnt lgkmcnt(0)
	s_barrier
	ds_read_b64 v[206:207], v196
	s_and_saveexec_b64 s[6:7], s[2:3]
	s_cbranch_execz .LBB89_6
; %bb.5:
	ds_read2_b64 v[182:185], v197 offset0:1 offset1:2
	ds_read2_b64 v[186:189], v197 offset0:3 offset1:4
	s_waitcnt lgkmcnt(2)
	v_mul_f64 v[92:93], v[206:207], v[92:93]
	ds_read2_b64 v[190:193], v197 offset0:5 offset1:6
	s_waitcnt lgkmcnt(2)
	v_fma_f64 v[136:137], -v[92:93], v[182:183], v[136:137]
	v_fma_f64 v[178:179], -v[92:93], v[184:185], v[178:179]
	ds_read2_b64 v[182:185], v197 offset0:7 offset1:8
	s_waitcnt lgkmcnt(2)
	v_fma_f64 v[134:135], -v[92:93], v[186:187], v[134:135]
	v_fma_f64 v[176:177], -v[92:93], v[188:189], v[176:177]
	s_waitcnt lgkmcnt(1)
	v_fma_f64 v[132:133], -v[92:93], v[190:191], v[132:133]
	ds_read2_b64 v[186:189], v197 offset0:9 offset1:10
	v_fma_f64 v[174:175], -v[92:93], v[192:193], v[174:175]
	ds_read2_b64 v[190:193], v197 offset0:11 offset1:12
	s_waitcnt lgkmcnt(2)
	v_fma_f64 v[130:131], -v[92:93], v[182:183], v[130:131]
	v_fma_f64 v[172:173], -v[92:93], v[184:185], v[172:173]
	ds_read2_b64 v[182:185], v197 offset0:13 offset1:14
	s_waitcnt lgkmcnt(2)
	v_fma_f64 v[128:129], -v[92:93], v[186:187], v[128:129]
	;; [unrolled: 4-line block ×3, first 2 shown]
	v_fma_f64 v[168:169], -v[92:93], v[192:193], v[168:169]
	s_waitcnt lgkmcnt(1)
	v_fma_f64 v[124:125], -v[92:93], v[182:183], v[124:125]
	ds_read2_b64 v[190:193], v197 offset0:17 offset1:18
	v_fma_f64 v[166:167], -v[92:93], v[184:185], v[166:167]
	ds_read2_b64 v[182:185], v197 offset0:19 offset1:20
	buffer_load_dword v88, off, s[16:19], 0 ; 4-byte Folded Reload
	buffer_load_dword v89, off, s[16:19], 0 offset:4 ; 4-byte Folded Reload
	s_waitcnt lgkmcnt(2)
	v_fma_f64 v[122:123], -v[92:93], v[186:187], v[122:123]
	s_waitcnt vmcnt(29) lgkmcnt(1)
	v_fma_f64 v[120:121], -v[92:93], v[190:191], v[120:121]
	s_waitcnt vmcnt(28)
	v_fma_f64 v[162:163], -v[92:93], v[192:193], v[162:163]
	s_waitcnt vmcnt(27) lgkmcnt(0)
	v_fma_f64 v[118:119], -v[92:93], v[182:183], v[118:119]
	s_waitcnt vmcnt(26)
	v_fma_f64 v[160:161], -v[92:93], v[184:185], v[160:161]
	s_waitcnt vmcnt(0)
	v_fma_f64 v[88:89], -v[92:93], v[188:189], v[88:89]
	buffer_store_dword v88, off, s[16:19], 0 ; 4-byte Folded Spill
	s_nop 0
	buffer_store_dword v89, off, s[16:19], 0 offset:4 ; 4-byte Folded Spill
	ds_read2_b64 v[186:189], v197 offset0:21 offset1:22
	ds_read2_b64 v[190:193], v197 offset0:23 offset1:24
	;; [unrolled: 1-line block ×3, first 2 shown]
	s_waitcnt lgkmcnt(2)
	v_fma_f64 v[116:117], -v[92:93], v[186:187], v[116:117]
	v_fma_f64 v[158:159], -v[92:93], v[188:189], v[158:159]
	ds_read2_b64 v[186:189], v197 offset0:27 offset1:28
	s_waitcnt lgkmcnt(2)
	v_fma_f64 v[114:115], -v[92:93], v[190:191], v[114:115]
	v_fma_f64 v[156:157], -v[92:93], v[192:193], v[156:157]
	s_waitcnt lgkmcnt(1)
	v_fma_f64 v[112:113], -v[92:93], v[182:183], v[112:113]
	ds_read2_b64 v[190:193], v197 offset0:29 offset1:30
	v_fma_f64 v[154:155], -v[92:93], v[184:185], v[154:155]
	ds_read2_b64 v[182:185], v197 offset0:31 offset1:32
	s_waitcnt lgkmcnt(2)
	v_fma_f64 v[110:111], -v[92:93], v[186:187], v[110:111]
	v_fma_f64 v[152:153], -v[92:93], v[188:189], v[152:153]
	s_waitcnt lgkmcnt(1)
	v_fma_f64 v[108:109], -v[92:93], v[190:191], v[108:109]
	ds_read2_b64 v[186:189], v197 offset0:33 offset1:34
	v_fma_f64 v[150:151], -v[92:93], v[192:193], v[150:151]
	ds_read2_b64 v[190:193], v197 offset0:35 offset1:36
	s_waitcnt lgkmcnt(2)
	v_fma_f64 v[106:107], -v[92:93], v[182:183], v[106:107]
	v_fma_f64 v[148:149], -v[92:93], v[184:185], v[148:149]
	ds_read2_b64 v[182:185], v197 offset0:37 offset1:38
	s_waitcnt lgkmcnt(2)
	v_fma_f64 v[164:165], -v[92:93], v[186:187], v[164:165]
	;; [unrolled: 4-line block ×3, first 2 shown]
	v_fma_f64 v[144:145], -v[92:93], v[192:193], v[144:145]
	s_waitcnt lgkmcnt(1)
	v_fma_f64 v[100:101], -v[92:93], v[182:183], v[100:101]
	ds_read2_b64 v[190:193], v197 offset0:41 offset1:42
	v_fma_f64 v[142:143], -v[92:93], v[184:185], v[142:143]
	ds_read2_b64 v[182:185], v197 offset0:43 offset1:44
	s_waitcnt lgkmcnt(2)
	v_fma_f64 v[98:99], -v[92:93], v[186:187], v[98:99]
	v_fma_f64 v[140:141], -v[92:93], v[188:189], v[140:141]
	s_waitcnt lgkmcnt(1)
	v_fma_f64 v[96:97], -v[92:93], v[190:191], v[96:97]
	v_fma_f64 v[138:139], -v[92:93], v[192:193], v[138:139]
	;; [unrolled: 3-line block ×3, first 2 shown]
.LBB89_6:
	s_or_b64 exec, exec, s[6:7]
	v_cmp_eq_u32_e32 vcc, 1, v198
	s_waitcnt lgkmcnt(0)
	s_barrier
	s_and_saveexec_b64 s[2:3], vcc
	s_cbranch_execz .LBB89_9
; %bb.7:
	v_mov_b32_e32 v182, v178
	v_mov_b32_e32 v183, v179
	;; [unrolled: 1-line block ×4, first 2 shown]
	ds_write_b64 v196, v[136:137]
	ds_write2_b64 v197, v[182:183], v[184:185] offset0:2 offset1:3
	v_mov_b32_e32 v182, v176
	v_mov_b32_e32 v183, v177
	v_mov_b32_e32 v184, v132
	v_mov_b32_e32 v185, v133
	ds_write2_b64 v197, v[182:183], v[184:185] offset0:4 offset1:5
	v_mov_b32_e32 v182, v174
	v_mov_b32_e32 v183, v175
	v_mov_b32_e32 v184, v130
	v_mov_b32_e32 v185, v131
	;; [unrolled: 5-line block ×6, first 2 shown]
	ds_write2_b64 v197, v[182:183], v[184:185] offset0:14 offset1:15
	buffer_load_dword v182, off, s[16:19], 0 ; 4-byte Folded Reload
	buffer_load_dword v183, off, s[16:19], 0 offset:4 ; 4-byte Folded Reload
	s_waitcnt vmcnt(29)
	v_mov_b32_e32 v184, v120
	v_mov_b32_e32 v185, v121
	s_waitcnt vmcnt(0)
	ds_write2_b64 v197, v[182:183], v[184:185] offset0:16 offset1:17
	v_mov_b32_e32 v182, v162
	v_mov_b32_e32 v183, v163
	v_mov_b32_e32 v184, v118
	v_mov_b32_e32 v185, v119
	ds_write2_b64 v197, v[182:183], v[184:185] offset0:18 offset1:19
	v_mov_b32_e32 v182, v160
	v_mov_b32_e32 v183, v161
	v_mov_b32_e32 v184, v116
	v_mov_b32_e32 v185, v117
	;; [unrolled: 5-line block ×13, first 2 shown]
	ds_write2_b64 v197, v[182:183], v[184:185] offset0:42 offset1:43
	ds_write_b64 v197, v[180:181] offset:352
	ds_read_b64 v[182:183], v196
	s_waitcnt lgkmcnt(0)
	v_cmp_neq_f64_e32 vcc, 0, v[182:183]
	s_and_b64 exec, exec, vcc
	s_cbranch_execz .LBB89_9
; %bb.8:
	v_div_scale_f64 v[184:185], s[6:7], v[182:183], v[182:183], 1.0
	v_rcp_f64_e32 v[186:187], v[184:185]
	v_div_scale_f64 v[188:189], vcc, 1.0, v[182:183], 1.0
	v_fma_f64 v[190:191], -v[184:185], v[186:187], 1.0
	v_fmac_f64_e32 v[186:187], v[186:187], v[190:191]
	v_fma_f64 v[190:191], -v[184:185], v[186:187], 1.0
	v_fmac_f64_e32 v[186:187], v[186:187], v[190:191]
	v_mul_f64 v[190:191], v[188:189], v[186:187]
	v_fma_f64 v[184:185], -v[184:185], v[190:191], v[188:189]
	v_div_fmas_f64 v[184:185], v[184:185], v[186:187], v[190:191]
	v_div_fixup_f64 v[182:183], v[184:185], v[182:183], 1.0
	ds_write_b64 v196, v[182:183]
.LBB89_9:
	s_or_b64 exec, exec, s[2:3]
	s_waitcnt lgkmcnt(0)
	s_barrier
	ds_read_b64 v[208:209], v196
	v_cmp_lt_u32_e32 vcc, 1, v198
	s_and_saveexec_b64 s[2:3], vcc
	s_cbranch_execz .LBB89_11
; %bb.10:
	ds_read2_b64 v[182:185], v197 offset0:2 offset1:3
	ds_read2_b64 v[186:189], v197 offset0:4 offset1:5
	;; [unrolled: 1-line block ×3, first 2 shown]
	s_waitcnt lgkmcnt(3)
	v_mul_f64 v[136:137], v[208:209], v[136:137]
	s_waitcnt lgkmcnt(2)
	v_fma_f64 v[178:179], -v[136:137], v[182:183], v[178:179]
	v_fma_f64 v[134:135], -v[136:137], v[184:185], v[134:135]
	ds_read2_b64 v[182:185], v197 offset0:8 offset1:9
	s_waitcnt lgkmcnt(2)
	v_fma_f64 v[176:177], -v[136:137], v[186:187], v[176:177]
	v_fma_f64 v[132:133], -v[136:137], v[188:189], v[132:133]
	s_waitcnt lgkmcnt(1)
	v_fma_f64 v[174:175], -v[136:137], v[190:191], v[174:175]
	ds_read2_b64 v[186:189], v197 offset0:10 offset1:11
	v_fma_f64 v[130:131], -v[136:137], v[192:193], v[130:131]
	ds_read2_b64 v[190:193], v197 offset0:12 offset1:13
	s_waitcnt lgkmcnt(2)
	v_fma_f64 v[172:173], -v[136:137], v[182:183], v[172:173]
	v_fma_f64 v[128:129], -v[136:137], v[184:185], v[128:129]
	s_waitcnt lgkmcnt(1)
	v_fma_f64 v[170:171], -v[136:137], v[186:187], v[170:171]
	ds_read2_b64 v[182:185], v197 offset0:14 offset1:15
	v_fma_f64 v[126:127], -v[136:137], v[188:189], v[126:127]
	ds_read2_b64 v[186:189], v197 offset0:16 offset1:17
	s_waitcnt lgkmcnt(2)
	v_fma_f64 v[168:169], -v[136:137], v[190:191], v[168:169]
	v_fma_f64 v[124:125], -v[136:137], v[192:193], v[124:125]
	ds_read2_b64 v[190:193], v197 offset0:18 offset1:19
	buffer_load_dword v88, off, s[16:19], 0 ; 4-byte Folded Reload
	buffer_load_dword v89, off, s[16:19], 0 offset:4 ; 4-byte Folded Reload
	s_waitcnt lgkmcnt(2)
	v_fma_f64 v[166:167], -v[136:137], v[182:183], v[166:167]
	v_fma_f64 v[122:123], -v[136:137], v[184:185], v[122:123]
	s_waitcnt vmcnt(29) lgkmcnt(1)
	v_fma_f64 v[120:121], -v[136:137], v[188:189], v[120:121]
	s_waitcnt vmcnt(28) lgkmcnt(0)
	v_fma_f64 v[162:163], -v[136:137], v[190:191], v[162:163]
	s_waitcnt vmcnt(27)
	v_fma_f64 v[118:119], -v[136:137], v[192:193], v[118:119]
	s_waitcnt vmcnt(0)
	v_fma_f64 v[88:89], -v[136:137], v[186:187], v[88:89]
	buffer_store_dword v88, off, s[16:19], 0 ; 4-byte Folded Spill
	s_nop 0
	buffer_store_dword v89, off, s[16:19], 0 offset:4 ; 4-byte Folded Spill
	ds_read2_b64 v[182:185], v197 offset0:20 offset1:21
	ds_read2_b64 v[186:189], v197 offset0:22 offset1:23
	ds_read2_b64 v[190:193], v197 offset0:24 offset1:25
	s_waitcnt lgkmcnt(2)
	v_fma_f64 v[160:161], -v[136:137], v[182:183], v[160:161]
	v_fma_f64 v[116:117], -v[136:137], v[184:185], v[116:117]
	ds_read2_b64 v[182:185], v197 offset0:26 offset1:27
	s_waitcnt lgkmcnt(2)
	v_fma_f64 v[158:159], -v[136:137], v[186:187], v[158:159]
	v_fma_f64 v[114:115], -v[136:137], v[188:189], v[114:115]
	s_waitcnt lgkmcnt(1)
	v_fma_f64 v[156:157], -v[136:137], v[190:191], v[156:157]
	ds_read2_b64 v[186:189], v197 offset0:28 offset1:29
	v_fma_f64 v[112:113], -v[136:137], v[192:193], v[112:113]
	ds_read2_b64 v[190:193], v197 offset0:30 offset1:31
	s_waitcnt lgkmcnt(2)
	v_fma_f64 v[154:155], -v[136:137], v[182:183], v[154:155]
	v_fma_f64 v[110:111], -v[136:137], v[184:185], v[110:111]
	ds_read2_b64 v[182:185], v197 offset0:32 offset1:33
	s_waitcnt lgkmcnt(2)
	v_fma_f64 v[152:153], -v[136:137], v[186:187], v[152:153]
	;; [unrolled: 4-line block ×3, first 2 shown]
	v_fma_f64 v[106:107], -v[136:137], v[192:193], v[106:107]
	s_waitcnt lgkmcnt(1)
	v_fma_f64 v[148:149], -v[136:137], v[182:183], v[148:149]
	ds_read2_b64 v[190:193], v197 offset0:36 offset1:37
	v_fma_f64 v[164:165], -v[136:137], v[184:185], v[164:165]
	ds_read2_b64 v[182:185], v197 offset0:38 offset1:39
	s_waitcnt lgkmcnt(2)
	v_fma_f64 v[146:147], -v[136:137], v[186:187], v[146:147]
	v_fma_f64 v[102:103], -v[136:137], v[188:189], v[102:103]
	s_waitcnt lgkmcnt(1)
	v_fma_f64 v[144:145], -v[136:137], v[190:191], v[144:145]
	v_fma_f64 v[100:101], -v[136:137], v[192:193], v[100:101]
	ds_read2_b64 v[186:189], v197 offset0:40 offset1:41
	ds_read2_b64 v[190:193], v197 offset0:42 offset1:43
	s_waitcnt lgkmcnt(2)
	v_fma_f64 v[142:143], -v[136:137], v[182:183], v[142:143]
	ds_read_b64 v[182:183], v197 offset:352
	v_fma_f64 v[98:99], -v[136:137], v[184:185], v[98:99]
	s_waitcnt lgkmcnt(2)
	v_fma_f64 v[140:141], -v[136:137], v[186:187], v[140:141]
	v_fma_f64 v[96:97], -v[136:137], v[188:189], v[96:97]
	s_waitcnt lgkmcnt(1)
	v_fma_f64 v[138:139], -v[136:137], v[190:191], v[138:139]
	;; [unrolled: 3-line block ×3, first 2 shown]
.LBB89_11:
	s_or_b64 exec, exec, s[2:3]
	v_cmp_eq_u32_e32 vcc, 2, v198
	s_waitcnt lgkmcnt(0)
	s_barrier
	s_and_saveexec_b64 s[2:3], vcc
	s_cbranch_execz .LBB89_14
; %bb.12:
	ds_write_b64 v196, v[178:179]
	ds_write2_b64 v197, v[134:135], v[176:177] offset0:3 offset1:4
	ds_write2_b64 v197, v[132:133], v[174:175] offset0:5 offset1:6
	;; [unrolled: 1-line block ×6, first 2 shown]
	buffer_load_dword v88, off, s[16:19], 0 ; 4-byte Folded Reload
	buffer_load_dword v89, off, s[16:19], 0 offset:4 ; 4-byte Folded Reload
	s_waitcnt vmcnt(0)
	ds_write2_b64 v197, v[122:123], v[88:89] offset0:15 offset1:16
	ds_write2_b64 v197, v[120:121], v[162:163] offset0:17 offset1:18
	ds_write2_b64 v197, v[118:119], v[160:161] offset0:19 offset1:20
	ds_write2_b64 v197, v[116:117], v[158:159] offset0:21 offset1:22
	ds_write2_b64 v197, v[114:115], v[156:157] offset0:23 offset1:24
	ds_write2_b64 v197, v[112:113], v[154:155] offset0:25 offset1:26
	ds_write2_b64 v197, v[110:111], v[152:153] offset0:27 offset1:28
	ds_write2_b64 v197, v[108:109], v[150:151] offset0:29 offset1:30
	ds_write2_b64 v197, v[106:107], v[148:149] offset0:31 offset1:32
	ds_write2_b64 v197, v[164:165], v[146:147] offset0:33 offset1:34
	ds_write2_b64 v197, v[102:103], v[144:145] offset0:35 offset1:36
	ds_write2_b64 v197, v[100:101], v[142:143] offset0:37 offset1:38
	ds_write2_b64 v197, v[98:99], v[140:141] offset0:39 offset1:40
	ds_write2_b64 v197, v[96:97], v[138:139] offset0:41 offset1:42
	ds_write2_b64 v197, v[94:95], v[180:181] offset0:43 offset1:44
	ds_read_b64 v[182:183], v196
	s_waitcnt lgkmcnt(0)
	v_cmp_neq_f64_e32 vcc, 0, v[182:183]
	s_and_b64 exec, exec, vcc
	s_cbranch_execz .LBB89_14
; %bb.13:
	v_div_scale_f64 v[184:185], s[6:7], v[182:183], v[182:183], 1.0
	v_rcp_f64_e32 v[186:187], v[184:185]
	v_div_scale_f64 v[188:189], vcc, 1.0, v[182:183], 1.0
	v_fma_f64 v[190:191], -v[184:185], v[186:187], 1.0
	v_fmac_f64_e32 v[186:187], v[186:187], v[190:191]
	v_fma_f64 v[190:191], -v[184:185], v[186:187], 1.0
	v_fmac_f64_e32 v[186:187], v[186:187], v[190:191]
	v_mul_f64 v[190:191], v[188:189], v[186:187]
	v_fma_f64 v[184:185], -v[184:185], v[190:191], v[188:189]
	v_div_fmas_f64 v[184:185], v[184:185], v[186:187], v[190:191]
	v_div_fixup_f64 v[182:183], v[184:185], v[182:183], 1.0
	ds_write_b64 v196, v[182:183]
.LBB89_14:
	s_or_b64 exec, exec, s[2:3]
	s_waitcnt lgkmcnt(0)
	s_barrier
	ds_read_b64 v[210:211], v196
	v_cmp_lt_u32_e32 vcc, 2, v198
	s_and_saveexec_b64 s[2:3], vcc
	s_cbranch_execz .LBB89_16
; %bb.15:
	ds_read2_b64 v[182:185], v197 offset0:3 offset1:4
	ds_read2_b64 v[186:189], v197 offset0:5 offset1:6
	;; [unrolled: 1-line block ×3, first 2 shown]
	s_waitcnt lgkmcnt(3)
	v_mul_f64 v[178:179], v[210:211], v[178:179]
	s_waitcnt lgkmcnt(2)
	v_fma_f64 v[134:135], -v[178:179], v[182:183], v[134:135]
	v_fma_f64 v[176:177], -v[178:179], v[184:185], v[176:177]
	ds_read2_b64 v[182:185], v197 offset0:9 offset1:10
	s_waitcnt lgkmcnt(2)
	v_fma_f64 v[132:133], -v[178:179], v[186:187], v[132:133]
	v_fma_f64 v[174:175], -v[178:179], v[188:189], v[174:175]
	s_waitcnt lgkmcnt(1)
	v_fma_f64 v[130:131], -v[178:179], v[190:191], v[130:131]
	ds_read2_b64 v[186:189], v197 offset0:11 offset1:12
	v_fma_f64 v[172:173], -v[178:179], v[192:193], v[172:173]
	ds_read2_b64 v[190:193], v197 offset0:13 offset1:14
	s_waitcnt lgkmcnt(2)
	v_fma_f64 v[128:129], -v[178:179], v[182:183], v[128:129]
	v_fma_f64 v[170:171], -v[178:179], v[184:185], v[170:171]
	s_waitcnt lgkmcnt(1)
	v_fma_f64 v[126:127], -v[178:179], v[186:187], v[126:127]
	ds_read2_b64 v[182:185], v197 offset0:15 offset1:16
	v_fma_f64 v[168:169], -v[178:179], v[188:189], v[168:169]
	ds_read2_b64 v[186:189], v197 offset0:17 offset1:18
	s_waitcnt lgkmcnt(2)
	v_fma_f64 v[124:125], -v[178:179], v[190:191], v[124:125]
	v_fma_f64 v[166:167], -v[178:179], v[192:193], v[166:167]
	ds_read2_b64 v[190:193], v197 offset0:19 offset1:20
	buffer_load_dword v88, off, s[16:19], 0 ; 4-byte Folded Reload
	buffer_load_dword v89, off, s[16:19], 0 offset:4 ; 4-byte Folded Reload
	s_waitcnt lgkmcnt(2)
	v_fma_f64 v[122:123], -v[178:179], v[182:183], v[122:123]
	s_waitcnt vmcnt(29) lgkmcnt(1)
	v_fma_f64 v[120:121], -v[178:179], v[186:187], v[120:121]
	s_waitcnt vmcnt(28)
	v_fma_f64 v[162:163], -v[178:179], v[188:189], v[162:163]
	s_waitcnt vmcnt(27) lgkmcnt(0)
	v_fma_f64 v[118:119], -v[178:179], v[190:191], v[118:119]
	s_waitcnt vmcnt(26)
	v_fma_f64 v[160:161], -v[178:179], v[192:193], v[160:161]
	s_waitcnt vmcnt(0)
	v_fma_f64 v[88:89], -v[178:179], v[184:185], v[88:89]
	buffer_store_dword v88, off, s[16:19], 0 ; 4-byte Folded Spill
	s_nop 0
	buffer_store_dword v89, off, s[16:19], 0 offset:4 ; 4-byte Folded Spill
	ds_read2_b64 v[182:185], v197 offset0:21 offset1:22
	ds_read2_b64 v[186:189], v197 offset0:23 offset1:24
	;; [unrolled: 1-line block ×3, first 2 shown]
	s_waitcnt lgkmcnt(2)
	v_fma_f64 v[116:117], -v[178:179], v[182:183], v[116:117]
	v_fma_f64 v[158:159], -v[178:179], v[184:185], v[158:159]
	ds_read2_b64 v[182:185], v197 offset0:27 offset1:28
	s_waitcnt lgkmcnt(2)
	v_fma_f64 v[114:115], -v[178:179], v[186:187], v[114:115]
	v_fma_f64 v[156:157], -v[178:179], v[188:189], v[156:157]
	s_waitcnt lgkmcnt(1)
	v_fma_f64 v[112:113], -v[178:179], v[190:191], v[112:113]
	ds_read2_b64 v[186:189], v197 offset0:29 offset1:30
	v_fma_f64 v[154:155], -v[178:179], v[192:193], v[154:155]
	ds_read2_b64 v[190:193], v197 offset0:31 offset1:32
	s_waitcnt lgkmcnt(2)
	v_fma_f64 v[110:111], -v[178:179], v[182:183], v[110:111]
	v_fma_f64 v[152:153], -v[178:179], v[184:185], v[152:153]
	s_waitcnt lgkmcnt(1)
	v_fma_f64 v[108:109], -v[178:179], v[186:187], v[108:109]
	ds_read2_b64 v[182:185], v197 offset0:33 offset1:34
	v_fma_f64 v[150:151], -v[178:179], v[188:189], v[150:151]
	ds_read2_b64 v[186:189], v197 offset0:35 offset1:36
	s_waitcnt lgkmcnt(2)
	v_fma_f64 v[106:107], -v[178:179], v[190:191], v[106:107]
	v_fma_f64 v[148:149], -v[178:179], v[192:193], v[148:149]
	ds_read2_b64 v[190:193], v197 offset0:37 offset1:38
	s_waitcnt lgkmcnt(2)
	v_fma_f64 v[164:165], -v[178:179], v[182:183], v[164:165]
	;; [unrolled: 4-line block ×3, first 2 shown]
	v_fma_f64 v[144:145], -v[178:179], v[188:189], v[144:145]
	s_waitcnt lgkmcnt(1)
	v_fma_f64 v[100:101], -v[178:179], v[190:191], v[100:101]
	ds_read2_b64 v[186:189], v197 offset0:41 offset1:42
	v_fma_f64 v[142:143], -v[178:179], v[192:193], v[142:143]
	ds_read2_b64 v[190:193], v197 offset0:43 offset1:44
	s_waitcnt lgkmcnt(2)
	v_fma_f64 v[98:99], -v[178:179], v[182:183], v[98:99]
	v_fma_f64 v[140:141], -v[178:179], v[184:185], v[140:141]
	s_waitcnt lgkmcnt(1)
	v_fma_f64 v[96:97], -v[178:179], v[186:187], v[96:97]
	v_fma_f64 v[138:139], -v[178:179], v[188:189], v[138:139]
	;; [unrolled: 3-line block ×3, first 2 shown]
.LBB89_16:
	s_or_b64 exec, exec, s[2:3]
	v_cmp_eq_u32_e32 vcc, 3, v198
	s_waitcnt lgkmcnt(0)
	s_barrier
	s_and_saveexec_b64 s[2:3], vcc
	s_cbranch_execz .LBB89_19
; %bb.17:
	v_mov_b32_e32 v182, v176
	v_mov_b32_e32 v183, v177
	;; [unrolled: 1-line block ×4, first 2 shown]
	ds_write_b64 v196, v[134:135]
	ds_write2_b64 v197, v[182:183], v[184:185] offset0:4 offset1:5
	v_mov_b32_e32 v182, v174
	v_mov_b32_e32 v183, v175
	v_mov_b32_e32 v184, v130
	v_mov_b32_e32 v185, v131
	ds_write2_b64 v197, v[182:183], v[184:185] offset0:6 offset1:7
	v_mov_b32_e32 v182, v172
	v_mov_b32_e32 v183, v173
	v_mov_b32_e32 v184, v128
	v_mov_b32_e32 v185, v129
	;; [unrolled: 5-line block ×5, first 2 shown]
	ds_write2_b64 v197, v[182:183], v[184:185] offset0:14 offset1:15
	buffer_load_dword v182, off, s[16:19], 0 ; 4-byte Folded Reload
	buffer_load_dword v183, off, s[16:19], 0 offset:4 ; 4-byte Folded Reload
	s_waitcnt vmcnt(29)
	v_mov_b32_e32 v184, v120
	v_mov_b32_e32 v185, v121
	s_waitcnt vmcnt(0)
	ds_write2_b64 v197, v[182:183], v[184:185] offset0:16 offset1:17
	v_mov_b32_e32 v182, v162
	v_mov_b32_e32 v183, v163
	v_mov_b32_e32 v184, v118
	v_mov_b32_e32 v185, v119
	ds_write2_b64 v197, v[182:183], v[184:185] offset0:18 offset1:19
	v_mov_b32_e32 v182, v160
	v_mov_b32_e32 v183, v161
	v_mov_b32_e32 v184, v116
	v_mov_b32_e32 v185, v117
	;; [unrolled: 5-line block ×13, first 2 shown]
	ds_write2_b64 v197, v[182:183], v[184:185] offset0:42 offset1:43
	ds_write_b64 v197, v[180:181] offset:352
	ds_read_b64 v[182:183], v196
	s_waitcnt lgkmcnt(0)
	v_cmp_neq_f64_e32 vcc, 0, v[182:183]
	s_and_b64 exec, exec, vcc
	s_cbranch_execz .LBB89_19
; %bb.18:
	v_div_scale_f64 v[184:185], s[6:7], v[182:183], v[182:183], 1.0
	v_rcp_f64_e32 v[186:187], v[184:185]
	v_div_scale_f64 v[188:189], vcc, 1.0, v[182:183], 1.0
	v_fma_f64 v[190:191], -v[184:185], v[186:187], 1.0
	v_fmac_f64_e32 v[186:187], v[186:187], v[190:191]
	v_fma_f64 v[190:191], -v[184:185], v[186:187], 1.0
	v_fmac_f64_e32 v[186:187], v[186:187], v[190:191]
	v_mul_f64 v[190:191], v[188:189], v[186:187]
	v_fma_f64 v[184:185], -v[184:185], v[190:191], v[188:189]
	v_div_fmas_f64 v[184:185], v[184:185], v[186:187], v[190:191]
	v_div_fixup_f64 v[182:183], v[184:185], v[182:183], 1.0
	ds_write_b64 v196, v[182:183]
.LBB89_19:
	s_or_b64 exec, exec, s[2:3]
	s_waitcnt lgkmcnt(0)
	s_barrier
	ds_read_b64 v[212:213], v196
	v_cmp_lt_u32_e32 vcc, 3, v198
	s_and_saveexec_b64 s[2:3], vcc
	s_cbranch_execz .LBB89_21
; %bb.20:
	ds_read2_b64 v[182:185], v197 offset0:4 offset1:5
	ds_read2_b64 v[186:189], v197 offset0:6 offset1:7
	s_waitcnt lgkmcnt(2)
	v_mul_f64 v[134:135], v[212:213], v[134:135]
	ds_read2_b64 v[190:193], v197 offset0:8 offset1:9
	s_waitcnt lgkmcnt(2)
	v_fma_f64 v[176:177], -v[134:135], v[182:183], v[176:177]
	v_fma_f64 v[132:133], -v[134:135], v[184:185], v[132:133]
	ds_read2_b64 v[182:185], v197 offset0:10 offset1:11
	s_waitcnt lgkmcnt(2)
	v_fma_f64 v[174:175], -v[134:135], v[186:187], v[174:175]
	v_fma_f64 v[130:131], -v[134:135], v[188:189], v[130:131]
	;; [unrolled: 4-line block ×4, first 2 shown]
	s_waitcnt lgkmcnt(1)
	v_fma_f64 v[168:169], -v[134:135], v[186:187], v[168:169]
	ds_read2_b64 v[182:185], v197 offset0:16 offset1:17
	v_fma_f64 v[124:125], -v[134:135], v[188:189], v[124:125]
	ds_read2_b64 v[186:189], v197 offset0:18 offset1:19
	buffer_load_dword v88, off, s[16:19], 0 ; 4-byte Folded Reload
	buffer_load_dword v89, off, s[16:19], 0 offset:4 ; 4-byte Folded Reload
	s_waitcnt lgkmcnt(2)
	v_fma_f64 v[166:167], -v[134:135], v[190:191], v[166:167]
	v_fma_f64 v[122:123], -v[134:135], v[192:193], v[122:123]
	s_waitcnt vmcnt(29) lgkmcnt(1)
	v_fma_f64 v[120:121], -v[134:135], v[184:185], v[120:121]
	s_waitcnt vmcnt(28) lgkmcnt(0)
	v_fma_f64 v[162:163], -v[134:135], v[186:187], v[162:163]
	s_waitcnt vmcnt(27)
	v_fma_f64 v[118:119], -v[134:135], v[188:189], v[118:119]
	s_waitcnt vmcnt(0)
	v_fma_f64 v[88:89], -v[134:135], v[182:183], v[88:89]
	buffer_store_dword v88, off, s[16:19], 0 ; 4-byte Folded Spill
	s_nop 0
	buffer_store_dword v89, off, s[16:19], 0 offset:4 ; 4-byte Folded Spill
	ds_read2_b64 v[190:193], v197 offset0:20 offset1:21
	ds_read2_b64 v[182:185], v197 offset0:22 offset1:23
	;; [unrolled: 1-line block ×3, first 2 shown]
	s_waitcnt lgkmcnt(2)
	v_fma_f64 v[160:161], -v[134:135], v[190:191], v[160:161]
	v_fma_f64 v[116:117], -v[134:135], v[192:193], v[116:117]
	ds_read2_b64 v[190:193], v197 offset0:26 offset1:27
	s_waitcnt lgkmcnt(2)
	v_fma_f64 v[158:159], -v[134:135], v[182:183], v[158:159]
	v_fma_f64 v[114:115], -v[134:135], v[184:185], v[114:115]
	s_waitcnt lgkmcnt(1)
	v_fma_f64 v[156:157], -v[134:135], v[186:187], v[156:157]
	ds_read2_b64 v[182:185], v197 offset0:28 offset1:29
	v_fma_f64 v[112:113], -v[134:135], v[188:189], v[112:113]
	ds_read2_b64 v[186:189], v197 offset0:30 offset1:31
	s_waitcnt lgkmcnt(2)
	v_fma_f64 v[154:155], -v[134:135], v[190:191], v[154:155]
	v_fma_f64 v[110:111], -v[134:135], v[192:193], v[110:111]
	ds_read2_b64 v[190:193], v197 offset0:32 offset1:33
	s_waitcnt lgkmcnt(2)
	v_fma_f64 v[152:153], -v[134:135], v[182:183], v[152:153]
	;; [unrolled: 4-line block ×3, first 2 shown]
	v_fma_f64 v[106:107], -v[134:135], v[188:189], v[106:107]
	s_waitcnt lgkmcnt(1)
	v_fma_f64 v[148:149], -v[134:135], v[190:191], v[148:149]
	ds_read2_b64 v[186:189], v197 offset0:36 offset1:37
	v_fma_f64 v[164:165], -v[134:135], v[192:193], v[164:165]
	ds_read2_b64 v[190:193], v197 offset0:38 offset1:39
	s_waitcnt lgkmcnt(2)
	v_fma_f64 v[146:147], -v[134:135], v[182:183], v[146:147]
	v_fma_f64 v[102:103], -v[134:135], v[184:185], v[102:103]
	s_waitcnt lgkmcnt(1)
	v_fma_f64 v[144:145], -v[134:135], v[186:187], v[144:145]
	v_fma_f64 v[100:101], -v[134:135], v[188:189], v[100:101]
	ds_read2_b64 v[182:185], v197 offset0:40 offset1:41
	ds_read2_b64 v[186:189], v197 offset0:42 offset1:43
	s_waitcnt lgkmcnt(2)
	v_fma_f64 v[142:143], -v[134:135], v[190:191], v[142:143]
	ds_read_b64 v[190:191], v197 offset:352
	v_fma_f64 v[98:99], -v[134:135], v[192:193], v[98:99]
	s_waitcnt lgkmcnt(2)
	v_fma_f64 v[140:141], -v[134:135], v[182:183], v[140:141]
	v_fma_f64 v[96:97], -v[134:135], v[184:185], v[96:97]
	s_waitcnt lgkmcnt(1)
	v_fma_f64 v[138:139], -v[134:135], v[186:187], v[138:139]
	v_fma_f64 v[94:95], -v[134:135], v[188:189], v[94:95]
	s_waitcnt lgkmcnt(0)
	v_fma_f64 v[180:181], -v[134:135], v[190:191], v[180:181]
.LBB89_21:
	s_or_b64 exec, exec, s[2:3]
	v_cmp_eq_u32_e32 vcc, 4, v198
	s_waitcnt lgkmcnt(0)
	s_barrier
	s_and_saveexec_b64 s[2:3], vcc
	s_cbranch_execz .LBB89_24
; %bb.22:
	ds_write_b64 v196, v[176:177]
	ds_write2_b64 v197, v[132:133], v[174:175] offset0:5 offset1:6
	ds_write2_b64 v197, v[130:131], v[172:173] offset0:7 offset1:8
	;; [unrolled: 1-line block ×5, first 2 shown]
	buffer_load_dword v88, off, s[16:19], 0 ; 4-byte Folded Reload
	buffer_load_dword v89, off, s[16:19], 0 offset:4 ; 4-byte Folded Reload
	s_waitcnt vmcnt(0)
	ds_write2_b64 v197, v[122:123], v[88:89] offset0:15 offset1:16
	ds_write2_b64 v197, v[120:121], v[162:163] offset0:17 offset1:18
	;; [unrolled: 1-line block ×15, first 2 shown]
	ds_read_b64 v[182:183], v196
	s_waitcnt lgkmcnt(0)
	v_cmp_neq_f64_e32 vcc, 0, v[182:183]
	s_and_b64 exec, exec, vcc
	s_cbranch_execz .LBB89_24
; %bb.23:
	v_div_scale_f64 v[184:185], s[6:7], v[182:183], v[182:183], 1.0
	v_rcp_f64_e32 v[186:187], v[184:185]
	v_div_scale_f64 v[188:189], vcc, 1.0, v[182:183], 1.0
	v_fma_f64 v[190:191], -v[184:185], v[186:187], 1.0
	v_fmac_f64_e32 v[186:187], v[186:187], v[190:191]
	v_fma_f64 v[190:191], -v[184:185], v[186:187], 1.0
	v_fmac_f64_e32 v[186:187], v[186:187], v[190:191]
	v_mul_f64 v[190:191], v[188:189], v[186:187]
	v_fma_f64 v[184:185], -v[184:185], v[190:191], v[188:189]
	v_div_fmas_f64 v[184:185], v[184:185], v[186:187], v[190:191]
	v_div_fixup_f64 v[182:183], v[184:185], v[182:183], 1.0
	ds_write_b64 v196, v[182:183]
.LBB89_24:
	s_or_b64 exec, exec, s[2:3]
	s_waitcnt lgkmcnt(0)
	s_barrier
	ds_read_b64 v[214:215], v196
	v_cmp_lt_u32_e32 vcc, 4, v198
	s_and_saveexec_b64 s[2:3], vcc
	s_cbranch_execz .LBB89_26
; %bb.25:
	ds_read2_b64 v[182:185], v197 offset0:5 offset1:6
	ds_read2_b64 v[186:189], v197 offset0:7 offset1:8
	s_waitcnt lgkmcnt(2)
	v_mul_f64 v[176:177], v[214:215], v[176:177]
	ds_read2_b64 v[190:193], v197 offset0:9 offset1:10
	s_waitcnt lgkmcnt(2)
	v_fma_f64 v[132:133], -v[176:177], v[182:183], v[132:133]
	v_fma_f64 v[174:175], -v[176:177], v[184:185], v[174:175]
	ds_read2_b64 v[182:185], v197 offset0:11 offset1:12
	s_waitcnt lgkmcnt(2)
	v_fma_f64 v[130:131], -v[176:177], v[186:187], v[130:131]
	v_fma_f64 v[172:173], -v[176:177], v[188:189], v[172:173]
	;; [unrolled: 4-line block ×4, first 2 shown]
	s_waitcnt lgkmcnt(1)
	v_fma_f64 v[124:125], -v[176:177], v[186:187], v[124:125]
	ds_read2_b64 v[182:185], v197 offset0:17 offset1:18
	v_fma_f64 v[166:167], -v[176:177], v[188:189], v[166:167]
	ds_read2_b64 v[186:189], v197 offset0:19 offset1:20
	buffer_load_dword v88, off, s[16:19], 0 ; 4-byte Folded Reload
	buffer_load_dword v89, off, s[16:19], 0 offset:4 ; 4-byte Folded Reload
	s_waitcnt lgkmcnt(2)
	v_fma_f64 v[122:123], -v[176:177], v[190:191], v[122:123]
	s_waitcnt vmcnt(29) lgkmcnt(1)
	v_fma_f64 v[120:121], -v[176:177], v[182:183], v[120:121]
	s_waitcnt vmcnt(28)
	v_fma_f64 v[162:163], -v[176:177], v[184:185], v[162:163]
	s_waitcnt vmcnt(27) lgkmcnt(0)
	v_fma_f64 v[118:119], -v[176:177], v[186:187], v[118:119]
	s_waitcnt vmcnt(26)
	v_fma_f64 v[160:161], -v[176:177], v[188:189], v[160:161]
	s_waitcnt vmcnt(0)
	v_fma_f64 v[88:89], -v[176:177], v[192:193], v[88:89]
	buffer_store_dword v88, off, s[16:19], 0 ; 4-byte Folded Spill
	s_nop 0
	buffer_store_dword v89, off, s[16:19], 0 offset:4 ; 4-byte Folded Spill
	ds_read2_b64 v[190:193], v197 offset0:21 offset1:22
	ds_read2_b64 v[182:185], v197 offset0:23 offset1:24
	;; [unrolled: 1-line block ×3, first 2 shown]
	s_waitcnt lgkmcnt(2)
	v_fma_f64 v[116:117], -v[176:177], v[190:191], v[116:117]
	v_fma_f64 v[158:159], -v[176:177], v[192:193], v[158:159]
	ds_read2_b64 v[190:193], v197 offset0:27 offset1:28
	s_waitcnt lgkmcnt(2)
	v_fma_f64 v[114:115], -v[176:177], v[182:183], v[114:115]
	v_fma_f64 v[156:157], -v[176:177], v[184:185], v[156:157]
	s_waitcnt lgkmcnt(1)
	v_fma_f64 v[112:113], -v[176:177], v[186:187], v[112:113]
	ds_read2_b64 v[182:185], v197 offset0:29 offset1:30
	v_fma_f64 v[154:155], -v[176:177], v[188:189], v[154:155]
	ds_read2_b64 v[186:189], v197 offset0:31 offset1:32
	s_waitcnt lgkmcnt(2)
	v_fma_f64 v[110:111], -v[176:177], v[190:191], v[110:111]
	v_fma_f64 v[152:153], -v[176:177], v[192:193], v[152:153]
	s_waitcnt lgkmcnt(1)
	v_fma_f64 v[108:109], -v[176:177], v[182:183], v[108:109]
	ds_read2_b64 v[190:193], v197 offset0:33 offset1:34
	v_fma_f64 v[150:151], -v[176:177], v[184:185], v[150:151]
	ds_read2_b64 v[182:185], v197 offset0:35 offset1:36
	s_waitcnt lgkmcnt(2)
	v_fma_f64 v[106:107], -v[176:177], v[186:187], v[106:107]
	v_fma_f64 v[148:149], -v[176:177], v[188:189], v[148:149]
	ds_read2_b64 v[186:189], v197 offset0:37 offset1:38
	s_waitcnt lgkmcnt(2)
	v_fma_f64 v[164:165], -v[176:177], v[190:191], v[164:165]
	v_fma_f64 v[146:147], -v[176:177], v[192:193], v[146:147]
	s_waitcnt lgkmcnt(1)
	v_fma_f64 v[102:103], -v[176:177], v[182:183], v[102:103]
	v_fma_f64 v[144:145], -v[176:177], v[184:185], v[144:145]
	ds_read2_b64 v[182:185], v197 offset0:39 offset1:40
	s_waitcnt lgkmcnt(1)
	v_fma_f64 v[100:101], -v[176:177], v[186:187], v[100:101]
	ds_read2_b64 v[190:193], v197 offset0:41 offset1:42
	v_fma_f64 v[142:143], -v[176:177], v[188:189], v[142:143]
	ds_read2_b64 v[186:189], v197 offset0:43 offset1:44
	s_waitcnt lgkmcnt(2)
	v_fma_f64 v[98:99], -v[176:177], v[182:183], v[98:99]
	v_fma_f64 v[140:141], -v[176:177], v[184:185], v[140:141]
	s_waitcnt lgkmcnt(1)
	v_fma_f64 v[96:97], -v[176:177], v[190:191], v[96:97]
	v_fma_f64 v[138:139], -v[176:177], v[192:193], v[138:139]
	;; [unrolled: 3-line block ×3, first 2 shown]
.LBB89_26:
	s_or_b64 exec, exec, s[2:3]
	v_cmp_eq_u32_e32 vcc, 5, v198
	s_waitcnt lgkmcnt(0)
	s_barrier
	s_and_saveexec_b64 s[2:3], vcc
	s_cbranch_execz .LBB89_29
; %bb.27:
	v_mov_b32_e32 v182, v174
	v_mov_b32_e32 v183, v175
	;; [unrolled: 1-line block ×4, first 2 shown]
	ds_write_b64 v196, v[132:133]
	ds_write2_b64 v197, v[182:183], v[184:185] offset0:6 offset1:7
	v_mov_b32_e32 v182, v172
	v_mov_b32_e32 v183, v173
	v_mov_b32_e32 v184, v128
	v_mov_b32_e32 v185, v129
	ds_write2_b64 v197, v[182:183], v[184:185] offset0:8 offset1:9
	v_mov_b32_e32 v182, v170
	v_mov_b32_e32 v183, v171
	v_mov_b32_e32 v184, v126
	v_mov_b32_e32 v185, v127
	;; [unrolled: 5-line block ×4, first 2 shown]
	ds_write2_b64 v197, v[182:183], v[184:185] offset0:14 offset1:15
	buffer_load_dword v182, off, s[16:19], 0 ; 4-byte Folded Reload
	buffer_load_dword v183, off, s[16:19], 0 offset:4 ; 4-byte Folded Reload
	s_waitcnt vmcnt(29)
	v_mov_b32_e32 v184, v120
	v_mov_b32_e32 v185, v121
	s_waitcnt vmcnt(0)
	ds_write2_b64 v197, v[182:183], v[184:185] offset0:16 offset1:17
	v_mov_b32_e32 v182, v162
	v_mov_b32_e32 v183, v163
	v_mov_b32_e32 v184, v118
	v_mov_b32_e32 v185, v119
	ds_write2_b64 v197, v[182:183], v[184:185] offset0:18 offset1:19
	v_mov_b32_e32 v182, v160
	v_mov_b32_e32 v183, v161
	v_mov_b32_e32 v184, v116
	v_mov_b32_e32 v185, v117
	;; [unrolled: 5-line block ×13, first 2 shown]
	ds_write2_b64 v197, v[182:183], v[184:185] offset0:42 offset1:43
	ds_write_b64 v197, v[180:181] offset:352
	ds_read_b64 v[182:183], v196
	s_waitcnt lgkmcnt(0)
	v_cmp_neq_f64_e32 vcc, 0, v[182:183]
	s_and_b64 exec, exec, vcc
	s_cbranch_execz .LBB89_29
; %bb.28:
	v_div_scale_f64 v[184:185], s[6:7], v[182:183], v[182:183], 1.0
	v_rcp_f64_e32 v[186:187], v[184:185]
	v_div_scale_f64 v[188:189], vcc, 1.0, v[182:183], 1.0
	v_fma_f64 v[190:191], -v[184:185], v[186:187], 1.0
	v_fmac_f64_e32 v[186:187], v[186:187], v[190:191]
	v_fma_f64 v[190:191], -v[184:185], v[186:187], 1.0
	v_fmac_f64_e32 v[186:187], v[186:187], v[190:191]
	v_mul_f64 v[190:191], v[188:189], v[186:187]
	v_fma_f64 v[184:185], -v[184:185], v[190:191], v[188:189]
	v_div_fmas_f64 v[184:185], v[184:185], v[186:187], v[190:191]
	v_div_fixup_f64 v[182:183], v[184:185], v[182:183], 1.0
	ds_write_b64 v196, v[182:183]
.LBB89_29:
	s_or_b64 exec, exec, s[2:3]
	s_waitcnt lgkmcnt(0)
	s_barrier
	ds_read_b64 v[216:217], v196
	v_cmp_lt_u32_e32 vcc, 5, v198
	s_and_saveexec_b64 s[2:3], vcc
	s_cbranch_execz .LBB89_31
; %bb.30:
	ds_read2_b64 v[182:185], v197 offset0:6 offset1:7
	ds_read2_b64 v[186:189], v197 offset0:8 offset1:9
	s_waitcnt lgkmcnt(2)
	v_mul_f64 v[132:133], v[216:217], v[132:133]
	ds_read2_b64 v[190:193], v197 offset0:10 offset1:11
	s_waitcnt lgkmcnt(2)
	v_fma_f64 v[174:175], -v[132:133], v[182:183], v[174:175]
	v_fma_f64 v[130:131], -v[132:133], v[184:185], v[130:131]
	ds_read2_b64 v[182:185], v197 offset0:12 offset1:13
	s_waitcnt lgkmcnt(2)
	v_fma_f64 v[172:173], -v[132:133], v[186:187], v[172:173]
	v_fma_f64 v[128:129], -v[132:133], v[188:189], v[128:129]
	s_waitcnt lgkmcnt(1)
	v_fma_f64 v[170:171], -v[132:133], v[190:191], v[170:171]
	ds_read2_b64 v[186:189], v197 offset0:14 offset1:15
	v_fma_f64 v[126:127], -v[132:133], v[192:193], v[126:127]
	ds_read2_b64 v[190:193], v197 offset0:16 offset1:17
	s_waitcnt lgkmcnt(2)
	v_fma_f64 v[168:169], -v[132:133], v[182:183], v[168:169]
	v_fma_f64 v[124:125], -v[132:133], v[184:185], v[124:125]
	ds_read2_b64 v[182:185], v197 offset0:18 offset1:19
	buffer_load_dword v88, off, s[16:19], 0 ; 4-byte Folded Reload
	buffer_load_dword v89, off, s[16:19], 0 offset:4 ; 4-byte Folded Reload
	s_waitcnt lgkmcnt(2)
	v_fma_f64 v[166:167], -v[132:133], v[186:187], v[166:167]
	v_fma_f64 v[122:123], -v[132:133], v[188:189], v[122:123]
	s_waitcnt vmcnt(29) lgkmcnt(1)
	v_fma_f64 v[120:121], -v[132:133], v[192:193], v[120:121]
	s_waitcnt vmcnt(28) lgkmcnt(0)
	v_fma_f64 v[162:163], -v[132:133], v[182:183], v[162:163]
	s_waitcnt vmcnt(27)
	v_fma_f64 v[118:119], -v[132:133], v[184:185], v[118:119]
	s_waitcnt vmcnt(0)
	v_fma_f64 v[88:89], -v[132:133], v[190:191], v[88:89]
	buffer_store_dword v88, off, s[16:19], 0 ; 4-byte Folded Spill
	s_nop 0
	buffer_store_dword v89, off, s[16:19], 0 offset:4 ; 4-byte Folded Spill
	ds_read2_b64 v[186:189], v197 offset0:20 offset1:21
	ds_read2_b64 v[190:193], v197 offset0:22 offset1:23
	;; [unrolled: 1-line block ×3, first 2 shown]
	s_waitcnt lgkmcnt(2)
	v_fma_f64 v[160:161], -v[132:133], v[186:187], v[160:161]
	v_fma_f64 v[116:117], -v[132:133], v[188:189], v[116:117]
	ds_read2_b64 v[186:189], v197 offset0:26 offset1:27
	s_waitcnt lgkmcnt(2)
	v_fma_f64 v[158:159], -v[132:133], v[190:191], v[158:159]
	v_fma_f64 v[114:115], -v[132:133], v[192:193], v[114:115]
	s_waitcnt lgkmcnt(1)
	v_fma_f64 v[156:157], -v[132:133], v[182:183], v[156:157]
	ds_read2_b64 v[190:193], v197 offset0:28 offset1:29
	v_fma_f64 v[112:113], -v[132:133], v[184:185], v[112:113]
	ds_read2_b64 v[182:185], v197 offset0:30 offset1:31
	s_waitcnt lgkmcnt(2)
	v_fma_f64 v[154:155], -v[132:133], v[186:187], v[154:155]
	v_fma_f64 v[110:111], -v[132:133], v[188:189], v[110:111]
	ds_read2_b64 v[186:189], v197 offset0:32 offset1:33
	s_waitcnt lgkmcnt(2)
	v_fma_f64 v[152:153], -v[132:133], v[190:191], v[152:153]
	;; [unrolled: 4-line block ×3, first 2 shown]
	v_fma_f64 v[106:107], -v[132:133], v[184:185], v[106:107]
	s_waitcnt lgkmcnt(1)
	v_fma_f64 v[148:149], -v[132:133], v[186:187], v[148:149]
	ds_read2_b64 v[182:185], v197 offset0:36 offset1:37
	v_fma_f64 v[164:165], -v[132:133], v[188:189], v[164:165]
	ds_read2_b64 v[186:189], v197 offset0:38 offset1:39
	s_waitcnt lgkmcnt(2)
	v_fma_f64 v[146:147], -v[132:133], v[190:191], v[146:147]
	v_fma_f64 v[102:103], -v[132:133], v[192:193], v[102:103]
	s_waitcnt lgkmcnt(1)
	v_fma_f64 v[144:145], -v[132:133], v[182:183], v[144:145]
	v_fma_f64 v[100:101], -v[132:133], v[184:185], v[100:101]
	ds_read2_b64 v[182:185], v197 offset0:40 offset1:41
	ds_read2_b64 v[190:193], v197 offset0:42 offset1:43
	s_waitcnt lgkmcnt(2)
	v_fma_f64 v[142:143], -v[132:133], v[186:187], v[142:143]
	ds_read_b64 v[186:187], v197 offset:352
	v_fma_f64 v[98:99], -v[132:133], v[188:189], v[98:99]
	s_waitcnt lgkmcnt(2)
	v_fma_f64 v[140:141], -v[132:133], v[182:183], v[140:141]
	v_fma_f64 v[96:97], -v[132:133], v[184:185], v[96:97]
	s_waitcnt lgkmcnt(1)
	v_fma_f64 v[138:139], -v[132:133], v[190:191], v[138:139]
	;; [unrolled: 3-line block ×3, first 2 shown]
.LBB89_31:
	s_or_b64 exec, exec, s[2:3]
	v_cmp_eq_u32_e32 vcc, 6, v198
	s_waitcnt lgkmcnt(0)
	s_barrier
	s_and_saveexec_b64 s[2:3], vcc
	s_cbranch_execz .LBB89_34
; %bb.32:
	ds_write_b64 v196, v[174:175]
	ds_write2_b64 v197, v[130:131], v[172:173] offset0:7 offset1:8
	ds_write2_b64 v197, v[128:129], v[170:171] offset0:9 offset1:10
	;; [unrolled: 1-line block ×4, first 2 shown]
	buffer_load_dword v88, off, s[16:19], 0 ; 4-byte Folded Reload
	buffer_load_dword v89, off, s[16:19], 0 offset:4 ; 4-byte Folded Reload
	s_waitcnt vmcnt(0)
	ds_write2_b64 v197, v[122:123], v[88:89] offset0:15 offset1:16
	ds_write2_b64 v197, v[120:121], v[162:163] offset0:17 offset1:18
	;; [unrolled: 1-line block ×15, first 2 shown]
	ds_read_b64 v[182:183], v196
	s_waitcnt lgkmcnt(0)
	v_cmp_neq_f64_e32 vcc, 0, v[182:183]
	s_and_b64 exec, exec, vcc
	s_cbranch_execz .LBB89_34
; %bb.33:
	v_div_scale_f64 v[184:185], s[6:7], v[182:183], v[182:183], 1.0
	v_rcp_f64_e32 v[186:187], v[184:185]
	v_div_scale_f64 v[188:189], vcc, 1.0, v[182:183], 1.0
	v_fma_f64 v[190:191], -v[184:185], v[186:187], 1.0
	v_fmac_f64_e32 v[186:187], v[186:187], v[190:191]
	v_fma_f64 v[190:191], -v[184:185], v[186:187], 1.0
	v_fmac_f64_e32 v[186:187], v[186:187], v[190:191]
	v_mul_f64 v[190:191], v[188:189], v[186:187]
	v_fma_f64 v[184:185], -v[184:185], v[190:191], v[188:189]
	v_div_fmas_f64 v[184:185], v[184:185], v[186:187], v[190:191]
	v_div_fixup_f64 v[182:183], v[184:185], v[182:183], 1.0
	ds_write_b64 v196, v[182:183]
.LBB89_34:
	s_or_b64 exec, exec, s[2:3]
	s_waitcnt lgkmcnt(0)
	s_barrier
	ds_read_b64 v[218:219], v196
	v_cmp_lt_u32_e32 vcc, 6, v198
	s_and_saveexec_b64 s[2:3], vcc
	s_cbranch_execz .LBB89_36
; %bb.35:
	ds_read2_b64 v[182:185], v197 offset0:7 offset1:8
	ds_read2_b64 v[186:189], v197 offset0:9 offset1:10
	s_waitcnt lgkmcnt(2)
	v_mul_f64 v[174:175], v[218:219], v[174:175]
	ds_read2_b64 v[190:193], v197 offset0:11 offset1:12
	s_waitcnt lgkmcnt(2)
	v_fma_f64 v[130:131], -v[174:175], v[182:183], v[130:131]
	v_fma_f64 v[172:173], -v[174:175], v[184:185], v[172:173]
	ds_read2_b64 v[182:185], v197 offset0:13 offset1:14
	s_waitcnt lgkmcnt(2)
	v_fma_f64 v[128:129], -v[174:175], v[186:187], v[128:129]
	v_fma_f64 v[170:171], -v[174:175], v[188:189], v[170:171]
	s_waitcnt lgkmcnt(1)
	v_fma_f64 v[126:127], -v[174:175], v[190:191], v[126:127]
	ds_read2_b64 v[186:189], v197 offset0:15 offset1:16
	v_fma_f64 v[168:169], -v[174:175], v[192:193], v[168:169]
	ds_read2_b64 v[190:193], v197 offset0:17 offset1:18
	s_waitcnt lgkmcnt(2)
	v_fma_f64 v[124:125], -v[174:175], v[182:183], v[124:125]
	v_fma_f64 v[166:167], -v[174:175], v[184:185], v[166:167]
	ds_read2_b64 v[182:185], v197 offset0:19 offset1:20
	buffer_load_dword v88, off, s[16:19], 0 ; 4-byte Folded Reload
	buffer_load_dword v89, off, s[16:19], 0 offset:4 ; 4-byte Folded Reload
	s_waitcnt lgkmcnt(2)
	v_fma_f64 v[122:123], -v[174:175], v[186:187], v[122:123]
	s_waitcnt vmcnt(29) lgkmcnt(1)
	v_fma_f64 v[120:121], -v[174:175], v[190:191], v[120:121]
	s_waitcnt vmcnt(28)
	v_fma_f64 v[162:163], -v[174:175], v[192:193], v[162:163]
	s_waitcnt vmcnt(27) lgkmcnt(0)
	v_fma_f64 v[118:119], -v[174:175], v[182:183], v[118:119]
	s_waitcnt vmcnt(26)
	v_fma_f64 v[160:161], -v[174:175], v[184:185], v[160:161]
	s_waitcnt vmcnt(0)
	v_fma_f64 v[88:89], -v[174:175], v[188:189], v[88:89]
	buffer_store_dword v88, off, s[16:19], 0 ; 4-byte Folded Spill
	s_nop 0
	buffer_store_dword v89, off, s[16:19], 0 offset:4 ; 4-byte Folded Spill
	ds_read2_b64 v[186:189], v197 offset0:21 offset1:22
	ds_read2_b64 v[190:193], v197 offset0:23 offset1:24
	;; [unrolled: 1-line block ×3, first 2 shown]
	s_waitcnt lgkmcnt(2)
	v_fma_f64 v[116:117], -v[174:175], v[186:187], v[116:117]
	v_fma_f64 v[158:159], -v[174:175], v[188:189], v[158:159]
	ds_read2_b64 v[186:189], v197 offset0:27 offset1:28
	s_waitcnt lgkmcnt(2)
	v_fma_f64 v[114:115], -v[174:175], v[190:191], v[114:115]
	v_fma_f64 v[156:157], -v[174:175], v[192:193], v[156:157]
	s_waitcnt lgkmcnt(1)
	v_fma_f64 v[112:113], -v[174:175], v[182:183], v[112:113]
	ds_read2_b64 v[190:193], v197 offset0:29 offset1:30
	v_fma_f64 v[154:155], -v[174:175], v[184:185], v[154:155]
	ds_read2_b64 v[182:185], v197 offset0:31 offset1:32
	s_waitcnt lgkmcnt(2)
	v_fma_f64 v[110:111], -v[174:175], v[186:187], v[110:111]
	v_fma_f64 v[152:153], -v[174:175], v[188:189], v[152:153]
	s_waitcnt lgkmcnt(1)
	v_fma_f64 v[108:109], -v[174:175], v[190:191], v[108:109]
	ds_read2_b64 v[186:189], v197 offset0:33 offset1:34
	v_fma_f64 v[150:151], -v[174:175], v[192:193], v[150:151]
	ds_read2_b64 v[190:193], v197 offset0:35 offset1:36
	s_waitcnt lgkmcnt(2)
	v_fma_f64 v[106:107], -v[174:175], v[182:183], v[106:107]
	v_fma_f64 v[148:149], -v[174:175], v[184:185], v[148:149]
	ds_read2_b64 v[182:185], v197 offset0:37 offset1:38
	s_waitcnt lgkmcnt(2)
	v_fma_f64 v[164:165], -v[174:175], v[186:187], v[164:165]
	;; [unrolled: 4-line block ×3, first 2 shown]
	v_fma_f64 v[144:145], -v[174:175], v[192:193], v[144:145]
	s_waitcnt lgkmcnt(1)
	v_fma_f64 v[100:101], -v[174:175], v[182:183], v[100:101]
	ds_read2_b64 v[190:193], v197 offset0:41 offset1:42
	v_fma_f64 v[142:143], -v[174:175], v[184:185], v[142:143]
	ds_read2_b64 v[182:185], v197 offset0:43 offset1:44
	s_waitcnt lgkmcnt(2)
	v_fma_f64 v[98:99], -v[174:175], v[186:187], v[98:99]
	v_fma_f64 v[140:141], -v[174:175], v[188:189], v[140:141]
	s_waitcnt lgkmcnt(1)
	v_fma_f64 v[96:97], -v[174:175], v[190:191], v[96:97]
	v_fma_f64 v[138:139], -v[174:175], v[192:193], v[138:139]
	;; [unrolled: 3-line block ×3, first 2 shown]
.LBB89_36:
	s_or_b64 exec, exec, s[2:3]
	v_cmp_eq_u32_e32 vcc, 7, v198
	s_waitcnt lgkmcnt(0)
	s_barrier
	s_and_saveexec_b64 s[2:3], vcc
	s_cbranch_execz .LBB89_39
; %bb.37:
	v_mov_b32_e32 v182, v172
	v_mov_b32_e32 v183, v173
	;; [unrolled: 1-line block ×4, first 2 shown]
	ds_write_b64 v196, v[130:131]
	ds_write2_b64 v197, v[182:183], v[184:185] offset0:8 offset1:9
	v_mov_b32_e32 v182, v170
	v_mov_b32_e32 v183, v171
	v_mov_b32_e32 v184, v126
	v_mov_b32_e32 v185, v127
	ds_write2_b64 v197, v[182:183], v[184:185] offset0:10 offset1:11
	v_mov_b32_e32 v182, v168
	v_mov_b32_e32 v183, v169
	v_mov_b32_e32 v184, v124
	v_mov_b32_e32 v185, v125
	;; [unrolled: 5-line block ×3, first 2 shown]
	ds_write2_b64 v197, v[182:183], v[184:185] offset0:14 offset1:15
	buffer_load_dword v182, off, s[16:19], 0 ; 4-byte Folded Reload
	buffer_load_dword v183, off, s[16:19], 0 offset:4 ; 4-byte Folded Reload
	s_waitcnt vmcnt(29)
	v_mov_b32_e32 v184, v120
	v_mov_b32_e32 v185, v121
	s_waitcnt vmcnt(0)
	ds_write2_b64 v197, v[182:183], v[184:185] offset0:16 offset1:17
	v_mov_b32_e32 v182, v162
	v_mov_b32_e32 v183, v163
	v_mov_b32_e32 v184, v118
	v_mov_b32_e32 v185, v119
	ds_write2_b64 v197, v[182:183], v[184:185] offset0:18 offset1:19
	v_mov_b32_e32 v182, v160
	v_mov_b32_e32 v183, v161
	v_mov_b32_e32 v184, v116
	v_mov_b32_e32 v185, v117
	ds_write2_b64 v197, v[182:183], v[184:185] offset0:20 offset1:21
	v_mov_b32_e32 v182, v158
	v_mov_b32_e32 v183, v159
	v_mov_b32_e32 v184, v114
	v_mov_b32_e32 v185, v115
	ds_write2_b64 v197, v[182:183], v[184:185] offset0:22 offset1:23
	v_mov_b32_e32 v182, v156
	v_mov_b32_e32 v183, v157
	v_mov_b32_e32 v184, v112
	v_mov_b32_e32 v185, v113
	ds_write2_b64 v197, v[182:183], v[184:185] offset0:24 offset1:25
	v_mov_b32_e32 v182, v154
	v_mov_b32_e32 v183, v155
	v_mov_b32_e32 v184, v110
	v_mov_b32_e32 v185, v111
	ds_write2_b64 v197, v[182:183], v[184:185] offset0:26 offset1:27
	v_mov_b32_e32 v182, v152
	v_mov_b32_e32 v183, v153
	v_mov_b32_e32 v184, v108
	v_mov_b32_e32 v185, v109
	ds_write2_b64 v197, v[182:183], v[184:185] offset0:28 offset1:29
	v_mov_b32_e32 v182, v150
	v_mov_b32_e32 v183, v151
	v_mov_b32_e32 v184, v106
	v_mov_b32_e32 v185, v107
	ds_write2_b64 v197, v[182:183], v[184:185] offset0:30 offset1:31
	v_mov_b32_e32 v182, v148
	v_mov_b32_e32 v183, v149
	v_mov_b32_e32 v184, v164
	v_mov_b32_e32 v185, v165
	ds_write2_b64 v197, v[182:183], v[184:185] offset0:32 offset1:33
	v_mov_b32_e32 v182, v146
	v_mov_b32_e32 v183, v147
	v_mov_b32_e32 v184, v102
	v_mov_b32_e32 v185, v103
	ds_write2_b64 v197, v[182:183], v[184:185] offset0:34 offset1:35
	v_mov_b32_e32 v182, v144
	v_mov_b32_e32 v183, v145
	v_mov_b32_e32 v184, v100
	v_mov_b32_e32 v185, v101
	ds_write2_b64 v197, v[182:183], v[184:185] offset0:36 offset1:37
	v_mov_b32_e32 v182, v142
	v_mov_b32_e32 v183, v143
	v_mov_b32_e32 v184, v98
	v_mov_b32_e32 v185, v99
	ds_write2_b64 v197, v[182:183], v[184:185] offset0:38 offset1:39
	v_mov_b32_e32 v182, v140
	v_mov_b32_e32 v183, v141
	v_mov_b32_e32 v184, v96
	v_mov_b32_e32 v185, v97
	ds_write2_b64 v197, v[182:183], v[184:185] offset0:40 offset1:41
	v_mov_b32_e32 v182, v138
	v_mov_b32_e32 v183, v139
	v_mov_b32_e32 v184, v94
	v_mov_b32_e32 v185, v95
	ds_write2_b64 v197, v[182:183], v[184:185] offset0:42 offset1:43
	ds_write_b64 v197, v[180:181] offset:352
	ds_read_b64 v[182:183], v196
	s_waitcnt lgkmcnt(0)
	v_cmp_neq_f64_e32 vcc, 0, v[182:183]
	s_and_b64 exec, exec, vcc
	s_cbranch_execz .LBB89_39
; %bb.38:
	v_div_scale_f64 v[184:185], s[6:7], v[182:183], v[182:183], 1.0
	v_rcp_f64_e32 v[186:187], v[184:185]
	v_div_scale_f64 v[188:189], vcc, 1.0, v[182:183], 1.0
	v_fma_f64 v[190:191], -v[184:185], v[186:187], 1.0
	v_fmac_f64_e32 v[186:187], v[186:187], v[190:191]
	v_fma_f64 v[190:191], -v[184:185], v[186:187], 1.0
	v_fmac_f64_e32 v[186:187], v[186:187], v[190:191]
	v_mul_f64 v[190:191], v[188:189], v[186:187]
	v_fma_f64 v[184:185], -v[184:185], v[190:191], v[188:189]
	v_div_fmas_f64 v[184:185], v[184:185], v[186:187], v[190:191]
	v_div_fixup_f64 v[182:183], v[184:185], v[182:183], 1.0
	ds_write_b64 v196, v[182:183]
.LBB89_39:
	s_or_b64 exec, exec, s[2:3]
	s_waitcnt lgkmcnt(0)
	s_barrier
	ds_read_b64 v[220:221], v196
	v_cmp_lt_u32_e32 vcc, 7, v198
	s_and_saveexec_b64 s[2:3], vcc
	s_cbranch_execz .LBB89_41
; %bb.40:
	ds_read2_b64 v[182:185], v197 offset0:8 offset1:9
	ds_read2_b64 v[186:189], v197 offset0:10 offset1:11
	;; [unrolled: 1-line block ×3, first 2 shown]
	s_waitcnt lgkmcnt(3)
	v_mul_f64 v[130:131], v[220:221], v[130:131]
	s_waitcnt lgkmcnt(2)
	v_fma_f64 v[172:173], -v[130:131], v[182:183], v[172:173]
	v_fma_f64 v[128:129], -v[130:131], v[184:185], v[128:129]
	ds_read2_b64 v[182:185], v197 offset0:14 offset1:15
	s_waitcnt lgkmcnt(2)
	v_fma_f64 v[170:171], -v[130:131], v[186:187], v[170:171]
	v_fma_f64 v[126:127], -v[130:131], v[188:189], v[126:127]
	s_waitcnt lgkmcnt(1)
	v_fma_f64 v[168:169], -v[130:131], v[190:191], v[168:169]
	ds_read2_b64 v[186:189], v197 offset0:16 offset1:17
	v_fma_f64 v[124:125], -v[130:131], v[192:193], v[124:125]
	ds_read2_b64 v[190:193], v197 offset0:18 offset1:19
	buffer_load_dword v88, off, s[16:19], 0 ; 4-byte Folded Reload
	buffer_load_dword v89, off, s[16:19], 0 offset:4 ; 4-byte Folded Reload
	s_waitcnt lgkmcnt(2)
	v_fma_f64 v[166:167], -v[130:131], v[182:183], v[166:167]
	v_fma_f64 v[122:123], -v[130:131], v[184:185], v[122:123]
	s_waitcnt vmcnt(29) lgkmcnt(1)
	v_fma_f64 v[120:121], -v[130:131], v[188:189], v[120:121]
	s_waitcnt vmcnt(28) lgkmcnt(0)
	v_fma_f64 v[162:163], -v[130:131], v[190:191], v[162:163]
	s_waitcnt vmcnt(27)
	v_fma_f64 v[118:119], -v[130:131], v[192:193], v[118:119]
	s_waitcnt vmcnt(0)
	v_fma_f64 v[88:89], -v[130:131], v[186:187], v[88:89]
	buffer_store_dword v88, off, s[16:19], 0 ; 4-byte Folded Spill
	s_nop 0
	buffer_store_dword v89, off, s[16:19], 0 offset:4 ; 4-byte Folded Spill
	ds_read2_b64 v[182:185], v197 offset0:20 offset1:21
	ds_read2_b64 v[186:189], v197 offset0:22 offset1:23
	;; [unrolled: 1-line block ×3, first 2 shown]
	s_waitcnt lgkmcnt(2)
	v_fma_f64 v[160:161], -v[130:131], v[182:183], v[160:161]
	v_fma_f64 v[116:117], -v[130:131], v[184:185], v[116:117]
	ds_read2_b64 v[182:185], v197 offset0:26 offset1:27
	s_waitcnt lgkmcnt(2)
	v_fma_f64 v[158:159], -v[130:131], v[186:187], v[158:159]
	v_fma_f64 v[114:115], -v[130:131], v[188:189], v[114:115]
	s_waitcnt lgkmcnt(1)
	v_fma_f64 v[156:157], -v[130:131], v[190:191], v[156:157]
	ds_read2_b64 v[186:189], v197 offset0:28 offset1:29
	v_fma_f64 v[112:113], -v[130:131], v[192:193], v[112:113]
	ds_read2_b64 v[190:193], v197 offset0:30 offset1:31
	s_waitcnt lgkmcnt(2)
	v_fma_f64 v[154:155], -v[130:131], v[182:183], v[154:155]
	v_fma_f64 v[110:111], -v[130:131], v[184:185], v[110:111]
	ds_read2_b64 v[182:185], v197 offset0:32 offset1:33
	s_waitcnt lgkmcnt(2)
	v_fma_f64 v[152:153], -v[130:131], v[186:187], v[152:153]
	;; [unrolled: 4-line block ×3, first 2 shown]
	v_fma_f64 v[106:107], -v[130:131], v[192:193], v[106:107]
	s_waitcnt lgkmcnt(1)
	v_fma_f64 v[148:149], -v[130:131], v[182:183], v[148:149]
	ds_read2_b64 v[190:193], v197 offset0:36 offset1:37
	v_fma_f64 v[164:165], -v[130:131], v[184:185], v[164:165]
	ds_read2_b64 v[182:185], v197 offset0:38 offset1:39
	s_waitcnt lgkmcnt(2)
	v_fma_f64 v[146:147], -v[130:131], v[186:187], v[146:147]
	v_fma_f64 v[102:103], -v[130:131], v[188:189], v[102:103]
	s_waitcnt lgkmcnt(1)
	v_fma_f64 v[144:145], -v[130:131], v[190:191], v[144:145]
	v_fma_f64 v[100:101], -v[130:131], v[192:193], v[100:101]
	ds_read2_b64 v[186:189], v197 offset0:40 offset1:41
	ds_read2_b64 v[190:193], v197 offset0:42 offset1:43
	s_waitcnt lgkmcnt(2)
	v_fma_f64 v[142:143], -v[130:131], v[182:183], v[142:143]
	ds_read_b64 v[182:183], v197 offset:352
	v_fma_f64 v[98:99], -v[130:131], v[184:185], v[98:99]
	s_waitcnt lgkmcnt(2)
	v_fma_f64 v[140:141], -v[130:131], v[186:187], v[140:141]
	v_fma_f64 v[96:97], -v[130:131], v[188:189], v[96:97]
	s_waitcnt lgkmcnt(1)
	v_fma_f64 v[138:139], -v[130:131], v[190:191], v[138:139]
	;; [unrolled: 3-line block ×3, first 2 shown]
.LBB89_41:
	s_or_b64 exec, exec, s[2:3]
	v_cmp_eq_u32_e32 vcc, 8, v198
	s_waitcnt lgkmcnt(0)
	s_barrier
	s_and_saveexec_b64 s[2:3], vcc
	s_cbranch_execz .LBB89_44
; %bb.42:
	ds_write_b64 v196, v[172:173]
	ds_write2_b64 v197, v[128:129], v[170:171] offset0:9 offset1:10
	ds_write2_b64 v197, v[126:127], v[168:169] offset0:11 offset1:12
	;; [unrolled: 1-line block ×3, first 2 shown]
	buffer_load_dword v88, off, s[16:19], 0 ; 4-byte Folded Reload
	buffer_load_dword v89, off, s[16:19], 0 offset:4 ; 4-byte Folded Reload
	s_waitcnt vmcnt(0)
	ds_write2_b64 v197, v[122:123], v[88:89] offset0:15 offset1:16
	ds_write2_b64 v197, v[120:121], v[162:163] offset0:17 offset1:18
	;; [unrolled: 1-line block ×15, first 2 shown]
	ds_read_b64 v[182:183], v196
	s_waitcnt lgkmcnt(0)
	v_cmp_neq_f64_e32 vcc, 0, v[182:183]
	s_and_b64 exec, exec, vcc
	s_cbranch_execz .LBB89_44
; %bb.43:
	v_div_scale_f64 v[184:185], s[6:7], v[182:183], v[182:183], 1.0
	v_rcp_f64_e32 v[186:187], v[184:185]
	v_div_scale_f64 v[188:189], vcc, 1.0, v[182:183], 1.0
	v_fma_f64 v[190:191], -v[184:185], v[186:187], 1.0
	v_fmac_f64_e32 v[186:187], v[186:187], v[190:191]
	v_fma_f64 v[190:191], -v[184:185], v[186:187], 1.0
	v_fmac_f64_e32 v[186:187], v[186:187], v[190:191]
	v_mul_f64 v[190:191], v[188:189], v[186:187]
	v_fma_f64 v[184:185], -v[184:185], v[190:191], v[188:189]
	v_div_fmas_f64 v[184:185], v[184:185], v[186:187], v[190:191]
	v_div_fixup_f64 v[182:183], v[184:185], v[182:183], 1.0
	ds_write_b64 v196, v[182:183]
.LBB89_44:
	s_or_b64 exec, exec, s[2:3]
	s_waitcnt lgkmcnt(0)
	s_barrier
	ds_read_b64 v[222:223], v196
	v_cmp_lt_u32_e32 vcc, 8, v198
	s_and_saveexec_b64 s[2:3], vcc
	s_cbranch_execz .LBB89_46
; %bb.45:
	ds_read2_b64 v[182:185], v197 offset0:9 offset1:10
	ds_read2_b64 v[186:189], v197 offset0:11 offset1:12
	;; [unrolled: 1-line block ×3, first 2 shown]
	s_waitcnt lgkmcnt(3)
	v_mul_f64 v[172:173], v[222:223], v[172:173]
	s_waitcnt lgkmcnt(2)
	v_fma_f64 v[128:129], -v[172:173], v[182:183], v[128:129]
	v_fma_f64 v[170:171], -v[172:173], v[184:185], v[170:171]
	ds_read2_b64 v[182:185], v197 offset0:15 offset1:16
	s_waitcnt lgkmcnt(2)
	v_fma_f64 v[126:127], -v[172:173], v[186:187], v[126:127]
	v_fma_f64 v[168:169], -v[172:173], v[188:189], v[168:169]
	s_waitcnt lgkmcnt(1)
	v_fma_f64 v[124:125], -v[172:173], v[190:191], v[124:125]
	ds_read2_b64 v[186:189], v197 offset0:17 offset1:18
	v_fma_f64 v[166:167], -v[172:173], v[192:193], v[166:167]
	ds_read2_b64 v[190:193], v197 offset0:19 offset1:20
	buffer_load_dword v88, off, s[16:19], 0 ; 4-byte Folded Reload
	buffer_load_dword v89, off, s[16:19], 0 offset:4 ; 4-byte Folded Reload
	s_waitcnt lgkmcnt(2)
	v_fma_f64 v[122:123], -v[172:173], v[182:183], v[122:123]
	s_waitcnt vmcnt(29) lgkmcnt(1)
	v_fma_f64 v[120:121], -v[172:173], v[186:187], v[120:121]
	s_waitcnt vmcnt(28)
	v_fma_f64 v[162:163], -v[172:173], v[188:189], v[162:163]
	s_waitcnt vmcnt(27) lgkmcnt(0)
	v_fma_f64 v[118:119], -v[172:173], v[190:191], v[118:119]
	s_waitcnt vmcnt(26)
	v_fma_f64 v[160:161], -v[172:173], v[192:193], v[160:161]
	s_waitcnt vmcnt(0)
	v_fma_f64 v[88:89], -v[172:173], v[184:185], v[88:89]
	buffer_store_dword v88, off, s[16:19], 0 ; 4-byte Folded Spill
	s_nop 0
	buffer_store_dword v89, off, s[16:19], 0 offset:4 ; 4-byte Folded Spill
	ds_read2_b64 v[182:185], v197 offset0:21 offset1:22
	ds_read2_b64 v[186:189], v197 offset0:23 offset1:24
	;; [unrolled: 1-line block ×3, first 2 shown]
	s_waitcnt lgkmcnt(2)
	v_fma_f64 v[116:117], -v[172:173], v[182:183], v[116:117]
	v_fma_f64 v[158:159], -v[172:173], v[184:185], v[158:159]
	ds_read2_b64 v[182:185], v197 offset0:27 offset1:28
	s_waitcnt lgkmcnt(2)
	v_fma_f64 v[114:115], -v[172:173], v[186:187], v[114:115]
	v_fma_f64 v[156:157], -v[172:173], v[188:189], v[156:157]
	s_waitcnt lgkmcnt(1)
	v_fma_f64 v[112:113], -v[172:173], v[190:191], v[112:113]
	ds_read2_b64 v[186:189], v197 offset0:29 offset1:30
	v_fma_f64 v[154:155], -v[172:173], v[192:193], v[154:155]
	ds_read2_b64 v[190:193], v197 offset0:31 offset1:32
	s_waitcnt lgkmcnt(2)
	v_fma_f64 v[110:111], -v[172:173], v[182:183], v[110:111]
	v_fma_f64 v[152:153], -v[172:173], v[184:185], v[152:153]
	s_waitcnt lgkmcnt(1)
	v_fma_f64 v[108:109], -v[172:173], v[186:187], v[108:109]
	ds_read2_b64 v[182:185], v197 offset0:33 offset1:34
	v_fma_f64 v[150:151], -v[172:173], v[188:189], v[150:151]
	ds_read2_b64 v[186:189], v197 offset0:35 offset1:36
	s_waitcnt lgkmcnt(2)
	v_fma_f64 v[106:107], -v[172:173], v[190:191], v[106:107]
	v_fma_f64 v[148:149], -v[172:173], v[192:193], v[148:149]
	ds_read2_b64 v[190:193], v197 offset0:37 offset1:38
	s_waitcnt lgkmcnt(2)
	v_fma_f64 v[164:165], -v[172:173], v[182:183], v[164:165]
	;; [unrolled: 4-line block ×3, first 2 shown]
	v_fma_f64 v[144:145], -v[172:173], v[188:189], v[144:145]
	s_waitcnt lgkmcnt(1)
	v_fma_f64 v[100:101], -v[172:173], v[190:191], v[100:101]
	ds_read2_b64 v[186:189], v197 offset0:41 offset1:42
	v_fma_f64 v[142:143], -v[172:173], v[192:193], v[142:143]
	ds_read2_b64 v[190:193], v197 offset0:43 offset1:44
	s_waitcnt lgkmcnt(2)
	v_fma_f64 v[98:99], -v[172:173], v[182:183], v[98:99]
	v_fma_f64 v[140:141], -v[172:173], v[184:185], v[140:141]
	s_waitcnt lgkmcnt(1)
	v_fma_f64 v[96:97], -v[172:173], v[186:187], v[96:97]
	v_fma_f64 v[138:139], -v[172:173], v[188:189], v[138:139]
	;; [unrolled: 3-line block ×3, first 2 shown]
.LBB89_46:
	s_or_b64 exec, exec, s[2:3]
	v_cmp_eq_u32_e32 vcc, 9, v198
	s_waitcnt lgkmcnt(0)
	s_barrier
	s_and_saveexec_b64 s[2:3], vcc
	s_cbranch_execz .LBB89_49
; %bb.47:
	v_mov_b32_e32 v182, v170
	v_mov_b32_e32 v183, v171
	;; [unrolled: 1-line block ×4, first 2 shown]
	ds_write_b64 v196, v[128:129]
	ds_write2_b64 v197, v[182:183], v[184:185] offset0:10 offset1:11
	v_mov_b32_e32 v182, v168
	v_mov_b32_e32 v183, v169
	;; [unrolled: 1-line block ×4, first 2 shown]
	ds_write2_b64 v197, v[182:183], v[184:185] offset0:12 offset1:13
	v_mov_b32_e32 v182, v166
	v_mov_b32_e32 v183, v167
	;; [unrolled: 1-line block ×4, first 2 shown]
	ds_write2_b64 v197, v[182:183], v[184:185] offset0:14 offset1:15
	buffer_load_dword v182, off, s[16:19], 0 ; 4-byte Folded Reload
	buffer_load_dword v183, off, s[16:19], 0 offset:4 ; 4-byte Folded Reload
	s_waitcnt vmcnt(29)
	v_mov_b32_e32 v184, v120
	v_mov_b32_e32 v185, v121
	s_waitcnt vmcnt(0)
	ds_write2_b64 v197, v[182:183], v[184:185] offset0:16 offset1:17
	v_mov_b32_e32 v182, v162
	v_mov_b32_e32 v183, v163
	v_mov_b32_e32 v184, v118
	v_mov_b32_e32 v185, v119
	ds_write2_b64 v197, v[182:183], v[184:185] offset0:18 offset1:19
	v_mov_b32_e32 v182, v160
	v_mov_b32_e32 v183, v161
	v_mov_b32_e32 v184, v116
	v_mov_b32_e32 v185, v117
	;; [unrolled: 5-line block ×13, first 2 shown]
	ds_write2_b64 v197, v[182:183], v[184:185] offset0:42 offset1:43
	ds_write_b64 v197, v[180:181] offset:352
	ds_read_b64 v[182:183], v196
	s_waitcnt lgkmcnt(0)
	v_cmp_neq_f64_e32 vcc, 0, v[182:183]
	s_and_b64 exec, exec, vcc
	s_cbranch_execz .LBB89_49
; %bb.48:
	v_div_scale_f64 v[184:185], s[6:7], v[182:183], v[182:183], 1.0
	v_rcp_f64_e32 v[186:187], v[184:185]
	v_div_scale_f64 v[188:189], vcc, 1.0, v[182:183], 1.0
	v_fma_f64 v[190:191], -v[184:185], v[186:187], 1.0
	v_fmac_f64_e32 v[186:187], v[186:187], v[190:191]
	v_fma_f64 v[190:191], -v[184:185], v[186:187], 1.0
	v_fmac_f64_e32 v[186:187], v[186:187], v[190:191]
	v_mul_f64 v[190:191], v[188:189], v[186:187]
	v_fma_f64 v[184:185], -v[184:185], v[190:191], v[188:189]
	v_div_fmas_f64 v[184:185], v[184:185], v[186:187], v[190:191]
	v_div_fixup_f64 v[182:183], v[184:185], v[182:183], 1.0
	ds_write_b64 v196, v[182:183]
.LBB89_49:
	s_or_b64 exec, exec, s[2:3]
	s_waitcnt lgkmcnt(0)
	s_barrier
	ds_read_b64 v[224:225], v196
	v_cmp_lt_u32_e32 vcc, 9, v198
	s_and_saveexec_b64 s[2:3], vcc
	s_cbranch_execz .LBB89_51
; %bb.50:
	ds_read2_b64 v[182:185], v197 offset0:10 offset1:11
	ds_read2_b64 v[186:189], v197 offset0:12 offset1:13
	s_waitcnt lgkmcnt(2)
	v_mul_f64 v[128:129], v[224:225], v[128:129]
	ds_read2_b64 v[190:193], v197 offset0:14 offset1:15
	s_waitcnt lgkmcnt(2)
	v_fma_f64 v[170:171], -v[128:129], v[182:183], v[170:171]
	v_fma_f64 v[126:127], -v[128:129], v[184:185], v[126:127]
	ds_read2_b64 v[182:185], v197 offset0:16 offset1:17
	s_waitcnt lgkmcnt(2)
	v_fma_f64 v[168:169], -v[128:129], v[186:187], v[168:169]
	v_fma_f64 v[124:125], -v[128:129], v[188:189], v[124:125]
	ds_read2_b64 v[186:189], v197 offset0:18 offset1:19
	buffer_load_dword v88, off, s[16:19], 0 ; 4-byte Folded Reload
	buffer_load_dword v89, off, s[16:19], 0 offset:4 ; 4-byte Folded Reload
	s_waitcnt lgkmcnt(2)
	v_fma_f64 v[166:167], -v[128:129], v[190:191], v[166:167]
	v_fma_f64 v[122:123], -v[128:129], v[192:193], v[122:123]
	s_waitcnt vmcnt(29) lgkmcnt(1)
	v_fma_f64 v[120:121], -v[128:129], v[184:185], v[120:121]
	s_waitcnt vmcnt(28) lgkmcnt(0)
	v_fma_f64 v[162:163], -v[128:129], v[186:187], v[162:163]
	s_waitcnt vmcnt(27)
	v_fma_f64 v[118:119], -v[128:129], v[188:189], v[118:119]
	s_waitcnt vmcnt(0)
	v_fma_f64 v[88:89], -v[128:129], v[182:183], v[88:89]
	buffer_store_dword v88, off, s[16:19], 0 ; 4-byte Folded Spill
	s_nop 0
	buffer_store_dword v89, off, s[16:19], 0 offset:4 ; 4-byte Folded Spill
	ds_read2_b64 v[190:193], v197 offset0:20 offset1:21
	ds_read2_b64 v[182:185], v197 offset0:22 offset1:23
	;; [unrolled: 1-line block ×3, first 2 shown]
	s_waitcnt lgkmcnt(2)
	v_fma_f64 v[160:161], -v[128:129], v[190:191], v[160:161]
	v_fma_f64 v[116:117], -v[128:129], v[192:193], v[116:117]
	ds_read2_b64 v[190:193], v197 offset0:26 offset1:27
	s_waitcnt lgkmcnt(2)
	v_fma_f64 v[158:159], -v[128:129], v[182:183], v[158:159]
	v_fma_f64 v[114:115], -v[128:129], v[184:185], v[114:115]
	s_waitcnt lgkmcnt(1)
	v_fma_f64 v[156:157], -v[128:129], v[186:187], v[156:157]
	ds_read2_b64 v[182:185], v197 offset0:28 offset1:29
	v_fma_f64 v[112:113], -v[128:129], v[188:189], v[112:113]
	ds_read2_b64 v[186:189], v197 offset0:30 offset1:31
	s_waitcnt lgkmcnt(2)
	v_fma_f64 v[154:155], -v[128:129], v[190:191], v[154:155]
	v_fma_f64 v[110:111], -v[128:129], v[192:193], v[110:111]
	ds_read2_b64 v[190:193], v197 offset0:32 offset1:33
	s_waitcnt lgkmcnt(2)
	v_fma_f64 v[152:153], -v[128:129], v[182:183], v[152:153]
	;; [unrolled: 4-line block ×3, first 2 shown]
	v_fma_f64 v[106:107], -v[128:129], v[188:189], v[106:107]
	s_waitcnt lgkmcnt(1)
	v_fma_f64 v[148:149], -v[128:129], v[190:191], v[148:149]
	ds_read2_b64 v[186:189], v197 offset0:36 offset1:37
	v_fma_f64 v[164:165], -v[128:129], v[192:193], v[164:165]
	ds_read2_b64 v[190:193], v197 offset0:38 offset1:39
	s_waitcnt lgkmcnt(2)
	v_fma_f64 v[146:147], -v[128:129], v[182:183], v[146:147]
	v_fma_f64 v[102:103], -v[128:129], v[184:185], v[102:103]
	s_waitcnt lgkmcnt(1)
	v_fma_f64 v[144:145], -v[128:129], v[186:187], v[144:145]
	v_fma_f64 v[100:101], -v[128:129], v[188:189], v[100:101]
	ds_read2_b64 v[182:185], v197 offset0:40 offset1:41
	ds_read2_b64 v[186:189], v197 offset0:42 offset1:43
	s_waitcnt lgkmcnt(2)
	v_fma_f64 v[142:143], -v[128:129], v[190:191], v[142:143]
	ds_read_b64 v[190:191], v197 offset:352
	v_fma_f64 v[98:99], -v[128:129], v[192:193], v[98:99]
	s_waitcnt lgkmcnt(2)
	v_fma_f64 v[140:141], -v[128:129], v[182:183], v[140:141]
	v_fma_f64 v[96:97], -v[128:129], v[184:185], v[96:97]
	s_waitcnt lgkmcnt(1)
	v_fma_f64 v[138:139], -v[128:129], v[186:187], v[138:139]
	;; [unrolled: 3-line block ×3, first 2 shown]
.LBB89_51:
	s_or_b64 exec, exec, s[2:3]
	v_cmp_eq_u32_e32 vcc, 10, v198
	s_waitcnt lgkmcnt(0)
	s_barrier
	s_and_saveexec_b64 s[2:3], vcc
	s_cbranch_execz .LBB89_54
; %bb.52:
	ds_write_b64 v196, v[170:171]
	ds_write2_b64 v197, v[126:127], v[168:169] offset0:11 offset1:12
	ds_write2_b64 v197, v[124:125], v[166:167] offset0:13 offset1:14
	buffer_load_dword v88, off, s[16:19], 0 ; 4-byte Folded Reload
	buffer_load_dword v89, off, s[16:19], 0 offset:4 ; 4-byte Folded Reload
	s_waitcnt vmcnt(0)
	ds_write2_b64 v197, v[122:123], v[88:89] offset0:15 offset1:16
	ds_write2_b64 v197, v[120:121], v[162:163] offset0:17 offset1:18
	;; [unrolled: 1-line block ×15, first 2 shown]
	ds_read_b64 v[182:183], v196
	s_waitcnt lgkmcnt(0)
	v_cmp_neq_f64_e32 vcc, 0, v[182:183]
	s_and_b64 exec, exec, vcc
	s_cbranch_execz .LBB89_54
; %bb.53:
	v_div_scale_f64 v[184:185], s[6:7], v[182:183], v[182:183], 1.0
	v_rcp_f64_e32 v[186:187], v[184:185]
	v_div_scale_f64 v[188:189], vcc, 1.0, v[182:183], 1.0
	v_fma_f64 v[190:191], -v[184:185], v[186:187], 1.0
	v_fmac_f64_e32 v[186:187], v[186:187], v[190:191]
	v_fma_f64 v[190:191], -v[184:185], v[186:187], 1.0
	v_fmac_f64_e32 v[186:187], v[186:187], v[190:191]
	v_mul_f64 v[190:191], v[188:189], v[186:187]
	v_fma_f64 v[184:185], -v[184:185], v[190:191], v[188:189]
	v_div_fmas_f64 v[184:185], v[184:185], v[186:187], v[190:191]
	v_div_fixup_f64 v[182:183], v[184:185], v[182:183], 1.0
	ds_write_b64 v196, v[182:183]
.LBB89_54:
	s_or_b64 exec, exec, s[2:3]
	s_waitcnt lgkmcnt(0)
	s_barrier
	ds_read_b64 v[226:227], v196
	v_cmp_lt_u32_e32 vcc, 10, v198
	s_and_saveexec_b64 s[2:3], vcc
	s_cbranch_execz .LBB89_56
; %bb.55:
	ds_read2_b64 v[182:185], v197 offset0:11 offset1:12
	ds_read2_b64 v[186:189], v197 offset0:13 offset1:14
	s_waitcnt lgkmcnt(2)
	v_mul_f64 v[170:171], v[226:227], v[170:171]
	ds_read2_b64 v[190:193], v197 offset0:15 offset1:16
	s_waitcnt lgkmcnt(2)
	v_fma_f64 v[126:127], -v[170:171], v[182:183], v[126:127]
	v_fma_f64 v[168:169], -v[170:171], v[184:185], v[168:169]
	ds_read2_b64 v[182:185], v197 offset0:17 offset1:18
	s_waitcnt lgkmcnt(2)
	v_fma_f64 v[124:125], -v[170:171], v[186:187], v[124:125]
	v_fma_f64 v[166:167], -v[170:171], v[188:189], v[166:167]
	ds_read2_b64 v[186:189], v197 offset0:19 offset1:20
	buffer_load_dword v88, off, s[16:19], 0 ; 4-byte Folded Reload
	buffer_load_dword v89, off, s[16:19], 0 offset:4 ; 4-byte Folded Reload
	s_waitcnt lgkmcnt(2)
	v_fma_f64 v[122:123], -v[170:171], v[190:191], v[122:123]
	s_waitcnt vmcnt(29) lgkmcnt(1)
	v_fma_f64 v[120:121], -v[170:171], v[182:183], v[120:121]
	s_waitcnt vmcnt(28)
	v_fma_f64 v[162:163], -v[170:171], v[184:185], v[162:163]
	s_waitcnt vmcnt(27) lgkmcnt(0)
	v_fma_f64 v[118:119], -v[170:171], v[186:187], v[118:119]
	s_waitcnt vmcnt(26)
	v_fma_f64 v[160:161], -v[170:171], v[188:189], v[160:161]
	s_waitcnt vmcnt(0)
	v_fma_f64 v[88:89], -v[170:171], v[192:193], v[88:89]
	buffer_store_dword v88, off, s[16:19], 0 ; 4-byte Folded Spill
	s_nop 0
	buffer_store_dword v89, off, s[16:19], 0 offset:4 ; 4-byte Folded Spill
	ds_read2_b64 v[190:193], v197 offset0:21 offset1:22
	ds_read2_b64 v[182:185], v197 offset0:23 offset1:24
	ds_read2_b64 v[186:189], v197 offset0:25 offset1:26
	s_waitcnt lgkmcnt(2)
	v_fma_f64 v[116:117], -v[170:171], v[190:191], v[116:117]
	v_fma_f64 v[158:159], -v[170:171], v[192:193], v[158:159]
	ds_read2_b64 v[190:193], v197 offset0:27 offset1:28
	s_waitcnt lgkmcnt(2)
	v_fma_f64 v[114:115], -v[170:171], v[182:183], v[114:115]
	v_fma_f64 v[156:157], -v[170:171], v[184:185], v[156:157]
	s_waitcnt lgkmcnt(1)
	v_fma_f64 v[112:113], -v[170:171], v[186:187], v[112:113]
	ds_read2_b64 v[182:185], v197 offset0:29 offset1:30
	v_fma_f64 v[154:155], -v[170:171], v[188:189], v[154:155]
	ds_read2_b64 v[186:189], v197 offset0:31 offset1:32
	s_waitcnt lgkmcnt(2)
	v_fma_f64 v[110:111], -v[170:171], v[190:191], v[110:111]
	v_fma_f64 v[152:153], -v[170:171], v[192:193], v[152:153]
	s_waitcnt lgkmcnt(1)
	v_fma_f64 v[108:109], -v[170:171], v[182:183], v[108:109]
	ds_read2_b64 v[190:193], v197 offset0:33 offset1:34
	v_fma_f64 v[150:151], -v[170:171], v[184:185], v[150:151]
	ds_read2_b64 v[182:185], v197 offset0:35 offset1:36
	s_waitcnt lgkmcnt(2)
	v_fma_f64 v[106:107], -v[170:171], v[186:187], v[106:107]
	v_fma_f64 v[148:149], -v[170:171], v[188:189], v[148:149]
	ds_read2_b64 v[186:189], v197 offset0:37 offset1:38
	s_waitcnt lgkmcnt(2)
	v_fma_f64 v[164:165], -v[170:171], v[190:191], v[164:165]
	v_fma_f64 v[146:147], -v[170:171], v[192:193], v[146:147]
	s_waitcnt lgkmcnt(1)
	v_fma_f64 v[102:103], -v[170:171], v[182:183], v[102:103]
	v_fma_f64 v[144:145], -v[170:171], v[184:185], v[144:145]
	ds_read2_b64 v[182:185], v197 offset0:39 offset1:40
	s_waitcnt lgkmcnt(1)
	v_fma_f64 v[100:101], -v[170:171], v[186:187], v[100:101]
	ds_read2_b64 v[190:193], v197 offset0:41 offset1:42
	v_fma_f64 v[142:143], -v[170:171], v[188:189], v[142:143]
	ds_read2_b64 v[186:189], v197 offset0:43 offset1:44
	s_waitcnt lgkmcnt(2)
	v_fma_f64 v[98:99], -v[170:171], v[182:183], v[98:99]
	v_fma_f64 v[140:141], -v[170:171], v[184:185], v[140:141]
	s_waitcnt lgkmcnt(1)
	v_fma_f64 v[96:97], -v[170:171], v[190:191], v[96:97]
	v_fma_f64 v[138:139], -v[170:171], v[192:193], v[138:139]
	;; [unrolled: 3-line block ×3, first 2 shown]
.LBB89_56:
	s_or_b64 exec, exec, s[2:3]
	v_cmp_eq_u32_e32 vcc, 11, v198
	s_waitcnt lgkmcnt(0)
	s_barrier
	s_and_saveexec_b64 s[2:3], vcc
	s_cbranch_execz .LBB89_59
; %bb.57:
	v_mov_b32_e32 v182, v168
	v_mov_b32_e32 v183, v169
	;; [unrolled: 1-line block ×4, first 2 shown]
	ds_write_b64 v196, v[126:127]
	ds_write2_b64 v197, v[182:183], v[184:185] offset0:12 offset1:13
	v_mov_b32_e32 v182, v166
	v_mov_b32_e32 v183, v167
	;; [unrolled: 1-line block ×4, first 2 shown]
	ds_write2_b64 v197, v[182:183], v[184:185] offset0:14 offset1:15
	buffer_load_dword v182, off, s[16:19], 0 ; 4-byte Folded Reload
	buffer_load_dword v183, off, s[16:19], 0 offset:4 ; 4-byte Folded Reload
	s_waitcnt vmcnt(29)
	v_mov_b32_e32 v184, v120
	v_mov_b32_e32 v185, v121
	s_waitcnt vmcnt(0)
	ds_write2_b64 v197, v[182:183], v[184:185] offset0:16 offset1:17
	v_mov_b32_e32 v182, v162
	v_mov_b32_e32 v183, v163
	v_mov_b32_e32 v184, v118
	v_mov_b32_e32 v185, v119
	ds_write2_b64 v197, v[182:183], v[184:185] offset0:18 offset1:19
	v_mov_b32_e32 v182, v160
	v_mov_b32_e32 v183, v161
	v_mov_b32_e32 v184, v116
	v_mov_b32_e32 v185, v117
	;; [unrolled: 5-line block ×13, first 2 shown]
	ds_write2_b64 v197, v[182:183], v[184:185] offset0:42 offset1:43
	ds_write_b64 v197, v[180:181] offset:352
	ds_read_b64 v[182:183], v196
	s_waitcnt lgkmcnt(0)
	v_cmp_neq_f64_e32 vcc, 0, v[182:183]
	s_and_b64 exec, exec, vcc
	s_cbranch_execz .LBB89_59
; %bb.58:
	v_div_scale_f64 v[184:185], s[6:7], v[182:183], v[182:183], 1.0
	v_rcp_f64_e32 v[186:187], v[184:185]
	v_div_scale_f64 v[188:189], vcc, 1.0, v[182:183], 1.0
	v_fma_f64 v[190:191], -v[184:185], v[186:187], 1.0
	v_fmac_f64_e32 v[186:187], v[186:187], v[190:191]
	v_fma_f64 v[190:191], -v[184:185], v[186:187], 1.0
	v_fmac_f64_e32 v[186:187], v[186:187], v[190:191]
	v_mul_f64 v[190:191], v[188:189], v[186:187]
	v_fma_f64 v[184:185], -v[184:185], v[190:191], v[188:189]
	v_div_fmas_f64 v[184:185], v[184:185], v[186:187], v[190:191]
	v_div_fixup_f64 v[182:183], v[184:185], v[182:183], 1.0
	ds_write_b64 v196, v[182:183]
.LBB89_59:
	s_or_b64 exec, exec, s[2:3]
	s_waitcnt lgkmcnt(0)
	s_barrier
	ds_read_b64 v[88:89], v196
	v_cmp_lt_u32_e32 vcc, 11, v198
	s_and_saveexec_b64 s[2:3], vcc
	s_cbranch_execz .LBB89_61
; %bb.60:
	ds_read2_b64 v[182:185], v197 offset0:12 offset1:13
	ds_read2_b64 v[186:189], v197 offset0:14 offset1:15
	s_waitcnt lgkmcnt(2)
	v_mul_f64 v[126:127], v[88:89], v[126:127]
	ds_read2_b64 v[190:193], v197 offset0:16 offset1:17
	s_waitcnt lgkmcnt(2)
	v_fma_f64 v[168:169], -v[126:127], v[182:183], v[168:169]
	v_fma_f64 v[124:125], -v[126:127], v[184:185], v[124:125]
	ds_read2_b64 v[182:185], v197 offset0:18 offset1:19
	buffer_load_dword v90, off, s[16:19], 0 ; 4-byte Folded Reload
	buffer_load_dword v91, off, s[16:19], 0 offset:4 ; 4-byte Folded Reload
	s_waitcnt lgkmcnt(2)
	v_fma_f64 v[166:167], -v[126:127], v[186:187], v[166:167]
	v_fma_f64 v[122:123], -v[126:127], v[188:189], v[122:123]
	s_waitcnt vmcnt(29) lgkmcnt(1)
	v_fma_f64 v[120:121], -v[126:127], v[192:193], v[120:121]
	s_waitcnt vmcnt(28) lgkmcnt(0)
	v_fma_f64 v[162:163], -v[126:127], v[182:183], v[162:163]
	s_waitcnt vmcnt(27)
	v_fma_f64 v[118:119], -v[126:127], v[184:185], v[118:119]
	s_waitcnt vmcnt(0)
	v_fma_f64 v[90:91], -v[126:127], v[190:191], v[90:91]
	buffer_store_dword v90, off, s[16:19], 0 ; 4-byte Folded Spill
	s_nop 0
	buffer_store_dword v91, off, s[16:19], 0 offset:4 ; 4-byte Folded Spill
	ds_read2_b64 v[186:189], v197 offset0:20 offset1:21
	ds_read2_b64 v[190:193], v197 offset0:22 offset1:23
	;; [unrolled: 1-line block ×3, first 2 shown]
	s_waitcnt lgkmcnt(2)
	v_fma_f64 v[160:161], -v[126:127], v[186:187], v[160:161]
	v_fma_f64 v[116:117], -v[126:127], v[188:189], v[116:117]
	ds_read2_b64 v[186:189], v197 offset0:26 offset1:27
	s_waitcnt lgkmcnt(2)
	v_fma_f64 v[158:159], -v[126:127], v[190:191], v[158:159]
	v_fma_f64 v[114:115], -v[126:127], v[192:193], v[114:115]
	s_waitcnt lgkmcnt(1)
	v_fma_f64 v[156:157], -v[126:127], v[182:183], v[156:157]
	ds_read2_b64 v[190:193], v197 offset0:28 offset1:29
	v_fma_f64 v[112:113], -v[126:127], v[184:185], v[112:113]
	ds_read2_b64 v[182:185], v197 offset0:30 offset1:31
	s_waitcnt lgkmcnt(2)
	v_fma_f64 v[154:155], -v[126:127], v[186:187], v[154:155]
	v_fma_f64 v[110:111], -v[126:127], v[188:189], v[110:111]
	ds_read2_b64 v[186:189], v197 offset0:32 offset1:33
	s_waitcnt lgkmcnt(2)
	v_fma_f64 v[152:153], -v[126:127], v[190:191], v[152:153]
	;; [unrolled: 4-line block ×3, first 2 shown]
	v_fma_f64 v[106:107], -v[126:127], v[184:185], v[106:107]
	s_waitcnt lgkmcnt(1)
	v_fma_f64 v[148:149], -v[126:127], v[186:187], v[148:149]
	ds_read2_b64 v[182:185], v197 offset0:36 offset1:37
	v_fma_f64 v[164:165], -v[126:127], v[188:189], v[164:165]
	ds_read2_b64 v[186:189], v197 offset0:38 offset1:39
	s_waitcnt lgkmcnt(2)
	v_fma_f64 v[146:147], -v[126:127], v[190:191], v[146:147]
	v_fma_f64 v[102:103], -v[126:127], v[192:193], v[102:103]
	s_waitcnt lgkmcnt(1)
	v_fma_f64 v[144:145], -v[126:127], v[182:183], v[144:145]
	v_fma_f64 v[100:101], -v[126:127], v[184:185], v[100:101]
	ds_read2_b64 v[182:185], v197 offset0:40 offset1:41
	ds_read2_b64 v[190:193], v197 offset0:42 offset1:43
	s_waitcnt lgkmcnt(2)
	v_fma_f64 v[142:143], -v[126:127], v[186:187], v[142:143]
	ds_read_b64 v[186:187], v197 offset:352
	v_fma_f64 v[98:99], -v[126:127], v[188:189], v[98:99]
	s_waitcnt lgkmcnt(2)
	v_fma_f64 v[140:141], -v[126:127], v[182:183], v[140:141]
	v_fma_f64 v[96:97], -v[126:127], v[184:185], v[96:97]
	s_waitcnt lgkmcnt(1)
	v_fma_f64 v[138:139], -v[126:127], v[190:191], v[138:139]
	v_fma_f64 v[94:95], -v[126:127], v[192:193], v[94:95]
	s_waitcnt lgkmcnt(0)
	v_fma_f64 v[180:181], -v[126:127], v[186:187], v[180:181]
.LBB89_61:
	s_or_b64 exec, exec, s[2:3]
	v_cmp_eq_u32_e32 vcc, 12, v198
	s_waitcnt lgkmcnt(0)
	s_barrier
	s_and_saveexec_b64 s[2:3], vcc
	s_cbranch_execz .LBB89_64
; %bb.62:
	ds_write_b64 v196, v[168:169]
	ds_write2_b64 v197, v[124:125], v[166:167] offset0:13 offset1:14
	buffer_load_dword v90, off, s[16:19], 0 ; 4-byte Folded Reload
	buffer_load_dword v91, off, s[16:19], 0 offset:4 ; 4-byte Folded Reload
	s_waitcnt vmcnt(0)
	ds_write2_b64 v197, v[122:123], v[90:91] offset0:15 offset1:16
	ds_write2_b64 v197, v[120:121], v[162:163] offset0:17 offset1:18
	;; [unrolled: 1-line block ×15, first 2 shown]
	ds_read_b64 v[182:183], v196
	s_waitcnt lgkmcnt(0)
	v_cmp_neq_f64_e32 vcc, 0, v[182:183]
	s_and_b64 exec, exec, vcc
	s_cbranch_execz .LBB89_64
; %bb.63:
	v_div_scale_f64 v[184:185], s[6:7], v[182:183], v[182:183], 1.0
	v_rcp_f64_e32 v[186:187], v[184:185]
	v_div_scale_f64 v[188:189], vcc, 1.0, v[182:183], 1.0
	v_fma_f64 v[190:191], -v[184:185], v[186:187], 1.0
	v_fmac_f64_e32 v[186:187], v[186:187], v[190:191]
	v_fma_f64 v[190:191], -v[184:185], v[186:187], 1.0
	v_fmac_f64_e32 v[186:187], v[186:187], v[190:191]
	v_mul_f64 v[190:191], v[188:189], v[186:187]
	v_fma_f64 v[184:185], -v[184:185], v[190:191], v[188:189]
	v_div_fmas_f64 v[184:185], v[184:185], v[186:187], v[190:191]
	v_div_fixup_f64 v[182:183], v[184:185], v[182:183], 1.0
	ds_write_b64 v196, v[182:183]
.LBB89_64:
	s_or_b64 exec, exec, s[2:3]
	s_waitcnt lgkmcnt(0)
	s_barrier
	ds_read_b64 v[228:229], v196
	v_cmp_lt_u32_e32 vcc, 12, v198
	s_and_saveexec_b64 s[2:3], vcc
	s_cbranch_execz .LBB89_66
; %bb.65:
	ds_read2_b64 v[182:185], v197 offset0:13 offset1:14
	ds_read2_b64 v[186:189], v197 offset0:15 offset1:16
	s_waitcnt lgkmcnt(2)
	v_mul_f64 v[168:169], v[228:229], v[168:169]
	ds_read2_b64 v[190:193], v197 offset0:17 offset1:18
	s_waitcnt lgkmcnt(2)
	v_fma_f64 v[124:125], -v[168:169], v[182:183], v[124:125]
	v_fma_f64 v[166:167], -v[168:169], v[184:185], v[166:167]
	ds_read2_b64 v[182:185], v197 offset0:19 offset1:20
	buffer_load_dword v90, off, s[16:19], 0 ; 4-byte Folded Reload
	buffer_load_dword v91, off, s[16:19], 0 offset:4 ; 4-byte Folded Reload
	s_waitcnt lgkmcnt(2)
	v_fma_f64 v[122:123], -v[168:169], v[186:187], v[122:123]
	s_waitcnt vmcnt(29) lgkmcnt(1)
	v_fma_f64 v[120:121], -v[168:169], v[190:191], v[120:121]
	s_waitcnt vmcnt(28)
	v_fma_f64 v[162:163], -v[168:169], v[192:193], v[162:163]
	s_waitcnt vmcnt(27) lgkmcnt(0)
	v_fma_f64 v[118:119], -v[168:169], v[182:183], v[118:119]
	s_waitcnt vmcnt(26)
	v_fma_f64 v[160:161], -v[168:169], v[184:185], v[160:161]
	s_waitcnt vmcnt(0)
	v_fma_f64 v[90:91], -v[168:169], v[188:189], v[90:91]
	buffer_store_dword v90, off, s[16:19], 0 ; 4-byte Folded Spill
	s_nop 0
	buffer_store_dword v91, off, s[16:19], 0 offset:4 ; 4-byte Folded Spill
	ds_read2_b64 v[186:189], v197 offset0:21 offset1:22
	ds_read2_b64 v[190:193], v197 offset0:23 offset1:24
	;; [unrolled: 1-line block ×3, first 2 shown]
	s_waitcnt lgkmcnt(2)
	v_fma_f64 v[116:117], -v[168:169], v[186:187], v[116:117]
	v_fma_f64 v[158:159], -v[168:169], v[188:189], v[158:159]
	ds_read2_b64 v[186:189], v197 offset0:27 offset1:28
	s_waitcnt lgkmcnt(2)
	v_fma_f64 v[114:115], -v[168:169], v[190:191], v[114:115]
	v_fma_f64 v[156:157], -v[168:169], v[192:193], v[156:157]
	s_waitcnt lgkmcnt(1)
	v_fma_f64 v[112:113], -v[168:169], v[182:183], v[112:113]
	ds_read2_b64 v[190:193], v197 offset0:29 offset1:30
	v_fma_f64 v[154:155], -v[168:169], v[184:185], v[154:155]
	ds_read2_b64 v[182:185], v197 offset0:31 offset1:32
	s_waitcnt lgkmcnt(2)
	v_fma_f64 v[110:111], -v[168:169], v[186:187], v[110:111]
	v_fma_f64 v[152:153], -v[168:169], v[188:189], v[152:153]
	s_waitcnt lgkmcnt(1)
	v_fma_f64 v[108:109], -v[168:169], v[190:191], v[108:109]
	ds_read2_b64 v[186:189], v197 offset0:33 offset1:34
	v_fma_f64 v[150:151], -v[168:169], v[192:193], v[150:151]
	ds_read2_b64 v[190:193], v197 offset0:35 offset1:36
	s_waitcnt lgkmcnt(2)
	v_fma_f64 v[106:107], -v[168:169], v[182:183], v[106:107]
	v_fma_f64 v[148:149], -v[168:169], v[184:185], v[148:149]
	ds_read2_b64 v[182:185], v197 offset0:37 offset1:38
	s_waitcnt lgkmcnt(2)
	v_fma_f64 v[164:165], -v[168:169], v[186:187], v[164:165]
	;; [unrolled: 4-line block ×3, first 2 shown]
	v_fma_f64 v[144:145], -v[168:169], v[192:193], v[144:145]
	s_waitcnt lgkmcnt(1)
	v_fma_f64 v[100:101], -v[168:169], v[182:183], v[100:101]
	ds_read2_b64 v[190:193], v197 offset0:41 offset1:42
	v_fma_f64 v[142:143], -v[168:169], v[184:185], v[142:143]
	ds_read2_b64 v[182:185], v197 offset0:43 offset1:44
	s_waitcnt lgkmcnt(2)
	v_fma_f64 v[98:99], -v[168:169], v[186:187], v[98:99]
	v_fma_f64 v[140:141], -v[168:169], v[188:189], v[140:141]
	s_waitcnt lgkmcnt(1)
	v_fma_f64 v[96:97], -v[168:169], v[190:191], v[96:97]
	v_fma_f64 v[138:139], -v[168:169], v[192:193], v[138:139]
	;; [unrolled: 3-line block ×3, first 2 shown]
.LBB89_66:
	s_or_b64 exec, exec, s[2:3]
	v_cmp_eq_u32_e32 vcc, 13, v198
	s_waitcnt lgkmcnt(0)
	s_barrier
	s_and_saveexec_b64 s[2:3], vcc
	s_cbranch_execz .LBB89_69
; %bb.67:
	v_mov_b32_e32 v182, v166
	v_mov_b32_e32 v183, v167
	;; [unrolled: 1-line block ×4, first 2 shown]
	ds_write_b64 v196, v[124:125]
	ds_write2_b64 v197, v[182:183], v[184:185] offset0:14 offset1:15
	buffer_load_dword v182, off, s[16:19], 0 ; 4-byte Folded Reload
	buffer_load_dword v183, off, s[16:19], 0 offset:4 ; 4-byte Folded Reload
	s_waitcnt vmcnt(29)
	v_mov_b32_e32 v184, v120
	v_mov_b32_e32 v185, v121
	s_waitcnt vmcnt(0)
	ds_write2_b64 v197, v[182:183], v[184:185] offset0:16 offset1:17
	v_mov_b32_e32 v182, v162
	v_mov_b32_e32 v183, v163
	v_mov_b32_e32 v184, v118
	v_mov_b32_e32 v185, v119
	ds_write2_b64 v197, v[182:183], v[184:185] offset0:18 offset1:19
	v_mov_b32_e32 v182, v160
	v_mov_b32_e32 v183, v161
	v_mov_b32_e32 v184, v116
	v_mov_b32_e32 v185, v117
	;; [unrolled: 5-line block ×13, first 2 shown]
	ds_write2_b64 v197, v[182:183], v[184:185] offset0:42 offset1:43
	ds_write_b64 v197, v[180:181] offset:352
	ds_read_b64 v[182:183], v196
	s_waitcnt lgkmcnt(0)
	v_cmp_neq_f64_e32 vcc, 0, v[182:183]
	s_and_b64 exec, exec, vcc
	s_cbranch_execz .LBB89_69
; %bb.68:
	v_div_scale_f64 v[184:185], s[6:7], v[182:183], v[182:183], 1.0
	v_rcp_f64_e32 v[186:187], v[184:185]
	v_div_scale_f64 v[188:189], vcc, 1.0, v[182:183], 1.0
	v_fma_f64 v[190:191], -v[184:185], v[186:187], 1.0
	v_fmac_f64_e32 v[186:187], v[186:187], v[190:191]
	v_fma_f64 v[190:191], -v[184:185], v[186:187], 1.0
	v_fmac_f64_e32 v[186:187], v[186:187], v[190:191]
	v_mul_f64 v[190:191], v[188:189], v[186:187]
	v_fma_f64 v[184:185], -v[184:185], v[190:191], v[188:189]
	v_div_fmas_f64 v[184:185], v[184:185], v[186:187], v[190:191]
	v_div_fixup_f64 v[182:183], v[184:185], v[182:183], 1.0
	ds_write_b64 v196, v[182:183]
.LBB89_69:
	s_or_b64 exec, exec, s[2:3]
	s_waitcnt lgkmcnt(0)
	s_barrier
	ds_read_b64 v[230:231], v196
	v_cmp_lt_u32_e32 vcc, 13, v198
	s_and_saveexec_b64 s[2:3], vcc
	s_cbranch_execz .LBB89_71
; %bb.70:
	ds_read2_b64 v[182:185], v197 offset0:14 offset1:15
	ds_read2_b64 v[186:189], v197 offset0:16 offset1:17
	;; [unrolled: 1-line block ×3, first 2 shown]
	buffer_load_dword v90, off, s[16:19], 0 ; 4-byte Folded Reload
	buffer_load_dword v91, off, s[16:19], 0 offset:4 ; 4-byte Folded Reload
	s_waitcnt lgkmcnt(3)
	v_mul_f64 v[124:125], v[230:231], v[124:125]
	s_waitcnt lgkmcnt(2)
	v_fma_f64 v[166:167], -v[124:125], v[182:183], v[166:167]
	v_fma_f64 v[122:123], -v[124:125], v[184:185], v[122:123]
	s_waitcnt vmcnt(29) lgkmcnt(1)
	v_fma_f64 v[120:121], -v[124:125], v[188:189], v[120:121]
	s_waitcnt vmcnt(28) lgkmcnt(0)
	v_fma_f64 v[162:163], -v[124:125], v[190:191], v[162:163]
	s_waitcnt vmcnt(27)
	v_fma_f64 v[118:119], -v[124:125], v[192:193], v[118:119]
	s_waitcnt vmcnt(0)
	v_fma_f64 v[90:91], -v[124:125], v[186:187], v[90:91]
	buffer_store_dword v90, off, s[16:19], 0 ; 4-byte Folded Spill
	s_nop 0
	buffer_store_dword v91, off, s[16:19], 0 offset:4 ; 4-byte Folded Spill
	ds_read2_b64 v[182:185], v197 offset0:20 offset1:21
	ds_read2_b64 v[186:189], v197 offset0:22 offset1:23
	;; [unrolled: 1-line block ×3, first 2 shown]
	s_waitcnt lgkmcnt(2)
	v_fma_f64 v[160:161], -v[124:125], v[182:183], v[160:161]
	v_fma_f64 v[116:117], -v[124:125], v[184:185], v[116:117]
	ds_read2_b64 v[182:185], v197 offset0:26 offset1:27
	s_waitcnt lgkmcnt(2)
	v_fma_f64 v[158:159], -v[124:125], v[186:187], v[158:159]
	v_fma_f64 v[114:115], -v[124:125], v[188:189], v[114:115]
	s_waitcnt lgkmcnt(1)
	v_fma_f64 v[156:157], -v[124:125], v[190:191], v[156:157]
	ds_read2_b64 v[186:189], v197 offset0:28 offset1:29
	v_fma_f64 v[112:113], -v[124:125], v[192:193], v[112:113]
	ds_read2_b64 v[190:193], v197 offset0:30 offset1:31
	s_waitcnt lgkmcnt(2)
	v_fma_f64 v[154:155], -v[124:125], v[182:183], v[154:155]
	v_fma_f64 v[110:111], -v[124:125], v[184:185], v[110:111]
	ds_read2_b64 v[182:185], v197 offset0:32 offset1:33
	s_waitcnt lgkmcnt(2)
	v_fma_f64 v[152:153], -v[124:125], v[186:187], v[152:153]
	;; [unrolled: 4-line block ×3, first 2 shown]
	v_fma_f64 v[106:107], -v[124:125], v[192:193], v[106:107]
	s_waitcnt lgkmcnt(1)
	v_fma_f64 v[148:149], -v[124:125], v[182:183], v[148:149]
	ds_read2_b64 v[190:193], v197 offset0:36 offset1:37
	v_fma_f64 v[164:165], -v[124:125], v[184:185], v[164:165]
	ds_read2_b64 v[182:185], v197 offset0:38 offset1:39
	s_waitcnt lgkmcnt(2)
	v_fma_f64 v[146:147], -v[124:125], v[186:187], v[146:147]
	v_fma_f64 v[102:103], -v[124:125], v[188:189], v[102:103]
	s_waitcnt lgkmcnt(1)
	v_fma_f64 v[144:145], -v[124:125], v[190:191], v[144:145]
	v_fma_f64 v[100:101], -v[124:125], v[192:193], v[100:101]
	ds_read2_b64 v[186:189], v197 offset0:40 offset1:41
	ds_read2_b64 v[190:193], v197 offset0:42 offset1:43
	s_waitcnt lgkmcnt(2)
	v_fma_f64 v[142:143], -v[124:125], v[182:183], v[142:143]
	ds_read_b64 v[182:183], v197 offset:352
	v_fma_f64 v[98:99], -v[124:125], v[184:185], v[98:99]
	s_waitcnt lgkmcnt(2)
	v_fma_f64 v[140:141], -v[124:125], v[186:187], v[140:141]
	v_fma_f64 v[96:97], -v[124:125], v[188:189], v[96:97]
	s_waitcnt lgkmcnt(1)
	v_fma_f64 v[138:139], -v[124:125], v[190:191], v[138:139]
	;; [unrolled: 3-line block ×3, first 2 shown]
.LBB89_71:
	s_or_b64 exec, exec, s[2:3]
	v_cmp_eq_u32_e32 vcc, 14, v198
	s_waitcnt lgkmcnt(0)
	s_barrier
	s_and_saveexec_b64 s[2:3], vcc
	s_cbranch_execz .LBB89_74
; %bb.72:
	ds_write_b64 v196, v[166:167]
	buffer_load_dword v90, off, s[16:19], 0 ; 4-byte Folded Reload
	buffer_load_dword v91, off, s[16:19], 0 offset:4 ; 4-byte Folded Reload
	s_waitcnt vmcnt(0)
	ds_write2_b64 v197, v[122:123], v[90:91] offset0:15 offset1:16
	ds_write2_b64 v197, v[120:121], v[162:163] offset0:17 offset1:18
	;; [unrolled: 1-line block ×15, first 2 shown]
	ds_read_b64 v[182:183], v196
	s_waitcnt lgkmcnt(0)
	v_cmp_neq_f64_e32 vcc, 0, v[182:183]
	s_and_b64 exec, exec, vcc
	s_cbranch_execz .LBB89_74
; %bb.73:
	v_div_scale_f64 v[184:185], s[6:7], v[182:183], v[182:183], 1.0
	v_rcp_f64_e32 v[186:187], v[184:185]
	v_div_scale_f64 v[188:189], vcc, 1.0, v[182:183], 1.0
	v_fma_f64 v[190:191], -v[184:185], v[186:187], 1.0
	v_fmac_f64_e32 v[186:187], v[186:187], v[190:191]
	v_fma_f64 v[190:191], -v[184:185], v[186:187], 1.0
	v_fmac_f64_e32 v[186:187], v[186:187], v[190:191]
	v_mul_f64 v[190:191], v[188:189], v[186:187]
	v_fma_f64 v[184:185], -v[184:185], v[190:191], v[188:189]
	v_div_fmas_f64 v[184:185], v[184:185], v[186:187], v[190:191]
	v_div_fixup_f64 v[182:183], v[184:185], v[182:183], 1.0
	ds_write_b64 v196, v[182:183]
.LBB89_74:
	s_or_b64 exec, exec, s[2:3]
	s_waitcnt lgkmcnt(0)
	s_barrier
	ds_read_b64 v[232:233], v196
	v_cmp_lt_u32_e32 vcc, 14, v198
	s_and_saveexec_b64 s[2:3], vcc
	s_cbranch_execz .LBB89_76
; %bb.75:
	ds_read2_b64 v[182:185], v197 offset0:15 offset1:16
	ds_read2_b64 v[186:189], v197 offset0:17 offset1:18
	;; [unrolled: 1-line block ×3, first 2 shown]
	buffer_load_dword v90, off, s[16:19], 0 ; 4-byte Folded Reload
	buffer_load_dword v91, off, s[16:19], 0 offset:4 ; 4-byte Folded Reload
	s_waitcnt lgkmcnt(3)
	v_mul_f64 v[166:167], v[232:233], v[166:167]
	s_waitcnt lgkmcnt(2)
	v_fma_f64 v[122:123], -v[166:167], v[182:183], v[122:123]
	s_waitcnt vmcnt(29) lgkmcnt(1)
	v_fma_f64 v[120:121], -v[166:167], v[186:187], v[120:121]
	s_waitcnt vmcnt(28)
	v_fma_f64 v[162:163], -v[166:167], v[188:189], v[162:163]
	s_waitcnt vmcnt(27) lgkmcnt(0)
	v_fma_f64 v[118:119], -v[166:167], v[190:191], v[118:119]
	s_waitcnt vmcnt(26)
	v_fma_f64 v[160:161], -v[166:167], v[192:193], v[160:161]
	s_waitcnt vmcnt(0)
	v_fma_f64 v[90:91], -v[166:167], v[184:185], v[90:91]
	buffer_store_dword v90, off, s[16:19], 0 ; 4-byte Folded Spill
	s_nop 0
	buffer_store_dword v91, off, s[16:19], 0 offset:4 ; 4-byte Folded Spill
	ds_read2_b64 v[182:185], v197 offset0:21 offset1:22
	ds_read2_b64 v[186:189], v197 offset0:23 offset1:24
	;; [unrolled: 1-line block ×3, first 2 shown]
	s_waitcnt lgkmcnt(2)
	v_fma_f64 v[116:117], -v[166:167], v[182:183], v[116:117]
	v_fma_f64 v[158:159], -v[166:167], v[184:185], v[158:159]
	ds_read2_b64 v[182:185], v197 offset0:27 offset1:28
	s_waitcnt lgkmcnt(2)
	v_fma_f64 v[114:115], -v[166:167], v[186:187], v[114:115]
	v_fma_f64 v[156:157], -v[166:167], v[188:189], v[156:157]
	s_waitcnt lgkmcnt(1)
	v_fma_f64 v[112:113], -v[166:167], v[190:191], v[112:113]
	ds_read2_b64 v[186:189], v197 offset0:29 offset1:30
	v_fma_f64 v[154:155], -v[166:167], v[192:193], v[154:155]
	ds_read2_b64 v[190:193], v197 offset0:31 offset1:32
	s_waitcnt lgkmcnt(2)
	v_fma_f64 v[110:111], -v[166:167], v[182:183], v[110:111]
	v_fma_f64 v[152:153], -v[166:167], v[184:185], v[152:153]
	s_waitcnt lgkmcnt(1)
	v_fma_f64 v[108:109], -v[166:167], v[186:187], v[108:109]
	ds_read2_b64 v[182:185], v197 offset0:33 offset1:34
	v_fma_f64 v[150:151], -v[166:167], v[188:189], v[150:151]
	ds_read2_b64 v[186:189], v197 offset0:35 offset1:36
	s_waitcnt lgkmcnt(2)
	v_fma_f64 v[106:107], -v[166:167], v[190:191], v[106:107]
	v_fma_f64 v[148:149], -v[166:167], v[192:193], v[148:149]
	ds_read2_b64 v[190:193], v197 offset0:37 offset1:38
	s_waitcnt lgkmcnt(2)
	v_fma_f64 v[164:165], -v[166:167], v[182:183], v[164:165]
	;; [unrolled: 4-line block ×3, first 2 shown]
	v_fma_f64 v[144:145], -v[166:167], v[188:189], v[144:145]
	s_waitcnt lgkmcnt(1)
	v_fma_f64 v[100:101], -v[166:167], v[190:191], v[100:101]
	ds_read2_b64 v[186:189], v197 offset0:41 offset1:42
	v_fma_f64 v[142:143], -v[166:167], v[192:193], v[142:143]
	ds_read2_b64 v[190:193], v197 offset0:43 offset1:44
	s_waitcnt lgkmcnt(2)
	v_fma_f64 v[98:99], -v[166:167], v[182:183], v[98:99]
	v_fma_f64 v[140:141], -v[166:167], v[184:185], v[140:141]
	s_waitcnt lgkmcnt(1)
	v_fma_f64 v[96:97], -v[166:167], v[186:187], v[96:97]
	v_fma_f64 v[138:139], -v[166:167], v[188:189], v[138:139]
	;; [unrolled: 3-line block ×3, first 2 shown]
.LBB89_76:
	s_or_b64 exec, exec, s[2:3]
	v_cmp_eq_u32_e32 vcc, 15, v198
	s_waitcnt lgkmcnt(0)
	s_barrier
	s_and_saveexec_b64 s[2:3], vcc
	s_cbranch_execz .LBB89_79
; %bb.77:
	ds_write_b64 v196, v[122:123]
	buffer_load_dword v182, off, s[16:19], 0 ; 4-byte Folded Reload
	buffer_load_dword v183, off, s[16:19], 0 offset:4 ; 4-byte Folded Reload
	s_waitcnt vmcnt(29)
	v_mov_b32_e32 v184, v120
	v_mov_b32_e32 v185, v121
	s_waitcnt vmcnt(0)
	ds_write2_b64 v197, v[182:183], v[184:185] offset0:16 offset1:17
	v_mov_b32_e32 v182, v162
	v_mov_b32_e32 v183, v163
	v_mov_b32_e32 v184, v118
	v_mov_b32_e32 v185, v119
	ds_write2_b64 v197, v[182:183], v[184:185] offset0:18 offset1:19
	v_mov_b32_e32 v182, v160
	v_mov_b32_e32 v183, v161
	v_mov_b32_e32 v184, v116
	v_mov_b32_e32 v185, v117
	;; [unrolled: 5-line block ×13, first 2 shown]
	ds_write2_b64 v197, v[182:183], v[184:185] offset0:42 offset1:43
	ds_write_b64 v197, v[180:181] offset:352
	ds_read_b64 v[182:183], v196
	s_waitcnt lgkmcnt(0)
	v_cmp_neq_f64_e32 vcc, 0, v[182:183]
	s_and_b64 exec, exec, vcc
	s_cbranch_execz .LBB89_79
; %bb.78:
	v_div_scale_f64 v[184:185], s[6:7], v[182:183], v[182:183], 1.0
	v_rcp_f64_e32 v[186:187], v[184:185]
	v_div_scale_f64 v[188:189], vcc, 1.0, v[182:183], 1.0
	v_fma_f64 v[190:191], -v[184:185], v[186:187], 1.0
	v_fmac_f64_e32 v[186:187], v[186:187], v[190:191]
	v_fma_f64 v[190:191], -v[184:185], v[186:187], 1.0
	v_fmac_f64_e32 v[186:187], v[186:187], v[190:191]
	v_mul_f64 v[190:191], v[188:189], v[186:187]
	v_fma_f64 v[184:185], -v[184:185], v[190:191], v[188:189]
	v_div_fmas_f64 v[184:185], v[184:185], v[186:187], v[190:191]
	v_div_fixup_f64 v[182:183], v[184:185], v[182:183], 1.0
	ds_write_b64 v196, v[182:183]
.LBB89_79:
	s_or_b64 exec, exec, s[2:3]
	s_waitcnt lgkmcnt(0)
	s_barrier
	ds_read_b64 v[234:235], v196
	v_cmp_lt_u32_e32 vcc, 15, v198
	s_and_saveexec_b64 s[2:3], vcc
	s_cbranch_execz .LBB89_81
; %bb.80:
	ds_read2_b64 v[182:185], v197 offset0:16 offset1:17
	ds_read2_b64 v[186:189], v197 offset0:18 offset1:19
	buffer_load_dword v90, off, s[16:19], 0 ; 4-byte Folded Reload
	buffer_load_dword v91, off, s[16:19], 0 offset:4 ; 4-byte Folded Reload
	s_waitcnt lgkmcnt(2)
	v_mul_f64 v[122:123], v[234:235], v[122:123]
	s_waitcnt vmcnt(29) lgkmcnt(1)
	v_fma_f64 v[120:121], -v[122:123], v[184:185], v[120:121]
	s_waitcnt vmcnt(28) lgkmcnt(0)
	v_fma_f64 v[162:163], -v[122:123], v[186:187], v[162:163]
	s_waitcnt vmcnt(27)
	v_fma_f64 v[118:119], -v[122:123], v[188:189], v[118:119]
	s_waitcnt vmcnt(0)
	v_fma_f64 v[90:91], -v[122:123], v[182:183], v[90:91]
	buffer_store_dword v90, off, s[16:19], 0 ; 4-byte Folded Spill
	s_nop 0
	buffer_store_dword v91, off, s[16:19], 0 offset:4 ; 4-byte Folded Spill
	ds_read2_b64 v[190:193], v197 offset0:20 offset1:21
	ds_read2_b64 v[182:185], v197 offset0:22 offset1:23
	;; [unrolled: 1-line block ×3, first 2 shown]
	s_waitcnt lgkmcnt(2)
	v_fma_f64 v[160:161], -v[122:123], v[190:191], v[160:161]
	v_fma_f64 v[116:117], -v[122:123], v[192:193], v[116:117]
	ds_read2_b64 v[190:193], v197 offset0:26 offset1:27
	s_waitcnt lgkmcnt(2)
	v_fma_f64 v[158:159], -v[122:123], v[182:183], v[158:159]
	v_fma_f64 v[114:115], -v[122:123], v[184:185], v[114:115]
	s_waitcnt lgkmcnt(1)
	v_fma_f64 v[156:157], -v[122:123], v[186:187], v[156:157]
	ds_read2_b64 v[182:185], v197 offset0:28 offset1:29
	v_fma_f64 v[112:113], -v[122:123], v[188:189], v[112:113]
	ds_read2_b64 v[186:189], v197 offset0:30 offset1:31
	s_waitcnt lgkmcnt(2)
	v_fma_f64 v[154:155], -v[122:123], v[190:191], v[154:155]
	v_fma_f64 v[110:111], -v[122:123], v[192:193], v[110:111]
	ds_read2_b64 v[190:193], v197 offset0:32 offset1:33
	s_waitcnt lgkmcnt(2)
	v_fma_f64 v[152:153], -v[122:123], v[182:183], v[152:153]
	;; [unrolled: 4-line block ×3, first 2 shown]
	v_fma_f64 v[106:107], -v[122:123], v[188:189], v[106:107]
	s_waitcnt lgkmcnt(1)
	v_fma_f64 v[148:149], -v[122:123], v[190:191], v[148:149]
	ds_read2_b64 v[186:189], v197 offset0:36 offset1:37
	v_fma_f64 v[164:165], -v[122:123], v[192:193], v[164:165]
	ds_read2_b64 v[190:193], v197 offset0:38 offset1:39
	s_waitcnt lgkmcnt(2)
	v_fma_f64 v[146:147], -v[122:123], v[182:183], v[146:147]
	v_fma_f64 v[102:103], -v[122:123], v[184:185], v[102:103]
	s_waitcnt lgkmcnt(1)
	v_fma_f64 v[144:145], -v[122:123], v[186:187], v[144:145]
	v_fma_f64 v[100:101], -v[122:123], v[188:189], v[100:101]
	ds_read2_b64 v[182:185], v197 offset0:40 offset1:41
	ds_read2_b64 v[186:189], v197 offset0:42 offset1:43
	s_waitcnt lgkmcnt(2)
	v_fma_f64 v[142:143], -v[122:123], v[190:191], v[142:143]
	ds_read_b64 v[190:191], v197 offset:352
	v_fma_f64 v[98:99], -v[122:123], v[192:193], v[98:99]
	s_waitcnt lgkmcnt(2)
	v_fma_f64 v[140:141], -v[122:123], v[182:183], v[140:141]
	v_fma_f64 v[96:97], -v[122:123], v[184:185], v[96:97]
	s_waitcnt lgkmcnt(1)
	v_fma_f64 v[138:139], -v[122:123], v[186:187], v[138:139]
	;; [unrolled: 3-line block ×3, first 2 shown]
.LBB89_81:
	s_or_b64 exec, exec, s[2:3]
	v_cmp_eq_u32_e32 vcc, 16, v198
	s_waitcnt lgkmcnt(0)
	s_barrier
	s_and_saveexec_b64 s[2:3], vcc
	s_cbranch_execz .LBB89_84
; %bb.82:
	buffer_load_dword v90, off, s[16:19], 0 ; 4-byte Folded Reload
	buffer_load_dword v91, off, s[16:19], 0 offset:4 ; 4-byte Folded Reload
	s_waitcnt vmcnt(0)
	ds_write_b64 v196, v[90:91]
	ds_write2_b64 v197, v[120:121], v[162:163] offset0:17 offset1:18
	ds_write2_b64 v197, v[118:119], v[160:161] offset0:19 offset1:20
	ds_write2_b64 v197, v[116:117], v[158:159] offset0:21 offset1:22
	ds_write2_b64 v197, v[114:115], v[156:157] offset0:23 offset1:24
	ds_write2_b64 v197, v[112:113], v[154:155] offset0:25 offset1:26
	ds_write2_b64 v197, v[110:111], v[152:153] offset0:27 offset1:28
	ds_write2_b64 v197, v[108:109], v[150:151] offset0:29 offset1:30
	ds_write2_b64 v197, v[106:107], v[148:149] offset0:31 offset1:32
	ds_write2_b64 v197, v[164:165], v[146:147] offset0:33 offset1:34
	ds_write2_b64 v197, v[102:103], v[144:145] offset0:35 offset1:36
	ds_write2_b64 v197, v[100:101], v[142:143] offset0:37 offset1:38
	ds_write2_b64 v197, v[98:99], v[140:141] offset0:39 offset1:40
	ds_write2_b64 v197, v[96:97], v[138:139] offset0:41 offset1:42
	ds_write2_b64 v197, v[94:95], v[180:181] offset0:43 offset1:44
	ds_read_b64 v[182:183], v196
	s_waitcnt lgkmcnt(0)
	v_cmp_neq_f64_e32 vcc, 0, v[182:183]
	s_and_b64 exec, exec, vcc
	s_cbranch_execz .LBB89_84
; %bb.83:
	v_div_scale_f64 v[184:185], s[6:7], v[182:183], v[182:183], 1.0
	v_rcp_f64_e32 v[186:187], v[184:185]
	v_div_scale_f64 v[188:189], vcc, 1.0, v[182:183], 1.0
	v_fma_f64 v[190:191], -v[184:185], v[186:187], 1.0
	v_fmac_f64_e32 v[186:187], v[186:187], v[190:191]
	v_fma_f64 v[190:191], -v[184:185], v[186:187], 1.0
	v_fmac_f64_e32 v[186:187], v[186:187], v[190:191]
	v_mul_f64 v[190:191], v[188:189], v[186:187]
	v_fma_f64 v[184:185], -v[184:185], v[190:191], v[188:189]
	v_div_fmas_f64 v[184:185], v[184:185], v[186:187], v[190:191]
	v_div_fixup_f64 v[182:183], v[184:185], v[182:183], 1.0
	ds_write_b64 v196, v[182:183]
.LBB89_84:
	s_or_b64 exec, exec, s[2:3]
	s_waitcnt lgkmcnt(0)
	s_barrier
	ds_read_b64 v[236:237], v196
	v_cmp_lt_u32_e32 vcc, 16, v198
	s_and_saveexec_b64 s[2:3], vcc
	s_cbranch_execz .LBB89_86
; %bb.85:
	ds_read2_b64 v[182:185], v197 offset0:17 offset1:18
	ds_read2_b64 v[186:189], v197 offset0:19 offset1:20
	buffer_load_dword v90, off, s[16:19], 0 ; 4-byte Folded Reload
	buffer_load_dword v91, off, s[16:19], 0 offset:4 ; 4-byte Folded Reload
	ds_read2_b64 v[190:193], v197 offset0:21 offset1:22
	s_waitcnt vmcnt(0) lgkmcnt(3)
	v_mul_f64 v[90:91], v[236:237], v[90:91]
	s_waitcnt lgkmcnt(2)
	v_fma_f64 v[120:121], -v[90:91], v[182:183], v[120:121]
	v_fma_f64 v[162:163], -v[90:91], v[184:185], v[162:163]
	ds_read2_b64 v[182:185], v197 offset0:23 offset1:24
	s_waitcnt lgkmcnt(2)
	v_fma_f64 v[118:119], -v[90:91], v[186:187], v[118:119]
	v_fma_f64 v[160:161], -v[90:91], v[188:189], v[160:161]
	ds_read2_b64 v[186:189], v197 offset0:25 offset1:26
	;; [unrolled: 4-line block ×3, first 2 shown]
	s_waitcnt lgkmcnt(2)
	v_fma_f64 v[114:115], -v[90:91], v[182:183], v[114:115]
	v_fma_f64 v[156:157], -v[90:91], v[184:185], v[156:157]
	s_waitcnt lgkmcnt(1)
	v_fma_f64 v[112:113], -v[90:91], v[186:187], v[112:113]
	ds_read2_b64 v[182:185], v197 offset0:29 offset1:30
	v_fma_f64 v[154:155], -v[90:91], v[188:189], v[154:155]
	ds_read2_b64 v[186:189], v197 offset0:31 offset1:32
	s_waitcnt lgkmcnt(2)
	v_fma_f64 v[110:111], -v[90:91], v[190:191], v[110:111]
	v_fma_f64 v[152:153], -v[90:91], v[192:193], v[152:153]
	s_waitcnt lgkmcnt(1)
	v_fma_f64 v[108:109], -v[90:91], v[182:183], v[108:109]
	ds_read2_b64 v[190:193], v197 offset0:33 offset1:34
	v_fma_f64 v[150:151], -v[90:91], v[184:185], v[150:151]
	ds_read2_b64 v[182:185], v197 offset0:35 offset1:36
	s_waitcnt lgkmcnt(2)
	v_fma_f64 v[106:107], -v[90:91], v[186:187], v[106:107]
	v_fma_f64 v[148:149], -v[90:91], v[188:189], v[148:149]
	ds_read2_b64 v[186:189], v197 offset0:37 offset1:38
	s_waitcnt lgkmcnt(2)
	v_fma_f64 v[164:165], -v[90:91], v[190:191], v[164:165]
	v_fma_f64 v[146:147], -v[90:91], v[192:193], v[146:147]
	s_waitcnt lgkmcnt(1)
	v_fma_f64 v[102:103], -v[90:91], v[182:183], v[102:103]
	v_fma_f64 v[144:145], -v[90:91], v[184:185], v[144:145]
	ds_read2_b64 v[182:185], v197 offset0:39 offset1:40
	s_waitcnt lgkmcnt(1)
	v_fma_f64 v[100:101], -v[90:91], v[186:187], v[100:101]
	ds_read2_b64 v[190:193], v197 offset0:41 offset1:42
	v_fma_f64 v[142:143], -v[90:91], v[188:189], v[142:143]
	ds_read2_b64 v[186:189], v197 offset0:43 offset1:44
	s_waitcnt lgkmcnt(2)
	v_fma_f64 v[98:99], -v[90:91], v[182:183], v[98:99]
	v_fma_f64 v[140:141], -v[90:91], v[184:185], v[140:141]
	s_waitcnt lgkmcnt(1)
	v_fma_f64 v[96:97], -v[90:91], v[190:191], v[96:97]
	v_fma_f64 v[138:139], -v[90:91], v[192:193], v[138:139]
	s_waitcnt lgkmcnt(0)
	v_fma_f64 v[94:95], -v[90:91], v[186:187], v[94:95]
	buffer_store_dword v90, off, s[16:19], 0 ; 4-byte Folded Spill
	s_nop 0
	buffer_store_dword v91, off, s[16:19], 0 offset:4 ; 4-byte Folded Spill
	v_fma_f64 v[180:181], -v[90:91], v[188:189], v[180:181]
.LBB89_86:
	s_or_b64 exec, exec, s[2:3]
	v_cmp_eq_u32_e32 vcc, 17, v198
	s_waitcnt lgkmcnt(0)
	s_barrier
	s_and_saveexec_b64 s[2:3], vcc
	s_cbranch_execz .LBB89_89
; %bb.87:
	s_waitcnt vmcnt(26)
	v_mov_b32_e32 v182, v162
	v_mov_b32_e32 v183, v163
	s_waitcnt vmcnt(25)
	v_mov_b32_e32 v184, v118
	v_mov_b32_e32 v185, v119
	ds_write_b64 v196, v[120:121]
	ds_write2_b64 v197, v[182:183], v[184:185] offset0:18 offset1:19
	s_waitcnt vmcnt(24)
	v_mov_b32_e32 v182, v160
	v_mov_b32_e32 v183, v161
	s_waitcnt vmcnt(23)
	v_mov_b32_e32 v184, v116
	v_mov_b32_e32 v185, v117
	ds_write2_b64 v197, v[182:183], v[184:185] offset0:20 offset1:21
	s_waitcnt vmcnt(22)
	v_mov_b32_e32 v182, v158
	v_mov_b32_e32 v183, v159
	s_waitcnt vmcnt(21)
	v_mov_b32_e32 v184, v114
	v_mov_b32_e32 v185, v115
	;; [unrolled: 7-line block ×12, first 2 shown]
	ds_write2_b64 v197, v[182:183], v[184:185] offset0:42 offset1:43
	s_waitcnt vmcnt(0)
	ds_write_b64 v197, v[180:181] offset:352
	ds_read_b64 v[182:183], v196
	s_waitcnt lgkmcnt(0)
	v_cmp_neq_f64_e32 vcc, 0, v[182:183]
	s_and_b64 exec, exec, vcc
	s_cbranch_execz .LBB89_89
; %bb.88:
	v_div_scale_f64 v[184:185], s[6:7], v[182:183], v[182:183], 1.0
	v_rcp_f64_e32 v[186:187], v[184:185]
	v_div_scale_f64 v[188:189], vcc, 1.0, v[182:183], 1.0
	v_fma_f64 v[190:191], -v[184:185], v[186:187], 1.0
	v_fmac_f64_e32 v[186:187], v[186:187], v[190:191]
	v_fma_f64 v[190:191], -v[184:185], v[186:187], 1.0
	v_fmac_f64_e32 v[186:187], v[186:187], v[190:191]
	v_mul_f64 v[190:191], v[188:189], v[186:187]
	v_fma_f64 v[184:185], -v[184:185], v[190:191], v[188:189]
	v_div_fmas_f64 v[184:185], v[184:185], v[186:187], v[190:191]
	v_div_fixup_f64 v[182:183], v[184:185], v[182:183], 1.0
	ds_write_b64 v196, v[182:183]
.LBB89_89:
	s_or_b64 exec, exec, s[2:3]
	s_waitcnt lgkmcnt(0)
	s_barrier
	ds_read_b64 v[238:239], v196
	v_cmp_lt_u32_e32 vcc, 17, v198
	s_and_saveexec_b64 s[2:3], vcc
	s_cbranch_execz .LBB89_91
; %bb.90:
	ds_read2_b64 v[182:185], v197 offset0:18 offset1:19
	ds_read2_b64 v[186:189], v197 offset0:20 offset1:21
	s_waitcnt vmcnt(27) lgkmcnt(2)
	v_mul_f64 v[120:121], v[238:239], v[120:121]
	ds_read2_b64 v[190:193], v197 offset0:22 offset1:23
	s_waitcnt vmcnt(26) lgkmcnt(2)
	v_fma_f64 v[162:163], -v[120:121], v[182:183], v[162:163]
	s_waitcnt vmcnt(25)
	v_fma_f64 v[118:119], -v[120:121], v[184:185], v[118:119]
	ds_read2_b64 v[182:185], v197 offset0:24 offset1:25
	s_waitcnt vmcnt(24) lgkmcnt(2)
	v_fma_f64 v[160:161], -v[120:121], v[186:187], v[160:161]
	s_waitcnt vmcnt(23)
	v_fma_f64 v[116:117], -v[120:121], v[188:189], v[116:117]
	;; [unrolled: 5-line block ×4, first 2 shown]
	s_waitcnt vmcnt(18) lgkmcnt(1)
	v_fma_f64 v[154:155], -v[120:121], v[186:187], v[154:155]
	ds_read2_b64 v[182:185], v197 offset0:30 offset1:31
	s_waitcnt vmcnt(17)
	v_fma_f64 v[110:111], -v[120:121], v[188:189], v[110:111]
	ds_read2_b64 v[186:189], v197 offset0:32 offset1:33
	s_waitcnt vmcnt(16) lgkmcnt(2)
	v_fma_f64 v[152:153], -v[120:121], v[190:191], v[152:153]
	s_waitcnt vmcnt(15)
	v_fma_f64 v[108:109], -v[120:121], v[192:193], v[108:109]
	s_waitcnt vmcnt(14) lgkmcnt(1)
	v_fma_f64 v[150:151], -v[120:121], v[182:183], v[150:151]
	ds_read2_b64 v[190:193], v197 offset0:34 offset1:35
	s_waitcnt vmcnt(13)
	v_fma_f64 v[106:107], -v[120:121], v[184:185], v[106:107]
	ds_read2_b64 v[182:185], v197 offset0:36 offset1:37
	s_waitcnt vmcnt(12) lgkmcnt(2)
	v_fma_f64 v[148:149], -v[120:121], v[186:187], v[148:149]
	s_waitcnt vmcnt(11)
	v_fma_f64 v[164:165], -v[120:121], v[188:189], v[164:165]
	ds_read2_b64 v[186:189], v197 offset0:38 offset1:39
	s_waitcnt vmcnt(10) lgkmcnt(2)
	v_fma_f64 v[146:147], -v[120:121], v[190:191], v[146:147]
	s_waitcnt vmcnt(9)
	v_fma_f64 v[102:103], -v[120:121], v[192:193], v[102:103]
	s_waitcnt vmcnt(8) lgkmcnt(1)
	v_fma_f64 v[144:145], -v[120:121], v[182:183], v[144:145]
	s_waitcnt vmcnt(7)
	v_fma_f64 v[100:101], -v[120:121], v[184:185], v[100:101]
	ds_read2_b64 v[182:185], v197 offset0:40 offset1:41
	s_waitcnt vmcnt(6) lgkmcnt(1)
	v_fma_f64 v[142:143], -v[120:121], v[186:187], v[142:143]
	ds_read2_b64 v[190:193], v197 offset0:42 offset1:43
	ds_read_b64 v[186:187], v197 offset:352
	s_waitcnt vmcnt(5)
	v_fma_f64 v[98:99], -v[120:121], v[188:189], v[98:99]
	s_waitcnt vmcnt(4) lgkmcnt(2)
	v_fma_f64 v[140:141], -v[120:121], v[182:183], v[140:141]
	s_waitcnt vmcnt(3)
	v_fma_f64 v[96:97], -v[120:121], v[184:185], v[96:97]
	s_waitcnt vmcnt(2) lgkmcnt(1)
	v_fma_f64 v[138:139], -v[120:121], v[190:191], v[138:139]
	;; [unrolled: 4-line block ×3, first 2 shown]
.LBB89_91:
	s_or_b64 exec, exec, s[2:3]
	v_cmp_eq_u32_e32 vcc, 18, v198
	s_waitcnt lgkmcnt(0)
	s_barrier
	s_and_saveexec_b64 s[2:3], vcc
	s_cbranch_execz .LBB89_94
; %bb.92:
	s_waitcnt vmcnt(26)
	ds_write_b64 v196, v[162:163]
	s_waitcnt vmcnt(24)
	ds_write2_b64 v197, v[118:119], v[160:161] offset0:19 offset1:20
	s_waitcnt vmcnt(22)
	ds_write2_b64 v197, v[116:117], v[158:159] offset0:21 offset1:22
	;; [unrolled: 2-line block ×13, first 2 shown]
	ds_read_b64 v[182:183], v196
	s_waitcnt lgkmcnt(0)
	v_cmp_neq_f64_e32 vcc, 0, v[182:183]
	s_and_b64 exec, exec, vcc
	s_cbranch_execz .LBB89_94
; %bb.93:
	v_div_scale_f64 v[184:185], s[6:7], v[182:183], v[182:183], 1.0
	v_rcp_f64_e32 v[186:187], v[184:185]
	v_div_scale_f64 v[188:189], vcc, 1.0, v[182:183], 1.0
	v_fma_f64 v[190:191], -v[184:185], v[186:187], 1.0
	v_fmac_f64_e32 v[186:187], v[186:187], v[190:191]
	v_fma_f64 v[190:191], -v[184:185], v[186:187], 1.0
	v_fmac_f64_e32 v[186:187], v[186:187], v[190:191]
	v_mul_f64 v[190:191], v[188:189], v[186:187]
	v_fma_f64 v[184:185], -v[184:185], v[190:191], v[188:189]
	v_div_fmas_f64 v[184:185], v[184:185], v[186:187], v[190:191]
	v_div_fixup_f64 v[182:183], v[184:185], v[182:183], 1.0
	ds_write_b64 v196, v[182:183]
.LBB89_94:
	s_or_b64 exec, exec, s[2:3]
	s_waitcnt lgkmcnt(0)
	s_barrier
	ds_read_b64 v[240:241], v196
	v_cmp_lt_u32_e32 vcc, 18, v198
	s_and_saveexec_b64 s[2:3], vcc
	s_cbranch_execz .LBB89_96
; %bb.95:
	ds_read2_b64 v[182:185], v197 offset0:19 offset1:20
	ds_read2_b64 v[186:189], v197 offset0:21 offset1:22
	s_waitcnt vmcnt(26) lgkmcnt(2)
	v_mul_f64 v[162:163], v[240:241], v[162:163]
	ds_read2_b64 v[190:193], v197 offset0:23 offset1:24
	s_waitcnt vmcnt(25) lgkmcnt(2)
	v_fma_f64 v[118:119], -v[162:163], v[182:183], v[118:119]
	s_waitcnt vmcnt(24)
	v_fma_f64 v[160:161], -v[162:163], v[184:185], v[160:161]
	ds_read2_b64 v[182:185], v197 offset0:25 offset1:26
	s_waitcnt vmcnt(23) lgkmcnt(2)
	v_fma_f64 v[116:117], -v[162:163], v[186:187], v[116:117]
	s_waitcnt vmcnt(22)
	v_fma_f64 v[158:159], -v[162:163], v[188:189], v[158:159]
	s_waitcnt vmcnt(21) lgkmcnt(1)
	v_fma_f64 v[114:115], -v[162:163], v[190:191], v[114:115]
	ds_read2_b64 v[186:189], v197 offset0:27 offset1:28
	s_waitcnt vmcnt(20)
	v_fma_f64 v[156:157], -v[162:163], v[192:193], v[156:157]
	ds_read2_b64 v[190:193], v197 offset0:29 offset1:30
	s_waitcnt vmcnt(19) lgkmcnt(2)
	v_fma_f64 v[112:113], -v[162:163], v[182:183], v[112:113]
	s_waitcnt vmcnt(18)
	v_fma_f64 v[154:155], -v[162:163], v[184:185], v[154:155]
	ds_read2_b64 v[182:185], v197 offset0:31 offset1:32
	s_waitcnt vmcnt(17) lgkmcnt(2)
	v_fma_f64 v[110:111], -v[162:163], v[186:187], v[110:111]
	;; [unrolled: 5-line block ×3, first 2 shown]
	s_waitcnt vmcnt(14)
	v_fma_f64 v[150:151], -v[162:163], v[192:193], v[150:151]
	s_waitcnt vmcnt(13) lgkmcnt(1)
	v_fma_f64 v[106:107], -v[162:163], v[182:183], v[106:107]
	ds_read2_b64 v[190:193], v197 offset0:35 offset1:36
	s_waitcnt vmcnt(12)
	v_fma_f64 v[148:149], -v[162:163], v[184:185], v[148:149]
	ds_read2_b64 v[182:185], v197 offset0:37 offset1:38
	s_waitcnt vmcnt(11) lgkmcnt(2)
	v_fma_f64 v[164:165], -v[162:163], v[186:187], v[164:165]
	s_waitcnt vmcnt(10)
	v_fma_f64 v[146:147], -v[162:163], v[188:189], v[146:147]
	s_waitcnt vmcnt(9) lgkmcnt(1)
	v_fma_f64 v[102:103], -v[162:163], v[190:191], v[102:103]
	s_waitcnt vmcnt(8)
	v_fma_f64 v[144:145], -v[162:163], v[192:193], v[144:145]
	ds_read2_b64 v[186:189], v197 offset0:39 offset1:40
	ds_read2_b64 v[190:193], v197 offset0:41 offset1:42
	s_waitcnt vmcnt(7) lgkmcnt(2)
	v_fma_f64 v[100:101], -v[162:163], v[182:183], v[100:101]
	s_waitcnt vmcnt(6)
	v_fma_f64 v[142:143], -v[162:163], v[184:185], v[142:143]
	ds_read2_b64 v[182:185], v197 offset0:43 offset1:44
	s_waitcnt vmcnt(5) lgkmcnt(2)
	v_fma_f64 v[98:99], -v[162:163], v[186:187], v[98:99]
	s_waitcnt vmcnt(4)
	v_fma_f64 v[140:141], -v[162:163], v[188:189], v[140:141]
	s_waitcnt vmcnt(3) lgkmcnt(1)
	v_fma_f64 v[96:97], -v[162:163], v[190:191], v[96:97]
	s_waitcnt vmcnt(2)
	v_fma_f64 v[138:139], -v[162:163], v[192:193], v[138:139]
	;; [unrolled: 4-line block ×3, first 2 shown]
.LBB89_96:
	s_or_b64 exec, exec, s[2:3]
	v_cmp_eq_u32_e32 vcc, 19, v198
	s_waitcnt lgkmcnt(0)
	s_barrier
	s_and_saveexec_b64 s[2:3], vcc
	s_cbranch_execz .LBB89_99
; %bb.97:
	s_waitcnt vmcnt(24)
	v_mov_b32_e32 v182, v160
	v_mov_b32_e32 v183, v161
	s_waitcnt vmcnt(23)
	v_mov_b32_e32 v184, v116
	v_mov_b32_e32 v185, v117
	ds_write_b64 v196, v[118:119]
	ds_write2_b64 v197, v[182:183], v[184:185] offset0:20 offset1:21
	s_waitcnt vmcnt(22)
	v_mov_b32_e32 v182, v158
	v_mov_b32_e32 v183, v159
	s_waitcnt vmcnt(21)
	v_mov_b32_e32 v184, v114
	v_mov_b32_e32 v185, v115
	ds_write2_b64 v197, v[182:183], v[184:185] offset0:22 offset1:23
	s_waitcnt vmcnt(20)
	v_mov_b32_e32 v182, v156
	v_mov_b32_e32 v183, v157
	s_waitcnt vmcnt(19)
	v_mov_b32_e32 v184, v112
	v_mov_b32_e32 v185, v113
	;; [unrolled: 7-line block ×11, first 2 shown]
	ds_write2_b64 v197, v[182:183], v[184:185] offset0:42 offset1:43
	s_waitcnt vmcnt(0)
	ds_write_b64 v197, v[180:181] offset:352
	ds_read_b64 v[182:183], v196
	s_waitcnt lgkmcnt(0)
	v_cmp_neq_f64_e32 vcc, 0, v[182:183]
	s_and_b64 exec, exec, vcc
	s_cbranch_execz .LBB89_99
; %bb.98:
	v_div_scale_f64 v[184:185], s[6:7], v[182:183], v[182:183], 1.0
	v_rcp_f64_e32 v[186:187], v[184:185]
	v_div_scale_f64 v[188:189], vcc, 1.0, v[182:183], 1.0
	v_fma_f64 v[190:191], -v[184:185], v[186:187], 1.0
	v_fmac_f64_e32 v[186:187], v[186:187], v[190:191]
	v_fma_f64 v[190:191], -v[184:185], v[186:187], 1.0
	v_fmac_f64_e32 v[186:187], v[186:187], v[190:191]
	v_mul_f64 v[190:191], v[188:189], v[186:187]
	v_fma_f64 v[184:185], -v[184:185], v[190:191], v[188:189]
	v_div_fmas_f64 v[184:185], v[184:185], v[186:187], v[190:191]
	v_div_fixup_f64 v[182:183], v[184:185], v[182:183], 1.0
	ds_write_b64 v196, v[182:183]
.LBB89_99:
	s_or_b64 exec, exec, s[2:3]
	s_waitcnt lgkmcnt(0)
	s_barrier
	ds_read_b64 v[242:243], v196
	v_cmp_lt_u32_e32 vcc, 19, v198
	s_and_saveexec_b64 s[2:3], vcc
	s_cbranch_execz .LBB89_101
; %bb.100:
	ds_read2_b64 v[182:185], v197 offset0:20 offset1:21
	ds_read2_b64 v[186:189], v197 offset0:22 offset1:23
	s_waitcnt vmcnt(25) lgkmcnt(2)
	v_mul_f64 v[118:119], v[242:243], v[118:119]
	ds_read2_b64 v[190:193], v197 offset0:24 offset1:25
	s_waitcnt vmcnt(24) lgkmcnt(2)
	v_fma_f64 v[160:161], -v[118:119], v[182:183], v[160:161]
	s_waitcnt vmcnt(23)
	v_fma_f64 v[116:117], -v[118:119], v[184:185], v[116:117]
	ds_read2_b64 v[182:185], v197 offset0:26 offset1:27
	s_waitcnt vmcnt(22) lgkmcnt(2)
	v_fma_f64 v[158:159], -v[118:119], v[186:187], v[158:159]
	s_waitcnt vmcnt(21)
	v_fma_f64 v[114:115], -v[118:119], v[188:189], v[114:115]
	s_waitcnt vmcnt(20) lgkmcnt(1)
	v_fma_f64 v[156:157], -v[118:119], v[190:191], v[156:157]
	ds_read2_b64 v[186:189], v197 offset0:28 offset1:29
	s_waitcnt vmcnt(19)
	v_fma_f64 v[112:113], -v[118:119], v[192:193], v[112:113]
	ds_read2_b64 v[190:193], v197 offset0:30 offset1:31
	s_waitcnt vmcnt(18) lgkmcnt(2)
	v_fma_f64 v[154:155], -v[118:119], v[182:183], v[154:155]
	s_waitcnt vmcnt(17)
	v_fma_f64 v[110:111], -v[118:119], v[184:185], v[110:111]
	ds_read2_b64 v[182:185], v197 offset0:32 offset1:33
	s_waitcnt vmcnt(16) lgkmcnt(2)
	v_fma_f64 v[152:153], -v[118:119], v[186:187], v[152:153]
	;; [unrolled: 5-line block ×3, first 2 shown]
	s_waitcnt vmcnt(13)
	v_fma_f64 v[106:107], -v[118:119], v[192:193], v[106:107]
	s_waitcnt vmcnt(12) lgkmcnt(1)
	v_fma_f64 v[148:149], -v[118:119], v[182:183], v[148:149]
	ds_read2_b64 v[190:193], v197 offset0:36 offset1:37
	s_waitcnt vmcnt(11)
	v_fma_f64 v[164:165], -v[118:119], v[184:185], v[164:165]
	ds_read2_b64 v[182:185], v197 offset0:38 offset1:39
	s_waitcnt vmcnt(10) lgkmcnt(2)
	v_fma_f64 v[146:147], -v[118:119], v[186:187], v[146:147]
	s_waitcnt vmcnt(9)
	v_fma_f64 v[102:103], -v[118:119], v[188:189], v[102:103]
	s_waitcnt vmcnt(8) lgkmcnt(1)
	v_fma_f64 v[144:145], -v[118:119], v[190:191], v[144:145]
	s_waitcnt vmcnt(7)
	v_fma_f64 v[100:101], -v[118:119], v[192:193], v[100:101]
	ds_read2_b64 v[186:189], v197 offset0:40 offset1:41
	ds_read2_b64 v[190:193], v197 offset0:42 offset1:43
	s_waitcnt vmcnt(6) lgkmcnt(2)
	v_fma_f64 v[142:143], -v[118:119], v[182:183], v[142:143]
	ds_read_b64 v[182:183], v197 offset:352
	s_waitcnt vmcnt(5)
	v_fma_f64 v[98:99], -v[118:119], v[184:185], v[98:99]
	s_waitcnt vmcnt(4) lgkmcnt(2)
	v_fma_f64 v[140:141], -v[118:119], v[186:187], v[140:141]
	s_waitcnt vmcnt(3)
	v_fma_f64 v[96:97], -v[118:119], v[188:189], v[96:97]
	s_waitcnt vmcnt(2) lgkmcnt(1)
	v_fma_f64 v[138:139], -v[118:119], v[190:191], v[138:139]
	;; [unrolled: 4-line block ×3, first 2 shown]
.LBB89_101:
	s_or_b64 exec, exec, s[2:3]
	v_cmp_eq_u32_e32 vcc, 20, v198
	s_waitcnt lgkmcnt(0)
	s_barrier
	s_and_saveexec_b64 s[2:3], vcc
	s_cbranch_execz .LBB89_104
; %bb.102:
	s_waitcnt vmcnt(24)
	ds_write_b64 v196, v[160:161]
	s_waitcnt vmcnt(22)
	ds_write2_b64 v197, v[116:117], v[158:159] offset0:21 offset1:22
	s_waitcnt vmcnt(20)
	ds_write2_b64 v197, v[114:115], v[156:157] offset0:23 offset1:24
	;; [unrolled: 2-line block ×12, first 2 shown]
	ds_read_b64 v[182:183], v196
	s_waitcnt lgkmcnt(0)
	v_cmp_neq_f64_e32 vcc, 0, v[182:183]
	s_and_b64 exec, exec, vcc
	s_cbranch_execz .LBB89_104
; %bb.103:
	v_div_scale_f64 v[184:185], s[6:7], v[182:183], v[182:183], 1.0
	v_rcp_f64_e32 v[186:187], v[184:185]
	v_div_scale_f64 v[188:189], vcc, 1.0, v[182:183], 1.0
	v_fma_f64 v[190:191], -v[184:185], v[186:187], 1.0
	v_fmac_f64_e32 v[186:187], v[186:187], v[190:191]
	v_fma_f64 v[190:191], -v[184:185], v[186:187], 1.0
	v_fmac_f64_e32 v[186:187], v[186:187], v[190:191]
	v_mul_f64 v[190:191], v[188:189], v[186:187]
	v_fma_f64 v[184:185], -v[184:185], v[190:191], v[188:189]
	v_div_fmas_f64 v[184:185], v[184:185], v[186:187], v[190:191]
	v_div_fixup_f64 v[182:183], v[184:185], v[182:183], 1.0
	ds_write_b64 v196, v[182:183]
.LBB89_104:
	s_or_b64 exec, exec, s[2:3]
	s_waitcnt lgkmcnt(0)
	s_barrier
	ds_read_b64 v[244:245], v196
	v_cmp_lt_u32_e32 vcc, 20, v198
	s_and_saveexec_b64 s[2:3], vcc
	s_cbranch_execz .LBB89_106
; %bb.105:
	ds_read2_b64 v[182:185], v197 offset0:21 offset1:22
	ds_read2_b64 v[186:189], v197 offset0:23 offset1:24
	;; [unrolled: 1-line block ×3, first 2 shown]
	s_waitcnt vmcnt(24) lgkmcnt(3)
	v_mul_f64 v[160:161], v[244:245], v[160:161]
	s_waitcnt vmcnt(23) lgkmcnt(2)
	v_fma_f64 v[116:117], -v[160:161], v[182:183], v[116:117]
	s_waitcnt vmcnt(22)
	v_fma_f64 v[158:159], -v[160:161], v[184:185], v[158:159]
	ds_read2_b64 v[182:185], v197 offset0:27 offset1:28
	s_waitcnt vmcnt(21) lgkmcnt(2)
	v_fma_f64 v[114:115], -v[160:161], v[186:187], v[114:115]
	s_waitcnt vmcnt(20)
	v_fma_f64 v[156:157], -v[160:161], v[188:189], v[156:157]
	s_waitcnt vmcnt(19) lgkmcnt(1)
	v_fma_f64 v[112:113], -v[160:161], v[190:191], v[112:113]
	ds_read2_b64 v[186:189], v197 offset0:29 offset1:30
	s_waitcnt vmcnt(18)
	v_fma_f64 v[154:155], -v[160:161], v[192:193], v[154:155]
	ds_read2_b64 v[190:193], v197 offset0:31 offset1:32
	s_waitcnt vmcnt(17) lgkmcnt(2)
	v_fma_f64 v[110:111], -v[160:161], v[182:183], v[110:111]
	s_waitcnt vmcnt(16)
	v_fma_f64 v[152:153], -v[160:161], v[184:185], v[152:153]
	s_waitcnt vmcnt(15) lgkmcnt(1)
	v_fma_f64 v[108:109], -v[160:161], v[186:187], v[108:109]
	ds_read2_b64 v[182:185], v197 offset0:33 offset1:34
	s_waitcnt vmcnt(14)
	v_fma_f64 v[150:151], -v[160:161], v[188:189], v[150:151]
	ds_read2_b64 v[186:189], v197 offset0:35 offset1:36
	s_waitcnt vmcnt(13) lgkmcnt(2)
	v_fma_f64 v[106:107], -v[160:161], v[190:191], v[106:107]
	s_waitcnt vmcnt(12)
	v_fma_f64 v[148:149], -v[160:161], v[192:193], v[148:149]
	ds_read2_b64 v[190:193], v197 offset0:37 offset1:38
	s_waitcnt vmcnt(11) lgkmcnt(2)
	v_fma_f64 v[164:165], -v[160:161], v[182:183], v[164:165]
	s_waitcnt vmcnt(10)
	v_fma_f64 v[146:147], -v[160:161], v[184:185], v[146:147]
	ds_read2_b64 v[182:185], v197 offset0:39 offset1:40
	s_waitcnt vmcnt(9) lgkmcnt(2)
	v_fma_f64 v[102:103], -v[160:161], v[186:187], v[102:103]
	s_waitcnt vmcnt(8)
	v_fma_f64 v[144:145], -v[160:161], v[188:189], v[144:145]
	s_waitcnt vmcnt(7) lgkmcnt(1)
	v_fma_f64 v[100:101], -v[160:161], v[190:191], v[100:101]
	ds_read2_b64 v[186:189], v197 offset0:41 offset1:42
	s_waitcnt vmcnt(6)
	v_fma_f64 v[142:143], -v[160:161], v[192:193], v[142:143]
	ds_read2_b64 v[190:193], v197 offset0:43 offset1:44
	s_waitcnt vmcnt(5) lgkmcnt(2)
	v_fma_f64 v[98:99], -v[160:161], v[182:183], v[98:99]
	s_waitcnt vmcnt(4)
	v_fma_f64 v[140:141], -v[160:161], v[184:185], v[140:141]
	s_waitcnt vmcnt(3) lgkmcnt(1)
	v_fma_f64 v[96:97], -v[160:161], v[186:187], v[96:97]
	s_waitcnt vmcnt(2)
	v_fma_f64 v[138:139], -v[160:161], v[188:189], v[138:139]
	;; [unrolled: 4-line block ×3, first 2 shown]
.LBB89_106:
	s_or_b64 exec, exec, s[2:3]
	v_cmp_eq_u32_e32 vcc, 21, v198
	s_waitcnt lgkmcnt(0)
	s_barrier
	s_and_saveexec_b64 s[2:3], vcc
	s_cbranch_execz .LBB89_109
; %bb.107:
	s_waitcnt vmcnt(22)
	v_mov_b32_e32 v182, v158
	v_mov_b32_e32 v183, v159
	s_waitcnt vmcnt(21)
	v_mov_b32_e32 v184, v114
	v_mov_b32_e32 v185, v115
	ds_write_b64 v196, v[116:117]
	ds_write2_b64 v197, v[182:183], v[184:185] offset0:22 offset1:23
	s_waitcnt vmcnt(20)
	v_mov_b32_e32 v182, v156
	v_mov_b32_e32 v183, v157
	s_waitcnt vmcnt(19)
	v_mov_b32_e32 v184, v112
	v_mov_b32_e32 v185, v113
	ds_write2_b64 v197, v[182:183], v[184:185] offset0:24 offset1:25
	s_waitcnt vmcnt(18)
	v_mov_b32_e32 v182, v154
	v_mov_b32_e32 v183, v155
	s_waitcnt vmcnt(17)
	v_mov_b32_e32 v184, v110
	v_mov_b32_e32 v185, v111
	;; [unrolled: 7-line block ×10, first 2 shown]
	ds_write2_b64 v197, v[182:183], v[184:185] offset0:42 offset1:43
	s_waitcnt vmcnt(0)
	ds_write_b64 v197, v[180:181] offset:352
	ds_read_b64 v[182:183], v196
	s_waitcnt lgkmcnt(0)
	v_cmp_neq_f64_e32 vcc, 0, v[182:183]
	s_and_b64 exec, exec, vcc
	s_cbranch_execz .LBB89_109
; %bb.108:
	v_div_scale_f64 v[184:185], s[6:7], v[182:183], v[182:183], 1.0
	v_rcp_f64_e32 v[186:187], v[184:185]
	v_div_scale_f64 v[188:189], vcc, 1.0, v[182:183], 1.0
	v_fma_f64 v[190:191], -v[184:185], v[186:187], 1.0
	v_fmac_f64_e32 v[186:187], v[186:187], v[190:191]
	v_fma_f64 v[190:191], -v[184:185], v[186:187], 1.0
	v_fmac_f64_e32 v[186:187], v[186:187], v[190:191]
	v_mul_f64 v[190:191], v[188:189], v[186:187]
	v_fma_f64 v[184:185], -v[184:185], v[190:191], v[188:189]
	v_div_fmas_f64 v[184:185], v[184:185], v[186:187], v[190:191]
	v_div_fixup_f64 v[182:183], v[184:185], v[182:183], 1.0
	ds_write_b64 v196, v[182:183]
.LBB89_109:
	s_or_b64 exec, exec, s[2:3]
	s_waitcnt lgkmcnt(0)
	s_barrier
	ds_read_b64 v[246:247], v196
	v_cmp_lt_u32_e32 vcc, 21, v198
	s_and_saveexec_b64 s[2:3], vcc
	s_cbranch_execz .LBB89_111
; %bb.110:
	ds_read2_b64 v[182:185], v197 offset0:22 offset1:23
	ds_read2_b64 v[186:189], v197 offset0:24 offset1:25
	;; [unrolled: 1-line block ×3, first 2 shown]
	s_waitcnt vmcnt(23) lgkmcnt(3)
	v_mul_f64 v[116:117], v[246:247], v[116:117]
	s_waitcnt vmcnt(22) lgkmcnt(2)
	v_fma_f64 v[158:159], -v[116:117], v[182:183], v[158:159]
	s_waitcnt vmcnt(21)
	v_fma_f64 v[114:115], -v[116:117], v[184:185], v[114:115]
	ds_read2_b64 v[182:185], v197 offset0:28 offset1:29
	s_waitcnt vmcnt(20) lgkmcnt(2)
	v_fma_f64 v[156:157], -v[116:117], v[186:187], v[156:157]
	s_waitcnt vmcnt(19)
	v_fma_f64 v[112:113], -v[116:117], v[188:189], v[112:113]
	s_waitcnt vmcnt(18) lgkmcnt(1)
	v_fma_f64 v[154:155], -v[116:117], v[190:191], v[154:155]
	ds_read2_b64 v[186:189], v197 offset0:30 offset1:31
	s_waitcnt vmcnt(17)
	v_fma_f64 v[110:111], -v[116:117], v[192:193], v[110:111]
	ds_read2_b64 v[190:193], v197 offset0:32 offset1:33
	s_waitcnt vmcnt(16) lgkmcnt(2)
	v_fma_f64 v[152:153], -v[116:117], v[182:183], v[152:153]
	s_waitcnt vmcnt(15)
	v_fma_f64 v[108:109], -v[116:117], v[184:185], v[108:109]
	s_waitcnt vmcnt(14) lgkmcnt(1)
	v_fma_f64 v[150:151], -v[116:117], v[186:187], v[150:151]
	ds_read2_b64 v[182:185], v197 offset0:34 offset1:35
	s_waitcnt vmcnt(13)
	v_fma_f64 v[106:107], -v[116:117], v[188:189], v[106:107]
	ds_read2_b64 v[186:189], v197 offset0:36 offset1:37
	s_waitcnt vmcnt(12) lgkmcnt(2)
	v_fma_f64 v[148:149], -v[116:117], v[190:191], v[148:149]
	s_waitcnt vmcnt(11)
	v_fma_f64 v[164:165], -v[116:117], v[192:193], v[164:165]
	ds_read2_b64 v[190:193], v197 offset0:38 offset1:39
	s_waitcnt vmcnt(10) lgkmcnt(2)
	v_fma_f64 v[146:147], -v[116:117], v[182:183], v[146:147]
	s_waitcnt vmcnt(9)
	v_fma_f64 v[102:103], -v[116:117], v[184:185], v[102:103]
	ds_read2_b64 v[182:185], v197 offset0:40 offset1:41
	s_waitcnt vmcnt(8) lgkmcnt(2)
	v_fma_f64 v[144:145], -v[116:117], v[186:187], v[144:145]
	s_waitcnt vmcnt(7)
	v_fma_f64 v[100:101], -v[116:117], v[188:189], v[100:101]
	s_waitcnt vmcnt(6) lgkmcnt(1)
	v_fma_f64 v[142:143], -v[116:117], v[190:191], v[142:143]
	ds_read2_b64 v[186:189], v197 offset0:42 offset1:43
	ds_read_b64 v[190:191], v197 offset:352
	s_waitcnt vmcnt(5)
	v_fma_f64 v[98:99], -v[116:117], v[192:193], v[98:99]
	s_waitcnt vmcnt(4) lgkmcnt(2)
	v_fma_f64 v[140:141], -v[116:117], v[182:183], v[140:141]
	s_waitcnt vmcnt(3)
	v_fma_f64 v[96:97], -v[116:117], v[184:185], v[96:97]
	s_waitcnt vmcnt(2) lgkmcnt(1)
	v_fma_f64 v[138:139], -v[116:117], v[186:187], v[138:139]
	;; [unrolled: 4-line block ×3, first 2 shown]
.LBB89_111:
	s_or_b64 exec, exec, s[2:3]
	v_cmp_eq_u32_e32 vcc, 22, v198
	s_waitcnt lgkmcnt(0)
	s_barrier
	s_and_saveexec_b64 s[2:3], vcc
	s_cbranch_execz .LBB89_114
; %bb.112:
	s_waitcnt vmcnt(22)
	ds_write_b64 v196, v[158:159]
	s_waitcnt vmcnt(20)
	ds_write2_b64 v197, v[114:115], v[156:157] offset0:23 offset1:24
	s_waitcnt vmcnt(18)
	ds_write2_b64 v197, v[112:113], v[154:155] offset0:25 offset1:26
	;; [unrolled: 2-line block ×11, first 2 shown]
	ds_read_b64 v[182:183], v196
	s_waitcnt lgkmcnt(0)
	v_cmp_neq_f64_e32 vcc, 0, v[182:183]
	s_and_b64 exec, exec, vcc
	s_cbranch_execz .LBB89_114
; %bb.113:
	v_div_scale_f64 v[184:185], s[6:7], v[182:183], v[182:183], 1.0
	v_rcp_f64_e32 v[186:187], v[184:185]
	v_div_scale_f64 v[188:189], vcc, 1.0, v[182:183], 1.0
	v_fma_f64 v[190:191], -v[184:185], v[186:187], 1.0
	v_fmac_f64_e32 v[186:187], v[186:187], v[190:191]
	v_fma_f64 v[190:191], -v[184:185], v[186:187], 1.0
	v_fmac_f64_e32 v[186:187], v[186:187], v[190:191]
	v_mul_f64 v[190:191], v[188:189], v[186:187]
	v_fma_f64 v[184:185], -v[184:185], v[190:191], v[188:189]
	v_div_fmas_f64 v[184:185], v[184:185], v[186:187], v[190:191]
	v_div_fixup_f64 v[182:183], v[184:185], v[182:183], 1.0
	ds_write_b64 v196, v[182:183]
.LBB89_114:
	s_or_b64 exec, exec, s[2:3]
	s_waitcnt lgkmcnt(0)
	s_barrier
	ds_read_b64 v[248:249], v196
	v_cmp_lt_u32_e32 vcc, 22, v198
	s_and_saveexec_b64 s[2:3], vcc
	s_cbranch_execz .LBB89_116
; %bb.115:
	ds_read2_b64 v[182:185], v197 offset0:23 offset1:24
	ds_read2_b64 v[186:189], v197 offset0:25 offset1:26
	s_waitcnt vmcnt(22) lgkmcnt(2)
	v_mul_f64 v[158:159], v[248:249], v[158:159]
	ds_read2_b64 v[190:193], v197 offset0:27 offset1:28
	s_waitcnt vmcnt(21) lgkmcnt(2)
	v_fma_f64 v[114:115], -v[158:159], v[182:183], v[114:115]
	s_waitcnt vmcnt(20)
	v_fma_f64 v[156:157], -v[158:159], v[184:185], v[156:157]
	ds_read2_b64 v[182:185], v197 offset0:29 offset1:30
	s_waitcnt vmcnt(19) lgkmcnt(2)
	v_fma_f64 v[112:113], -v[158:159], v[186:187], v[112:113]
	s_waitcnt vmcnt(18)
	v_fma_f64 v[154:155], -v[158:159], v[188:189], v[154:155]
	;; [unrolled: 5-line block ×4, first 2 shown]
	s_waitcnt vmcnt(13) lgkmcnt(1)
	v_fma_f64 v[106:107], -v[158:159], v[186:187], v[106:107]
	ds_read2_b64 v[182:185], v197 offset0:35 offset1:36
	s_waitcnt vmcnt(12)
	v_fma_f64 v[148:149], -v[158:159], v[188:189], v[148:149]
	ds_read2_b64 v[186:189], v197 offset0:37 offset1:38
	s_waitcnt vmcnt(11) lgkmcnt(2)
	v_fma_f64 v[164:165], -v[158:159], v[190:191], v[164:165]
	s_waitcnt vmcnt(10)
	v_fma_f64 v[146:147], -v[158:159], v[192:193], v[146:147]
	s_waitcnt vmcnt(9) lgkmcnt(1)
	v_fma_f64 v[102:103], -v[158:159], v[182:183], v[102:103]
	s_waitcnt vmcnt(8)
	v_fma_f64 v[144:145], -v[158:159], v[184:185], v[144:145]
	ds_read2_b64 v[182:185], v197 offset0:39 offset1:40
	ds_read2_b64 v[190:193], v197 offset0:41 offset1:42
	s_waitcnt vmcnt(7) lgkmcnt(2)
	v_fma_f64 v[100:101], -v[158:159], v[186:187], v[100:101]
	s_waitcnt vmcnt(6)
	v_fma_f64 v[142:143], -v[158:159], v[188:189], v[142:143]
	ds_read2_b64 v[186:189], v197 offset0:43 offset1:44
	s_waitcnt vmcnt(5) lgkmcnt(2)
	v_fma_f64 v[98:99], -v[158:159], v[182:183], v[98:99]
	s_waitcnt vmcnt(4)
	v_fma_f64 v[140:141], -v[158:159], v[184:185], v[140:141]
	s_waitcnt vmcnt(3) lgkmcnt(1)
	v_fma_f64 v[96:97], -v[158:159], v[190:191], v[96:97]
	s_waitcnt vmcnt(2)
	v_fma_f64 v[138:139], -v[158:159], v[192:193], v[138:139]
	;; [unrolled: 4-line block ×3, first 2 shown]
.LBB89_116:
	s_or_b64 exec, exec, s[2:3]
	v_cmp_eq_u32_e32 vcc, 23, v198
	s_waitcnt lgkmcnt(0)
	s_barrier
	s_and_saveexec_b64 s[2:3], vcc
	s_cbranch_execz .LBB89_119
; %bb.117:
	s_waitcnt vmcnt(20)
	v_mov_b32_e32 v182, v156
	v_mov_b32_e32 v183, v157
	s_waitcnt vmcnt(19)
	v_mov_b32_e32 v184, v112
	v_mov_b32_e32 v185, v113
	ds_write_b64 v196, v[114:115]
	ds_write2_b64 v197, v[182:183], v[184:185] offset0:24 offset1:25
	s_waitcnt vmcnt(18)
	v_mov_b32_e32 v182, v154
	v_mov_b32_e32 v183, v155
	s_waitcnt vmcnt(17)
	v_mov_b32_e32 v184, v110
	v_mov_b32_e32 v185, v111
	ds_write2_b64 v197, v[182:183], v[184:185] offset0:26 offset1:27
	s_waitcnt vmcnt(16)
	v_mov_b32_e32 v182, v152
	v_mov_b32_e32 v183, v153
	s_waitcnt vmcnt(15)
	v_mov_b32_e32 v184, v108
	v_mov_b32_e32 v185, v109
	;; [unrolled: 7-line block ×9, first 2 shown]
	ds_write2_b64 v197, v[182:183], v[184:185] offset0:42 offset1:43
	s_waitcnt vmcnt(0)
	ds_write_b64 v197, v[180:181] offset:352
	ds_read_b64 v[182:183], v196
	s_waitcnt lgkmcnt(0)
	v_cmp_neq_f64_e32 vcc, 0, v[182:183]
	s_and_b64 exec, exec, vcc
	s_cbranch_execz .LBB89_119
; %bb.118:
	v_div_scale_f64 v[184:185], s[6:7], v[182:183], v[182:183], 1.0
	v_rcp_f64_e32 v[186:187], v[184:185]
	v_div_scale_f64 v[188:189], vcc, 1.0, v[182:183], 1.0
	v_fma_f64 v[190:191], -v[184:185], v[186:187], 1.0
	v_fmac_f64_e32 v[186:187], v[186:187], v[190:191]
	v_fma_f64 v[190:191], -v[184:185], v[186:187], 1.0
	v_fmac_f64_e32 v[186:187], v[186:187], v[190:191]
	v_mul_f64 v[190:191], v[188:189], v[186:187]
	v_fma_f64 v[184:185], -v[184:185], v[190:191], v[188:189]
	v_div_fmas_f64 v[184:185], v[184:185], v[186:187], v[190:191]
	v_div_fixup_f64 v[182:183], v[184:185], v[182:183], 1.0
	ds_write_b64 v196, v[182:183]
.LBB89_119:
	s_or_b64 exec, exec, s[2:3]
	s_waitcnt lgkmcnt(0)
	s_barrier
	ds_read_b64 v[250:251], v196
	v_cmp_lt_u32_e32 vcc, 23, v198
	s_and_saveexec_b64 s[2:3], vcc
	s_cbranch_execz .LBB89_121
; %bb.120:
	ds_read2_b64 v[182:185], v197 offset0:24 offset1:25
	ds_read2_b64 v[186:189], v197 offset0:26 offset1:27
	s_waitcnt vmcnt(21) lgkmcnt(2)
	v_mul_f64 v[114:115], v[250:251], v[114:115]
	ds_read2_b64 v[190:193], v197 offset0:28 offset1:29
	s_waitcnt vmcnt(20) lgkmcnt(2)
	v_fma_f64 v[156:157], -v[114:115], v[182:183], v[156:157]
	s_waitcnt vmcnt(19)
	v_fma_f64 v[112:113], -v[114:115], v[184:185], v[112:113]
	ds_read2_b64 v[182:185], v197 offset0:30 offset1:31
	s_waitcnt vmcnt(18) lgkmcnt(2)
	v_fma_f64 v[154:155], -v[114:115], v[186:187], v[154:155]
	s_waitcnt vmcnt(17)
	v_fma_f64 v[110:111], -v[114:115], v[188:189], v[110:111]
	;; [unrolled: 5-line block ×4, first 2 shown]
	s_waitcnt vmcnt(12) lgkmcnt(1)
	v_fma_f64 v[148:149], -v[114:115], v[186:187], v[148:149]
	ds_read2_b64 v[182:185], v197 offset0:36 offset1:37
	s_waitcnt vmcnt(11)
	v_fma_f64 v[164:165], -v[114:115], v[188:189], v[164:165]
	ds_read2_b64 v[186:189], v197 offset0:38 offset1:39
	s_waitcnt vmcnt(10) lgkmcnt(2)
	v_fma_f64 v[146:147], -v[114:115], v[190:191], v[146:147]
	s_waitcnt vmcnt(9)
	v_fma_f64 v[102:103], -v[114:115], v[192:193], v[102:103]
	s_waitcnt vmcnt(8) lgkmcnt(1)
	v_fma_f64 v[144:145], -v[114:115], v[182:183], v[144:145]
	s_waitcnt vmcnt(7)
	v_fma_f64 v[100:101], -v[114:115], v[184:185], v[100:101]
	ds_read2_b64 v[182:185], v197 offset0:40 offset1:41
	ds_read2_b64 v[190:193], v197 offset0:42 offset1:43
	s_waitcnt vmcnt(6) lgkmcnt(2)
	v_fma_f64 v[142:143], -v[114:115], v[186:187], v[142:143]
	ds_read_b64 v[186:187], v197 offset:352
	s_waitcnt vmcnt(5)
	v_fma_f64 v[98:99], -v[114:115], v[188:189], v[98:99]
	s_waitcnt vmcnt(4) lgkmcnt(2)
	v_fma_f64 v[140:141], -v[114:115], v[182:183], v[140:141]
	s_waitcnt vmcnt(3)
	v_fma_f64 v[96:97], -v[114:115], v[184:185], v[96:97]
	s_waitcnt vmcnt(2) lgkmcnt(1)
	v_fma_f64 v[138:139], -v[114:115], v[190:191], v[138:139]
	;; [unrolled: 4-line block ×3, first 2 shown]
.LBB89_121:
	s_or_b64 exec, exec, s[2:3]
	v_cmp_eq_u32_e32 vcc, 24, v198
	s_waitcnt lgkmcnt(0)
	s_barrier
	s_and_saveexec_b64 s[2:3], vcc
	s_cbranch_execz .LBB89_124
; %bb.122:
	s_waitcnt vmcnt(20)
	ds_write_b64 v196, v[156:157]
	s_waitcnt vmcnt(18)
	ds_write2_b64 v197, v[112:113], v[154:155] offset0:25 offset1:26
	s_waitcnt vmcnt(16)
	ds_write2_b64 v197, v[110:111], v[152:153] offset0:27 offset1:28
	;; [unrolled: 2-line block ×10, first 2 shown]
	ds_read_b64 v[182:183], v196
	s_waitcnt lgkmcnt(0)
	v_cmp_neq_f64_e32 vcc, 0, v[182:183]
	s_and_b64 exec, exec, vcc
	s_cbranch_execz .LBB89_124
; %bb.123:
	v_div_scale_f64 v[184:185], s[6:7], v[182:183], v[182:183], 1.0
	v_rcp_f64_e32 v[186:187], v[184:185]
	v_div_scale_f64 v[188:189], vcc, 1.0, v[182:183], 1.0
	v_fma_f64 v[190:191], -v[184:185], v[186:187], 1.0
	v_fmac_f64_e32 v[186:187], v[186:187], v[190:191]
	v_fma_f64 v[190:191], -v[184:185], v[186:187], 1.0
	v_fmac_f64_e32 v[186:187], v[186:187], v[190:191]
	v_mul_f64 v[190:191], v[188:189], v[186:187]
	v_fma_f64 v[184:185], -v[184:185], v[190:191], v[188:189]
	v_div_fmas_f64 v[184:185], v[184:185], v[186:187], v[190:191]
	v_div_fixup_f64 v[182:183], v[184:185], v[182:183], 1.0
	ds_write_b64 v196, v[182:183]
.LBB89_124:
	s_or_b64 exec, exec, s[2:3]
	s_waitcnt lgkmcnt(0)
	s_barrier
	ds_read_b64 v[252:253], v196
	v_cmp_lt_u32_e32 vcc, 24, v198
	s_and_saveexec_b64 s[2:3], vcc
	s_cbranch_execz .LBB89_126
; %bb.125:
	ds_read2_b64 v[182:185], v197 offset0:25 offset1:26
	ds_read2_b64 v[186:189], v197 offset0:27 offset1:28
	s_waitcnt vmcnt(20) lgkmcnt(2)
	v_mul_f64 v[156:157], v[252:253], v[156:157]
	ds_read2_b64 v[190:193], v197 offset0:29 offset1:30
	s_waitcnt vmcnt(19) lgkmcnt(2)
	v_fma_f64 v[112:113], -v[156:157], v[182:183], v[112:113]
	s_waitcnt vmcnt(18)
	v_fma_f64 v[154:155], -v[156:157], v[184:185], v[154:155]
	ds_read2_b64 v[182:185], v197 offset0:31 offset1:32
	s_waitcnt vmcnt(17) lgkmcnt(2)
	v_fma_f64 v[110:111], -v[156:157], v[186:187], v[110:111]
	s_waitcnt vmcnt(16)
	v_fma_f64 v[152:153], -v[156:157], v[188:189], v[152:153]
	s_waitcnt vmcnt(15) lgkmcnt(1)
	v_fma_f64 v[108:109], -v[156:157], v[190:191], v[108:109]
	ds_read2_b64 v[186:189], v197 offset0:33 offset1:34
	s_waitcnt vmcnt(14)
	v_fma_f64 v[150:151], -v[156:157], v[192:193], v[150:151]
	ds_read2_b64 v[190:193], v197 offset0:35 offset1:36
	s_waitcnt vmcnt(13) lgkmcnt(2)
	v_fma_f64 v[106:107], -v[156:157], v[182:183], v[106:107]
	s_waitcnt vmcnt(12)
	v_fma_f64 v[148:149], -v[156:157], v[184:185], v[148:149]
	ds_read2_b64 v[182:185], v197 offset0:37 offset1:38
	s_waitcnt vmcnt(11) lgkmcnt(2)
	v_fma_f64 v[164:165], -v[156:157], v[186:187], v[164:165]
	s_waitcnt vmcnt(10)
	v_fma_f64 v[146:147], -v[156:157], v[188:189], v[146:147]
	ds_read2_b64 v[186:189], v197 offset0:39 offset1:40
	s_waitcnt vmcnt(9) lgkmcnt(2)
	v_fma_f64 v[102:103], -v[156:157], v[190:191], v[102:103]
	s_waitcnt vmcnt(8)
	v_fma_f64 v[144:145], -v[156:157], v[192:193], v[144:145]
	s_waitcnt vmcnt(7) lgkmcnt(1)
	v_fma_f64 v[100:101], -v[156:157], v[182:183], v[100:101]
	ds_read2_b64 v[190:193], v197 offset0:41 offset1:42
	s_waitcnt vmcnt(6)
	v_fma_f64 v[142:143], -v[156:157], v[184:185], v[142:143]
	ds_read2_b64 v[182:185], v197 offset0:43 offset1:44
	s_waitcnt vmcnt(5) lgkmcnt(2)
	v_fma_f64 v[98:99], -v[156:157], v[186:187], v[98:99]
	s_waitcnt vmcnt(4)
	v_fma_f64 v[140:141], -v[156:157], v[188:189], v[140:141]
	s_waitcnt vmcnt(3) lgkmcnt(1)
	v_fma_f64 v[96:97], -v[156:157], v[190:191], v[96:97]
	s_waitcnt vmcnt(2)
	v_fma_f64 v[138:139], -v[156:157], v[192:193], v[138:139]
	;; [unrolled: 4-line block ×3, first 2 shown]
.LBB89_126:
	s_or_b64 exec, exec, s[2:3]
	v_cmp_eq_u32_e32 vcc, 25, v198
	s_waitcnt lgkmcnt(0)
	s_barrier
	s_and_saveexec_b64 s[2:3], vcc
	s_cbranch_execz .LBB89_129
; %bb.127:
	s_waitcnt vmcnt(18)
	v_mov_b32_e32 v182, v154
	v_mov_b32_e32 v183, v155
	s_waitcnt vmcnt(17)
	v_mov_b32_e32 v184, v110
	v_mov_b32_e32 v185, v111
	ds_write_b64 v196, v[112:113]
	ds_write2_b64 v197, v[182:183], v[184:185] offset0:26 offset1:27
	s_waitcnt vmcnt(16)
	v_mov_b32_e32 v182, v152
	v_mov_b32_e32 v183, v153
	s_waitcnt vmcnt(15)
	v_mov_b32_e32 v184, v108
	v_mov_b32_e32 v185, v109
	ds_write2_b64 v197, v[182:183], v[184:185] offset0:28 offset1:29
	s_waitcnt vmcnt(14)
	v_mov_b32_e32 v182, v150
	v_mov_b32_e32 v183, v151
	s_waitcnt vmcnt(13)
	v_mov_b32_e32 v184, v106
	v_mov_b32_e32 v185, v107
	;; [unrolled: 7-line block ×8, first 2 shown]
	ds_write2_b64 v197, v[182:183], v[184:185] offset0:42 offset1:43
	s_waitcnt vmcnt(0)
	ds_write_b64 v197, v[180:181] offset:352
	ds_read_b64 v[182:183], v196
	s_waitcnt lgkmcnt(0)
	v_cmp_neq_f64_e32 vcc, 0, v[182:183]
	s_and_b64 exec, exec, vcc
	s_cbranch_execz .LBB89_129
; %bb.128:
	v_div_scale_f64 v[184:185], s[6:7], v[182:183], v[182:183], 1.0
	v_rcp_f64_e32 v[186:187], v[184:185]
	v_div_scale_f64 v[188:189], vcc, 1.0, v[182:183], 1.0
	v_fma_f64 v[190:191], -v[184:185], v[186:187], 1.0
	v_fmac_f64_e32 v[186:187], v[186:187], v[190:191]
	v_fma_f64 v[190:191], -v[184:185], v[186:187], 1.0
	v_fmac_f64_e32 v[186:187], v[186:187], v[190:191]
	v_mul_f64 v[190:191], v[188:189], v[186:187]
	v_fma_f64 v[184:185], -v[184:185], v[190:191], v[188:189]
	v_div_fmas_f64 v[184:185], v[184:185], v[186:187], v[190:191]
	v_div_fixup_f64 v[182:183], v[184:185], v[182:183], 1.0
	ds_write_b64 v196, v[182:183]
.LBB89_129:
	s_or_b64 exec, exec, s[2:3]
	s_waitcnt lgkmcnt(0)
	s_barrier
	ds_read_b64 v[254:255], v196
	v_cmp_lt_u32_e32 vcc, 25, v198
	s_and_saveexec_b64 s[2:3], vcc
	s_cbranch_execz .LBB89_131
; %bb.130:
	ds_read2_b64 v[182:185], v197 offset0:26 offset1:27
	ds_read2_b64 v[186:189], v197 offset0:28 offset1:29
	s_waitcnt vmcnt(19) lgkmcnt(2)
	v_mul_f64 v[112:113], v[254:255], v[112:113]
	ds_read2_b64 v[190:193], v197 offset0:30 offset1:31
	s_waitcnt vmcnt(18) lgkmcnt(2)
	v_fma_f64 v[154:155], -v[112:113], v[182:183], v[154:155]
	s_waitcnt vmcnt(17)
	v_fma_f64 v[110:111], -v[112:113], v[184:185], v[110:111]
	ds_read2_b64 v[182:185], v197 offset0:32 offset1:33
	s_waitcnt vmcnt(16) lgkmcnt(2)
	v_fma_f64 v[152:153], -v[112:113], v[186:187], v[152:153]
	s_waitcnt vmcnt(15)
	v_fma_f64 v[108:109], -v[112:113], v[188:189], v[108:109]
	s_waitcnt vmcnt(14) lgkmcnt(1)
	v_fma_f64 v[150:151], -v[112:113], v[190:191], v[150:151]
	ds_read2_b64 v[186:189], v197 offset0:34 offset1:35
	s_waitcnt vmcnt(13)
	v_fma_f64 v[106:107], -v[112:113], v[192:193], v[106:107]
	ds_read2_b64 v[190:193], v197 offset0:36 offset1:37
	s_waitcnt vmcnt(12) lgkmcnt(2)
	v_fma_f64 v[148:149], -v[112:113], v[182:183], v[148:149]
	s_waitcnt vmcnt(11)
	v_fma_f64 v[164:165], -v[112:113], v[184:185], v[164:165]
	ds_read2_b64 v[182:185], v197 offset0:38 offset1:39
	s_waitcnt vmcnt(10) lgkmcnt(2)
	v_fma_f64 v[146:147], -v[112:113], v[186:187], v[146:147]
	;; [unrolled: 5-line block ×3, first 2 shown]
	s_waitcnt vmcnt(7)
	v_fma_f64 v[100:101], -v[112:113], v[192:193], v[100:101]
	s_waitcnt vmcnt(6) lgkmcnt(1)
	v_fma_f64 v[142:143], -v[112:113], v[182:183], v[142:143]
	ds_read2_b64 v[190:193], v197 offset0:42 offset1:43
	ds_read_b64 v[182:183], v197 offset:352
	s_waitcnt vmcnt(5)
	v_fma_f64 v[98:99], -v[112:113], v[184:185], v[98:99]
	s_waitcnt vmcnt(4) lgkmcnt(2)
	v_fma_f64 v[140:141], -v[112:113], v[186:187], v[140:141]
	s_waitcnt vmcnt(3)
	v_fma_f64 v[96:97], -v[112:113], v[188:189], v[96:97]
	s_waitcnt vmcnt(2) lgkmcnt(1)
	v_fma_f64 v[138:139], -v[112:113], v[190:191], v[138:139]
	;; [unrolled: 4-line block ×3, first 2 shown]
.LBB89_131:
	s_or_b64 exec, exec, s[2:3]
	v_cmp_eq_u32_e32 vcc, 26, v198
	s_waitcnt lgkmcnt(0)
	s_barrier
	s_and_saveexec_b64 s[2:3], vcc
	s_cbranch_execz .LBB89_134
; %bb.132:
	s_waitcnt vmcnt(18)
	ds_write_b64 v196, v[154:155]
	s_waitcnt vmcnt(16)
	ds_write2_b64 v197, v[110:111], v[152:153] offset0:27 offset1:28
	s_waitcnt vmcnt(14)
	ds_write2_b64 v197, v[108:109], v[150:151] offset0:29 offset1:30
	;; [unrolled: 2-line block ×9, first 2 shown]
	ds_read_b64 v[182:183], v196
	s_waitcnt lgkmcnt(0)
	v_cmp_neq_f64_e32 vcc, 0, v[182:183]
	s_and_b64 exec, exec, vcc
	s_cbranch_execz .LBB89_134
; %bb.133:
	v_div_scale_f64 v[184:185], s[6:7], v[182:183], v[182:183], 1.0
	v_rcp_f64_e32 v[186:187], v[184:185]
	v_div_scale_f64 v[188:189], vcc, 1.0, v[182:183], 1.0
	v_fma_f64 v[190:191], -v[184:185], v[186:187], 1.0
	v_fmac_f64_e32 v[186:187], v[186:187], v[190:191]
	v_fma_f64 v[190:191], -v[184:185], v[186:187], 1.0
	v_fmac_f64_e32 v[186:187], v[186:187], v[190:191]
	v_mul_f64 v[190:191], v[188:189], v[186:187]
	v_fma_f64 v[184:185], -v[184:185], v[190:191], v[188:189]
	v_div_fmas_f64 v[184:185], v[184:185], v[186:187], v[190:191]
	v_div_fixup_f64 v[182:183], v[184:185], v[182:183], 1.0
	ds_write_b64 v196, v[182:183]
.LBB89_134:
	s_or_b64 exec, exec, s[2:3]
	s_waitcnt lgkmcnt(0)
	s_barrier
	ds_read_b64 v[90:91], v196
	v_cmp_lt_u32_e32 vcc, 26, v198
	s_and_saveexec_b64 s[2:3], vcc
	s_cbranch_execz .LBB89_136
; %bb.135:
	ds_read2_b64 v[182:185], v197 offset0:27 offset1:28
	ds_read2_b64 v[186:189], v197 offset0:29 offset1:30
	;; [unrolled: 1-line block ×3, first 2 shown]
	s_waitcnt vmcnt(18) lgkmcnt(3)
	v_mul_f64 v[154:155], v[90:91], v[154:155]
	s_waitcnt vmcnt(17) lgkmcnt(2)
	v_fma_f64 v[110:111], -v[154:155], v[182:183], v[110:111]
	s_waitcnt vmcnt(16)
	v_fma_f64 v[152:153], -v[154:155], v[184:185], v[152:153]
	ds_read2_b64 v[182:185], v197 offset0:33 offset1:34
	s_waitcnt vmcnt(15) lgkmcnt(2)
	v_fma_f64 v[108:109], -v[154:155], v[186:187], v[108:109]
	s_waitcnt vmcnt(14)
	v_fma_f64 v[150:151], -v[154:155], v[188:189], v[150:151]
	s_waitcnt vmcnt(13) lgkmcnt(1)
	v_fma_f64 v[106:107], -v[154:155], v[190:191], v[106:107]
	ds_read2_b64 v[186:189], v197 offset0:35 offset1:36
	s_waitcnt vmcnt(12)
	v_fma_f64 v[148:149], -v[154:155], v[192:193], v[148:149]
	ds_read2_b64 v[190:193], v197 offset0:37 offset1:38
	s_waitcnt vmcnt(11) lgkmcnt(2)
	v_fma_f64 v[164:165], -v[154:155], v[182:183], v[164:165]
	s_waitcnt vmcnt(10)
	v_fma_f64 v[146:147], -v[154:155], v[184:185], v[146:147]
	s_waitcnt vmcnt(9) lgkmcnt(1)
	v_fma_f64 v[102:103], -v[154:155], v[186:187], v[102:103]
	s_waitcnt vmcnt(8)
	v_fma_f64 v[144:145], -v[154:155], v[188:189], v[144:145]
	ds_read2_b64 v[182:185], v197 offset0:39 offset1:40
	ds_read2_b64 v[186:189], v197 offset0:41 offset1:42
	s_waitcnt vmcnt(7) lgkmcnt(2)
	v_fma_f64 v[100:101], -v[154:155], v[190:191], v[100:101]
	s_waitcnt vmcnt(6)
	v_fma_f64 v[142:143], -v[154:155], v[192:193], v[142:143]
	ds_read2_b64 v[190:193], v197 offset0:43 offset1:44
	s_waitcnt vmcnt(5) lgkmcnt(2)
	v_fma_f64 v[98:99], -v[154:155], v[182:183], v[98:99]
	s_waitcnt vmcnt(4)
	v_fma_f64 v[140:141], -v[154:155], v[184:185], v[140:141]
	s_waitcnt vmcnt(3) lgkmcnt(1)
	v_fma_f64 v[96:97], -v[154:155], v[186:187], v[96:97]
	s_waitcnt vmcnt(2)
	v_fma_f64 v[138:139], -v[154:155], v[188:189], v[138:139]
	;; [unrolled: 4-line block ×3, first 2 shown]
.LBB89_136:
	s_or_b64 exec, exec, s[2:3]
	v_cmp_eq_u32_e32 vcc, 27, v198
	s_waitcnt lgkmcnt(0)
	s_barrier
	s_and_saveexec_b64 s[2:3], vcc
	s_cbranch_execz .LBB89_139
; %bb.137:
	s_waitcnt vmcnt(16)
	v_mov_b32_e32 v182, v152
	v_mov_b32_e32 v183, v153
	s_waitcnt vmcnt(15)
	v_mov_b32_e32 v184, v108
	v_mov_b32_e32 v185, v109
	ds_write_b64 v196, v[110:111]
	ds_write2_b64 v197, v[182:183], v[184:185] offset0:28 offset1:29
	s_waitcnt vmcnt(14)
	v_mov_b32_e32 v182, v150
	v_mov_b32_e32 v183, v151
	s_waitcnt vmcnt(13)
	v_mov_b32_e32 v184, v106
	v_mov_b32_e32 v185, v107
	ds_write2_b64 v197, v[182:183], v[184:185] offset0:30 offset1:31
	s_waitcnt vmcnt(12)
	v_mov_b32_e32 v182, v148
	v_mov_b32_e32 v183, v149
	s_waitcnt vmcnt(11)
	v_mov_b32_e32 v184, v164
	v_mov_b32_e32 v185, v165
	;; [unrolled: 7-line block ×7, first 2 shown]
	ds_write2_b64 v197, v[182:183], v[184:185] offset0:42 offset1:43
	s_waitcnt vmcnt(0)
	ds_write_b64 v197, v[180:181] offset:352
	ds_read_b64 v[182:183], v196
	s_waitcnt lgkmcnt(0)
	v_cmp_neq_f64_e32 vcc, 0, v[182:183]
	s_and_b64 exec, exec, vcc
	s_cbranch_execz .LBB89_139
; %bb.138:
	v_div_scale_f64 v[184:185], s[6:7], v[182:183], v[182:183], 1.0
	v_rcp_f64_e32 v[186:187], v[184:185]
	v_div_scale_f64 v[188:189], vcc, 1.0, v[182:183], 1.0
	v_fma_f64 v[190:191], -v[184:185], v[186:187], 1.0
	v_fmac_f64_e32 v[186:187], v[186:187], v[190:191]
	v_fma_f64 v[190:191], -v[184:185], v[186:187], 1.0
	v_fmac_f64_e32 v[186:187], v[186:187], v[190:191]
	v_mul_f64 v[190:191], v[188:189], v[186:187]
	v_fma_f64 v[184:185], -v[184:185], v[190:191], v[188:189]
	v_div_fmas_f64 v[184:185], v[184:185], v[186:187], v[190:191]
	v_div_fixup_f64 v[182:183], v[184:185], v[182:183], 1.0
	ds_write_b64 v196, v[182:183]
.LBB89_139:
	s_or_b64 exec, exec, s[2:3]
	s_waitcnt lgkmcnt(0)
	s_barrier
	ds_read_b64 v[182:183], v196
	v_cmp_lt_u32_e32 vcc, 27, v198
	s_waitcnt lgkmcnt(0)
	buffer_store_dword v182, off, s[16:19], 0 offset:16 ; 4-byte Folded Spill
	s_nop 0
	buffer_store_dword v183, off, s[16:19], 0 offset:20 ; 4-byte Folded Spill
	s_and_saveexec_b64 s[2:3], vcc
	s_cbranch_execz .LBB89_141
; %bb.140:
	ds_read2_b64 v[182:185], v197 offset0:28 offset1:29
	ds_read2_b64 v[186:189], v197 offset0:30 offset1:31
	buffer_load_dword v190, off, s[16:19], 0 offset:16 ; 4-byte Folded Reload
	buffer_load_dword v191, off, s[16:19], 0 offset:20 ; 4-byte Folded Reload
	s_waitcnt vmcnt(0)
	v_mul_f64 v[110:111], v[190:191], v[110:111]
	ds_read2_b64 v[190:193], v197 offset0:32 offset1:33
	s_waitcnt lgkmcnt(2)
	v_fma_f64 v[152:153], -v[110:111], v[182:183], v[152:153]
	v_fma_f64 v[108:109], -v[110:111], v[184:185], v[108:109]
	ds_read2_b64 v[182:185], v197 offset0:34 offset1:35
	s_waitcnt lgkmcnt(2)
	v_fma_f64 v[150:151], -v[110:111], v[186:187], v[150:151]
	v_fma_f64 v[106:107], -v[110:111], v[188:189], v[106:107]
	s_waitcnt lgkmcnt(1)
	v_fma_f64 v[148:149], -v[110:111], v[190:191], v[148:149]
	ds_read2_b64 v[186:189], v197 offset0:36 offset1:37
	v_fma_f64 v[164:165], -v[110:111], v[192:193], v[164:165]
	ds_read2_b64 v[190:193], v197 offset0:38 offset1:39
	s_waitcnt lgkmcnt(2)
	v_fma_f64 v[146:147], -v[110:111], v[182:183], v[146:147]
	v_fma_f64 v[102:103], -v[110:111], v[184:185], v[102:103]
	s_waitcnt lgkmcnt(1)
	v_fma_f64 v[144:145], -v[110:111], v[186:187], v[144:145]
	v_fma_f64 v[100:101], -v[110:111], v[188:189], v[100:101]
	ds_read2_b64 v[182:185], v197 offset0:40 offset1:41
	ds_read2_b64 v[186:189], v197 offset0:42 offset1:43
	s_waitcnt lgkmcnt(2)
	v_fma_f64 v[142:143], -v[110:111], v[190:191], v[142:143]
	ds_read_b64 v[190:191], v197 offset:352
	v_fma_f64 v[98:99], -v[110:111], v[192:193], v[98:99]
	s_waitcnt lgkmcnt(2)
	v_fma_f64 v[140:141], -v[110:111], v[182:183], v[140:141]
	v_fma_f64 v[96:97], -v[110:111], v[184:185], v[96:97]
	s_waitcnt lgkmcnt(1)
	v_fma_f64 v[138:139], -v[110:111], v[186:187], v[138:139]
	;; [unrolled: 3-line block ×3, first 2 shown]
.LBB89_141:
	s_or_b64 exec, exec, s[2:3]
	v_cmp_eq_u32_e32 vcc, 28, v198
	s_barrier
	s_and_saveexec_b64 s[2:3], vcc
	s_cbranch_execz .LBB89_144
; %bb.142:
	s_waitcnt vmcnt(18)
	ds_write_b64 v196, v[152:153]
	s_waitcnt vmcnt(16)
	ds_write2_b64 v197, v[108:109], v[150:151] offset0:29 offset1:30
	s_waitcnt vmcnt(14)
	ds_write2_b64 v197, v[106:107], v[148:149] offset0:31 offset1:32
	;; [unrolled: 2-line block ×8, first 2 shown]
	ds_read_b64 v[182:183], v196
	s_waitcnt lgkmcnt(0)
	v_cmp_neq_f64_e32 vcc, 0, v[182:183]
	s_and_b64 exec, exec, vcc
	s_cbranch_execz .LBB89_144
; %bb.143:
	v_div_scale_f64 v[184:185], s[6:7], v[182:183], v[182:183], 1.0
	v_rcp_f64_e32 v[186:187], v[184:185]
	v_div_scale_f64 v[188:189], vcc, 1.0, v[182:183], 1.0
	v_fma_f64 v[190:191], -v[184:185], v[186:187], 1.0
	v_fmac_f64_e32 v[186:187], v[186:187], v[190:191]
	v_fma_f64 v[190:191], -v[184:185], v[186:187], 1.0
	v_fmac_f64_e32 v[186:187], v[186:187], v[190:191]
	v_mul_f64 v[190:191], v[188:189], v[186:187]
	v_fma_f64 v[184:185], -v[184:185], v[190:191], v[188:189]
	v_div_fmas_f64 v[184:185], v[184:185], v[186:187], v[190:191]
	v_div_fixup_f64 v[182:183], v[184:185], v[182:183], 1.0
	ds_write_b64 v196, v[182:183]
.LBB89_144:
	s_or_b64 exec, exec, s[2:3]
	s_waitcnt lgkmcnt(0)
	s_barrier
	ds_read_b64 v[182:183], v196
	v_cmp_lt_u32_e32 vcc, 28, v198
	s_waitcnt lgkmcnt(0)
	buffer_store_dword v182, off, s[16:19], 0 offset:24 ; 4-byte Folded Spill
	s_nop 0
	buffer_store_dword v183, off, s[16:19], 0 offset:28 ; 4-byte Folded Spill
	s_and_saveexec_b64 s[2:3], vcc
	s_cbranch_execz .LBB89_146
; %bb.145:
	ds_read2_b64 v[182:185], v197 offset0:29 offset1:30
	ds_read2_b64 v[186:189], v197 offset0:31 offset1:32
	buffer_load_dword v190, off, s[16:19], 0 offset:24 ; 4-byte Folded Reload
	buffer_load_dword v191, off, s[16:19], 0 offset:28 ; 4-byte Folded Reload
	s_waitcnt vmcnt(0)
	v_mul_f64 v[152:153], v[190:191], v[152:153]
	s_waitcnt lgkmcnt(1)
	v_fma_f64 v[108:109], -v[152:153], v[182:183], v[108:109]
	ds_read2_b64 v[190:193], v197 offset0:33 offset1:34
	v_fma_f64 v[150:151], -v[152:153], v[184:185], v[150:151]
	ds_read2_b64 v[182:185], v197 offset0:35 offset1:36
	s_waitcnt lgkmcnt(2)
	v_fma_f64 v[106:107], -v[152:153], v[186:187], v[106:107]
	v_fma_f64 v[148:149], -v[152:153], v[188:189], v[148:149]
	ds_read2_b64 v[186:189], v197 offset0:37 offset1:38
	s_waitcnt lgkmcnt(2)
	v_fma_f64 v[164:165], -v[152:153], v[190:191], v[164:165]
	v_fma_f64 v[146:147], -v[152:153], v[192:193], v[146:147]
	s_waitcnt lgkmcnt(1)
	v_fma_f64 v[102:103], -v[152:153], v[182:183], v[102:103]
	v_fma_f64 v[144:145], -v[152:153], v[184:185], v[144:145]
	ds_read2_b64 v[182:185], v197 offset0:39 offset1:40
	s_waitcnt lgkmcnt(1)
	v_fma_f64 v[100:101], -v[152:153], v[186:187], v[100:101]
	ds_read2_b64 v[190:193], v197 offset0:41 offset1:42
	v_fma_f64 v[142:143], -v[152:153], v[188:189], v[142:143]
	ds_read2_b64 v[186:189], v197 offset0:43 offset1:44
	s_waitcnt lgkmcnt(2)
	v_fma_f64 v[98:99], -v[152:153], v[182:183], v[98:99]
	v_fma_f64 v[140:141], -v[152:153], v[184:185], v[140:141]
	s_waitcnt lgkmcnt(1)
	v_fma_f64 v[96:97], -v[152:153], v[190:191], v[96:97]
	v_fma_f64 v[138:139], -v[152:153], v[192:193], v[138:139]
	;; [unrolled: 3-line block ×3, first 2 shown]
.LBB89_146:
	s_or_b64 exec, exec, s[2:3]
	v_cmp_eq_u32_e32 vcc, 29, v198
	s_barrier
	s_and_saveexec_b64 s[2:3], vcc
	s_cbranch_execz .LBB89_149
; %bb.147:
	s_waitcnt vmcnt(18)
	v_mov_b32_e32 v182, v150
	v_mov_b32_e32 v183, v151
	s_waitcnt vmcnt(17)
	v_mov_b32_e32 v184, v106
	v_mov_b32_e32 v185, v107
	ds_write_b64 v196, v[108:109]
	ds_write2_b64 v197, v[182:183], v[184:185] offset0:30 offset1:31
	s_waitcnt vmcnt(16)
	v_mov_b32_e32 v182, v148
	v_mov_b32_e32 v183, v149
	s_waitcnt vmcnt(15)
	v_mov_b32_e32 v184, v164
	v_mov_b32_e32 v185, v165
	ds_write2_b64 v197, v[182:183], v[184:185] offset0:32 offset1:33
	s_waitcnt vmcnt(14)
	v_mov_b32_e32 v182, v146
	v_mov_b32_e32 v183, v147
	s_waitcnt vmcnt(13)
	v_mov_b32_e32 v184, v102
	v_mov_b32_e32 v185, v103
	;; [unrolled: 7-line block ×6, first 2 shown]
	ds_write2_b64 v197, v[182:183], v[184:185] offset0:42 offset1:43
	s_waitcnt vmcnt(4)
	ds_write_b64 v197, v[180:181] offset:352
	ds_read_b64 v[182:183], v196
	s_waitcnt lgkmcnt(0)
	v_cmp_neq_f64_e32 vcc, 0, v[182:183]
	s_and_b64 exec, exec, vcc
	s_cbranch_execz .LBB89_149
; %bb.148:
	v_div_scale_f64 v[184:185], s[6:7], v[182:183], v[182:183], 1.0
	v_rcp_f64_e32 v[186:187], v[184:185]
	v_div_scale_f64 v[188:189], vcc, 1.0, v[182:183], 1.0
	v_fma_f64 v[190:191], -v[184:185], v[186:187], 1.0
	v_fmac_f64_e32 v[186:187], v[186:187], v[190:191]
	v_fma_f64 v[190:191], -v[184:185], v[186:187], 1.0
	v_fmac_f64_e32 v[186:187], v[186:187], v[190:191]
	v_mul_f64 v[190:191], v[188:189], v[186:187]
	v_fma_f64 v[184:185], -v[184:185], v[190:191], v[188:189]
	v_div_fmas_f64 v[184:185], v[184:185], v[186:187], v[190:191]
	v_div_fixup_f64 v[182:183], v[184:185], v[182:183], 1.0
	ds_write_b64 v196, v[182:183]
.LBB89_149:
	s_or_b64 exec, exec, s[2:3]
	s_waitcnt lgkmcnt(0)
	s_barrier
	ds_read_b64 v[182:183], v196
	v_cmp_lt_u32_e32 vcc, 29, v198
	s_waitcnt lgkmcnt(0)
	buffer_store_dword v182, off, s[16:19], 0 offset:32 ; 4-byte Folded Spill
	s_nop 0
	buffer_store_dword v183, off, s[16:19], 0 offset:36 ; 4-byte Folded Spill
	s_and_saveexec_b64 s[2:3], vcc
	s_cbranch_execz .LBB89_151
; %bb.150:
	ds_read2_b64 v[182:185], v197 offset0:30 offset1:31
	ds_read2_b64 v[186:189], v197 offset0:32 offset1:33
	buffer_load_dword v190, off, s[16:19], 0 offset:32 ; 4-byte Folded Reload
	buffer_load_dword v191, off, s[16:19], 0 offset:36 ; 4-byte Folded Reload
	s_waitcnt vmcnt(0)
	v_mul_f64 v[108:109], v[190:191], v[108:109]
	s_waitcnt lgkmcnt(1)
	v_fma_f64 v[150:151], -v[108:109], v[182:183], v[150:151]
	ds_read2_b64 v[190:193], v197 offset0:34 offset1:35
	v_fma_f64 v[106:107], -v[108:109], v[184:185], v[106:107]
	ds_read2_b64 v[182:185], v197 offset0:36 offset1:37
	s_waitcnt lgkmcnt(2)
	v_fma_f64 v[148:149], -v[108:109], v[186:187], v[148:149]
	v_fma_f64 v[164:165], -v[108:109], v[188:189], v[164:165]
	ds_read2_b64 v[186:189], v197 offset0:38 offset1:39
	s_waitcnt lgkmcnt(2)
	v_fma_f64 v[146:147], -v[108:109], v[190:191], v[146:147]
	v_fma_f64 v[102:103], -v[108:109], v[192:193], v[102:103]
	s_waitcnt lgkmcnt(1)
	v_fma_f64 v[144:145], -v[108:109], v[182:183], v[144:145]
	v_fma_f64 v[100:101], -v[108:109], v[184:185], v[100:101]
	ds_read2_b64 v[182:185], v197 offset0:40 offset1:41
	s_waitcnt lgkmcnt(1)
	v_fma_f64 v[142:143], -v[108:109], v[186:187], v[142:143]
	ds_read2_b64 v[190:193], v197 offset0:42 offset1:43
	ds_read_b64 v[186:187], v197 offset:352
	v_fma_f64 v[98:99], -v[108:109], v[188:189], v[98:99]
	s_waitcnt lgkmcnt(2)
	v_fma_f64 v[140:141], -v[108:109], v[182:183], v[140:141]
	v_fma_f64 v[96:97], -v[108:109], v[184:185], v[96:97]
	s_waitcnt lgkmcnt(1)
	v_fma_f64 v[138:139], -v[108:109], v[190:191], v[138:139]
	;; [unrolled: 3-line block ×3, first 2 shown]
.LBB89_151:
	s_or_b64 exec, exec, s[2:3]
	v_cmp_eq_u32_e32 vcc, 30, v198
	s_barrier
	s_and_saveexec_b64 s[2:3], vcc
	s_cbranch_execz .LBB89_154
; %bb.152:
	s_waitcnt vmcnt(20)
	ds_write_b64 v196, v[150:151]
	s_waitcnt vmcnt(18)
	ds_write2_b64 v197, v[106:107], v[148:149] offset0:31 offset1:32
	s_waitcnt vmcnt(16)
	ds_write2_b64 v197, v[164:165], v[146:147] offset0:33 offset1:34
	;; [unrolled: 2-line block ×7, first 2 shown]
	ds_read_b64 v[182:183], v196
	s_waitcnt lgkmcnt(0)
	v_cmp_neq_f64_e32 vcc, 0, v[182:183]
	s_and_b64 exec, exec, vcc
	s_cbranch_execz .LBB89_154
; %bb.153:
	v_div_scale_f64 v[184:185], s[6:7], v[182:183], v[182:183], 1.0
	v_rcp_f64_e32 v[186:187], v[184:185]
	v_div_scale_f64 v[188:189], vcc, 1.0, v[182:183], 1.0
	v_fma_f64 v[190:191], -v[184:185], v[186:187], 1.0
	v_fmac_f64_e32 v[186:187], v[186:187], v[190:191]
	v_fma_f64 v[190:191], -v[184:185], v[186:187], 1.0
	v_fmac_f64_e32 v[186:187], v[186:187], v[190:191]
	v_mul_f64 v[190:191], v[188:189], v[186:187]
	v_fma_f64 v[184:185], -v[184:185], v[190:191], v[188:189]
	v_div_fmas_f64 v[184:185], v[184:185], v[186:187], v[190:191]
	v_div_fixup_f64 v[182:183], v[184:185], v[182:183], 1.0
	ds_write_b64 v196, v[182:183]
.LBB89_154:
	s_or_b64 exec, exec, s[2:3]
	s_waitcnt lgkmcnt(0)
	s_barrier
	ds_read_b64 v[182:183], v196
	v_cmp_lt_u32_e32 vcc, 30, v198
	s_waitcnt lgkmcnt(0)
	buffer_store_dword v182, off, s[16:19], 0 offset:40 ; 4-byte Folded Spill
	s_nop 0
	buffer_store_dword v183, off, s[16:19], 0 offset:44 ; 4-byte Folded Spill
	s_and_saveexec_b64 s[2:3], vcc
	s_cbranch_execz .LBB89_156
; %bb.155:
	buffer_load_dword v182, off, s[16:19], 0 offset:40 ; 4-byte Folded Reload
	buffer_load_dword v183, off, s[16:19], 0 offset:44 ; 4-byte Folded Reload
	s_waitcnt vmcnt(0)
	v_mul_f64 v[150:151], v[182:183], v[150:151]
	ds_read2_b64 v[182:185], v197 offset0:31 offset1:32
	s_waitcnt lgkmcnt(0)
	v_fma_f64 v[106:107], -v[150:151], v[182:183], v[106:107]
	v_fma_f64 v[148:149], -v[150:151], v[184:185], v[148:149]
	ds_read2_b64 v[182:185], v197 offset0:33 offset1:34
	s_waitcnt lgkmcnt(0)
	v_fma_f64 v[164:165], -v[150:151], v[182:183], v[164:165]
	v_fma_f64 v[146:147], -v[150:151], v[184:185], v[146:147]
	;; [unrolled: 4-line block ×7, first 2 shown]
.LBB89_156:
	s_or_b64 exec, exec, s[2:3]
	v_cmp_eq_u32_e32 vcc, 31, v198
	s_barrier
	s_and_saveexec_b64 s[2:3], vcc
	s_cbranch_execz .LBB89_159
; %bb.157:
	s_waitcnt vmcnt(20)
	v_mov_b32_e32 v182, v148
	v_mov_b32_e32 v183, v149
	s_waitcnt vmcnt(19)
	v_mov_b32_e32 v184, v164
	v_mov_b32_e32 v185, v165
	ds_write_b64 v196, v[106:107]
	ds_write2_b64 v197, v[182:183], v[184:185] offset0:32 offset1:33
	s_waitcnt vmcnt(18)
	v_mov_b32_e32 v182, v146
	v_mov_b32_e32 v183, v147
	s_waitcnt vmcnt(17)
	v_mov_b32_e32 v184, v102
	v_mov_b32_e32 v185, v103
	ds_write2_b64 v197, v[182:183], v[184:185] offset0:34 offset1:35
	s_waitcnt vmcnt(16)
	v_mov_b32_e32 v182, v144
	v_mov_b32_e32 v183, v145
	s_waitcnt vmcnt(15)
	v_mov_b32_e32 v184, v100
	v_mov_b32_e32 v185, v101
	;; [unrolled: 7-line block ×5, first 2 shown]
	ds_write2_b64 v197, v[182:183], v[184:185] offset0:42 offset1:43
	s_waitcnt vmcnt(8)
	ds_write_b64 v197, v[180:181] offset:352
	ds_read_b64 v[182:183], v196
	s_waitcnt lgkmcnt(0)
	v_cmp_neq_f64_e32 vcc, 0, v[182:183]
	s_and_b64 exec, exec, vcc
	s_cbranch_execz .LBB89_159
; %bb.158:
	v_div_scale_f64 v[184:185], s[6:7], v[182:183], v[182:183], 1.0
	v_rcp_f64_e32 v[186:187], v[184:185]
	v_div_scale_f64 v[188:189], vcc, 1.0, v[182:183], 1.0
	v_fma_f64 v[190:191], -v[184:185], v[186:187], 1.0
	v_fmac_f64_e32 v[186:187], v[186:187], v[190:191]
	v_fma_f64 v[190:191], -v[184:185], v[186:187], 1.0
	v_fmac_f64_e32 v[186:187], v[186:187], v[190:191]
	v_mul_f64 v[190:191], v[188:189], v[186:187]
	v_fma_f64 v[184:185], -v[184:185], v[190:191], v[188:189]
	v_div_fmas_f64 v[184:185], v[184:185], v[186:187], v[190:191]
	v_div_fixup_f64 v[182:183], v[184:185], v[182:183], 1.0
	ds_write_b64 v196, v[182:183]
.LBB89_159:
	s_or_b64 exec, exec, s[2:3]
	s_waitcnt lgkmcnt(0)
	s_barrier
	ds_read_b64 v[182:183], v196
	v_cmp_lt_u32_e32 vcc, 31, v198
	s_waitcnt lgkmcnt(0)
	buffer_store_dword v182, off, s[16:19], 0 offset:48 ; 4-byte Folded Spill
	s_nop 0
	buffer_store_dword v183, off, s[16:19], 0 offset:52 ; 4-byte Folded Spill
	s_and_saveexec_b64 s[2:3], vcc
	s_cbranch_execz .LBB89_161
; %bb.160:
	buffer_load_dword v182, off, s[16:19], 0 offset:48 ; 4-byte Folded Reload
	buffer_load_dword v183, off, s[16:19], 0 offset:52 ; 4-byte Folded Reload
	s_waitcnt vmcnt(0)
	v_mul_f64 v[106:107], v[182:183], v[106:107]
	ds_read2_b64 v[182:185], v197 offset0:32 offset1:33
	s_waitcnt lgkmcnt(0)
	v_fma_f64 v[148:149], -v[106:107], v[182:183], v[148:149]
	v_fma_f64 v[164:165], -v[106:107], v[184:185], v[164:165]
	ds_read2_b64 v[182:185], v197 offset0:34 offset1:35
	s_waitcnt lgkmcnt(0)
	v_fma_f64 v[146:147], -v[106:107], v[182:183], v[146:147]
	v_fma_f64 v[102:103], -v[106:107], v[184:185], v[102:103]
	ds_read2_b64 v[182:185], v197 offset0:36 offset1:37
	s_waitcnt lgkmcnt(0)
	v_fma_f64 v[144:145], -v[106:107], v[182:183], v[144:145]
	v_fma_f64 v[100:101], -v[106:107], v[184:185], v[100:101]
	ds_read2_b64 v[182:185], v197 offset0:38 offset1:39
	s_waitcnt lgkmcnt(0)
	v_fma_f64 v[142:143], -v[106:107], v[182:183], v[142:143]
	v_fma_f64 v[98:99], -v[106:107], v[184:185], v[98:99]
	ds_read2_b64 v[182:185], v197 offset0:40 offset1:41
	s_waitcnt lgkmcnt(0)
	v_fma_f64 v[140:141], -v[106:107], v[182:183], v[140:141]
	v_fma_f64 v[96:97], -v[106:107], v[184:185], v[96:97]
	ds_read2_b64 v[182:185], v197 offset0:42 offset1:43
	s_waitcnt lgkmcnt(0)
	v_fma_f64 v[138:139], -v[106:107], v[182:183], v[138:139]
	ds_read_b64 v[182:183], v197 offset:352
	v_fma_f64 v[94:95], -v[106:107], v[184:185], v[94:95]
	s_waitcnt lgkmcnt(0)
	v_fma_f64 v[180:181], -v[106:107], v[182:183], v[180:181]
.LBB89_161:
	s_or_b64 exec, exec, s[2:3]
	v_cmp_eq_u32_e32 vcc, 32, v198
	s_barrier
	s_and_saveexec_b64 s[2:3], vcc
	s_cbranch_execz .LBB89_164
; %bb.162:
	s_waitcnt vmcnt(22)
	ds_write_b64 v196, v[148:149]
	s_waitcnt vmcnt(20)
	ds_write2_b64 v197, v[164:165], v[146:147] offset0:33 offset1:34
	s_waitcnt vmcnt(18)
	ds_write2_b64 v197, v[102:103], v[144:145] offset0:35 offset1:36
	;; [unrolled: 2-line block ×6, first 2 shown]
	ds_read_b64 v[182:183], v196
	s_waitcnt lgkmcnt(0)
	v_cmp_neq_f64_e32 vcc, 0, v[182:183]
	s_and_b64 exec, exec, vcc
	s_cbranch_execz .LBB89_164
; %bb.163:
	v_div_scale_f64 v[184:185], s[6:7], v[182:183], v[182:183], 1.0
	v_rcp_f64_e32 v[186:187], v[184:185]
	v_div_scale_f64 v[188:189], vcc, 1.0, v[182:183], 1.0
	v_fma_f64 v[190:191], -v[184:185], v[186:187], 1.0
	v_fmac_f64_e32 v[186:187], v[186:187], v[190:191]
	v_fma_f64 v[190:191], -v[184:185], v[186:187], 1.0
	v_fmac_f64_e32 v[186:187], v[186:187], v[190:191]
	v_mul_f64 v[190:191], v[188:189], v[186:187]
	v_fma_f64 v[184:185], -v[184:185], v[190:191], v[188:189]
	v_div_fmas_f64 v[184:185], v[184:185], v[186:187], v[190:191]
	v_div_fixup_f64 v[182:183], v[184:185], v[182:183], 1.0
	ds_write_b64 v196, v[182:183]
.LBB89_164:
	s_or_b64 exec, exec, s[2:3]
	s_waitcnt lgkmcnt(0)
	s_barrier
	ds_read_b64 v[182:183], v196
	v_cmp_lt_u32_e32 vcc, 32, v198
	s_waitcnt lgkmcnt(0)
	buffer_store_dword v182, off, s[16:19], 0 offset:56 ; 4-byte Folded Spill
	s_nop 0
	buffer_store_dword v183, off, s[16:19], 0 offset:60 ; 4-byte Folded Spill
	s_and_saveexec_b64 s[2:3], vcc
	s_cbranch_execz .LBB89_166
; %bb.165:
	buffer_load_dword v182, off, s[16:19], 0 offset:56 ; 4-byte Folded Reload
	buffer_load_dword v183, off, s[16:19], 0 offset:60 ; 4-byte Folded Reload
	s_waitcnt vmcnt(0)
	v_mul_f64 v[148:149], v[182:183], v[148:149]
	ds_read2_b64 v[182:185], v197 offset0:33 offset1:34
	s_waitcnt lgkmcnt(0)
	v_fma_f64 v[164:165], -v[148:149], v[182:183], v[164:165]
	v_fma_f64 v[146:147], -v[148:149], v[184:185], v[146:147]
	ds_read2_b64 v[182:185], v197 offset0:35 offset1:36
	s_waitcnt lgkmcnt(0)
	v_fma_f64 v[102:103], -v[148:149], v[182:183], v[102:103]
	v_fma_f64 v[144:145], -v[148:149], v[184:185], v[144:145]
	ds_read2_b64 v[182:185], v197 offset0:37 offset1:38
	s_waitcnt lgkmcnt(0)
	v_fma_f64 v[100:101], -v[148:149], v[182:183], v[100:101]
	v_fma_f64 v[142:143], -v[148:149], v[184:185], v[142:143]
	ds_read2_b64 v[182:185], v197 offset0:39 offset1:40
	s_waitcnt lgkmcnt(0)
	v_fma_f64 v[98:99], -v[148:149], v[182:183], v[98:99]
	v_fma_f64 v[140:141], -v[148:149], v[184:185], v[140:141]
	ds_read2_b64 v[182:185], v197 offset0:41 offset1:42
	s_waitcnt lgkmcnt(0)
	v_fma_f64 v[96:97], -v[148:149], v[182:183], v[96:97]
	v_fma_f64 v[138:139], -v[148:149], v[184:185], v[138:139]
	ds_read2_b64 v[182:185], v197 offset0:43 offset1:44
	s_waitcnt lgkmcnt(0)
	v_fma_f64 v[94:95], -v[148:149], v[182:183], v[94:95]
	v_fma_f64 v[180:181], -v[148:149], v[184:185], v[180:181]
.LBB89_166:
	s_or_b64 exec, exec, s[2:3]
	v_cmp_eq_u32_e32 vcc, 33, v198
	s_barrier
	s_and_saveexec_b64 s[2:3], vcc
	s_cbranch_execz .LBB89_169
; %bb.167:
	s_waitcnt vmcnt(22)
	v_mov_b32_e32 v182, v146
	v_mov_b32_e32 v183, v147
	s_waitcnt vmcnt(21)
	v_mov_b32_e32 v184, v102
	v_mov_b32_e32 v185, v103
	ds_write_b64 v196, v[164:165]
	ds_write2_b64 v197, v[182:183], v[184:185] offset0:34 offset1:35
	s_waitcnt vmcnt(20)
	v_mov_b32_e32 v182, v144
	v_mov_b32_e32 v183, v145
	s_waitcnt vmcnt(19)
	v_mov_b32_e32 v184, v100
	v_mov_b32_e32 v185, v101
	ds_write2_b64 v197, v[182:183], v[184:185] offset0:36 offset1:37
	s_waitcnt vmcnt(18)
	v_mov_b32_e32 v182, v142
	v_mov_b32_e32 v183, v143
	s_waitcnt vmcnt(17)
	v_mov_b32_e32 v184, v98
	v_mov_b32_e32 v185, v99
	;; [unrolled: 7-line block ×4, first 2 shown]
	ds_write2_b64 v197, v[182:183], v[184:185] offset0:42 offset1:43
	s_waitcnt vmcnt(12)
	ds_write_b64 v197, v[180:181] offset:352
	ds_read_b64 v[182:183], v196
	s_waitcnt lgkmcnt(0)
	v_cmp_neq_f64_e32 vcc, 0, v[182:183]
	s_and_b64 exec, exec, vcc
	s_cbranch_execz .LBB89_169
; %bb.168:
	v_div_scale_f64 v[184:185], s[6:7], v[182:183], v[182:183], 1.0
	v_rcp_f64_e32 v[186:187], v[184:185]
	v_div_scale_f64 v[188:189], vcc, 1.0, v[182:183], 1.0
	v_fma_f64 v[190:191], -v[184:185], v[186:187], 1.0
	v_fmac_f64_e32 v[186:187], v[186:187], v[190:191]
	v_fma_f64 v[190:191], -v[184:185], v[186:187], 1.0
	v_fmac_f64_e32 v[186:187], v[186:187], v[190:191]
	v_mul_f64 v[190:191], v[188:189], v[186:187]
	v_fma_f64 v[184:185], -v[184:185], v[190:191], v[188:189]
	v_div_fmas_f64 v[184:185], v[184:185], v[186:187], v[190:191]
	v_div_fixup_f64 v[182:183], v[184:185], v[182:183], 1.0
	ds_write_b64 v196, v[182:183]
.LBB89_169:
	s_or_b64 exec, exec, s[2:3]
	s_waitcnt lgkmcnt(0)
	s_barrier
	ds_read_b64 v[182:183], v196
	v_cmp_lt_u32_e32 vcc, 33, v198
	s_waitcnt lgkmcnt(0)
	buffer_store_dword v182, off, s[16:19], 0 offset:64 ; 4-byte Folded Spill
	s_nop 0
	buffer_store_dword v183, off, s[16:19], 0 offset:68 ; 4-byte Folded Spill
	s_and_saveexec_b64 s[2:3], vcc
	s_cbranch_execz .LBB89_171
; %bb.170:
	buffer_load_dword v182, off, s[16:19], 0 offset:64 ; 4-byte Folded Reload
	buffer_load_dword v183, off, s[16:19], 0 offset:68 ; 4-byte Folded Reload
	s_waitcnt vmcnt(0)
	v_mul_f64 v[164:165], v[182:183], v[164:165]
	ds_read2_b64 v[182:185], v197 offset0:34 offset1:35
	s_waitcnt lgkmcnt(0)
	v_fma_f64 v[146:147], -v[164:165], v[182:183], v[146:147]
	v_fma_f64 v[102:103], -v[164:165], v[184:185], v[102:103]
	ds_read2_b64 v[182:185], v197 offset0:36 offset1:37
	s_waitcnt lgkmcnt(0)
	v_fma_f64 v[144:145], -v[164:165], v[182:183], v[144:145]
	v_fma_f64 v[100:101], -v[164:165], v[184:185], v[100:101]
	;; [unrolled: 4-line block ×4, first 2 shown]
	ds_read2_b64 v[182:185], v197 offset0:42 offset1:43
	s_waitcnt lgkmcnt(0)
	v_fma_f64 v[138:139], -v[164:165], v[182:183], v[138:139]
	ds_read_b64 v[182:183], v197 offset:352
	v_fma_f64 v[94:95], -v[164:165], v[184:185], v[94:95]
	s_waitcnt lgkmcnt(0)
	v_fma_f64 v[180:181], -v[164:165], v[182:183], v[180:181]
.LBB89_171:
	s_or_b64 exec, exec, s[2:3]
	v_cmp_eq_u32_e32 vcc, 34, v198
	s_barrier
	s_and_saveexec_b64 s[2:3], vcc
	s_cbranch_execz .LBB89_174
; %bb.172:
	s_waitcnt vmcnt(24)
	ds_write_b64 v196, v[146:147]
	s_waitcnt vmcnt(22)
	ds_write2_b64 v197, v[102:103], v[144:145] offset0:35 offset1:36
	s_waitcnt vmcnt(20)
	ds_write2_b64 v197, v[100:101], v[142:143] offset0:37 offset1:38
	;; [unrolled: 2-line block ×5, first 2 shown]
	ds_read_b64 v[182:183], v196
	s_waitcnt lgkmcnt(0)
	v_cmp_neq_f64_e32 vcc, 0, v[182:183]
	s_and_b64 exec, exec, vcc
	s_cbranch_execz .LBB89_174
; %bb.173:
	v_div_scale_f64 v[184:185], s[6:7], v[182:183], v[182:183], 1.0
	v_rcp_f64_e32 v[186:187], v[184:185]
	v_div_scale_f64 v[188:189], vcc, 1.0, v[182:183], 1.0
	v_fma_f64 v[190:191], -v[184:185], v[186:187], 1.0
	v_fmac_f64_e32 v[186:187], v[186:187], v[190:191]
	v_fma_f64 v[190:191], -v[184:185], v[186:187], 1.0
	v_fmac_f64_e32 v[186:187], v[186:187], v[190:191]
	v_mul_f64 v[190:191], v[188:189], v[186:187]
	v_fma_f64 v[184:185], -v[184:185], v[190:191], v[188:189]
	v_div_fmas_f64 v[184:185], v[184:185], v[186:187], v[190:191]
	v_div_fixup_f64 v[182:183], v[184:185], v[182:183], 1.0
	ds_write_b64 v196, v[182:183]
.LBB89_174:
	s_or_b64 exec, exec, s[2:3]
	s_waitcnt lgkmcnt(0)
	s_barrier
	ds_read_b64 v[182:183], v196
	v_cmp_lt_u32_e32 vcc, 34, v198
	s_waitcnt lgkmcnt(0)
	buffer_store_dword v182, off, s[16:19], 0 offset:72 ; 4-byte Folded Spill
	s_nop 0
	buffer_store_dword v183, off, s[16:19], 0 offset:76 ; 4-byte Folded Spill
	s_and_saveexec_b64 s[2:3], vcc
	s_cbranch_execz .LBB89_176
; %bb.175:
	buffer_load_dword v182, off, s[16:19], 0 offset:72 ; 4-byte Folded Reload
	buffer_load_dword v183, off, s[16:19], 0 offset:76 ; 4-byte Folded Reload
	s_waitcnt vmcnt(0)
	v_mul_f64 v[146:147], v[182:183], v[146:147]
	ds_read2_b64 v[182:185], v197 offset0:35 offset1:36
	s_waitcnt lgkmcnt(0)
	v_fma_f64 v[102:103], -v[146:147], v[182:183], v[102:103]
	v_fma_f64 v[144:145], -v[146:147], v[184:185], v[144:145]
	ds_read2_b64 v[182:185], v197 offset0:37 offset1:38
	s_waitcnt lgkmcnt(0)
	v_fma_f64 v[100:101], -v[146:147], v[182:183], v[100:101]
	v_fma_f64 v[142:143], -v[146:147], v[184:185], v[142:143]
	;; [unrolled: 4-line block ×5, first 2 shown]
.LBB89_176:
	s_or_b64 exec, exec, s[2:3]
	v_cmp_eq_u32_e32 vcc, 35, v198
	s_barrier
	s_and_saveexec_b64 s[2:3], vcc
	s_cbranch_execz .LBB89_179
; %bb.177:
	s_waitcnt vmcnt(24)
	v_mov_b32_e32 v182, v144
	v_mov_b32_e32 v183, v145
	s_waitcnt vmcnt(23)
	v_mov_b32_e32 v184, v100
	v_mov_b32_e32 v185, v101
	ds_write_b64 v196, v[102:103]
	ds_write2_b64 v197, v[182:183], v[184:185] offset0:36 offset1:37
	s_waitcnt vmcnt(22)
	v_mov_b32_e32 v182, v142
	v_mov_b32_e32 v183, v143
	s_waitcnt vmcnt(21)
	v_mov_b32_e32 v184, v98
	v_mov_b32_e32 v185, v99
	ds_write2_b64 v197, v[182:183], v[184:185] offset0:38 offset1:39
	s_waitcnt vmcnt(20)
	v_mov_b32_e32 v182, v140
	v_mov_b32_e32 v183, v141
	s_waitcnt vmcnt(19)
	v_mov_b32_e32 v184, v96
	v_mov_b32_e32 v185, v97
	;; [unrolled: 7-line block ×3, first 2 shown]
	ds_write2_b64 v197, v[182:183], v[184:185] offset0:42 offset1:43
	s_waitcnt vmcnt(16)
	ds_write_b64 v197, v[180:181] offset:352
	ds_read_b64 v[182:183], v196
	s_waitcnt lgkmcnt(0)
	v_cmp_neq_f64_e32 vcc, 0, v[182:183]
	s_and_b64 exec, exec, vcc
	s_cbranch_execz .LBB89_179
; %bb.178:
	v_div_scale_f64 v[184:185], s[6:7], v[182:183], v[182:183], 1.0
	v_rcp_f64_e32 v[186:187], v[184:185]
	v_div_scale_f64 v[188:189], vcc, 1.0, v[182:183], 1.0
	v_fma_f64 v[190:191], -v[184:185], v[186:187], 1.0
	v_fmac_f64_e32 v[186:187], v[186:187], v[190:191]
	v_fma_f64 v[190:191], -v[184:185], v[186:187], 1.0
	v_fmac_f64_e32 v[186:187], v[186:187], v[190:191]
	v_mul_f64 v[190:191], v[188:189], v[186:187]
	v_fma_f64 v[184:185], -v[184:185], v[190:191], v[188:189]
	v_div_fmas_f64 v[184:185], v[184:185], v[186:187], v[190:191]
	v_div_fixup_f64 v[182:183], v[184:185], v[182:183], 1.0
	ds_write_b64 v196, v[182:183]
.LBB89_179:
	s_or_b64 exec, exec, s[2:3]
	s_waitcnt lgkmcnt(0)
	s_barrier
	ds_read_b64 v[182:183], v196
	v_cmp_lt_u32_e32 vcc, 35, v198
	s_waitcnt lgkmcnt(0)
	buffer_store_dword v182, off, s[16:19], 0 offset:80 ; 4-byte Folded Spill
	s_nop 0
	buffer_store_dword v183, off, s[16:19], 0 offset:84 ; 4-byte Folded Spill
	s_and_saveexec_b64 s[2:3], vcc
	s_cbranch_execz .LBB89_181
; %bb.180:
	buffer_load_dword v182, off, s[16:19], 0 offset:80 ; 4-byte Folded Reload
	buffer_load_dword v183, off, s[16:19], 0 offset:84 ; 4-byte Folded Reload
	s_waitcnt vmcnt(0)
	v_mul_f64 v[102:103], v[182:183], v[102:103]
	ds_read2_b64 v[182:185], v197 offset0:36 offset1:37
	s_waitcnt lgkmcnt(0)
	v_fma_f64 v[144:145], -v[102:103], v[182:183], v[144:145]
	v_fma_f64 v[100:101], -v[102:103], v[184:185], v[100:101]
	ds_read2_b64 v[182:185], v197 offset0:38 offset1:39
	s_waitcnt lgkmcnt(0)
	v_fma_f64 v[142:143], -v[102:103], v[182:183], v[142:143]
	v_fma_f64 v[98:99], -v[102:103], v[184:185], v[98:99]
	;; [unrolled: 4-line block ×3, first 2 shown]
	ds_read2_b64 v[182:185], v197 offset0:42 offset1:43
	s_waitcnt lgkmcnt(0)
	v_fma_f64 v[138:139], -v[102:103], v[182:183], v[138:139]
	ds_read_b64 v[182:183], v197 offset:352
	v_fma_f64 v[94:95], -v[102:103], v[184:185], v[94:95]
	s_waitcnt lgkmcnt(0)
	v_fma_f64 v[180:181], -v[102:103], v[182:183], v[180:181]
.LBB89_181:
	s_or_b64 exec, exec, s[2:3]
	v_cmp_eq_u32_e32 vcc, 36, v198
	s_barrier
	s_and_saveexec_b64 s[2:3], vcc
	s_cbranch_execz .LBB89_184
; %bb.182:
	s_waitcnt vmcnt(26)
	ds_write_b64 v196, v[144:145]
	s_waitcnt vmcnt(24)
	ds_write2_b64 v197, v[100:101], v[142:143] offset0:37 offset1:38
	s_waitcnt vmcnt(22)
	ds_write2_b64 v197, v[98:99], v[140:141] offset0:39 offset1:40
	;; [unrolled: 2-line block ×4, first 2 shown]
	ds_read_b64 v[182:183], v196
	s_waitcnt lgkmcnt(0)
	v_cmp_neq_f64_e32 vcc, 0, v[182:183]
	s_and_b64 exec, exec, vcc
	s_cbranch_execz .LBB89_184
; %bb.183:
	v_div_scale_f64 v[184:185], s[6:7], v[182:183], v[182:183], 1.0
	v_rcp_f64_e32 v[186:187], v[184:185]
	v_div_scale_f64 v[188:189], vcc, 1.0, v[182:183], 1.0
	v_fma_f64 v[190:191], -v[184:185], v[186:187], 1.0
	v_fmac_f64_e32 v[186:187], v[186:187], v[190:191]
	v_fma_f64 v[190:191], -v[184:185], v[186:187], 1.0
	v_fmac_f64_e32 v[186:187], v[186:187], v[190:191]
	v_mul_f64 v[190:191], v[188:189], v[186:187]
	v_fma_f64 v[184:185], -v[184:185], v[190:191], v[188:189]
	v_div_fmas_f64 v[184:185], v[184:185], v[186:187], v[190:191]
	v_div_fixup_f64 v[182:183], v[184:185], v[182:183], 1.0
	ds_write_b64 v196, v[182:183]
.LBB89_184:
	s_or_b64 exec, exec, s[2:3]
	s_waitcnt lgkmcnt(0)
	s_barrier
	ds_read_b64 v[182:183], v196
	v_cmp_lt_u32_e32 vcc, 36, v198
	s_waitcnt lgkmcnt(0)
	buffer_store_dword v182, off, s[16:19], 0 offset:88 ; 4-byte Folded Spill
	s_nop 0
	buffer_store_dword v183, off, s[16:19], 0 offset:92 ; 4-byte Folded Spill
	s_and_saveexec_b64 s[2:3], vcc
	s_cbranch_execz .LBB89_186
; %bb.185:
	buffer_load_dword v182, off, s[16:19], 0 offset:88 ; 4-byte Folded Reload
	buffer_load_dword v183, off, s[16:19], 0 offset:92 ; 4-byte Folded Reload
	s_waitcnt vmcnt(0)
	v_mul_f64 v[144:145], v[182:183], v[144:145]
	ds_read2_b64 v[182:185], v197 offset0:37 offset1:38
	s_waitcnt lgkmcnt(0)
	v_fma_f64 v[100:101], -v[144:145], v[182:183], v[100:101]
	v_fma_f64 v[142:143], -v[144:145], v[184:185], v[142:143]
	ds_read2_b64 v[182:185], v197 offset0:39 offset1:40
	s_waitcnt lgkmcnt(0)
	v_fma_f64 v[98:99], -v[144:145], v[182:183], v[98:99]
	v_fma_f64 v[140:141], -v[144:145], v[184:185], v[140:141]
	;; [unrolled: 4-line block ×4, first 2 shown]
.LBB89_186:
	s_or_b64 exec, exec, s[2:3]
	v_cmp_eq_u32_e32 vcc, 37, v198
	s_barrier
	s_and_saveexec_b64 s[2:3], vcc
	s_cbranch_execz .LBB89_189
; %bb.187:
	s_waitcnt vmcnt(26)
	v_mov_b32_e32 v182, v142
	v_mov_b32_e32 v183, v143
	s_waitcnt vmcnt(25)
	v_mov_b32_e32 v184, v98
	v_mov_b32_e32 v185, v99
	ds_write_b64 v196, v[100:101]
	ds_write2_b64 v197, v[182:183], v[184:185] offset0:38 offset1:39
	s_waitcnt vmcnt(24)
	v_mov_b32_e32 v182, v140
	v_mov_b32_e32 v183, v141
	s_waitcnt vmcnt(23)
	v_mov_b32_e32 v184, v96
	v_mov_b32_e32 v185, v97
	ds_write2_b64 v197, v[182:183], v[184:185] offset0:40 offset1:41
	s_waitcnt vmcnt(22)
	v_mov_b32_e32 v182, v138
	v_mov_b32_e32 v183, v139
	s_waitcnt vmcnt(21)
	v_mov_b32_e32 v184, v94
	v_mov_b32_e32 v185, v95
	ds_write2_b64 v197, v[182:183], v[184:185] offset0:42 offset1:43
	s_waitcnt vmcnt(20)
	ds_write_b64 v197, v[180:181] offset:352
	ds_read_b64 v[182:183], v196
	s_waitcnt lgkmcnt(0)
	v_cmp_neq_f64_e32 vcc, 0, v[182:183]
	s_and_b64 exec, exec, vcc
	s_cbranch_execz .LBB89_189
; %bb.188:
	v_div_scale_f64 v[184:185], s[6:7], v[182:183], v[182:183], 1.0
	v_rcp_f64_e32 v[186:187], v[184:185]
	v_div_scale_f64 v[188:189], vcc, 1.0, v[182:183], 1.0
	v_fma_f64 v[190:191], -v[184:185], v[186:187], 1.0
	v_fmac_f64_e32 v[186:187], v[186:187], v[190:191]
	v_fma_f64 v[190:191], -v[184:185], v[186:187], 1.0
	v_fmac_f64_e32 v[186:187], v[186:187], v[190:191]
	v_mul_f64 v[190:191], v[188:189], v[186:187]
	v_fma_f64 v[184:185], -v[184:185], v[190:191], v[188:189]
	v_div_fmas_f64 v[184:185], v[184:185], v[186:187], v[190:191]
	v_div_fixup_f64 v[182:183], v[184:185], v[182:183], 1.0
	ds_write_b64 v196, v[182:183]
.LBB89_189:
	s_or_b64 exec, exec, s[2:3]
	s_waitcnt lgkmcnt(0)
	s_barrier
	ds_read_b64 v[182:183], v196
	v_cmp_lt_u32_e32 vcc, 37, v198
	s_and_saveexec_b64 s[2:3], vcc
	s_cbranch_execz .LBB89_191
; %bb.190:
	ds_read2_b64 v[184:187], v197 offset0:38 offset1:39
	s_waitcnt vmcnt(27) lgkmcnt(1)
	v_mul_f64 v[100:101], v[182:183], v[100:101]
	s_waitcnt vmcnt(26) lgkmcnt(0)
	v_fma_f64 v[142:143], -v[100:101], v[184:185], v[142:143]
	s_waitcnt vmcnt(25)
	v_fma_f64 v[98:99], -v[100:101], v[186:187], v[98:99]
	ds_read2_b64 v[184:187], v197 offset0:40 offset1:41
	s_waitcnt vmcnt(24) lgkmcnt(0)
	v_fma_f64 v[140:141], -v[100:101], v[184:185], v[140:141]
	s_waitcnt vmcnt(23)
	v_fma_f64 v[96:97], -v[100:101], v[186:187], v[96:97]
	ds_read2_b64 v[184:187], v197 offset0:42 offset1:43
	s_waitcnt vmcnt(22) lgkmcnt(0)
	v_fma_f64 v[138:139], -v[100:101], v[184:185], v[138:139]
	ds_read_b64 v[184:185], v197 offset:352
	s_waitcnt vmcnt(21)
	v_fma_f64 v[94:95], -v[100:101], v[186:187], v[94:95]
	s_waitcnt vmcnt(20) lgkmcnt(0)
	v_fma_f64 v[180:181], -v[100:101], v[184:185], v[180:181]
.LBB89_191:
	s_or_b64 exec, exec, s[2:3]
	v_cmp_eq_u32_e32 vcc, 38, v198
	s_waitcnt lgkmcnt(0)
	s_barrier
	s_and_saveexec_b64 s[2:3], vcc
	s_cbranch_execz .LBB89_194
; %bb.192:
	s_waitcnt vmcnt(26)
	ds_write_b64 v196, v[142:143]
	s_waitcnt vmcnt(24)
	ds_write2_b64 v197, v[98:99], v[140:141] offset0:39 offset1:40
	s_waitcnt vmcnt(22)
	ds_write2_b64 v197, v[96:97], v[138:139] offset0:41 offset1:42
	;; [unrolled: 2-line block ×3, first 2 shown]
	ds_read_b64 v[184:185], v196
	s_waitcnt lgkmcnt(0)
	v_cmp_neq_f64_e32 vcc, 0, v[184:185]
	s_and_b64 exec, exec, vcc
	s_cbranch_execz .LBB89_194
; %bb.193:
	v_div_scale_f64 v[186:187], s[6:7], v[184:185], v[184:185], 1.0
	v_rcp_f64_e32 v[188:189], v[186:187]
	v_div_scale_f64 v[190:191], vcc, 1.0, v[184:185], 1.0
	v_fma_f64 v[192:193], -v[186:187], v[188:189], 1.0
	v_fmac_f64_e32 v[188:189], v[188:189], v[192:193]
	v_fma_f64 v[192:193], -v[186:187], v[188:189], 1.0
	v_fmac_f64_e32 v[188:189], v[188:189], v[192:193]
	v_mul_f64 v[192:193], v[190:191], v[188:189]
	v_fma_f64 v[186:187], -v[186:187], v[192:193], v[190:191]
	v_div_fmas_f64 v[186:187], v[186:187], v[188:189], v[192:193]
	v_div_fixup_f64 v[184:185], v[186:187], v[184:185], 1.0
	ds_write_b64 v196, v[184:185]
.LBB89_194:
	s_or_b64 exec, exec, s[2:3]
	s_waitcnt lgkmcnt(0)
	s_barrier
	ds_read_b64 v[184:185], v196
	v_cmp_lt_u32_e32 vcc, 38, v198
	s_and_saveexec_b64 s[2:3], vcc
	s_cbranch_execz .LBB89_196
; %bb.195:
	ds_read2_b64 v[186:189], v197 offset0:39 offset1:40
	s_waitcnt vmcnt(26) lgkmcnt(1)
	v_mul_f64 v[142:143], v[184:185], v[142:143]
	s_waitcnt vmcnt(25) lgkmcnt(0)
	v_fma_f64 v[98:99], -v[142:143], v[186:187], v[98:99]
	s_waitcnt vmcnt(24)
	v_fma_f64 v[140:141], -v[142:143], v[188:189], v[140:141]
	ds_read2_b64 v[186:189], v197 offset0:41 offset1:42
	s_waitcnt vmcnt(23) lgkmcnt(0)
	v_fma_f64 v[96:97], -v[142:143], v[186:187], v[96:97]
	s_waitcnt vmcnt(22)
	v_fma_f64 v[138:139], -v[142:143], v[188:189], v[138:139]
	ds_read2_b64 v[186:189], v197 offset0:43 offset1:44
	s_waitcnt vmcnt(21) lgkmcnt(0)
	v_fma_f64 v[94:95], -v[142:143], v[186:187], v[94:95]
	s_waitcnt vmcnt(20)
	v_fma_f64 v[180:181], -v[142:143], v[188:189], v[180:181]
.LBB89_196:
	s_or_b64 exec, exec, s[2:3]
	v_cmp_eq_u32_e32 vcc, 39, v198
	s_waitcnt lgkmcnt(0)
	s_barrier
	s_and_saveexec_b64 s[2:3], vcc
	s_cbranch_execz .LBB89_199
; %bb.197:
	s_waitcnt vmcnt(24)
	v_mov_b32_e32 v186, v140
	v_mov_b32_e32 v187, v141
	s_waitcnt vmcnt(23)
	v_mov_b32_e32 v188, v96
	v_mov_b32_e32 v189, v97
	ds_write_b64 v196, v[98:99]
	ds_write2_b64 v197, v[186:187], v[188:189] offset0:40 offset1:41
	s_waitcnt vmcnt(22)
	v_mov_b32_e32 v186, v138
	v_mov_b32_e32 v187, v139
	s_waitcnt vmcnt(21)
	v_mov_b32_e32 v188, v94
	v_mov_b32_e32 v189, v95
	ds_write2_b64 v197, v[186:187], v[188:189] offset0:42 offset1:43
	s_waitcnt vmcnt(20)
	ds_write_b64 v197, v[180:181] offset:352
	ds_read_b64 v[186:187], v196
	s_waitcnt lgkmcnt(0)
	v_cmp_neq_f64_e32 vcc, 0, v[186:187]
	s_and_b64 exec, exec, vcc
	s_cbranch_execz .LBB89_199
; %bb.198:
	v_div_scale_f64 v[188:189], s[6:7], v[186:187], v[186:187], 1.0
	v_rcp_f64_e32 v[190:191], v[188:189]
	v_div_scale_f64 v[192:193], vcc, 1.0, v[186:187], 1.0
	v_fma_f64 v[194:195], -v[188:189], v[190:191], 1.0
	v_fmac_f64_e32 v[190:191], v[190:191], v[194:195]
	v_fma_f64 v[194:195], -v[188:189], v[190:191], 1.0
	v_fmac_f64_e32 v[190:191], v[190:191], v[194:195]
	v_mul_f64 v[194:195], v[192:193], v[190:191]
	v_fma_f64 v[188:189], -v[188:189], v[194:195], v[192:193]
	v_div_fmas_f64 v[188:189], v[188:189], v[190:191], v[194:195]
	v_div_fixup_f64 v[186:187], v[188:189], v[186:187], 1.0
	ds_write_b64 v196, v[186:187]
.LBB89_199:
	s_or_b64 exec, exec, s[2:3]
	s_waitcnt lgkmcnt(0)
	s_barrier
	ds_read_b64 v[186:187], v196
	v_cmp_lt_u32_e32 vcc, 39, v198
	s_and_saveexec_b64 s[2:3], vcc
	s_cbranch_execz .LBB89_201
; %bb.200:
	ds_read2_b64 v[188:191], v197 offset0:40 offset1:41
	s_waitcnt vmcnt(25) lgkmcnt(1)
	v_mul_f64 v[98:99], v[186:187], v[98:99]
	s_waitcnt vmcnt(24) lgkmcnt(0)
	v_fma_f64 v[140:141], -v[98:99], v[188:189], v[140:141]
	s_waitcnt vmcnt(23)
	v_fma_f64 v[96:97], -v[98:99], v[190:191], v[96:97]
	ds_read2_b64 v[188:191], v197 offset0:42 offset1:43
	s_waitcnt vmcnt(22) lgkmcnt(0)
	v_fma_f64 v[138:139], -v[98:99], v[188:189], v[138:139]
	ds_read_b64 v[188:189], v197 offset:352
	s_waitcnt vmcnt(21)
	v_fma_f64 v[94:95], -v[98:99], v[190:191], v[94:95]
	s_waitcnt vmcnt(20) lgkmcnt(0)
	v_fma_f64 v[180:181], -v[98:99], v[188:189], v[180:181]
.LBB89_201:
	s_or_b64 exec, exec, s[2:3]
	v_cmp_eq_u32_e32 vcc, 40, v198
	s_waitcnt lgkmcnt(0)
	s_barrier
	s_and_saveexec_b64 s[2:3], vcc
	s_cbranch_execz .LBB89_204
; %bb.202:
	s_waitcnt vmcnt(24)
	ds_write_b64 v196, v[140:141]
	s_waitcnt vmcnt(22)
	ds_write2_b64 v197, v[96:97], v[138:139] offset0:41 offset1:42
	s_waitcnt vmcnt(20)
	ds_write2_b64 v197, v[94:95], v[180:181] offset0:43 offset1:44
	ds_read_b64 v[188:189], v196
	s_waitcnt lgkmcnt(0)
	v_cmp_neq_f64_e32 vcc, 0, v[188:189]
	s_and_b64 exec, exec, vcc
	s_cbranch_execz .LBB89_204
; %bb.203:
	v_div_scale_f64 v[190:191], s[6:7], v[188:189], v[188:189], 1.0
	v_rcp_f64_e32 v[192:193], v[190:191]
	v_div_scale_f64 v[194:195], vcc, 1.0, v[188:189], 1.0
	v_fma_f64 v[200:201], -v[190:191], v[192:193], 1.0
	v_fmac_f64_e32 v[192:193], v[192:193], v[200:201]
	v_fma_f64 v[200:201], -v[190:191], v[192:193], 1.0
	v_fmac_f64_e32 v[192:193], v[192:193], v[200:201]
	v_mul_f64 v[200:201], v[194:195], v[192:193]
	v_fma_f64 v[190:191], -v[190:191], v[200:201], v[194:195]
	v_div_fmas_f64 v[190:191], v[190:191], v[192:193], v[200:201]
	v_div_fixup_f64 v[188:189], v[190:191], v[188:189], 1.0
	ds_write_b64 v196, v[188:189]
.LBB89_204:
	s_or_b64 exec, exec, s[2:3]
	s_waitcnt lgkmcnt(0)
	s_barrier
	ds_read_b64 v[188:189], v196
	v_cmp_lt_u32_e32 vcc, 40, v198
	s_and_saveexec_b64 s[2:3], vcc
	s_cbranch_execz .LBB89_206
; %bb.205:
	ds_read2_b64 v[190:193], v197 offset0:41 offset1:42
	s_waitcnt vmcnt(24) lgkmcnt(1)
	v_mul_f64 v[140:141], v[188:189], v[140:141]
	s_waitcnt vmcnt(23) lgkmcnt(0)
	v_fma_f64 v[96:97], -v[140:141], v[190:191], v[96:97]
	s_waitcnt vmcnt(22)
	v_fma_f64 v[138:139], -v[140:141], v[192:193], v[138:139]
	ds_read2_b64 v[190:193], v197 offset0:43 offset1:44
	s_waitcnt vmcnt(21) lgkmcnt(0)
	v_fma_f64 v[94:95], -v[140:141], v[190:191], v[94:95]
	s_waitcnt vmcnt(20)
	v_fma_f64 v[180:181], -v[140:141], v[192:193], v[180:181]
.LBB89_206:
	s_or_b64 exec, exec, s[2:3]
	v_cmp_eq_u32_e32 vcc, 41, v198
	s_waitcnt lgkmcnt(0)
	s_barrier
	s_and_saveexec_b64 s[2:3], vcc
	s_cbranch_execz .LBB89_209
; %bb.207:
	s_waitcnt vmcnt(22)
	v_mov_b32_e32 v190, v138
	v_mov_b32_e32 v191, v139
	s_waitcnt vmcnt(21)
	v_mov_b32_e32 v192, v94
	v_mov_b32_e32 v193, v95
	ds_write_b64 v196, v[96:97]
	ds_write2_b64 v197, v[190:191], v[192:193] offset0:42 offset1:43
	s_waitcnt vmcnt(20)
	ds_write_b64 v197, v[180:181] offset:352
	ds_read_b64 v[190:191], v196
	s_waitcnt lgkmcnt(0)
	v_cmp_neq_f64_e32 vcc, 0, v[190:191]
	s_and_b64 exec, exec, vcc
	s_cbranch_execz .LBB89_209
; %bb.208:
	v_div_scale_f64 v[192:193], s[6:7], v[190:191], v[190:191], 1.0
	v_rcp_f64_e32 v[194:195], v[192:193]
	v_div_scale_f64 v[200:201], vcc, 1.0, v[190:191], 1.0
	v_fma_f64 v[202:203], -v[192:193], v[194:195], 1.0
	v_fmac_f64_e32 v[194:195], v[194:195], v[202:203]
	v_fma_f64 v[202:203], -v[192:193], v[194:195], 1.0
	v_fmac_f64_e32 v[194:195], v[194:195], v[202:203]
	v_mul_f64 v[202:203], v[200:201], v[194:195]
	v_fma_f64 v[192:193], -v[192:193], v[202:203], v[200:201]
	v_div_fmas_f64 v[192:193], v[192:193], v[194:195], v[202:203]
	v_div_fixup_f64 v[190:191], v[192:193], v[190:191], 1.0
	ds_write_b64 v196, v[190:191]
.LBB89_209:
	s_or_b64 exec, exec, s[2:3]
	s_waitcnt lgkmcnt(0)
	s_barrier
	ds_read_b64 v[190:191], v196
	v_cmp_lt_u32_e32 vcc, 41, v198
	s_and_saveexec_b64 s[2:3], vcc
	s_cbranch_execz .LBB89_211
; %bb.210:
	ds_read2_b64 v[192:195], v197 offset0:42 offset1:43
	s_waitcnt vmcnt(23) lgkmcnt(1)
	v_mul_f64 v[96:97], v[190:191], v[96:97]
	s_waitcnt vmcnt(22) lgkmcnt(0)
	v_fma_f64 v[138:139], -v[96:97], v[192:193], v[138:139]
	ds_read_b64 v[192:193], v197 offset:352
	s_waitcnt vmcnt(21)
	v_fma_f64 v[94:95], -v[96:97], v[194:195], v[94:95]
	s_waitcnt vmcnt(20) lgkmcnt(0)
	v_fma_f64 v[180:181], -v[96:97], v[192:193], v[180:181]
.LBB89_211:
	s_or_b64 exec, exec, s[2:3]
	v_cmp_eq_u32_e32 vcc, 42, v198
	s_waitcnt lgkmcnt(0)
	s_barrier
	s_and_saveexec_b64 s[2:3], vcc
	s_cbranch_execz .LBB89_214
; %bb.212:
	s_waitcnt vmcnt(22)
	ds_write_b64 v196, v[138:139]
	s_waitcnt vmcnt(20)
	ds_write2_b64 v197, v[94:95], v[180:181] offset0:43 offset1:44
	ds_read_b64 v[192:193], v196
	s_waitcnt lgkmcnt(0)
	v_cmp_neq_f64_e32 vcc, 0, v[192:193]
	s_and_b64 exec, exec, vcc
	s_cbranch_execz .LBB89_214
; %bb.213:
	v_div_scale_f64 v[194:195], s[6:7], v[192:193], v[192:193], 1.0
	v_rcp_f64_e32 v[200:201], v[194:195]
	v_pk_mov_b32 v[104:105], v[148:149], v[148:149] op_sel:[0,1]
	v_pk_mov_b32 v[148:149], v[106:107], v[106:107] op_sel:[0,1]
	v_pk_mov_b32 v[106:107], v[190:191], v[190:191] op_sel:[0,1]
	v_pk_mov_b32 v[190:191], v[150:151], v[150:151] op_sel:[0,1]
	v_pk_mov_b32 v[150:151], v[108:109], v[108:109] op_sel:[0,1]
	v_pk_mov_b32 v[108:109], v[152:153], v[152:153] op_sel:[0,1]
	v_pk_mov_b32 v[152:153], v[110:111], v[110:111] op_sel:[0,1]
	v_pk_mov_b32 v[110:111], v[154:155], v[154:155] op_sel:[0,1]
	v_pk_mov_b32 v[154:155], v[112:113], v[112:113] op_sel:[0,1]
	v_pk_mov_b32 v[112:113], v[156:157], v[156:157] op_sel:[0,1]
	v_pk_mov_b32 v[156:157], v[114:115], v[114:115] op_sel:[0,1]
	v_pk_mov_b32 v[114:115], v[158:159], v[158:159] op_sel:[0,1]
	v_pk_mov_b32 v[158:159], v[188:189], v[188:189] op_sel:[0,1]
	v_pk_mov_b32 v[188:189], v[116:117], v[116:117] op_sel:[0,1]
	v_pk_mov_b32 v[116:117], v[160:161], v[160:161] op_sel:[0,1]
	v_pk_mov_b32 v[160:161], v[118:119], v[118:119] op_sel:[0,1]
	v_pk_mov_b32 v[118:119], v[162:163], v[162:163] op_sel:[0,1]
	v_pk_mov_b32 v[162:163], v[186:187], v[186:187] op_sel:[0,1]
	v_pk_mov_b32 v[186:187], v[122:123], v[122:123] op_sel:[0,1]
	v_pk_mov_b32 v[122:123], v[184:185], v[184:185] op_sel:[0,1]
	v_pk_mov_b32 v[184:185], v[166:167], v[166:167] op_sel:[0,1]
	v_pk_mov_b32 v[166:167], v[124:125], v[124:125] op_sel:[0,1]
	v_pk_mov_b32 v[124:125], v[168:169], v[168:169] op_sel:[0,1]
	v_pk_mov_b32 v[168:169], v[126:127], v[126:127] op_sel:[0,1]
	v_pk_mov_b32 v[126:127], v[170:171], v[170:171] op_sel:[0,1]
	v_pk_mov_b32 v[170:171], v[128:129], v[128:129] op_sel:[0,1]
	v_pk_mov_b32 v[128:129], v[182:183], v[182:183] op_sel:[0,1]
	v_pk_mov_b32 v[182:183], v[172:173], v[172:173] op_sel:[0,1]
	v_pk_mov_b32 v[172:173], v[130:131], v[130:131] op_sel:[0,1]
	v_pk_mov_b32 v[130:131], v[174:175], v[174:175] op_sel:[0,1]
	v_pk_mov_b32 v[174:175], v[132:133], v[132:133] op_sel:[0,1]
	v_pk_mov_b32 v[132:133], v[176:177], v[176:177] op_sel:[0,1]
	v_pk_mov_b32 v[176:177], v[90:91], v[90:91] op_sel:[0,1]
	v_pk_mov_b32 v[90:91], v[86:87], v[86:87] op_sel:[0,1]
	v_pk_mov_b32 v[86:87], v[84:85], v[84:85] op_sel:[0,1]
	v_pk_mov_b32 v[84:85], v[82:83], v[82:83] op_sel:[0,1]
	v_pk_mov_b32 v[82:83], v[80:81], v[80:81] op_sel:[0,1]
	v_pk_mov_b32 v[80:81], v[78:79], v[78:79] op_sel:[0,1]
	v_pk_mov_b32 v[78:79], v[76:77], v[76:77] op_sel:[0,1]
	v_pk_mov_b32 v[76:77], v[74:75], v[74:75] op_sel:[0,1]
	v_pk_mov_b32 v[74:75], v[72:73], v[72:73] op_sel:[0,1]
	v_pk_mov_b32 v[72:73], v[70:71], v[70:71] op_sel:[0,1]
	v_pk_mov_b32 v[70:71], v[68:69], v[68:69] op_sel:[0,1]
	v_pk_mov_b32 v[68:69], v[66:67], v[66:67] op_sel:[0,1]
	v_pk_mov_b32 v[66:67], v[64:65], v[64:65] op_sel:[0,1]
	v_pk_mov_b32 v[64:65], v[62:63], v[62:63] op_sel:[0,1]
	v_pk_mov_b32 v[62:63], v[60:61], v[60:61] op_sel:[0,1]
	v_pk_mov_b32 v[60:61], v[58:59], v[58:59] op_sel:[0,1]
	v_pk_mov_b32 v[58:59], v[56:57], v[56:57] op_sel:[0,1]
	v_pk_mov_b32 v[56:57], v[54:55], v[54:55] op_sel:[0,1]
	v_pk_mov_b32 v[54:55], v[52:53], v[52:53] op_sel:[0,1]
	v_pk_mov_b32 v[52:53], v[50:51], v[50:51] op_sel:[0,1]
	v_pk_mov_b32 v[50:51], v[48:49], v[48:49] op_sel:[0,1]
	v_pk_mov_b32 v[48:49], v[46:47], v[46:47] op_sel:[0,1]
	v_pk_mov_b32 v[46:47], v[44:45], v[44:45] op_sel:[0,1]
	v_pk_mov_b32 v[44:45], v[42:43], v[42:43] op_sel:[0,1]
	v_pk_mov_b32 v[42:43], v[40:41], v[40:41] op_sel:[0,1]
	v_pk_mov_b32 v[40:41], v[38:39], v[38:39] op_sel:[0,1]
	v_pk_mov_b32 v[38:39], v[36:37], v[36:37] op_sel:[0,1]
	v_pk_mov_b32 v[36:37], v[34:35], v[34:35] op_sel:[0,1]
	v_pk_mov_b32 v[34:35], v[32:33], v[32:33] op_sel:[0,1]
	v_pk_mov_b32 v[32:33], v[30:31], v[30:31] op_sel:[0,1]
	v_pk_mov_b32 v[30:31], v[28:29], v[28:29] op_sel:[0,1]
	v_pk_mov_b32 v[28:29], v[26:27], v[26:27] op_sel:[0,1]
	v_pk_mov_b32 v[26:27], v[24:25], v[24:25] op_sel:[0,1]
	v_pk_mov_b32 v[24:25], v[22:23], v[22:23] op_sel:[0,1]
	v_pk_mov_b32 v[22:23], v[0:1], v[0:1] op_sel:[0,1]
	v_pk_mov_b32 v[0:1], v[204:205], v[204:205] op_sel:[0,1]
	v_fma_f64 v[204:205], -v[194:195], v[200:201], 1.0
	v_fmac_f64_e32 v[200:201], v[200:201], v[204:205]
	v_fma_f64 v[204:205], -v[194:195], v[200:201], 1.0
	v_div_scale_f64 v[202:203], vcc, 1.0, v[192:193], 1.0
	v_fmac_f64_e32 v[200:201], v[200:201], v[204:205]
	v_mul_f64 v[204:205], v[202:203], v[200:201]
	v_fma_f64 v[194:195], -v[194:195], v[204:205], v[202:203]
	s_nop 0
	v_div_fmas_f64 v[194:195], v[194:195], v[200:201], v[204:205]
	v_pk_mov_b32 v[204:205], v[0:1], v[0:1] op_sel:[0,1]
	v_pk_mov_b32 v[0:1], v[22:23], v[22:23] op_sel:[0,1]
	v_pk_mov_b32 v[22:23], v[24:25], v[24:25] op_sel:[0,1]
	v_pk_mov_b32 v[24:25], v[26:27], v[26:27] op_sel:[0,1]
	v_pk_mov_b32 v[26:27], v[28:29], v[28:29] op_sel:[0,1]
	v_pk_mov_b32 v[28:29], v[30:31], v[30:31] op_sel:[0,1]
	v_pk_mov_b32 v[30:31], v[32:33], v[32:33] op_sel:[0,1]
	v_pk_mov_b32 v[32:33], v[34:35], v[34:35] op_sel:[0,1]
	v_pk_mov_b32 v[34:35], v[36:37], v[36:37] op_sel:[0,1]
	v_pk_mov_b32 v[36:37], v[38:39], v[38:39] op_sel:[0,1]
	v_pk_mov_b32 v[38:39], v[40:41], v[40:41] op_sel:[0,1]
	v_pk_mov_b32 v[40:41], v[42:43], v[42:43] op_sel:[0,1]
	v_pk_mov_b32 v[42:43], v[44:45], v[44:45] op_sel:[0,1]
	v_pk_mov_b32 v[44:45], v[46:47], v[46:47] op_sel:[0,1]
	v_pk_mov_b32 v[46:47], v[48:49], v[48:49] op_sel:[0,1]
	v_pk_mov_b32 v[48:49], v[50:51], v[50:51] op_sel:[0,1]
	v_pk_mov_b32 v[50:51], v[52:53], v[52:53] op_sel:[0,1]
	v_pk_mov_b32 v[52:53], v[54:55], v[54:55] op_sel:[0,1]
	v_pk_mov_b32 v[54:55], v[56:57], v[56:57] op_sel:[0,1]
	v_pk_mov_b32 v[56:57], v[58:59], v[58:59] op_sel:[0,1]
	v_pk_mov_b32 v[58:59], v[60:61], v[60:61] op_sel:[0,1]
	v_pk_mov_b32 v[60:61], v[62:63], v[62:63] op_sel:[0,1]
	v_pk_mov_b32 v[62:63], v[64:65], v[64:65] op_sel:[0,1]
	v_pk_mov_b32 v[64:65], v[66:67], v[66:67] op_sel:[0,1]
	v_pk_mov_b32 v[66:67], v[68:69], v[68:69] op_sel:[0,1]
	v_pk_mov_b32 v[68:69], v[70:71], v[70:71] op_sel:[0,1]
	v_pk_mov_b32 v[70:71], v[72:73], v[72:73] op_sel:[0,1]
	v_pk_mov_b32 v[72:73], v[74:75], v[74:75] op_sel:[0,1]
	v_pk_mov_b32 v[74:75], v[76:77], v[76:77] op_sel:[0,1]
	v_pk_mov_b32 v[76:77], v[78:79], v[78:79] op_sel:[0,1]
	v_pk_mov_b32 v[78:79], v[80:81], v[80:81] op_sel:[0,1]
	v_pk_mov_b32 v[80:81], v[82:83], v[82:83] op_sel:[0,1]
	v_pk_mov_b32 v[82:83], v[84:85], v[84:85] op_sel:[0,1]
	v_pk_mov_b32 v[84:85], v[86:87], v[86:87] op_sel:[0,1]
	v_pk_mov_b32 v[86:87], v[90:91], v[90:91] op_sel:[0,1]
	v_pk_mov_b32 v[90:91], v[176:177], v[176:177] op_sel:[0,1]
	v_pk_mov_b32 v[176:177], v[132:133], v[132:133] op_sel:[0,1]
	v_pk_mov_b32 v[132:133], v[174:175], v[174:175] op_sel:[0,1]
	v_pk_mov_b32 v[174:175], v[130:131], v[130:131] op_sel:[0,1]
	v_pk_mov_b32 v[130:131], v[172:173], v[172:173] op_sel:[0,1]
	v_pk_mov_b32 v[172:173], v[182:183], v[182:183] op_sel:[0,1]
	v_pk_mov_b32 v[182:183], v[128:129], v[128:129] op_sel:[0,1]
	v_pk_mov_b32 v[128:129], v[170:171], v[170:171] op_sel:[0,1]
	v_pk_mov_b32 v[170:171], v[126:127], v[126:127] op_sel:[0,1]
	v_pk_mov_b32 v[126:127], v[168:169], v[168:169] op_sel:[0,1]
	v_pk_mov_b32 v[168:169], v[124:125], v[124:125] op_sel:[0,1]
	v_pk_mov_b32 v[124:125], v[166:167], v[166:167] op_sel:[0,1]
	v_pk_mov_b32 v[166:167], v[184:185], v[184:185] op_sel:[0,1]
	v_pk_mov_b32 v[184:185], v[122:123], v[122:123] op_sel:[0,1]
	v_pk_mov_b32 v[122:123], v[186:187], v[186:187] op_sel:[0,1]
	v_pk_mov_b32 v[186:187], v[162:163], v[162:163] op_sel:[0,1]
	v_pk_mov_b32 v[162:163], v[118:119], v[118:119] op_sel:[0,1]
	v_pk_mov_b32 v[118:119], v[160:161], v[160:161] op_sel:[0,1]
	v_pk_mov_b32 v[160:161], v[116:117], v[116:117] op_sel:[0,1]
	v_pk_mov_b32 v[116:117], v[188:189], v[188:189] op_sel:[0,1]
	v_pk_mov_b32 v[188:189], v[158:159], v[158:159] op_sel:[0,1]
	v_pk_mov_b32 v[158:159], v[114:115], v[114:115] op_sel:[0,1]
	v_pk_mov_b32 v[114:115], v[156:157], v[156:157] op_sel:[0,1]
	v_pk_mov_b32 v[156:157], v[112:113], v[112:113] op_sel:[0,1]
	v_pk_mov_b32 v[112:113], v[154:155], v[154:155] op_sel:[0,1]
	v_pk_mov_b32 v[154:155], v[110:111], v[110:111] op_sel:[0,1]
	v_pk_mov_b32 v[110:111], v[152:153], v[152:153] op_sel:[0,1]
	v_pk_mov_b32 v[152:153], v[108:109], v[108:109] op_sel:[0,1]
	v_pk_mov_b32 v[108:109], v[150:151], v[150:151] op_sel:[0,1]
	v_pk_mov_b32 v[150:151], v[190:191], v[190:191] op_sel:[0,1]
	v_pk_mov_b32 v[190:191], v[106:107], v[106:107] op_sel:[0,1]
	v_pk_mov_b32 v[106:107], v[148:149], v[148:149] op_sel:[0,1]
	v_pk_mov_b32 v[148:149], v[104:105], v[104:105] op_sel:[0,1]
	v_div_fixup_f64 v[192:193], v[194:195], v[192:193], 1.0
	ds_write_b64 v196, v[192:193]
.LBB89_214:
	s_or_b64 exec, exec, s[2:3]
	s_waitcnt lgkmcnt(0)
	s_barrier
	ds_read_b64 v[192:193], v196
	v_cmp_lt_u32_e32 vcc, 42, v198
	s_and_saveexec_b64 s[2:3], vcc
	s_cbranch_execz .LBB89_216
; %bb.215:
	ds_read2_b64 v[200:203], v197 offset0:43 offset1:44
	s_waitcnt vmcnt(22) lgkmcnt(1)
	v_mul_f64 v[138:139], v[192:193], v[138:139]
	s_waitcnt vmcnt(21) lgkmcnt(0)
	v_fma_f64 v[94:95], -v[138:139], v[200:201], v[94:95]
	s_waitcnt vmcnt(20)
	v_fma_f64 v[180:181], -v[138:139], v[202:203], v[180:181]
.LBB89_216:
	s_or_b64 exec, exec, s[2:3]
	v_cmp_eq_u32_e32 vcc, 43, v198
	s_waitcnt lgkmcnt(0)
	s_barrier
	s_and_saveexec_b64 s[2:3], vcc
	s_cbranch_execz .LBB89_219
; %bb.217:
	s_waitcnt vmcnt(21)
	ds_write_b64 v196, v[94:95]
	s_waitcnt vmcnt(20)
	ds_write_b64 v197, v[180:181] offset:352
	ds_read_b64 v[194:195], v196
	s_waitcnt lgkmcnt(0)
	v_cmp_neq_f64_e32 vcc, 0, v[194:195]
	s_and_b64 exec, exec, vcc
	s_cbranch_execz .LBB89_219
; %bb.218:
	v_div_scale_f64 v[200:201], s[6:7], v[194:195], v[194:195], 1.0
	v_rcp_f64_e32 v[202:203], v[200:201]
	buffer_store_dword v164, off, s[16:19], 0 offset:100 ; 4-byte Folded Spill
	s_nop 0
	buffer_store_dword v165, off, s[16:19], 0 offset:104 ; 4-byte Folded Spill
	buffer_store_dword v198, off, s[16:19], 0 offset:96 ; 4-byte Folded Spill
	v_pk_mov_b32 v[198:199], v[122:123], v[122:123] op_sel:[0,1]
	v_pk_mov_b32 v[122:123], v[184:185], v[184:185] op_sel:[0,1]
	;; [unrolled: 1-line block ×31, first 2 shown]
	v_fma_f64 v[206:207], -v[200:201], v[202:203], 1.0
	v_fmac_f64_e32 v[202:203], v[202:203], v[206:207]
	v_fma_f64 v[206:207], -v[200:201], v[202:203], 1.0
	v_pk_mov_b32 v[104:105], v[148:149], v[148:149] op_sel:[0,1]
	v_pk_mov_b32 v[148:149], v[106:107], v[106:107] op_sel:[0,1]
	;; [unrolled: 1-line block ×76, first 2 shown]
	v_div_scale_f64 v[204:205], vcc, 1.0, v[194:195], 1.0
	v_fmac_f64_e32 v[202:203], v[202:203], v[206:207]
	v_mul_f64 v[206:207], v[204:205], v[202:203]
	v_fma_f64 v[200:201], -v[200:201], v[206:207], v[204:205]
	buffer_load_dword v164, off, s[16:19], 0 offset:100 ; 4-byte Folded Reload
	buffer_load_dword v165, off, s[16:19], 0 offset:104 ; 4-byte Folded Reload
	v_div_fmas_f64 v[200:201], v[200:201], v[202:203], v[206:207]
	v_pk_mov_b32 v[206:207], v[2:3], v[2:3] op_sel:[0,1]
	v_pk_mov_b32 v[2:3], v[210:211], v[210:211] op_sel:[0,1]
	;; [unrolled: 1-line block ×31, first 2 shown]
	buffer_load_dword v198, off, s[16:19], 0 offset:96 ; 4-byte Folded Reload
	v_pk_mov_b32 v[204:205], v[4:5], v[4:5] op_sel:[0,1]
	v_pk_mov_b32 v[4:5], v[6:7], v[6:7] op_sel:[0,1]
	;; [unrolled: 1-line block ×76, first 2 shown]
	v_div_fixup_f64 v[194:195], v[200:201], v[194:195], 1.0
	ds_write_b64 v196, v[194:195]
.LBB89_219:
	s_or_b64 exec, exec, s[2:3]
	s_waitcnt lgkmcnt(0)
	s_barrier
	ds_read_b64 v[194:195], v196
	s_waitcnt vmcnt(0)
	v_cmp_lt_u32_e32 vcc, 43, v198
	s_and_saveexec_b64 s[2:3], vcc
	s_cbranch_execz .LBB89_221
; %bb.220:
	ds_read_b64 v[200:201], v197 offset:352
	s_waitcnt lgkmcnt(1)
	v_mul_f64 v[94:95], v[194:195], v[94:95]
	s_waitcnt lgkmcnt(0)
	v_fma_f64 v[180:181], -v[94:95], v[200:201], v[180:181]
.LBB89_221:
	s_or_b64 exec, exec, s[2:3]
	v_cmp_eq_u32_e32 vcc, 44, v198
	s_waitcnt lgkmcnt(0)
	s_barrier
	s_and_saveexec_b64 s[2:3], vcc
	s_cbranch_execz .LBB89_224
; %bb.222:
	v_cmp_neq_f64_e32 vcc, 0, v[180:181]
	ds_write_b64 v196, v[180:181]
	s_and_b64 exec, exec, vcc
	s_cbranch_execz .LBB89_224
; %bb.223:
	v_div_scale_f64 v[200:201], s[6:7], v[180:181], v[180:181], 1.0
	v_rcp_f64_e32 v[202:203], v[200:201]
	v_mov_b32_e32 v197, v198
	v_pk_mov_b32 v[198:199], v[122:123], v[122:123] op_sel:[0,1]
	v_pk_mov_b32 v[122:123], v[184:185], v[184:185] op_sel:[0,1]
	;; [unrolled: 1-line block ×32, first 2 shown]
	v_fma_f64 v[206:207], -v[200:201], v[202:203], 1.0
	v_fmac_f64_e32 v[202:203], v[202:203], v[206:207]
	v_fma_f64 v[206:207], -v[200:201], v[202:203], 1.0
	v_pk_mov_b32 v[104:105], v[148:149], v[148:149] op_sel:[0,1]
	v_pk_mov_b32 v[148:149], v[106:107], v[106:107] op_sel:[0,1]
	v_pk_mov_b32 v[106:107], v[190:191], v[190:191] op_sel:[0,1]
	v_pk_mov_b32 v[190:191], v[150:151], v[150:151] op_sel:[0,1]
	v_pk_mov_b32 v[150:151], v[108:109], v[108:109] op_sel:[0,1]
	v_pk_mov_b32 v[108:109], v[152:153], v[152:153] op_sel:[0,1]
	v_pk_mov_b32 v[152:153], v[110:111], v[110:111] op_sel:[0,1]
	v_pk_mov_b32 v[110:111], v[154:155], v[154:155] op_sel:[0,1]
	v_pk_mov_b32 v[154:155], v[112:113], v[112:113] op_sel:[0,1]
	v_pk_mov_b32 v[112:113], v[156:157], v[156:157] op_sel:[0,1]
	v_pk_mov_b32 v[156:157], v[114:115], v[114:115] op_sel:[0,1]
	v_pk_mov_b32 v[114:115], v[158:159], v[158:159] op_sel:[0,1]
	v_pk_mov_b32 v[158:159], v[188:189], v[188:189] op_sel:[0,1]
	v_pk_mov_b32 v[188:189], v[116:117], v[116:117] op_sel:[0,1]
	v_pk_mov_b32 v[116:117], v[160:161], v[160:161] op_sel:[0,1]
	v_pk_mov_b32 v[160:161], v[118:119], v[118:119] op_sel:[0,1]
	v_pk_mov_b32 v[118:119], v[162:163], v[162:163] op_sel:[0,1]
	v_pk_mov_b32 v[162:163], v[186:187], v[186:187] op_sel:[0,1]
	v_pk_mov_b32 v[186:187], v[166:167], v[166:167] op_sel:[0,1]
	v_pk_mov_b32 v[166:167], v[124:125], v[124:125] op_sel:[0,1]
	v_pk_mov_b32 v[124:125], v[168:169], v[168:169] op_sel:[0,1]
	v_pk_mov_b32 v[168:169], v[126:127], v[126:127] op_sel:[0,1]
	v_pk_mov_b32 v[126:127], v[170:171], v[170:171] op_sel:[0,1]
	v_pk_mov_b32 v[170:171], v[128:129], v[128:129] op_sel:[0,1]
	v_pk_mov_b32 v[128:129], v[182:183], v[182:183] op_sel:[0,1]
	v_pk_mov_b32 v[182:183], v[134:135], v[134:135] op_sel:[0,1]
	v_pk_mov_b32 v[134:135], v[178:179], v[178:179] op_sel:[0,1]
	v_pk_mov_b32 v[178:179], v[136:137], v[136:137] op_sel:[0,1]
	v_pk_mov_b32 v[136:137], v[254:255], v[254:255] op_sel:[0,1]
	v_pk_mov_b32 v[254:255], v[92:93], v[92:93] op_sel:[0,1]
	v_pk_mov_b32 v[92:93], v[252:253], v[252:253] op_sel:[0,1]
	v_pk_mov_b32 v[252:253], v[250:251], v[250:251] op_sel:[0,1]
	v_pk_mov_b32 v[250:251], v[248:249], v[248:249] op_sel:[0,1]
	v_pk_mov_b32 v[248:249], v[246:247], v[246:247] op_sel:[0,1]
	v_pk_mov_b32 v[246:247], v[244:245], v[244:245] op_sel:[0,1]
	v_pk_mov_b32 v[244:245], v[242:243], v[242:243] op_sel:[0,1]
	v_pk_mov_b32 v[242:243], v[240:241], v[240:241] op_sel:[0,1]
	v_pk_mov_b32 v[240:241], v[238:239], v[238:239] op_sel:[0,1]
	v_pk_mov_b32 v[238:239], v[236:237], v[236:237] op_sel:[0,1]
	v_pk_mov_b32 v[236:237], v[234:235], v[234:235] op_sel:[0,1]
	v_pk_mov_b32 v[234:235], v[232:233], v[232:233] op_sel:[0,1]
	v_pk_mov_b32 v[232:233], v[230:231], v[230:231] op_sel:[0,1]
	v_pk_mov_b32 v[230:231], v[228:229], v[228:229] op_sel:[0,1]
	v_pk_mov_b32 v[228:229], v[88:89], v[88:89] op_sel:[0,1]
	v_pk_mov_b32 v[88:89], v[226:227], v[226:227] op_sel:[0,1]
	v_pk_mov_b32 v[226:227], v[224:225], v[224:225] op_sel:[0,1]
	v_pk_mov_b32 v[224:225], v[222:223], v[222:223] op_sel:[0,1]
	v_pk_mov_b32 v[222:223], v[220:221], v[220:221] op_sel:[0,1]
	v_pk_mov_b32 v[220:221], v[218:219], v[218:219] op_sel:[0,1]
	v_pk_mov_b32 v[218:219], v[86:87], v[86:87] op_sel:[0,1]
	v_pk_mov_b32 v[86:87], v[82:83], v[82:83] op_sel:[0,1]
	v_pk_mov_b32 v[82:83], v[78:79], v[78:79] op_sel:[0,1]
	v_pk_mov_b32 v[78:79], v[74:75], v[74:75] op_sel:[0,1]
	v_pk_mov_b32 v[74:75], v[70:71], v[70:71] op_sel:[0,1]
	v_pk_mov_b32 v[70:71], v[66:67], v[66:67] op_sel:[0,1]
	v_pk_mov_b32 v[66:67], v[62:63], v[62:63] op_sel:[0,1]
	v_pk_mov_b32 v[62:63], v[58:59], v[58:59] op_sel:[0,1]
	v_pk_mov_b32 v[58:59], v[54:55], v[54:55] op_sel:[0,1]
	v_pk_mov_b32 v[54:55], v[50:51], v[50:51] op_sel:[0,1]
	v_pk_mov_b32 v[50:51], v[46:47], v[46:47] op_sel:[0,1]
	v_pk_mov_b32 v[46:47], v[42:43], v[42:43] op_sel:[0,1]
	v_pk_mov_b32 v[42:43], v[38:39], v[38:39] op_sel:[0,1]
	v_pk_mov_b32 v[38:39], v[34:35], v[34:35] op_sel:[0,1]
	v_pk_mov_b32 v[34:35], v[30:31], v[30:31] op_sel:[0,1]
	v_pk_mov_b32 v[30:31], v[26:27], v[26:27] op_sel:[0,1]
	v_pk_mov_b32 v[26:27], v[22:23], v[22:23] op_sel:[0,1]
	v_pk_mov_b32 v[22:23], v[20:21], v[20:21] op_sel:[0,1]
	v_pk_mov_b32 v[20:21], v[18:19], v[18:19] op_sel:[0,1]
	v_pk_mov_b32 v[18:19], v[16:17], v[16:17] op_sel:[0,1]
	v_pk_mov_b32 v[16:17], v[14:15], v[14:15] op_sel:[0,1]
	v_pk_mov_b32 v[14:15], v[12:13], v[12:13] op_sel:[0,1]
	v_pk_mov_b32 v[12:13], v[10:11], v[10:11] op_sel:[0,1]
	v_pk_mov_b32 v[10:11], v[8:9], v[8:9] op_sel:[0,1]
	v_pk_mov_b32 v[8:9], v[6:7], v[6:7] op_sel:[0,1]
	v_pk_mov_b32 v[6:7], v[4:5], v[4:5] op_sel:[0,1]
	v_pk_mov_b32 v[4:5], v[204:205], v[204:205] op_sel:[0,1]
	v_div_scale_f64 v[204:205], vcc, 1.0, v[180:181], 1.0
	v_fmac_f64_e32 v[202:203], v[202:203], v[206:207]
	v_mul_f64 v[206:207], v[204:205], v[202:203]
	v_fma_f64 v[200:201], -v[200:201], v[206:207], v[204:205]
	s_nop 0
	v_div_fmas_f64 v[200:201], v[200:201], v[202:203], v[206:207]
	v_pk_mov_b32 v[204:205], v[4:5], v[4:5] op_sel:[0,1]
	v_pk_mov_b32 v[4:5], v[6:7], v[6:7] op_sel:[0,1]
	;; [unrolled: 1-line block ×108, first 2 shown]
	v_mov_b32_e32 v198, v197
	v_div_fixup_f64 v[200:201], v[200:201], v[180:181], 1.0
	ds_write_b64 v196, v[200:201]
.LBB89_224:
	s_or_b64 exec, exec, s[2:3]
	s_waitcnt lgkmcnt(0)
	s_barrier
	ds_read_b64 v[196:197], v196
	s_waitcnt lgkmcnt(0)
	s_barrier
	s_and_saveexec_b64 s[2:3], s[0:1]
	s_cbranch_execz .LBB89_227
; %bb.225:
	v_cmp_eq_f64_e32 vcc, 0, v[206:207]
	v_cmp_neq_f64_e64 s[0:1], 0, v[208:209]
	v_cndmask_b32_e64 v199, 0, 1, vcc
	s_or_b64 vcc, s[0:1], vcc
	v_cndmask_b32_e32 v199, 2, v199, vcc
	v_cmp_eq_f64_e32 vcc, 0, v[210:211]
	v_cmp_eq_u32_e64 s[0:1], 0, v199
	s_and_b64 s[0:1], vcc, s[0:1]
	v_cndmask_b32_e64 v199, v199, 3, s[0:1]
	v_cmp_eq_f64_e32 vcc, 0, v[212:213]
	v_cmp_eq_u32_e64 s[0:1], 0, v199
	s_and_b64 s[0:1], vcc, s[0:1]
	v_cndmask_b32_e64 v199, v199, 4, s[0:1]
	;; [unrolled: 4-line block ×21, first 2 shown]
	v_cmp_eq_f64_e32 vcc, 0, v[250:251]
	v_cmp_eq_u32_e64 s[0:1], 0, v199
	s_load_dwordx2 s[4:5], s[4:5], 0x28
	s_and_b64 s[0:1], vcc, s[0:1]
	v_cndmask_b32_e64 v199, v199, 24, s[0:1]
	v_cmp_eq_f64_e32 vcc, 0, v[252:253]
	v_cmp_eq_u32_e64 s[0:1], 0, v199
	s_and_b64 s[0:1], vcc, s[0:1]
	v_lshlrev_b64 v[2:3], 2, v[2:3]
	v_cndmask_b32_e64 v199, v199, 25, s[0:1]
	s_waitcnt lgkmcnt(0)
	v_mov_b32_e32 v200, s5
	v_add_co_u32_e64 v2, s[0:1], s4, v2
	v_addc_co_u32_e64 v3, s[0:1], v200, v3, s[0:1]
	global_load_dword v200, v[2:3], off
	buffer_load_dword v88, off, s[16:19], 0 offset:16 ; 4-byte Folded Reload
	buffer_load_dword v89, off, s[16:19], 0 offset:20 ; 4-byte Folded Reload
	v_cmp_eq_f64_e32 vcc, 0, v[254:255]
	v_cmp_eq_u32_e64 s[0:1], 0, v199
	s_and_b64 s[0:1], vcc, s[0:1]
	v_cndmask_b32_e64 v199, v199, 26, s[0:1]
	v_cmp_eq_f64_e32 vcc, 0, v[90:91]
	v_cmp_eq_u32_e64 s[0:1], 0, v199
	s_and_b64 s[0:1], vcc, s[0:1]
	v_cndmask_b32_e64 v199, v199, 27, s[0:1]
	v_cmp_eq_u32_e64 s[0:1], 0, v199
	s_waitcnt vmcnt(0)
	v_cmp_eq_f64_e32 vcc, 0, v[88:89]
	buffer_load_dword v88, off, s[16:19], 0 offset:24 ; 4-byte Folded Reload
	buffer_load_dword v89, off, s[16:19], 0 offset:28 ; 4-byte Folded Reload
	s_and_b64 s[0:1], vcc, s[0:1]
	v_cndmask_b32_e64 v199, v199, 28, s[0:1]
	v_cmp_eq_u32_e64 s[0:1], 0, v199
	s_waitcnt vmcnt(0)
	v_cmp_eq_f64_e32 vcc, 0, v[88:89]
	buffer_load_dword v88, off, s[16:19], 0 offset:32 ; 4-byte Folded Reload
	buffer_load_dword v89, off, s[16:19], 0 offset:36 ; 4-byte Folded Reload
	;; [unrolled: 7-line block ×9, first 2 shown]
	s_and_b64 s[0:1], vcc, s[0:1]
	v_cndmask_b32_e64 v199, v199, 36, s[0:1]
	v_cmp_eq_u32_e64 s[0:1], 0, v199
	s_waitcnt vmcnt(0)
	v_cmp_eq_f64_e32 vcc, 0, v[88:89]
	s_and_b64 s[0:1], vcc, s[0:1]
	v_cndmask_b32_e64 v199, v199, 37, s[0:1]
	v_cmp_eq_f64_e32 vcc, 0, v[182:183]
	v_cmp_eq_u32_e64 s[0:1], 0, v199
	s_and_b64 s[0:1], vcc, s[0:1]
	v_cndmask_b32_e64 v182, v199, 38, s[0:1]
	v_cmp_eq_f64_e32 vcc, 0, v[184:185]
	v_cmp_eq_u32_e64 s[0:1], 0, v182
	;; [unrolled: 4-line block ×8, first 2 shown]
	s_and_b64 s[0:1], vcc, s[0:1]
	v_cndmask_b32_e64 v182, v182, 45, s[0:1]
	v_cmp_eq_u32_e32 vcc, 0, v200
	v_cmp_ne_u32_e64 s[0:1], 0, v182
	s_and_b64 s[0:1], vcc, s[0:1]
	s_and_b64 exec, exec, s[0:1]
	s_cbranch_execz .LBB89_227
; %bb.226:
	v_add_u32_e32 v182, s9, v182
	global_store_dword v[2:3], v182, off
.LBB89_227:
	s_or_b64 exec, exec, s[2:3]
	buffer_load_dword v88, off, s[16:19], 0 offset:8 ; 4-byte Folded Reload
	buffer_load_dword v89, off, s[16:19], 0 offset:12 ; 4-byte Folded Reload
	v_mul_f64 v[2:3], v[196:197], v[180:181]
	v_cmp_lt_u32_e32 vcc, 44, v198
	v_cndmask_b32_e32 v3, v181, v3, vcc
	v_cndmask_b32_e32 v2, v180, v2, vcc
	s_waitcnt vmcnt(0)
	global_store_dwordx2 v[88:89], v[92:93], off
	global_store_dwordx2 v[86:87], v[136:137], off
	;; [unrolled: 1-line block ×16, first 2 shown]
	buffer_load_dword v0, off, s[16:19], 0  ; 4-byte Folded Reload
	s_nop 0
	buffer_load_dword v1, off, s[16:19], 0 offset:4 ; 4-byte Folded Reload
	s_waitcnt vmcnt(0)
	global_store_dwordx2 v[28:29], v[0:1], off
	global_store_dwordx2 v[30:31], v[120:121], off
	global_store_dwordx2 v[32:33], v[162:163], off
	global_store_dwordx2 v[34:35], v[118:119], off
	global_store_dwordx2 v[36:37], v[160:161], off
	global_store_dwordx2 v[38:39], v[116:117], off
	global_store_dwordx2 v[40:41], v[158:159], off
	global_store_dwordx2 v[42:43], v[114:115], off
	global_store_dwordx2 v[44:45], v[156:157], off
	global_store_dwordx2 v[46:47], v[112:113], off
	global_store_dwordx2 v[48:49], v[154:155], off
	global_store_dwordx2 v[50:51], v[110:111], off
	global_store_dwordx2 v[52:53], v[152:153], off
	global_store_dwordx2 v[54:55], v[108:109], off
	global_store_dwordx2 v[56:57], v[150:151], off
	global_store_dwordx2 v[58:59], v[106:107], off
	global_store_dwordx2 v[60:61], v[148:149], off
	global_store_dwordx2 v[62:63], v[164:165], off
	global_store_dwordx2 v[64:65], v[146:147], off
	global_store_dwordx2 v[66:67], v[102:103], off
	global_store_dwordx2 v[68:69], v[144:145], off
	global_store_dwordx2 v[70:71], v[100:101], off
	global_store_dwordx2 v[72:73], v[142:143], off
	global_store_dwordx2 v[74:75], v[98:99], off
	global_store_dwordx2 v[76:77], v[140:141], off
	global_store_dwordx2 v[78:79], v[96:97], off
	global_store_dwordx2 v[80:81], v[138:139], off
	global_store_dwordx2 v[82:83], v[94:95], off
	global_store_dwordx2 v[84:85], v[2:3], off
.LBB89_228:
	s_endpgm
	.section	.rodata,"a",@progbits
	.p2align	6, 0x0
	.amdhsa_kernel _ZN9rocsolver6v33100L23getf2_npvt_small_kernelILi45EdiiPKPdEEvT1_T3_lS5_lPT2_S5_S5_
		.amdhsa_group_segment_fixed_size 0
		.amdhsa_private_segment_fixed_size 112
		.amdhsa_kernarg_size 312
		.amdhsa_user_sgpr_count 6
		.amdhsa_user_sgpr_private_segment_buffer 1
		.amdhsa_user_sgpr_dispatch_ptr 0
		.amdhsa_user_sgpr_queue_ptr 0
		.amdhsa_user_sgpr_kernarg_segment_ptr 1
		.amdhsa_user_sgpr_dispatch_id 0
		.amdhsa_user_sgpr_flat_scratch_init 0
		.amdhsa_user_sgpr_kernarg_preload_length 0
		.amdhsa_user_sgpr_kernarg_preload_offset 0
		.amdhsa_user_sgpr_private_segment_size 0
		.amdhsa_uses_dynamic_stack 0
		.amdhsa_system_sgpr_private_segment_wavefront_offset 1
		.amdhsa_system_sgpr_workgroup_id_x 1
		.amdhsa_system_sgpr_workgroup_id_y 1
		.amdhsa_system_sgpr_workgroup_id_z 0
		.amdhsa_system_sgpr_workgroup_info 0
		.amdhsa_system_vgpr_workitem_id 1
		.amdhsa_next_free_vgpr 256
		.amdhsa_next_free_sgpr 20
		.amdhsa_accum_offset 256
		.amdhsa_reserve_vcc 1
		.amdhsa_reserve_flat_scratch 0
		.amdhsa_float_round_mode_32 0
		.amdhsa_float_round_mode_16_64 0
		.amdhsa_float_denorm_mode_32 3
		.amdhsa_float_denorm_mode_16_64 3
		.amdhsa_dx10_clamp 1
		.amdhsa_ieee_mode 1
		.amdhsa_fp16_overflow 0
		.amdhsa_tg_split 0
		.amdhsa_exception_fp_ieee_invalid_op 0
		.amdhsa_exception_fp_denorm_src 0
		.amdhsa_exception_fp_ieee_div_zero 0
		.amdhsa_exception_fp_ieee_overflow 0
		.amdhsa_exception_fp_ieee_underflow 0
		.amdhsa_exception_fp_ieee_inexact 0
		.amdhsa_exception_int_div_zero 0
	.end_amdhsa_kernel
	.section	.text._ZN9rocsolver6v33100L23getf2_npvt_small_kernelILi45EdiiPKPdEEvT1_T3_lS5_lPT2_S5_S5_,"axG",@progbits,_ZN9rocsolver6v33100L23getf2_npvt_small_kernelILi45EdiiPKPdEEvT1_T3_lS5_lPT2_S5_S5_,comdat
.Lfunc_end89:
	.size	_ZN9rocsolver6v33100L23getf2_npvt_small_kernelILi45EdiiPKPdEEvT1_T3_lS5_lPT2_S5_S5_, .Lfunc_end89-_ZN9rocsolver6v33100L23getf2_npvt_small_kernelILi45EdiiPKPdEEvT1_T3_lS5_lPT2_S5_S5_
                                        ; -- End function
	.section	.AMDGPU.csdata,"",@progbits
; Kernel info:
; codeLenInByte = 41148
; NumSgprs: 24
; NumVgprs: 256
; NumAgprs: 0
; TotalNumVgprs: 256
; ScratchSize: 112
; MemoryBound: 0
; FloatMode: 240
; IeeeMode: 1
; LDSByteSize: 0 bytes/workgroup (compile time only)
; SGPRBlocks: 2
; VGPRBlocks: 31
; NumSGPRsForWavesPerEU: 24
; NumVGPRsForWavesPerEU: 256
; AccumOffset: 256
; Occupancy: 2
; WaveLimiterHint : 1
; COMPUTE_PGM_RSRC2:SCRATCH_EN: 1
; COMPUTE_PGM_RSRC2:USER_SGPR: 6
; COMPUTE_PGM_RSRC2:TRAP_HANDLER: 0
; COMPUTE_PGM_RSRC2:TGID_X_EN: 1
; COMPUTE_PGM_RSRC2:TGID_Y_EN: 1
; COMPUTE_PGM_RSRC2:TGID_Z_EN: 0
; COMPUTE_PGM_RSRC2:TIDIG_COMP_CNT: 1
; COMPUTE_PGM_RSRC3_GFX90A:ACCUM_OFFSET: 63
; COMPUTE_PGM_RSRC3_GFX90A:TG_SPLIT: 0
	.section	.text._ZN9rocsolver6v33100L18getf2_small_kernelILi46EdiiPKPdEEvT1_T3_lS5_lPS5_llPT2_S5_S5_S7_l,"axG",@progbits,_ZN9rocsolver6v33100L18getf2_small_kernelILi46EdiiPKPdEEvT1_T3_lS5_lPS5_llPT2_S5_S5_S7_l,comdat
	.globl	_ZN9rocsolver6v33100L18getf2_small_kernelILi46EdiiPKPdEEvT1_T3_lS5_lPS5_llPT2_S5_S5_S7_l ; -- Begin function _ZN9rocsolver6v33100L18getf2_small_kernelILi46EdiiPKPdEEvT1_T3_lS5_lPS5_llPT2_S5_S5_S7_l
	.p2align	8
	.type	_ZN9rocsolver6v33100L18getf2_small_kernelILi46EdiiPKPdEEvT1_T3_lS5_lPS5_llPT2_S5_S5_S7_l,@function
_ZN9rocsolver6v33100L18getf2_small_kernelILi46EdiiPKPdEEvT1_T3_lS5_lPS5_llPT2_S5_S5_S7_l: ; @_ZN9rocsolver6v33100L18getf2_small_kernelILi46EdiiPKPdEEvT1_T3_lS5_lPS5_llPT2_S5_S5_S7_l
; %bb.0:
	s_load_dword s0, s[4:5], 0x6c
	s_load_dwordx2 s[12:13], s[4:5], 0x48
	v_bfe_u32 v96, v0, 10, 10
	s_waitcnt lgkmcnt(0)
	s_lshr_b32 s0, s0, 16
	s_mul_i32 s7, s7, s0
	v_add_u32_e32 v2, s7, v96
	v_cmp_gt_i32_e32 vcc, s12, v2
	s_and_saveexec_b64 s[0:1], vcc
	s_cbranch_execz .LBB90_779
; %bb.1:
	s_load_dwordx4 s[0:3], s[4:5], 0x8
	s_load_dwordx4 s[8:11], s[4:5], 0x50
	v_ashrrev_i32_e32 v3, 31, v2
	v_lshlrev_b64 v[4:5], 3, v[2:3]
	s_waitcnt lgkmcnt(0)
	v_mov_b32_e32 v1, s1
	v_add_co_u32_e32 v4, vcc, s0, v4
	v_addc_co_u32_e32 v5, vcc, v1, v5, vcc
	global_load_dwordx2 v[6:7], v[4:5], off
	s_cmp_eq_u64 s[8:9], 0
	s_cselect_b64 s[6:7], -1, 0
	s_and_b64 vcc, exec, s[6:7]
	v_pk_mov_b32 v[4:5], 0, 0
	s_cbranch_vccnz .LBB90_3
; %bb.2:
	v_mul_lo_u32 v1, v3, s10
	v_mul_lo_u32 v8, v2, s11
	v_mad_u64_u32 v[4:5], s[0:1], v2, s10, 0
	v_add3_u32 v5, v5, v8, v1
	v_lshlrev_b64 v[4:5], 2, v[4:5]
	v_mov_b32_e32 v1, s9
	v_add_co_u32_e32 v4, vcc, s8, v4
	v_addc_co_u32_e32 v5, vcc, v1, v5, vcc
.LBB90_3:
	s_load_dword s8, s[4:5], 0x18
	s_load_dword s18, s[4:5], 0x0
	s_lshl_b64 s[0:1], s[2:3], 3
	v_and_b32_e32 v104, 0x3ff, v0
	v_mov_b32_e32 v1, s1
	s_waitcnt lgkmcnt(0)
	s_add_i32 s12, s8, s8
	s_waitcnt vmcnt(0)
	v_add_co_u32_e32 v102, vcc, s0, v6
	v_add_u32_e32 v6, s12, v104
	v_addc_co_u32_e32 v103, vcc, v7, v1, vcc
	v_ashrrev_i32_e32 v7, 31, v6
	v_lshlrev_b64 v[0:1], 3, v[6:7]
	v_add_u32_e32 v6, s8, v6
	v_add_co_u32_e32 v0, vcc, v102, v0
	v_ashrrev_i32_e32 v7, 31, v6
	v_addc_co_u32_e32 v1, vcc, v103, v1, vcc
	v_lshlrev_b64 v[8:9], 3, v[6:7]
	v_add_u32_e32 v6, s8, v6
	v_add_co_u32_e32 v8, vcc, v102, v8
	v_ashrrev_i32_e32 v7, 31, v6
	v_addc_co_u32_e32 v9, vcc, v103, v9, vcc
	v_lshlrev_b64 v[10:11], 3, v[6:7]
	v_add_u32_e32 v6, s8, v6
	v_add_co_u32_e32 v10, vcc, v102, v10
	v_ashrrev_i32_e32 v7, 31, v6
	v_addc_co_u32_e32 v11, vcc, v103, v11, vcc
	v_lshlrev_b64 v[12:13], 3, v[6:7]
	v_add_u32_e32 v6, s8, v6
	v_add_co_u32_e32 v12, vcc, v102, v12
	v_ashrrev_i32_e32 v7, 31, v6
	v_addc_co_u32_e32 v13, vcc, v103, v13, vcc
	v_lshlrev_b64 v[14:15], 3, v[6:7]
	v_add_u32_e32 v6, s8, v6
	v_add_co_u32_e32 v14, vcc, v102, v14
	v_ashrrev_i32_e32 v7, 31, v6
	v_addc_co_u32_e32 v15, vcc, v103, v15, vcc
	v_lshlrev_b64 v[16:17], 3, v[6:7]
	v_add_u32_e32 v6, s8, v6
	v_add_co_u32_e32 v16, vcc, v102, v16
	v_ashrrev_i32_e32 v7, 31, v6
	v_addc_co_u32_e32 v17, vcc, v103, v17, vcc
	v_lshlrev_b64 v[18:19], 3, v[6:7]
	v_add_u32_e32 v6, s8, v6
	v_add_co_u32_e32 v18, vcc, v102, v18
	v_ashrrev_i32_e32 v7, 31, v6
	v_addc_co_u32_e32 v19, vcc, v103, v19, vcc
	v_lshlrev_b64 v[20:21], 3, v[6:7]
	v_add_u32_e32 v6, s8, v6
	v_add_co_u32_e32 v20, vcc, v102, v20
	v_ashrrev_i32_e32 v7, 31, v6
	v_addc_co_u32_e32 v21, vcc, v103, v21, vcc
	v_lshlrev_b64 v[22:23], 3, v[6:7]
	v_add_u32_e32 v6, s8, v6
	v_add_co_u32_e32 v22, vcc, v102, v22
	v_ashrrev_i32_e32 v7, 31, v6
	v_addc_co_u32_e32 v23, vcc, v103, v23, vcc
	v_lshlrev_b64 v[24:25], 3, v[6:7]
	v_add_u32_e32 v6, s8, v6
	v_add_co_u32_e32 v24, vcc, v102, v24
	v_ashrrev_i32_e32 v7, 31, v6
	v_addc_co_u32_e32 v25, vcc, v103, v25, vcc
	v_lshlrev_b64 v[26:27], 3, v[6:7]
	v_add_u32_e32 v6, s8, v6
	v_add_co_u32_e32 v26, vcc, v102, v26
	v_ashrrev_i32_e32 v7, 31, v6
	v_addc_co_u32_e32 v27, vcc, v103, v27, vcc
	v_lshlrev_b64 v[28:29], 3, v[6:7]
	v_add_u32_e32 v6, s8, v6
	v_add_co_u32_e32 v28, vcc, v102, v28
	v_ashrrev_i32_e32 v7, 31, v6
	v_addc_co_u32_e32 v29, vcc, v103, v29, vcc
	v_lshlrev_b64 v[30:31], 3, v[6:7]
	v_add_u32_e32 v6, s8, v6
	v_add_co_u32_e32 v30, vcc, v102, v30
	v_ashrrev_i32_e32 v7, 31, v6
	v_addc_co_u32_e32 v31, vcc, v103, v31, vcc
	v_lshlrev_b64 v[32:33], 3, v[6:7]
	v_add_u32_e32 v6, s8, v6
	v_add_co_u32_e32 v32, vcc, v102, v32
	v_ashrrev_i32_e32 v7, 31, v6
	v_addc_co_u32_e32 v33, vcc, v103, v33, vcc
	v_lshlrev_b64 v[34:35], 3, v[6:7]
	v_add_u32_e32 v6, s8, v6
	v_add_co_u32_e32 v34, vcc, v102, v34
	v_ashrrev_i32_e32 v7, 31, v6
	v_addc_co_u32_e32 v35, vcc, v103, v35, vcc
	v_lshlrev_b64 v[36:37], 3, v[6:7]
	v_add_u32_e32 v6, s8, v6
	v_add_co_u32_e32 v36, vcc, v102, v36
	v_ashrrev_i32_e32 v7, 31, v6
	v_addc_co_u32_e32 v37, vcc, v103, v37, vcc
	v_lshlrev_b64 v[38:39], 3, v[6:7]
	v_add_u32_e32 v6, s8, v6
	v_add_co_u32_e32 v38, vcc, v102, v38
	v_ashrrev_i32_e32 v7, 31, v6
	v_addc_co_u32_e32 v39, vcc, v103, v39, vcc
	v_lshlrev_b64 v[40:41], 3, v[6:7]
	v_add_u32_e32 v6, s8, v6
	v_add_co_u32_e32 v42, vcc, v102, v40
	v_ashrrev_i32_e32 v7, 31, v6
	v_addc_co_u32_e32 v43, vcc, v103, v41, vcc
	v_lshlrev_b64 v[40:41], 3, v[6:7]
	v_add_u32_e32 v6, s8, v6
	v_add_co_u32_e32 v94, vcc, v102, v40
	v_ashrrev_i32_e32 v7, 31, v6
	v_addc_co_u32_e32 v95, vcc, v103, v41, vcc
	v_lshlrev_b64 v[40:41], 3, v[6:7]
	v_add_u32_e32 v6, s8, v6
	v_add_co_u32_e32 v98, vcc, v102, v40
	v_ashrrev_i32_e32 v7, 31, v6
	v_addc_co_u32_e32 v99, vcc, v103, v41, vcc
	v_lshlrev_b64 v[40:41], 3, v[6:7]
	v_add_u32_e32 v6, s8, v6
	v_add_co_u32_e32 v100, vcc, v102, v40
	v_ashrrev_i32_e32 v7, 31, v6
	v_addc_co_u32_e32 v101, vcc, v103, v41, vcc
	v_lshlrev_b64 v[40:41], 3, v[6:7]
	v_add_u32_e32 v6, s8, v6
	v_add_co_u32_e32 v106, vcc, v102, v40
	v_ashrrev_i32_e32 v7, 31, v6
	v_addc_co_u32_e32 v107, vcc, v103, v41, vcc
	v_lshlrev_b64 v[40:41], 3, v[6:7]
	v_add_u32_e32 v6, s8, v6
	v_add_co_u32_e32 v108, vcc, v102, v40
	v_ashrrev_i32_e32 v7, 31, v6
	v_addc_co_u32_e32 v109, vcc, v103, v41, vcc
	v_lshlrev_b64 v[40:41], 3, v[6:7]
	v_add_u32_e32 v6, s8, v6
	v_add_co_u32_e32 v110, vcc, v102, v40
	v_ashrrev_i32_e32 v7, 31, v6
	v_addc_co_u32_e32 v111, vcc, v103, v41, vcc
	v_lshlrev_b64 v[40:41], 3, v[6:7]
	v_add_u32_e32 v6, s8, v6
	v_add_co_u32_e32 v112, vcc, v102, v40
	v_ashrrev_i32_e32 v7, 31, v6
	v_addc_co_u32_e32 v113, vcc, v103, v41, vcc
	v_lshlrev_b64 v[40:41], 3, v[6:7]
	v_add_u32_e32 v6, s8, v6
	v_add_co_u32_e32 v114, vcc, v102, v40
	v_ashrrev_i32_e32 v7, 31, v6
	v_addc_co_u32_e32 v115, vcc, v103, v41, vcc
	v_lshlrev_b64 v[40:41], 3, v[6:7]
	v_add_u32_e32 v6, s8, v6
	v_add_co_u32_e32 v116, vcc, v102, v40
	v_ashrrev_i32_e32 v7, 31, v6
	v_addc_co_u32_e32 v117, vcc, v103, v41, vcc
	v_lshlrev_b64 v[40:41], 3, v[6:7]
	v_add_u32_e32 v6, s8, v6
	v_add_co_u32_e32 v118, vcc, v102, v40
	v_ashrrev_i32_e32 v7, 31, v6
	v_addc_co_u32_e32 v119, vcc, v103, v41, vcc
	v_lshlrev_b64 v[40:41], 3, v[6:7]
	v_add_u32_e32 v6, s8, v6
	v_add_co_u32_e32 v120, vcc, v102, v40
	v_ashrrev_i32_e32 v7, 31, v6
	v_addc_co_u32_e32 v121, vcc, v103, v41, vcc
	v_lshlrev_b64 v[40:41], 3, v[6:7]
	v_add_u32_e32 v6, s8, v6
	v_add_co_u32_e32 v122, vcc, v102, v40
	v_ashrrev_i32_e32 v7, 31, v6
	v_addc_co_u32_e32 v123, vcc, v103, v41, vcc
	v_lshlrev_b64 v[40:41], 3, v[6:7]
	v_add_u32_e32 v6, s8, v6
	v_add_co_u32_e32 v124, vcc, v102, v40
	v_ashrrev_i32_e32 v7, 31, v6
	v_addc_co_u32_e32 v125, vcc, v103, v41, vcc
	v_lshlrev_b64 v[40:41], 3, v[6:7]
	v_add_u32_e32 v6, s8, v6
	v_add_co_u32_e32 v126, vcc, v102, v40
	v_ashrrev_i32_e32 v7, 31, v6
	v_addc_co_u32_e32 v127, vcc, v103, v41, vcc
	v_lshlrev_b64 v[40:41], 3, v[6:7]
	v_add_u32_e32 v6, s8, v6
	v_add_co_u32_e32 v128, vcc, v102, v40
	v_ashrrev_i32_e32 v7, 31, v6
	v_addc_co_u32_e32 v129, vcc, v103, v41, vcc
	v_lshlrev_b64 v[40:41], 3, v[6:7]
	v_add_u32_e32 v6, s8, v6
	v_add_co_u32_e32 v130, vcc, v102, v40
	v_ashrrev_i32_e32 v7, 31, v6
	v_addc_co_u32_e32 v131, vcc, v103, v41, vcc
	v_lshlrev_b64 v[40:41], 3, v[6:7]
	v_add_u32_e32 v6, s8, v6
	v_add_co_u32_e32 v132, vcc, v102, v40
	v_ashrrev_i32_e32 v7, 31, v6
	v_addc_co_u32_e32 v133, vcc, v103, v41, vcc
	v_lshlrev_b64 v[40:41], 3, v[6:7]
	v_add_u32_e32 v6, s8, v6
	v_add_co_u32_e32 v134, vcc, v102, v40
	v_ashrrev_i32_e32 v7, 31, v6
	v_addc_co_u32_e32 v135, vcc, v103, v41, vcc
	v_lshlrev_b64 v[40:41], 3, v[6:7]
	v_add_u32_e32 v6, s8, v6
	v_add_co_u32_e32 v136, vcc, v102, v40
	v_ashrrev_i32_e32 v7, 31, v6
	v_addc_co_u32_e32 v137, vcc, v103, v41, vcc
	v_lshlrev_b64 v[40:41], 3, v[6:7]
	v_add_u32_e32 v6, s8, v6
	v_add_co_u32_e32 v138, vcc, v102, v40
	v_ashrrev_i32_e32 v7, 31, v6
	v_addc_co_u32_e32 v139, vcc, v103, v41, vcc
	v_lshlrev_b64 v[40:41], 3, v[6:7]
	v_add_u32_e32 v6, s8, v6
	v_add_co_u32_e32 v140, vcc, v102, v40
	v_ashrrev_i32_e32 v7, 31, v6
	v_addc_co_u32_e32 v141, vcc, v103, v41, vcc
	v_lshlrev_b64 v[40:41], 3, v[6:7]
	v_add_u32_e32 v6, s8, v6
	v_add_co_u32_e32 v142, vcc, v102, v40
	v_ashrrev_i32_e32 v7, 31, v6
	v_addc_co_u32_e32 v143, vcc, v103, v41, vcc
	v_lshlrev_b64 v[40:41], 3, v[6:7]
	v_add_u32_e32 v6, s8, v6
	v_add_co_u32_e32 v144, vcc, v102, v40
	v_ashrrev_i32_e32 v7, 31, v6
	v_addc_co_u32_e32 v145, vcc, v103, v41, vcc
	v_lshlrev_b64 v[40:41], 3, v[6:7]
	v_add_u32_e32 v6, s8, v6
	v_add_co_u32_e32 v146, vcc, v102, v40
	v_ashrrev_i32_e32 v7, 31, v6
	v_addc_co_u32_e32 v147, vcc, v103, v41, vcc
	v_lshlrev_b64 v[40:41], 3, v[6:7]
	v_add_u32_e32 v6, s8, v6
	v_add_co_u32_e32 v148, vcc, v102, v40
	v_ashrrev_i32_e32 v7, 31, v6
	v_addc_co_u32_e32 v149, vcc, v103, v41, vcc
	v_lshlrev_b64 v[6:7], 3, v[6:7]
	v_add_co_u32_e32 v150, vcc, v102, v6
	v_addc_co_u32_e32 v151, vcc, v103, v7, vcc
	v_lshlrev_b32_e32 v97, 3, v104
	v_add_co_u32_e32 v6, vcc, v102, v97
	s_ashr_i32 s9, s8, 31
	v_addc_co_u32_e32 v7, vcc, 0, v103, vcc
	s_lshl_b64 s[10:11], s[8:9], 3
	v_mov_b32_e32 v41, s11
	v_add_co_u32_e32 v40, vcc, s10, v6
	v_addc_co_u32_e32 v41, vcc, v7, v41, vcc
	s_max_i32 s0, s18, 46
	global_load_dwordx2 v[90:91], v[6:7], off
	global_load_dwordx2 v[92:93], v[40:41], off
	;; [unrolled: 1-line block ×13, first 2 shown]
                                        ; kill: killed $vgpr40 killed $vgpr41
                                        ; kill: killed $vgpr10 killed $vgpr11
                                        ; kill: killed $vgpr14 killed $vgpr15
                                        ; kill: killed $vgpr18 killed $vgpr19
                                        ; kill: killed $vgpr22 killed $vgpr23
                                        ; kill: killed $vgpr26 killed $vgpr27
                                        ; kill: killed $vgpr8 killed $vgpr9
                                        ; kill: killed $vgpr12 killed $vgpr13
                                        ; kill: killed $vgpr16 killed $vgpr17
                                        ; kill: killed $vgpr20 killed $vgpr21
                                        ; kill: killed $vgpr24 killed $vgpr25
                                        ; kill: killed $vgpr6 killed $vgpr7
                                        ; kill: killed $vgpr0 killed $vgpr1
	global_load_dwordx2 v[68:69], v[28:29], off
	global_load_dwordx2 v[64:65], v[30:31], off
	;; [unrolled: 1-line block ×13, first 2 shown]
                                        ; kill: killed $vgpr98 killed $vgpr99
                                        ; kill: killed $vgpr106 killed $vgpr107
                                        ; kill: killed $vgpr110 killed $vgpr111
                                        ; kill: killed $vgpr30 killed $vgpr31
                                        ; kill: killed $vgpr34 killed $vgpr35
                                        ; kill: killed $vgpr38 killed $vgpr39
                                        ; kill: killed $vgpr94 killed $vgpr95
                                        ; kill: killed $vgpr100 killed $vgpr101
                                        ; kill: killed $vgpr108 killed $vgpr109
                                        ; kill: killed $vgpr28 killed $vgpr29
                                        ; kill: killed $vgpr32 killed $vgpr33
                                        ; kill: killed $vgpr36 killed $vgpr37
                                        ; kill: killed $vgpr42 killed $vgpr43
	global_load_dwordx2 v[42:43], v[112:113], off
	global_load_dwordx2 v[38:39], v[114:115], off
	;; [unrolled: 1-line block ×13, first 2 shown]
                                        ; kill: killed $vgpr132 killed $vgpr133
                                        ; kill: killed $vgpr136 killed $vgpr137
                                        ; kill: killed $vgpr114 killed $vgpr115
                                        ; kill: killed $vgpr118 killed $vgpr119
                                        ; kill: killed $vgpr122 killed $vgpr123
                                        ; kill: killed $vgpr126 killed $vgpr127
                                        ; kill: killed $vgpr130 killed $vgpr131
                                        ; kill: killed $vgpr134 killed $vgpr135
                                        ; kill: killed $vgpr112 killed $vgpr113
                                        ; kill: killed $vgpr116 killed $vgpr117
                                        ; kill: killed $vgpr120 killed $vgpr121
                                        ; kill: killed $vgpr124 killed $vgpr125
                                        ; kill: killed $vgpr128 killed $vgpr129
	global_load_dwordx2 v[16:17], v[138:139], off
	global_load_dwordx2 v[12:13], v[140:141], off
	;; [unrolled: 1-line block ×7, first 2 shown]
	v_mul_lo_u32 v98, s0, v96
	v_lshl_add_u32 v100, v98, 3, 0
	v_add_u32_e32 v96, v100, v97
	s_waitcnt vmcnt(45)
	ds_write_b64 v96, v[90:91]
	s_waitcnt lgkmcnt(0)
	s_barrier
	ds_read_b64 v[96:97], v100
	s_cmp_lt_i32 s18, 2
	v_lshlrev_b32_e32 v105, 3, v98
	v_mov_b32_e32 v98, 0
	s_cbranch_scc1 .LBB90_6
; %bb.4:
	v_add3_u32 v99, v105, 0, 8
	s_mov_b32 s0, 1
	v_mov_b32_e32 v98, 0
.LBB90_5:                               ; =>This Inner Loop Header: Depth=1
	ds_read_b64 v[106:107], v99
	v_mov_b32_e32 v101, s0
	s_add_i32 s0, s0, 1
	v_add_u32_e32 v99, 8, v99
	s_cmp_eq_u32 s18, s0
	s_waitcnt lgkmcnt(0)
	v_cmp_lt_f64_e64 vcc, |v[96:97]|, |v[106:107]|
	v_cndmask_b32_e32 v97, v97, v107, vcc
	v_cndmask_b32_e32 v96, v96, v106, vcc
	;; [unrolled: 1-line block ×3, first 2 shown]
	s_cbranch_scc0 .LBB90_5
.LBB90_6:
	v_cmp_ne_u32_e32 vcc, v104, v98
                                        ; implicit-def: $vgpr101
	s_and_saveexec_b64 s[0:1], vcc
	s_xor_b64 s[0:1], exec, s[0:1]
	s_cbranch_execz .LBB90_12
; %bb.7:
	v_cmp_eq_u32_e32 vcc, 0, v104
	s_and_saveexec_b64 s[2:3], vcc
	s_cbranch_execz .LBB90_11
; %bb.8:
	v_cmp_ne_u32_e32 vcc, 0, v98
	s_xor_b64 s[14:15], s[6:7], -1
	s_and_b64 s[16:17], s[14:15], vcc
	s_and_saveexec_b64 s[14:15], s[16:17]
	s_cbranch_execz .LBB90_10
; %bb.9:
	v_ashrrev_i32_e32 v99, 31, v98
	v_lshlrev_b64 v[106:107], 2, v[98:99]
	v_add_co_u32_e32 v106, vcc, v4, v106
	v_addc_co_u32_e32 v107, vcc, v5, v107, vcc
	flat_load_dword v99, v[106:107]
	flat_load_dword v101, v[4:5]
	s_waitcnt vmcnt(0) lgkmcnt(0)
	flat_store_dword v[4:5], v99
	flat_store_dword v[106:107], v101
.LBB90_10:
	s_or_b64 exec, exec, s[14:15]
	v_mov_b32_e32 v104, v98
.LBB90_11:
	s_or_b64 exec, exec, s[2:3]
	v_mov_b32_e32 v101, v104
                                        ; implicit-def: $vgpr104
.LBB90_12:
	s_or_saveexec_b64 s[0:1], s[0:1]
	v_mov_b32_e32 v99, v101
	s_xor_b64 exec, exec, s[0:1]
	s_cbranch_execz .LBB90_14
; %bb.13:
	v_mov_b32_e32 v101, 0
	v_mov_b32_e32 v99, v104
	s_waitcnt vmcnt(0)
	ds_write2_b64 v100, v[92:93], v[88:89] offset0:1 offset1:2
	ds_write2_b64 v100, v[86:87], v[84:85] offset0:3 offset1:4
	ds_write2_b64 v100, v[82:83], v[80:81] offset0:5 offset1:6
	ds_write2_b64 v100, v[78:79], v[76:77] offset0:7 offset1:8
	ds_write2_b64 v100, v[74:75], v[72:73] offset0:9 offset1:10
	ds_write2_b64 v100, v[70:71], v[66:67] offset0:11 offset1:12
	ds_write2_b64 v100, v[68:69], v[64:65] offset0:13 offset1:14
	ds_write2_b64 v100, v[62:63], v[60:61] offset0:15 offset1:16
	ds_write2_b64 v100, v[58:59], v[56:57] offset0:17 offset1:18
	ds_write2_b64 v100, v[54:55], v[52:53] offset0:19 offset1:20
	ds_write2_b64 v100, v[50:51], v[48:49] offset0:21 offset1:22
	ds_write2_b64 v100, v[46:47], v[44:45] offset0:23 offset1:24
	ds_write2_b64 v100, v[40:41], v[42:43] offset0:25 offset1:26
	ds_write2_b64 v100, v[38:39], v[36:37] offset0:27 offset1:28
	ds_write2_b64 v100, v[34:35], v[32:33] offset0:29 offset1:30
	ds_write2_b64 v100, v[30:31], v[28:29] offset0:31 offset1:32
	ds_write2_b64 v100, v[26:27], v[24:25] offset0:33 offset1:34
	ds_write2_b64 v100, v[22:23], v[20:21] offset0:35 offset1:36
	ds_write2_b64 v100, v[18:19], v[14:15] offset0:37 offset1:38
	ds_write2_b64 v100, v[16:17], v[12:13] offset0:39 offset1:40
	ds_write2_b64 v100, v[10:11], v[8:9] offset0:41 offset1:42
	ds_write2_b64 v100, v[6:7], v[0:1] offset0:43 offset1:44
	ds_write_b64 v100, v[94:95] offset:360
.LBB90_14:
	s_or_b64 exec, exec, s[0:1]
	s_waitcnt lgkmcnt(0)
	v_cmp_eq_f64_e64 s[0:1], 0, v[96:97]
	v_cmp_lt_i32_e32 vcc, 0, v101
	s_barrier
	s_and_saveexec_b64 s[2:3], vcc
	s_cbranch_execz .LBB90_16
; %bb.15:
	v_div_scale_f64 v[106:107], s[14:15], v[96:97], v[96:97], 1.0
	v_rcp_f64_e32 v[108:109], v[106:107]
	v_div_scale_f64 v[110:111], vcc, 1.0, v[96:97], 1.0
	ds_read2_b64 v[114:117], v100 offset0:5 offset1:6
	v_fma_f64 v[112:113], -v[106:107], v[108:109], 1.0
	v_fmac_f64_e32 v[108:109], v[108:109], v[112:113]
	v_fma_f64 v[112:113], -v[106:107], v[108:109], 1.0
	v_fmac_f64_e32 v[108:109], v[108:109], v[112:113]
	v_mul_f64 v[112:113], v[110:111], v[108:109]
	v_fma_f64 v[106:107], -v[106:107], v[112:113], v[110:111]
	v_div_fmas_f64 v[106:107], v[106:107], v[108:109], v[112:113]
	v_div_fixup_f64 v[110:111], v[106:107], v[96:97], 1.0
	ds_read2_b64 v[106:109], v100 offset0:1 offset1:2
	v_cndmask_b32_e64 v97, v111, v97, s[0:1]
	v_cndmask_b32_e64 v96, v110, v96, s[0:1]
	ds_read2_b64 v[110:113], v100 offset0:3 offset1:4
	v_mul_f64 v[90:91], v[96:97], v[90:91]
	s_waitcnt vmcnt(0) lgkmcnt(0)
	v_fma_f64 v[92:93], -v[90:91], v[106:107], v[92:93]
	v_fma_f64 v[88:89], -v[90:91], v[108:109], v[88:89]
	ds_read2_b64 v[106:109], v100 offset0:7 offset1:8
	v_fma_f64 v[86:87], -v[90:91], v[110:111], v[86:87]
	v_fma_f64 v[84:85], -v[90:91], v[112:113], v[84:85]
	;; [unrolled: 1-line block ×3, first 2 shown]
	ds_read2_b64 v[110:113], v100 offset0:9 offset1:10
	v_fma_f64 v[80:81], -v[90:91], v[116:117], v[80:81]
	ds_read2_b64 v[114:117], v100 offset0:11 offset1:12
	s_waitcnt lgkmcnt(2)
	v_fma_f64 v[78:79], -v[90:91], v[106:107], v[78:79]
	v_fma_f64 v[76:77], -v[90:91], v[108:109], v[76:77]
	ds_read2_b64 v[106:109], v100 offset0:13 offset1:14
	s_waitcnt lgkmcnt(2)
	v_fma_f64 v[74:75], -v[90:91], v[110:111], v[74:75]
	;; [unrolled: 4-line block ×3, first 2 shown]
	v_fma_f64 v[66:67], -v[90:91], v[116:117], v[66:67]
	s_waitcnt lgkmcnt(1)
	v_fma_f64 v[68:69], -v[90:91], v[106:107], v[68:69]
	ds_read2_b64 v[114:117], v100 offset0:17 offset1:18
	v_fma_f64 v[64:65], -v[90:91], v[108:109], v[64:65]
	ds_read2_b64 v[106:109], v100 offset0:19 offset1:20
	s_waitcnt lgkmcnt(2)
	v_fma_f64 v[62:63], -v[90:91], v[110:111], v[62:63]
	v_fma_f64 v[60:61], -v[90:91], v[112:113], v[60:61]
	s_waitcnt lgkmcnt(1)
	v_fma_f64 v[58:59], -v[90:91], v[114:115], v[58:59]
	ds_read2_b64 v[110:113], v100 offset0:21 offset1:22
	v_fma_f64 v[56:57], -v[90:91], v[116:117], v[56:57]
	ds_read2_b64 v[114:117], v100 offset0:23 offset1:24
	s_waitcnt lgkmcnt(2)
	v_fma_f64 v[54:55], -v[90:91], v[106:107], v[54:55]
	v_fma_f64 v[52:53], -v[90:91], v[108:109], v[52:53]
	ds_read2_b64 v[106:109], v100 offset0:25 offset1:26
	s_waitcnt lgkmcnt(2)
	v_fma_f64 v[50:51], -v[90:91], v[110:111], v[50:51]
	;; [unrolled: 4-line block ×3, first 2 shown]
	v_fma_f64 v[44:45], -v[90:91], v[116:117], v[44:45]
	s_waitcnt lgkmcnt(1)
	v_fma_f64 v[40:41], -v[90:91], v[106:107], v[40:41]
	ds_read2_b64 v[114:117], v100 offset0:29 offset1:30
	v_fma_f64 v[42:43], -v[90:91], v[108:109], v[42:43]
	ds_read2_b64 v[106:109], v100 offset0:31 offset1:32
	s_waitcnt lgkmcnt(2)
	v_fma_f64 v[38:39], -v[90:91], v[110:111], v[38:39]
	v_fma_f64 v[36:37], -v[90:91], v[112:113], v[36:37]
	s_waitcnt lgkmcnt(1)
	v_fma_f64 v[34:35], -v[90:91], v[114:115], v[34:35]
	ds_read2_b64 v[110:113], v100 offset0:33 offset1:34
	v_fma_f64 v[32:33], -v[90:91], v[116:117], v[32:33]
	ds_read2_b64 v[114:117], v100 offset0:35 offset1:36
	s_waitcnt lgkmcnt(2)
	v_fma_f64 v[30:31], -v[90:91], v[106:107], v[30:31]
	v_fma_f64 v[28:29], -v[90:91], v[108:109], v[28:29]
	ds_read2_b64 v[106:109], v100 offset0:37 offset1:38
	s_waitcnt lgkmcnt(2)
	v_fma_f64 v[26:27], -v[90:91], v[110:111], v[26:27]
	;; [unrolled: 4-line block ×3, first 2 shown]
	v_fma_f64 v[20:21], -v[90:91], v[116:117], v[20:21]
	s_waitcnt lgkmcnt(1)
	v_fma_f64 v[18:19], -v[90:91], v[106:107], v[18:19]
	v_fma_f64 v[14:15], -v[90:91], v[108:109], v[14:15]
	ds_read2_b64 v[106:109], v100 offset0:41 offset1:42
	ds_read2_b64 v[114:117], v100 offset0:43 offset1:44
	ds_read_b64 v[96:97], v100 offset:360
	s_waitcnt lgkmcnt(3)
	v_fma_f64 v[16:17], -v[90:91], v[110:111], v[16:17]
	v_fma_f64 v[12:13], -v[90:91], v[112:113], v[12:13]
	s_waitcnt lgkmcnt(2)
	v_fma_f64 v[10:11], -v[90:91], v[106:107], v[10:11]
	v_fma_f64 v[8:9], -v[90:91], v[108:109], v[8:9]
	;; [unrolled: 3-line block ×3, first 2 shown]
	s_waitcnt lgkmcnt(0)
	v_fma_f64 v[94:95], -v[90:91], v[96:97], v[94:95]
.LBB90_16:
	s_or_b64 exec, exec, s[2:3]
	v_lshl_add_u32 v96, v101, 3, v100
	s_barrier
	s_waitcnt vmcnt(0)
	ds_write_b64 v96, v[92:93]
	s_waitcnt lgkmcnt(0)
	s_barrier
	ds_read_b64 v[96:97], v100 offset:8
	s_cmp_lt_i32 s18, 3
	v_mov_b32_e32 v98, 1
	s_cbranch_scc1 .LBB90_19
; %bb.17:
	v_add3_u32 v104, v105, 0, 16
	s_mov_b32 s2, 2
	v_mov_b32_e32 v98, 1
.LBB90_18:                              ; =>This Inner Loop Header: Depth=1
	ds_read_b64 v[106:107], v104
	v_mov_b32_e32 v108, s2
	s_add_i32 s2, s2, 1
	v_add_u32_e32 v104, 8, v104
	s_cmp_lg_u32 s18, s2
	s_waitcnt lgkmcnt(0)
	v_cmp_lt_f64_e64 vcc, |v[96:97]|, |v[106:107]|
	v_cndmask_b32_e32 v97, v97, v107, vcc
	v_cndmask_b32_e32 v96, v96, v106, vcc
	;; [unrolled: 1-line block ×3, first 2 shown]
	s_cbranch_scc1 .LBB90_18
.LBB90_19:
	v_cmp_ne_u32_e32 vcc, v101, v98
	s_and_saveexec_b64 s[2:3], vcc
	s_xor_b64 s[2:3], exec, s[2:3]
	s_cbranch_execz .LBB90_25
; %bb.20:
	v_cmp_eq_u32_e32 vcc, 1, v101
	s_and_saveexec_b64 s[14:15], vcc
	s_cbranch_execz .LBB90_24
; %bb.21:
	v_cmp_ne_u32_e32 vcc, 1, v98
	s_xor_b64 s[16:17], s[6:7], -1
	s_and_b64 s[20:21], s[16:17], vcc
	s_and_saveexec_b64 s[16:17], s[20:21]
	s_cbranch_execz .LBB90_23
; %bb.22:
	v_ashrrev_i32_e32 v99, 31, v98
	v_lshlrev_b64 v[106:107], 2, v[98:99]
	v_add_co_u32_e32 v106, vcc, v4, v106
	v_addc_co_u32_e32 v107, vcc, v5, v107, vcc
	flat_load_dword v99, v[106:107]
	flat_load_dword v101, v[4:5] offset:4
	s_waitcnt vmcnt(0) lgkmcnt(0)
	flat_store_dword v[4:5], v99 offset:4
	flat_store_dword v[106:107], v101
.LBB90_23:
	s_or_b64 exec, exec, s[16:17]
	v_mov_b32_e32 v99, v98
	v_mov_b32_e32 v101, v98
.LBB90_24:
	s_or_b64 exec, exec, s[14:15]
.LBB90_25:
	s_andn2_saveexec_b64 s[2:3], s[2:3]
	s_cbranch_execz .LBB90_27
; %bb.26:
	v_mov_b32_e32 v106, v88
	v_mov_b32_e32 v107, v89
	v_mov_b32_e32 v108, v86
	v_mov_b32_e32 v109, v87
	ds_write2_b64 v100, v[106:107], v[108:109] offset0:2 offset1:3
	v_mov_b32_e32 v106, v84
	v_mov_b32_e32 v107, v85
	v_mov_b32_e32 v108, v82
	v_mov_b32_e32 v109, v83
	ds_write2_b64 v100, v[106:107], v[108:109] offset0:4 offset1:5
	;; [unrolled: 5-line block ×21, first 2 shown]
	v_mov_b32_e32 v106, v0
	v_mov_b32_e32 v107, v1
	;; [unrolled: 1-line block ×3, first 2 shown]
	ds_write2_b64 v100, v[106:107], v[94:95] offset0:44 offset1:45
.LBB90_27:
	s_or_b64 exec, exec, s[2:3]
	s_waitcnt lgkmcnt(0)
	v_cmp_neq_f64_e64 s[2:3], 0, v[96:97]
	v_cmp_lt_i32_e32 vcc, 1, v101
	s_barrier
	s_and_saveexec_b64 s[14:15], vcc
	s_cbranch_execz .LBB90_29
; %bb.28:
	v_div_scale_f64 v[106:107], s[16:17], v[96:97], v[96:97], 1.0
	v_rcp_f64_e32 v[108:109], v[106:107]
	v_div_scale_f64 v[110:111], vcc, 1.0, v[96:97], 1.0
	ds_read2_b64 v[114:117], v100 offset0:6 offset1:7
	v_fma_f64 v[112:113], -v[106:107], v[108:109], 1.0
	v_fmac_f64_e32 v[108:109], v[108:109], v[112:113]
	v_fma_f64 v[112:113], -v[106:107], v[108:109], 1.0
	v_fmac_f64_e32 v[108:109], v[108:109], v[112:113]
	v_mul_f64 v[112:113], v[110:111], v[108:109]
	v_fma_f64 v[106:107], -v[106:107], v[112:113], v[110:111]
	v_div_fmas_f64 v[106:107], v[106:107], v[108:109], v[112:113]
	v_div_fixup_f64 v[110:111], v[106:107], v[96:97], 1.0
	ds_read2_b64 v[106:109], v100 offset0:2 offset1:3
	v_cndmask_b32_e64 v97, v97, v111, s[2:3]
	v_cndmask_b32_e64 v96, v96, v110, s[2:3]
	ds_read2_b64 v[110:113], v100 offset0:4 offset1:5
	v_mul_f64 v[92:93], v[96:97], v[92:93]
	s_waitcnt lgkmcnt(0)
	v_fma_f64 v[88:89], -v[92:93], v[106:107], v[88:89]
	v_fma_f64 v[86:87], -v[92:93], v[108:109], v[86:87]
	ds_read2_b64 v[106:109], v100 offset0:8 offset1:9
	v_fma_f64 v[84:85], -v[92:93], v[110:111], v[84:85]
	v_fma_f64 v[82:83], -v[92:93], v[112:113], v[82:83]
	;; [unrolled: 1-line block ×3, first 2 shown]
	ds_read2_b64 v[110:113], v100 offset0:10 offset1:11
	v_fma_f64 v[78:79], -v[92:93], v[116:117], v[78:79]
	ds_read2_b64 v[114:117], v100 offset0:12 offset1:13
	s_waitcnt lgkmcnt(0)
	v_fma_f64 v[76:77], -v[92:93], v[106:107], v[76:77]
	v_fma_f64 v[74:75], -v[92:93], v[108:109], v[74:75]
	ds_read2_b64 v[106:109], v100 offset0:14 offset1:15
	v_fma_f64 v[72:73], -v[92:93], v[110:111], v[72:73]
	v_fma_f64 v[70:71], -v[92:93], v[112:113], v[70:71]
	ds_read2_b64 v[110:113], v100 offset0:16 offset1:17
	v_fma_f64 v[66:67], -v[92:93], v[114:115], v[66:67]
	v_fma_f64 v[68:69], -v[92:93], v[116:117], v[68:69]
	s_waitcnt lgkmcnt(0)
	v_fma_f64 v[64:65], -v[92:93], v[106:107], v[64:65]
	ds_read2_b64 v[114:117], v100 offset0:18 offset1:19
	v_fma_f64 v[62:63], -v[92:93], v[108:109], v[62:63]
	ds_read2_b64 v[106:109], v100 offset0:20 offset1:21
	v_fma_f64 v[60:61], -v[92:93], v[110:111], v[60:61]
	v_fma_f64 v[58:59], -v[92:93], v[112:113], v[58:59]
	s_waitcnt lgkmcnt(0)
	v_fma_f64 v[56:57], -v[92:93], v[114:115], v[56:57]
	ds_read2_b64 v[110:113], v100 offset0:22 offset1:23
	v_fma_f64 v[54:55], -v[92:93], v[116:117], v[54:55]
	ds_read2_b64 v[114:117], v100 offset0:24 offset1:25
	v_fma_f64 v[52:53], -v[92:93], v[106:107], v[52:53]
	v_fma_f64 v[50:51], -v[92:93], v[108:109], v[50:51]
	ds_read2_b64 v[106:109], v100 offset0:26 offset1:27
	s_waitcnt lgkmcnt(0)
	v_fma_f64 v[48:49], -v[92:93], v[110:111], v[48:49]
	v_fma_f64 v[46:47], -v[92:93], v[112:113], v[46:47]
	ds_read2_b64 v[110:113], v100 offset0:28 offset1:29
	v_fma_f64 v[44:45], -v[92:93], v[114:115], v[44:45]
	v_fma_f64 v[40:41], -v[92:93], v[116:117], v[40:41]
	;; [unrolled: 1-line block ×3, first 2 shown]
	ds_read2_b64 v[114:117], v100 offset0:30 offset1:31
	v_fma_f64 v[38:39], -v[92:93], v[108:109], v[38:39]
	ds_read2_b64 v[106:109], v100 offset0:32 offset1:33
	s_waitcnt lgkmcnt(0)
	v_fma_f64 v[36:37], -v[92:93], v[110:111], v[36:37]
	v_fma_f64 v[34:35], -v[92:93], v[112:113], v[34:35]
	;; [unrolled: 1-line block ×3, first 2 shown]
	ds_read2_b64 v[110:113], v100 offset0:34 offset1:35
	v_fma_f64 v[30:31], -v[92:93], v[116:117], v[30:31]
	ds_read2_b64 v[114:117], v100 offset0:36 offset1:37
	v_fma_f64 v[28:29], -v[92:93], v[106:107], v[28:29]
	v_fma_f64 v[26:27], -v[92:93], v[108:109], v[26:27]
	ds_read2_b64 v[106:109], v100 offset0:38 offset1:39
	s_waitcnt lgkmcnt(0)
	v_fma_f64 v[24:25], -v[92:93], v[110:111], v[24:25]
	v_fma_f64 v[22:23], -v[92:93], v[112:113], v[22:23]
	ds_read2_b64 v[110:113], v100 offset0:40 offset1:41
	v_fma_f64 v[20:21], -v[92:93], v[114:115], v[20:21]
	v_fma_f64 v[18:19], -v[92:93], v[116:117], v[18:19]
	;; [unrolled: 1-line block ×3, first 2 shown]
	ds_read2_b64 v[114:117], v100 offset0:42 offset1:43
	v_fma_f64 v[16:17], -v[92:93], v[108:109], v[16:17]
	ds_read2_b64 v[106:109], v100 offset0:44 offset1:45
	s_waitcnt lgkmcnt(0)
	v_fma_f64 v[12:13], -v[92:93], v[110:111], v[12:13]
	v_fma_f64 v[10:11], -v[92:93], v[112:113], v[10:11]
	;; [unrolled: 1-line block ×6, first 2 shown]
.LBB90_29:
	s_or_b64 exec, exec, s[14:15]
	v_lshl_add_u32 v96, v101, 3, v100
	s_barrier
	ds_write_b64 v96, v[88:89]
	s_waitcnt lgkmcnt(0)
	s_barrier
	ds_read_b64 v[96:97], v100 offset:16
	s_mov_b32 s9, 3
	s_cmp_lt_i32 s18, 4
	v_mov_b32_e32 v98, 2
	s_cbranch_scc1 .LBB90_32
; %bb.30:
	v_add3_u32 v104, v105, 0, 24
	v_mov_b32_e32 v98, 2
.LBB90_31:                              ; =>This Inner Loop Header: Depth=1
	ds_read_b64 v[106:107], v104
	v_mov_b32_e32 v108, s9
	s_add_i32 s9, s9, 1
	v_add_u32_e32 v104, 8, v104
	s_cmp_lg_u32 s18, s9
	s_waitcnt lgkmcnt(0)
	v_cmp_lt_f64_e64 vcc, |v[96:97]|, |v[106:107]|
	v_cndmask_b32_e32 v97, v97, v107, vcc
	v_cndmask_b32_e32 v96, v96, v106, vcc
	;; [unrolled: 1-line block ×3, first 2 shown]
	s_cbranch_scc1 .LBB90_31
.LBB90_32:
	v_cndmask_b32_e64 v104, 2, 1, s[0:1]
	v_cndmask_b32_e64 v106, 0, 1, s[0:1]
	;; [unrolled: 1-line block ×3, first 2 shown]
	s_waitcnt lgkmcnt(0)
	v_cmp_eq_f64_e32 vcc, 0, v[96:97]
	s_and_saveexec_b64 s[0:1], vcc
	s_xor_b64 s[0:1], exec, s[0:1]
; %bb.33:
	v_cmp_ne_u32_e32 vcc, 0, v104
	v_cndmask_b32_e32 v104, 3, v104, vcc
; %bb.34:
	s_andn2_saveexec_b64 s[0:1], s[0:1]
; %bb.35:
	v_div_scale_f64 v[106:107], s[2:3], v[96:97], v[96:97], 1.0
	v_rcp_f64_e32 v[108:109], v[106:107]
	v_div_scale_f64 v[110:111], vcc, 1.0, v[96:97], 1.0
	v_fma_f64 v[112:113], -v[106:107], v[108:109], 1.0
	v_fmac_f64_e32 v[108:109], v[108:109], v[112:113]
	v_fma_f64 v[112:113], -v[106:107], v[108:109], 1.0
	v_fmac_f64_e32 v[108:109], v[108:109], v[112:113]
	v_mul_f64 v[112:113], v[110:111], v[108:109]
	v_fma_f64 v[106:107], -v[106:107], v[112:113], v[110:111]
	v_div_fmas_f64 v[106:107], v[106:107], v[108:109], v[112:113]
	v_div_fixup_f64 v[96:97], v[106:107], v[96:97], 1.0
; %bb.36:
	s_or_b64 exec, exec, s[0:1]
	v_cmp_ne_u32_e32 vcc, v101, v98
	s_and_saveexec_b64 s[0:1], vcc
	s_xor_b64 s[0:1], exec, s[0:1]
	s_cbranch_execz .LBB90_42
; %bb.37:
	v_cmp_eq_u32_e32 vcc, 2, v101
	s_and_saveexec_b64 s[2:3], vcc
	s_cbranch_execz .LBB90_41
; %bb.38:
	v_cmp_ne_u32_e32 vcc, 2, v98
	s_xor_b64 s[14:15], s[6:7], -1
	s_and_b64 s[16:17], s[14:15], vcc
	s_and_saveexec_b64 s[14:15], s[16:17]
	s_cbranch_execz .LBB90_40
; %bb.39:
	v_ashrrev_i32_e32 v99, 31, v98
	v_lshlrev_b64 v[106:107], 2, v[98:99]
	v_add_co_u32_e32 v106, vcc, v4, v106
	v_addc_co_u32_e32 v107, vcc, v5, v107, vcc
	flat_load_dword v99, v[106:107]
	flat_load_dword v101, v[4:5] offset:8
	s_waitcnt vmcnt(0) lgkmcnt(0)
	flat_store_dword v[4:5], v99 offset:8
	flat_store_dword v[106:107], v101
.LBB90_40:
	s_or_b64 exec, exec, s[14:15]
	v_mov_b32_e32 v99, v98
	v_mov_b32_e32 v101, v98
.LBB90_41:
	s_or_b64 exec, exec, s[2:3]
.LBB90_42:
	s_andn2_saveexec_b64 s[0:1], s[0:1]
	s_cbranch_execz .LBB90_44
; %bb.43:
	v_mov_b32_e32 v101, 2
	ds_write2_b64 v100, v[86:87], v[84:85] offset0:3 offset1:4
	ds_write2_b64 v100, v[82:83], v[80:81] offset0:5 offset1:6
	;; [unrolled: 1-line block ×21, first 2 shown]
	ds_write_b64 v100, v[94:95] offset:360
.LBB90_44:
	s_or_b64 exec, exec, s[0:1]
	v_cmp_lt_i32_e32 vcc, 2, v101
	s_waitcnt lgkmcnt(0)
	s_barrier
	s_and_saveexec_b64 s[0:1], vcc
	s_cbranch_execz .LBB90_46
; %bb.45:
	ds_read2_b64 v[106:109], v100 offset0:3 offset1:4
	ds_read2_b64 v[110:113], v100 offset0:5 offset1:6
	;; [unrolled: 1-line block ×3, first 2 shown]
	v_mul_f64 v[88:89], v[96:97], v[88:89]
	ds_read_b64 v[96:97], v100 offset:360
	s_waitcnt lgkmcnt(0)
	v_fma_f64 v[86:87], -v[88:89], v[106:107], v[86:87]
	v_fma_f64 v[84:85], -v[88:89], v[108:109], v[84:85]
	ds_read2_b64 v[106:109], v100 offset0:9 offset1:10
	v_fma_f64 v[82:83], -v[88:89], v[110:111], v[82:83]
	v_fma_f64 v[80:81], -v[88:89], v[112:113], v[80:81]
	v_fma_f64 v[78:79], -v[88:89], v[114:115], v[78:79]
	ds_read2_b64 v[110:113], v100 offset0:11 offset1:12
	v_fma_f64 v[76:77], -v[88:89], v[116:117], v[76:77]
	ds_read2_b64 v[114:117], v100 offset0:13 offset1:14
	s_waitcnt lgkmcnt(0)
	v_fma_f64 v[74:75], -v[88:89], v[106:107], v[74:75]
	v_fma_f64 v[72:73], -v[88:89], v[108:109], v[72:73]
	v_fma_f64 v[70:71], -v[88:89], v[110:111], v[70:71]
	ds_read2_b64 v[106:109], v100 offset0:15 offset1:16
	v_fma_f64 v[66:67], -v[88:89], v[112:113], v[66:67]
	ds_read2_b64 v[110:113], v100 offset0:17 offset1:18
	v_fma_f64 v[68:69], -v[88:89], v[114:115], v[68:69]
	v_fma_f64 v[64:65], -v[88:89], v[116:117], v[64:65]
	ds_read2_b64 v[114:117], v100 offset0:19 offset1:20
	s_waitcnt lgkmcnt(0)
	v_fma_f64 v[62:63], -v[88:89], v[106:107], v[62:63]
	v_fma_f64 v[60:61], -v[88:89], v[108:109], v[60:61]
	ds_read2_b64 v[106:109], v100 offset0:21 offset1:22
	v_fma_f64 v[58:59], -v[88:89], v[110:111], v[58:59]
	v_fma_f64 v[56:57], -v[88:89], v[112:113], v[56:57]
	v_fma_f64 v[54:55], -v[88:89], v[114:115], v[54:55]
	ds_read2_b64 v[110:113], v100 offset0:23 offset1:24
	v_fma_f64 v[52:53], -v[88:89], v[116:117], v[52:53]
	ds_read2_b64 v[114:117], v100 offset0:25 offset1:26
	s_waitcnt lgkmcnt(0)
	v_fma_f64 v[50:51], -v[88:89], v[106:107], v[50:51]
	v_fma_f64 v[48:49], -v[88:89], v[108:109], v[48:49]
	v_fma_f64 v[46:47], -v[88:89], v[110:111], v[46:47]
	ds_read2_b64 v[106:109], v100 offset0:27 offset1:28
	v_fma_f64 v[44:45], -v[88:89], v[112:113], v[44:45]
	ds_read2_b64 v[110:113], v100 offset0:29 offset1:30
	v_fma_f64 v[40:41], -v[88:89], v[114:115], v[40:41]
	v_fma_f64 v[42:43], -v[88:89], v[116:117], v[42:43]
	ds_read2_b64 v[114:117], v100 offset0:31 offset1:32
	;; [unrolled: 20-line block ×3, first 2 shown]
	s_waitcnt lgkmcnt(0)
	v_fma_f64 v[16:17], -v[88:89], v[106:107], v[16:17]
	v_fma_f64 v[12:13], -v[88:89], v[108:109], v[12:13]
	;; [unrolled: 1-line block ×7, first 2 shown]
.LBB90_46:
	s_or_b64 exec, exec, s[0:1]
	v_lshl_add_u32 v96, v101, 3, v100
	s_barrier
	ds_write_b64 v96, v[86:87]
	s_waitcnt lgkmcnt(0)
	s_barrier
	ds_read_b64 v[96:97], v100 offset:24
	s_cmp_lt_i32 s18, 5
	v_mov_b32_e32 v98, 3
	s_cbranch_scc1 .LBB90_49
; %bb.47:
	v_add3_u32 v106, v105, 0, 32
	s_mov_b32 s0, 4
	v_mov_b32_e32 v98, 3
.LBB90_48:                              ; =>This Inner Loop Header: Depth=1
	ds_read_b64 v[108:109], v106
	v_mov_b32_e32 v107, s0
	s_add_i32 s0, s0, 1
	v_add_u32_e32 v106, 8, v106
	s_cmp_lg_u32 s18, s0
	s_waitcnt lgkmcnt(0)
	v_cmp_lt_f64_e64 vcc, |v[96:97]|, |v[108:109]|
	v_cndmask_b32_e32 v97, v97, v109, vcc
	v_cndmask_b32_e32 v96, v96, v108, vcc
	;; [unrolled: 1-line block ×3, first 2 shown]
	s_cbranch_scc1 .LBB90_48
.LBB90_49:
	s_waitcnt lgkmcnt(0)
	v_cmp_eq_f64_e32 vcc, 0, v[96:97]
	s_and_saveexec_b64 s[0:1], vcc
	s_xor_b64 s[0:1], exec, s[0:1]
; %bb.50:
	v_cmp_ne_u32_e32 vcc, 0, v104
	v_cndmask_b32_e32 v104, 4, v104, vcc
; %bb.51:
	s_andn2_saveexec_b64 s[0:1], s[0:1]
; %bb.52:
	v_div_scale_f64 v[106:107], s[2:3], v[96:97], v[96:97], 1.0
	v_rcp_f64_e32 v[108:109], v[106:107]
	v_div_scale_f64 v[110:111], vcc, 1.0, v[96:97], 1.0
	v_fma_f64 v[112:113], -v[106:107], v[108:109], 1.0
	v_fmac_f64_e32 v[108:109], v[108:109], v[112:113]
	v_fma_f64 v[112:113], -v[106:107], v[108:109], 1.0
	v_fmac_f64_e32 v[108:109], v[108:109], v[112:113]
	v_mul_f64 v[112:113], v[110:111], v[108:109]
	v_fma_f64 v[106:107], -v[106:107], v[112:113], v[110:111]
	v_div_fmas_f64 v[106:107], v[106:107], v[108:109], v[112:113]
	v_div_fixup_f64 v[96:97], v[106:107], v[96:97], 1.0
; %bb.53:
	s_or_b64 exec, exec, s[0:1]
	v_cmp_ne_u32_e32 vcc, v101, v98
	s_and_saveexec_b64 s[0:1], vcc
	s_xor_b64 s[0:1], exec, s[0:1]
	s_cbranch_execz .LBB90_59
; %bb.54:
	v_cmp_eq_u32_e32 vcc, 3, v101
	s_and_saveexec_b64 s[2:3], vcc
	s_cbranch_execz .LBB90_58
; %bb.55:
	v_cmp_ne_u32_e32 vcc, 3, v98
	s_xor_b64 s[14:15], s[6:7], -1
	s_and_b64 s[16:17], s[14:15], vcc
	s_and_saveexec_b64 s[14:15], s[16:17]
	s_cbranch_execz .LBB90_57
; %bb.56:
	v_ashrrev_i32_e32 v99, 31, v98
	v_lshlrev_b64 v[106:107], 2, v[98:99]
	v_add_co_u32_e32 v106, vcc, v4, v106
	v_addc_co_u32_e32 v107, vcc, v5, v107, vcc
	flat_load_dword v99, v[106:107]
	flat_load_dword v101, v[4:5] offset:12
	s_waitcnt vmcnt(0) lgkmcnt(0)
	flat_store_dword v[4:5], v99 offset:12
	flat_store_dword v[106:107], v101
.LBB90_57:
	s_or_b64 exec, exec, s[14:15]
	v_mov_b32_e32 v99, v98
	v_mov_b32_e32 v101, v98
.LBB90_58:
	s_or_b64 exec, exec, s[2:3]
.LBB90_59:
	s_andn2_saveexec_b64 s[0:1], s[0:1]
	s_cbranch_execz .LBB90_61
; %bb.60:
	v_mov_b32_e32 v106, v84
	v_mov_b32_e32 v107, v85
	v_mov_b32_e32 v108, v82
	v_mov_b32_e32 v109, v83
	ds_write2_b64 v100, v[106:107], v[108:109] offset0:4 offset1:5
	v_mov_b32_e32 v106, v80
	v_mov_b32_e32 v107, v81
	v_mov_b32_e32 v108, v78
	v_mov_b32_e32 v109, v79
	ds_write2_b64 v100, v[106:107], v[108:109] offset0:6 offset1:7
	;; [unrolled: 5-line block ×20, first 2 shown]
	v_mov_b32_e32 v106, v0
	v_mov_b32_e32 v107, v1
	;; [unrolled: 1-line block ×3, first 2 shown]
	ds_write2_b64 v100, v[106:107], v[94:95] offset0:44 offset1:45
.LBB90_61:
	s_or_b64 exec, exec, s[0:1]
	v_cmp_lt_i32_e32 vcc, 3, v101
	s_waitcnt lgkmcnt(0)
	s_barrier
	s_and_saveexec_b64 s[0:1], vcc
	s_cbranch_execz .LBB90_63
; %bb.62:
	ds_read2_b64 v[106:109], v100 offset0:4 offset1:5
	ds_read2_b64 v[110:113], v100 offset0:6 offset1:7
	;; [unrolled: 1-line block ×3, first 2 shown]
	v_mul_f64 v[86:87], v[96:97], v[86:87]
	s_waitcnt lgkmcnt(0)
	v_fma_f64 v[84:85], -v[86:87], v[106:107], v[84:85]
	v_fma_f64 v[82:83], -v[86:87], v[108:109], v[82:83]
	ds_read2_b64 v[106:109], v100 offset0:10 offset1:11
	v_fma_f64 v[80:81], -v[86:87], v[110:111], v[80:81]
	v_fma_f64 v[78:79], -v[86:87], v[112:113], v[78:79]
	;; [unrolled: 1-line block ×3, first 2 shown]
	ds_read2_b64 v[110:113], v100 offset0:12 offset1:13
	v_fma_f64 v[74:75], -v[86:87], v[116:117], v[74:75]
	ds_read2_b64 v[114:117], v100 offset0:14 offset1:15
	s_waitcnt lgkmcnt(0)
	v_fma_f64 v[72:73], -v[86:87], v[106:107], v[72:73]
	v_fma_f64 v[70:71], -v[86:87], v[108:109], v[70:71]
	;; [unrolled: 1-line block ×3, first 2 shown]
	ds_read2_b64 v[106:109], v100 offset0:16 offset1:17
	v_fma_f64 v[68:69], -v[86:87], v[112:113], v[68:69]
	ds_read2_b64 v[110:113], v100 offset0:18 offset1:19
	v_fma_f64 v[64:65], -v[86:87], v[114:115], v[64:65]
	v_fma_f64 v[62:63], -v[86:87], v[116:117], v[62:63]
	ds_read2_b64 v[114:117], v100 offset0:20 offset1:21
	s_waitcnt lgkmcnt(0)
	v_fma_f64 v[60:61], -v[86:87], v[106:107], v[60:61]
	v_fma_f64 v[58:59], -v[86:87], v[108:109], v[58:59]
	ds_read2_b64 v[106:109], v100 offset0:22 offset1:23
	v_fma_f64 v[56:57], -v[86:87], v[110:111], v[56:57]
	v_fma_f64 v[54:55], -v[86:87], v[112:113], v[54:55]
	;; [unrolled: 1-line block ×3, first 2 shown]
	ds_read2_b64 v[110:113], v100 offset0:24 offset1:25
	v_fma_f64 v[50:51], -v[86:87], v[116:117], v[50:51]
	ds_read2_b64 v[114:117], v100 offset0:26 offset1:27
	s_waitcnt lgkmcnt(0)
	v_fma_f64 v[48:49], -v[86:87], v[106:107], v[48:49]
	v_fma_f64 v[46:47], -v[86:87], v[108:109], v[46:47]
	v_fma_f64 v[44:45], -v[86:87], v[110:111], v[44:45]
	ds_read2_b64 v[106:109], v100 offset0:28 offset1:29
	v_fma_f64 v[40:41], -v[86:87], v[112:113], v[40:41]
	ds_read2_b64 v[110:113], v100 offset0:30 offset1:31
	v_fma_f64 v[42:43], -v[86:87], v[114:115], v[42:43]
	v_fma_f64 v[38:39], -v[86:87], v[116:117], v[38:39]
	ds_read2_b64 v[114:117], v100 offset0:32 offset1:33
	s_waitcnt lgkmcnt(0)
	v_fma_f64 v[36:37], -v[86:87], v[106:107], v[36:37]
	v_fma_f64 v[34:35], -v[86:87], v[108:109], v[34:35]
	ds_read2_b64 v[106:109], v100 offset0:34 offset1:35
	v_fma_f64 v[32:33], -v[86:87], v[110:111], v[32:33]
	v_fma_f64 v[30:31], -v[86:87], v[112:113], v[30:31]
	;; [unrolled: 1-line block ×3, first 2 shown]
	ds_read2_b64 v[110:113], v100 offset0:36 offset1:37
	v_fma_f64 v[26:27], -v[86:87], v[116:117], v[26:27]
	ds_read2_b64 v[114:117], v100 offset0:38 offset1:39
	s_waitcnt lgkmcnt(0)
	v_fma_f64 v[24:25], -v[86:87], v[106:107], v[24:25]
	v_fma_f64 v[22:23], -v[86:87], v[108:109], v[22:23]
	;; [unrolled: 1-line block ×4, first 2 shown]
	ds_read2_b64 v[106:109], v100 offset0:40 offset1:41
	ds_read2_b64 v[110:113], v100 offset0:42 offset1:43
	v_fma_f64 v[14:15], -v[86:87], v[114:115], v[14:15]
	v_fma_f64 v[16:17], -v[86:87], v[116:117], v[16:17]
	ds_read2_b64 v[114:117], v100 offset0:44 offset1:45
	s_waitcnt lgkmcnt(0)
	v_fma_f64 v[12:13], -v[86:87], v[106:107], v[12:13]
	v_fma_f64 v[10:11], -v[86:87], v[108:109], v[10:11]
	;; [unrolled: 1-line block ×6, first 2 shown]
.LBB90_63:
	s_or_b64 exec, exec, s[0:1]
	v_lshl_add_u32 v96, v101, 3, v100
	s_barrier
	ds_write_b64 v96, v[84:85]
	s_waitcnt lgkmcnt(0)
	s_barrier
	ds_read_b64 v[96:97], v100 offset:32
	s_cmp_lt_i32 s18, 6
	v_mov_b32_e32 v98, 4
	s_cbranch_scc1 .LBB90_66
; %bb.64:
	v_add3_u32 v106, v105, 0, 40
	s_mov_b32 s0, 5
	v_mov_b32_e32 v98, 4
.LBB90_65:                              ; =>This Inner Loop Header: Depth=1
	ds_read_b64 v[108:109], v106
	v_mov_b32_e32 v107, s0
	s_add_i32 s0, s0, 1
	v_add_u32_e32 v106, 8, v106
	s_cmp_lg_u32 s18, s0
	s_waitcnt lgkmcnt(0)
	v_cmp_lt_f64_e64 vcc, |v[96:97]|, |v[108:109]|
	v_cndmask_b32_e32 v97, v97, v109, vcc
	v_cndmask_b32_e32 v96, v96, v108, vcc
	;; [unrolled: 1-line block ×3, first 2 shown]
	s_cbranch_scc1 .LBB90_65
.LBB90_66:
	s_waitcnt lgkmcnt(0)
	v_cmp_eq_f64_e32 vcc, 0, v[96:97]
	s_and_saveexec_b64 s[0:1], vcc
	s_xor_b64 s[0:1], exec, s[0:1]
; %bb.67:
	v_cmp_ne_u32_e32 vcc, 0, v104
	v_cndmask_b32_e32 v104, 5, v104, vcc
; %bb.68:
	s_andn2_saveexec_b64 s[0:1], s[0:1]
; %bb.69:
	v_div_scale_f64 v[106:107], s[2:3], v[96:97], v[96:97], 1.0
	v_rcp_f64_e32 v[108:109], v[106:107]
	v_div_scale_f64 v[110:111], vcc, 1.0, v[96:97], 1.0
	v_fma_f64 v[112:113], -v[106:107], v[108:109], 1.0
	v_fmac_f64_e32 v[108:109], v[108:109], v[112:113]
	v_fma_f64 v[112:113], -v[106:107], v[108:109], 1.0
	v_fmac_f64_e32 v[108:109], v[108:109], v[112:113]
	v_mul_f64 v[112:113], v[110:111], v[108:109]
	v_fma_f64 v[106:107], -v[106:107], v[112:113], v[110:111]
	v_div_fmas_f64 v[106:107], v[106:107], v[108:109], v[112:113]
	v_div_fixup_f64 v[96:97], v[106:107], v[96:97], 1.0
; %bb.70:
	s_or_b64 exec, exec, s[0:1]
	v_cmp_ne_u32_e32 vcc, v101, v98
	s_and_saveexec_b64 s[0:1], vcc
	s_xor_b64 s[0:1], exec, s[0:1]
	s_cbranch_execz .LBB90_76
; %bb.71:
	v_cmp_eq_u32_e32 vcc, 4, v101
	s_and_saveexec_b64 s[2:3], vcc
	s_cbranch_execz .LBB90_75
; %bb.72:
	v_cmp_ne_u32_e32 vcc, 4, v98
	s_xor_b64 s[14:15], s[6:7], -1
	s_and_b64 s[16:17], s[14:15], vcc
	s_and_saveexec_b64 s[14:15], s[16:17]
	s_cbranch_execz .LBB90_74
; %bb.73:
	v_ashrrev_i32_e32 v99, 31, v98
	v_lshlrev_b64 v[106:107], 2, v[98:99]
	v_add_co_u32_e32 v106, vcc, v4, v106
	v_addc_co_u32_e32 v107, vcc, v5, v107, vcc
	flat_load_dword v99, v[106:107]
	flat_load_dword v101, v[4:5] offset:16
	s_waitcnt vmcnt(0) lgkmcnt(0)
	flat_store_dword v[4:5], v99 offset:16
	flat_store_dword v[106:107], v101
.LBB90_74:
	s_or_b64 exec, exec, s[14:15]
	v_mov_b32_e32 v99, v98
	v_mov_b32_e32 v101, v98
.LBB90_75:
	s_or_b64 exec, exec, s[2:3]
.LBB90_76:
	s_andn2_saveexec_b64 s[0:1], s[0:1]
	s_cbranch_execz .LBB90_78
; %bb.77:
	v_mov_b32_e32 v101, 4
	ds_write2_b64 v100, v[82:83], v[80:81] offset0:5 offset1:6
	ds_write2_b64 v100, v[78:79], v[76:77] offset0:7 offset1:8
	;; [unrolled: 1-line block ×20, first 2 shown]
	ds_write_b64 v100, v[94:95] offset:360
.LBB90_78:
	s_or_b64 exec, exec, s[0:1]
	v_cmp_lt_i32_e32 vcc, 4, v101
	s_waitcnt lgkmcnt(0)
	s_barrier
	s_and_saveexec_b64 s[0:1], vcc
	s_cbranch_execz .LBB90_80
; %bb.79:
	ds_read2_b64 v[106:109], v100 offset0:5 offset1:6
	ds_read2_b64 v[110:113], v100 offset0:7 offset1:8
	v_mul_f64 v[84:85], v[96:97], v[84:85]
	ds_read2_b64 v[114:117], v100 offset0:9 offset1:10
	ds_read_b64 v[96:97], v100 offset:360
	s_waitcnt lgkmcnt(0)
	v_fma_f64 v[82:83], -v[84:85], v[106:107], v[82:83]
	v_fma_f64 v[80:81], -v[84:85], v[108:109], v[80:81]
	ds_read2_b64 v[106:109], v100 offset0:11 offset1:12
	v_fma_f64 v[78:79], -v[84:85], v[110:111], v[78:79]
	v_fma_f64 v[76:77], -v[84:85], v[112:113], v[76:77]
	ds_read2_b64 v[110:113], v100 offset0:13 offset1:14
	;; [unrolled: 3-line block ×3, first 2 shown]
	s_waitcnt lgkmcnt(0)
	v_fma_f64 v[70:71], -v[84:85], v[106:107], v[70:71]
	v_fma_f64 v[66:67], -v[84:85], v[108:109], v[66:67]
	;; [unrolled: 1-line block ×3, first 2 shown]
	ds_read2_b64 v[106:109], v100 offset0:17 offset1:18
	v_fma_f64 v[64:65], -v[84:85], v[112:113], v[64:65]
	ds_read2_b64 v[110:113], v100 offset0:19 offset1:20
	v_fma_f64 v[62:63], -v[84:85], v[114:115], v[62:63]
	v_fma_f64 v[60:61], -v[84:85], v[116:117], v[60:61]
	s_waitcnt lgkmcnt(0)
	v_fma_f64 v[58:59], -v[84:85], v[106:107], v[58:59]
	ds_read2_b64 v[114:117], v100 offset0:21 offset1:22
	v_fma_f64 v[56:57], -v[84:85], v[108:109], v[56:57]
	ds_read2_b64 v[106:109], v100 offset0:23 offset1:24
	v_fma_f64 v[54:55], -v[84:85], v[110:111], v[54:55]
	v_fma_f64 v[52:53], -v[84:85], v[112:113], v[52:53]
	ds_read2_b64 v[110:113], v100 offset0:25 offset1:26
	s_waitcnt lgkmcnt(0)
	v_fma_f64 v[50:51], -v[84:85], v[114:115], v[50:51]
	v_fma_f64 v[48:49], -v[84:85], v[116:117], v[48:49]
	ds_read2_b64 v[114:117], v100 offset0:27 offset1:28
	v_fma_f64 v[46:47], -v[84:85], v[106:107], v[46:47]
	v_fma_f64 v[44:45], -v[84:85], v[108:109], v[44:45]
	;; [unrolled: 1-line block ×3, first 2 shown]
	ds_read2_b64 v[106:109], v100 offset0:29 offset1:30
	v_fma_f64 v[42:43], -v[84:85], v[112:113], v[42:43]
	ds_read2_b64 v[110:113], v100 offset0:31 offset1:32
	s_waitcnt lgkmcnt(0)
	v_fma_f64 v[38:39], -v[84:85], v[114:115], v[38:39]
	v_fma_f64 v[36:37], -v[84:85], v[116:117], v[36:37]
	;; [unrolled: 1-line block ×3, first 2 shown]
	ds_read2_b64 v[114:117], v100 offset0:33 offset1:34
	v_fma_f64 v[32:33], -v[84:85], v[108:109], v[32:33]
	ds_read2_b64 v[106:109], v100 offset0:35 offset1:36
	v_fma_f64 v[30:31], -v[84:85], v[110:111], v[30:31]
	v_fma_f64 v[28:29], -v[84:85], v[112:113], v[28:29]
	ds_read2_b64 v[110:113], v100 offset0:37 offset1:38
	s_waitcnt lgkmcnt(0)
	v_fma_f64 v[26:27], -v[84:85], v[114:115], v[26:27]
	v_fma_f64 v[24:25], -v[84:85], v[116:117], v[24:25]
	ds_read2_b64 v[114:117], v100 offset0:39 offset1:40
	v_fma_f64 v[22:23], -v[84:85], v[106:107], v[22:23]
	v_fma_f64 v[20:21], -v[84:85], v[108:109], v[20:21]
	v_fma_f64 v[18:19], -v[84:85], v[110:111], v[18:19]
	v_fma_f64 v[14:15], -v[84:85], v[112:113], v[14:15]
	ds_read2_b64 v[106:109], v100 offset0:41 offset1:42
	ds_read2_b64 v[110:113], v100 offset0:43 offset1:44
	s_waitcnt lgkmcnt(0)
	v_fma_f64 v[16:17], -v[84:85], v[114:115], v[16:17]
	v_fma_f64 v[12:13], -v[84:85], v[116:117], v[12:13]
	;; [unrolled: 1-line block ×7, first 2 shown]
.LBB90_80:
	s_or_b64 exec, exec, s[0:1]
	v_lshl_add_u32 v96, v101, 3, v100
	s_barrier
	ds_write_b64 v96, v[82:83]
	s_waitcnt lgkmcnt(0)
	s_barrier
	ds_read_b64 v[96:97], v100 offset:40
	s_cmp_lt_i32 s18, 7
	v_mov_b32_e32 v98, 5
	s_cbranch_scc1 .LBB90_83
; %bb.81:
	v_add3_u32 v106, v105, 0, 48
	s_mov_b32 s0, 6
	v_mov_b32_e32 v98, 5
.LBB90_82:                              ; =>This Inner Loop Header: Depth=1
	ds_read_b64 v[108:109], v106
	v_mov_b32_e32 v107, s0
	s_add_i32 s0, s0, 1
	v_add_u32_e32 v106, 8, v106
	s_cmp_lg_u32 s18, s0
	s_waitcnt lgkmcnt(0)
	v_cmp_lt_f64_e64 vcc, |v[96:97]|, |v[108:109]|
	v_cndmask_b32_e32 v97, v97, v109, vcc
	v_cndmask_b32_e32 v96, v96, v108, vcc
	;; [unrolled: 1-line block ×3, first 2 shown]
	s_cbranch_scc1 .LBB90_82
.LBB90_83:
	s_waitcnt lgkmcnt(0)
	v_cmp_eq_f64_e32 vcc, 0, v[96:97]
	s_and_saveexec_b64 s[0:1], vcc
	s_xor_b64 s[0:1], exec, s[0:1]
; %bb.84:
	v_cmp_ne_u32_e32 vcc, 0, v104
	v_cndmask_b32_e32 v104, 6, v104, vcc
; %bb.85:
	s_andn2_saveexec_b64 s[0:1], s[0:1]
; %bb.86:
	v_div_scale_f64 v[106:107], s[2:3], v[96:97], v[96:97], 1.0
	v_rcp_f64_e32 v[108:109], v[106:107]
	v_div_scale_f64 v[110:111], vcc, 1.0, v[96:97], 1.0
	v_fma_f64 v[112:113], -v[106:107], v[108:109], 1.0
	v_fmac_f64_e32 v[108:109], v[108:109], v[112:113]
	v_fma_f64 v[112:113], -v[106:107], v[108:109], 1.0
	v_fmac_f64_e32 v[108:109], v[108:109], v[112:113]
	v_mul_f64 v[112:113], v[110:111], v[108:109]
	v_fma_f64 v[106:107], -v[106:107], v[112:113], v[110:111]
	v_div_fmas_f64 v[106:107], v[106:107], v[108:109], v[112:113]
	v_div_fixup_f64 v[96:97], v[106:107], v[96:97], 1.0
; %bb.87:
	s_or_b64 exec, exec, s[0:1]
	v_cmp_ne_u32_e32 vcc, v101, v98
	s_and_saveexec_b64 s[0:1], vcc
	s_xor_b64 s[0:1], exec, s[0:1]
	s_cbranch_execz .LBB90_93
; %bb.88:
	v_cmp_eq_u32_e32 vcc, 5, v101
	s_and_saveexec_b64 s[2:3], vcc
	s_cbranch_execz .LBB90_92
; %bb.89:
	v_cmp_ne_u32_e32 vcc, 5, v98
	s_xor_b64 s[14:15], s[6:7], -1
	s_and_b64 s[16:17], s[14:15], vcc
	s_and_saveexec_b64 s[14:15], s[16:17]
	s_cbranch_execz .LBB90_91
; %bb.90:
	v_ashrrev_i32_e32 v99, 31, v98
	v_lshlrev_b64 v[106:107], 2, v[98:99]
	v_add_co_u32_e32 v106, vcc, v4, v106
	v_addc_co_u32_e32 v107, vcc, v5, v107, vcc
	flat_load_dword v99, v[106:107]
	flat_load_dword v101, v[4:5] offset:20
	s_waitcnt vmcnt(0) lgkmcnt(0)
	flat_store_dword v[4:5], v99 offset:20
	flat_store_dword v[106:107], v101
.LBB90_91:
	s_or_b64 exec, exec, s[14:15]
	v_mov_b32_e32 v99, v98
	v_mov_b32_e32 v101, v98
.LBB90_92:
	s_or_b64 exec, exec, s[2:3]
.LBB90_93:
	s_andn2_saveexec_b64 s[0:1], s[0:1]
	s_cbranch_execz .LBB90_95
; %bb.94:
	v_mov_b32_e32 v106, v80
	v_mov_b32_e32 v107, v81
	v_mov_b32_e32 v108, v78
	v_mov_b32_e32 v109, v79
	ds_write2_b64 v100, v[106:107], v[108:109] offset0:6 offset1:7
	v_mov_b32_e32 v106, v76
	v_mov_b32_e32 v107, v77
	v_mov_b32_e32 v108, v74
	v_mov_b32_e32 v109, v75
	ds_write2_b64 v100, v[106:107], v[108:109] offset0:8 offset1:9
	;; [unrolled: 5-line block ×19, first 2 shown]
	v_mov_b32_e32 v106, v0
	v_mov_b32_e32 v107, v1
	;; [unrolled: 1-line block ×3, first 2 shown]
	ds_write2_b64 v100, v[106:107], v[94:95] offset0:44 offset1:45
.LBB90_95:
	s_or_b64 exec, exec, s[0:1]
	v_cmp_lt_i32_e32 vcc, 5, v101
	s_waitcnt lgkmcnt(0)
	s_barrier
	s_and_saveexec_b64 s[0:1], vcc
	s_cbranch_execz .LBB90_97
; %bb.96:
	ds_read2_b64 v[106:109], v100 offset0:6 offset1:7
	ds_read2_b64 v[110:113], v100 offset0:8 offset1:9
	v_mul_f64 v[82:83], v[96:97], v[82:83]
	ds_read2_b64 v[114:117], v100 offset0:10 offset1:11
	s_waitcnt lgkmcnt(0)
	v_fma_f64 v[80:81], -v[82:83], v[106:107], v[80:81]
	v_fma_f64 v[78:79], -v[82:83], v[108:109], v[78:79]
	ds_read2_b64 v[106:109], v100 offset0:12 offset1:13
	v_fma_f64 v[76:77], -v[82:83], v[110:111], v[76:77]
	v_fma_f64 v[74:75], -v[82:83], v[112:113], v[74:75]
	ds_read2_b64 v[110:113], v100 offset0:14 offset1:15
	;; [unrolled: 3-line block ×3, first 2 shown]
	s_waitcnt lgkmcnt(0)
	v_fma_f64 v[66:67], -v[82:83], v[106:107], v[66:67]
	v_fma_f64 v[68:69], -v[82:83], v[108:109], v[68:69]
	;; [unrolled: 1-line block ×3, first 2 shown]
	ds_read2_b64 v[106:109], v100 offset0:18 offset1:19
	v_fma_f64 v[62:63], -v[82:83], v[112:113], v[62:63]
	ds_read2_b64 v[110:113], v100 offset0:20 offset1:21
	v_fma_f64 v[60:61], -v[82:83], v[114:115], v[60:61]
	v_fma_f64 v[58:59], -v[82:83], v[116:117], v[58:59]
	s_waitcnt lgkmcnt(0)
	v_fma_f64 v[56:57], -v[82:83], v[106:107], v[56:57]
	ds_read2_b64 v[114:117], v100 offset0:22 offset1:23
	v_fma_f64 v[54:55], -v[82:83], v[108:109], v[54:55]
	ds_read2_b64 v[106:109], v100 offset0:24 offset1:25
	v_fma_f64 v[52:53], -v[82:83], v[110:111], v[52:53]
	v_fma_f64 v[50:51], -v[82:83], v[112:113], v[50:51]
	ds_read2_b64 v[110:113], v100 offset0:26 offset1:27
	s_waitcnt lgkmcnt(0)
	v_fma_f64 v[48:49], -v[82:83], v[114:115], v[48:49]
	v_fma_f64 v[46:47], -v[82:83], v[116:117], v[46:47]
	ds_read2_b64 v[114:117], v100 offset0:28 offset1:29
	v_fma_f64 v[44:45], -v[82:83], v[106:107], v[44:45]
	v_fma_f64 v[40:41], -v[82:83], v[108:109], v[40:41]
	v_fma_f64 v[42:43], -v[82:83], v[110:111], v[42:43]
	ds_read2_b64 v[106:109], v100 offset0:30 offset1:31
	v_fma_f64 v[38:39], -v[82:83], v[112:113], v[38:39]
	ds_read2_b64 v[110:113], v100 offset0:32 offset1:33
	s_waitcnt lgkmcnt(0)
	v_fma_f64 v[36:37], -v[82:83], v[114:115], v[36:37]
	v_fma_f64 v[34:35], -v[82:83], v[116:117], v[34:35]
	v_fma_f64 v[32:33], -v[82:83], v[106:107], v[32:33]
	ds_read2_b64 v[114:117], v100 offset0:34 offset1:35
	v_fma_f64 v[30:31], -v[82:83], v[108:109], v[30:31]
	ds_read2_b64 v[106:109], v100 offset0:36 offset1:37
	v_fma_f64 v[28:29], -v[82:83], v[110:111], v[28:29]
	v_fma_f64 v[26:27], -v[82:83], v[112:113], v[26:27]
	ds_read2_b64 v[110:113], v100 offset0:38 offset1:39
	s_waitcnt lgkmcnt(0)
	v_fma_f64 v[24:25], -v[82:83], v[114:115], v[24:25]
	v_fma_f64 v[22:23], -v[82:83], v[116:117], v[22:23]
	;; [unrolled: 1-line block ×4, first 2 shown]
	ds_read2_b64 v[106:109], v100 offset0:40 offset1:41
	v_fma_f64 v[14:15], -v[82:83], v[110:111], v[14:15]
	ds_read2_b64 v[114:117], v100 offset0:42 offset1:43
	v_fma_f64 v[16:17], -v[82:83], v[112:113], v[16:17]
	ds_read2_b64 v[110:113], v100 offset0:44 offset1:45
	s_waitcnt lgkmcnt(0)
	v_fma_f64 v[12:13], -v[82:83], v[106:107], v[12:13]
	v_fma_f64 v[10:11], -v[82:83], v[108:109], v[10:11]
	;; [unrolled: 1-line block ×6, first 2 shown]
.LBB90_97:
	s_or_b64 exec, exec, s[0:1]
	v_lshl_add_u32 v96, v101, 3, v100
	s_barrier
	ds_write_b64 v96, v[80:81]
	s_waitcnt lgkmcnt(0)
	s_barrier
	ds_read_b64 v[96:97], v100 offset:48
	s_cmp_lt_i32 s18, 8
	v_mov_b32_e32 v98, 6
	s_cbranch_scc1 .LBB90_100
; %bb.98:
	v_add3_u32 v106, v105, 0, 56
	s_mov_b32 s0, 7
	v_mov_b32_e32 v98, 6
.LBB90_99:                              ; =>This Inner Loop Header: Depth=1
	ds_read_b64 v[108:109], v106
	v_mov_b32_e32 v107, s0
	s_add_i32 s0, s0, 1
	v_add_u32_e32 v106, 8, v106
	s_cmp_lg_u32 s18, s0
	s_waitcnt lgkmcnt(0)
	v_cmp_lt_f64_e64 vcc, |v[96:97]|, |v[108:109]|
	v_cndmask_b32_e32 v97, v97, v109, vcc
	v_cndmask_b32_e32 v96, v96, v108, vcc
	;; [unrolled: 1-line block ×3, first 2 shown]
	s_cbranch_scc1 .LBB90_99
.LBB90_100:
	s_waitcnt lgkmcnt(0)
	v_cmp_eq_f64_e32 vcc, 0, v[96:97]
	s_and_saveexec_b64 s[0:1], vcc
	s_xor_b64 s[0:1], exec, s[0:1]
; %bb.101:
	v_cmp_ne_u32_e32 vcc, 0, v104
	v_cndmask_b32_e32 v104, 7, v104, vcc
; %bb.102:
	s_andn2_saveexec_b64 s[0:1], s[0:1]
; %bb.103:
	v_div_scale_f64 v[106:107], s[2:3], v[96:97], v[96:97], 1.0
	v_rcp_f64_e32 v[108:109], v[106:107]
	v_div_scale_f64 v[110:111], vcc, 1.0, v[96:97], 1.0
	v_fma_f64 v[112:113], -v[106:107], v[108:109], 1.0
	v_fmac_f64_e32 v[108:109], v[108:109], v[112:113]
	v_fma_f64 v[112:113], -v[106:107], v[108:109], 1.0
	v_fmac_f64_e32 v[108:109], v[108:109], v[112:113]
	v_mul_f64 v[112:113], v[110:111], v[108:109]
	v_fma_f64 v[106:107], -v[106:107], v[112:113], v[110:111]
	v_div_fmas_f64 v[106:107], v[106:107], v[108:109], v[112:113]
	v_div_fixup_f64 v[96:97], v[106:107], v[96:97], 1.0
; %bb.104:
	s_or_b64 exec, exec, s[0:1]
	v_cmp_ne_u32_e32 vcc, v101, v98
	s_and_saveexec_b64 s[0:1], vcc
	s_xor_b64 s[0:1], exec, s[0:1]
	s_cbranch_execz .LBB90_110
; %bb.105:
	v_cmp_eq_u32_e32 vcc, 6, v101
	s_and_saveexec_b64 s[2:3], vcc
	s_cbranch_execz .LBB90_109
; %bb.106:
	v_cmp_ne_u32_e32 vcc, 6, v98
	s_xor_b64 s[14:15], s[6:7], -1
	s_and_b64 s[16:17], s[14:15], vcc
	s_and_saveexec_b64 s[14:15], s[16:17]
	s_cbranch_execz .LBB90_108
; %bb.107:
	v_ashrrev_i32_e32 v99, 31, v98
	v_lshlrev_b64 v[106:107], 2, v[98:99]
	v_add_co_u32_e32 v106, vcc, v4, v106
	v_addc_co_u32_e32 v107, vcc, v5, v107, vcc
	flat_load_dword v99, v[106:107]
	flat_load_dword v101, v[4:5] offset:24
	s_waitcnt vmcnt(0) lgkmcnt(0)
	flat_store_dword v[4:5], v99 offset:24
	flat_store_dword v[106:107], v101
.LBB90_108:
	s_or_b64 exec, exec, s[14:15]
	v_mov_b32_e32 v99, v98
	v_mov_b32_e32 v101, v98
.LBB90_109:
	s_or_b64 exec, exec, s[2:3]
.LBB90_110:
	s_andn2_saveexec_b64 s[0:1], s[0:1]
	s_cbranch_execz .LBB90_112
; %bb.111:
	v_mov_b32_e32 v101, 6
	ds_write2_b64 v100, v[78:79], v[76:77] offset0:7 offset1:8
	ds_write2_b64 v100, v[74:75], v[72:73] offset0:9 offset1:10
	;; [unrolled: 1-line block ×19, first 2 shown]
	ds_write_b64 v100, v[94:95] offset:360
.LBB90_112:
	s_or_b64 exec, exec, s[0:1]
	v_cmp_lt_i32_e32 vcc, 6, v101
	s_waitcnt lgkmcnt(0)
	s_barrier
	s_and_saveexec_b64 s[0:1], vcc
	s_cbranch_execz .LBB90_114
; %bb.113:
	ds_read2_b64 v[106:109], v100 offset0:7 offset1:8
	ds_read2_b64 v[110:113], v100 offset0:9 offset1:10
	v_mul_f64 v[80:81], v[96:97], v[80:81]
	ds_read2_b64 v[114:117], v100 offset0:11 offset1:12
	ds_read_b64 v[96:97], v100 offset:360
	s_waitcnt lgkmcnt(0)
	v_fma_f64 v[78:79], -v[80:81], v[106:107], v[78:79]
	v_fma_f64 v[76:77], -v[80:81], v[108:109], v[76:77]
	ds_read2_b64 v[106:109], v100 offset0:13 offset1:14
	v_fma_f64 v[74:75], -v[80:81], v[110:111], v[74:75]
	v_fma_f64 v[72:73], -v[80:81], v[112:113], v[72:73]
	;; [unrolled: 1-line block ×3, first 2 shown]
	ds_read2_b64 v[110:113], v100 offset0:15 offset1:16
	v_fma_f64 v[66:67], -v[80:81], v[116:117], v[66:67]
	ds_read2_b64 v[114:117], v100 offset0:17 offset1:18
	s_waitcnt lgkmcnt(0)
	v_fma_f64 v[68:69], -v[80:81], v[106:107], v[68:69]
	v_fma_f64 v[64:65], -v[80:81], v[108:109], v[64:65]
	ds_read2_b64 v[106:109], v100 offset0:19 offset1:20
	v_fma_f64 v[62:63], -v[80:81], v[110:111], v[62:63]
	v_fma_f64 v[60:61], -v[80:81], v[112:113], v[60:61]
	ds_read2_b64 v[110:113], v100 offset0:21 offset1:22
	v_fma_f64 v[58:59], -v[80:81], v[114:115], v[58:59]
	v_fma_f64 v[56:57], -v[80:81], v[116:117], v[56:57]
	s_waitcnt lgkmcnt(0)
	v_fma_f64 v[54:55], -v[80:81], v[106:107], v[54:55]
	ds_read2_b64 v[114:117], v100 offset0:23 offset1:24
	v_fma_f64 v[52:53], -v[80:81], v[108:109], v[52:53]
	ds_read2_b64 v[106:109], v100 offset0:25 offset1:26
	v_fma_f64 v[50:51], -v[80:81], v[110:111], v[50:51]
	v_fma_f64 v[48:49], -v[80:81], v[112:113], v[48:49]
	s_waitcnt lgkmcnt(0)
	v_fma_f64 v[46:47], -v[80:81], v[114:115], v[46:47]
	ds_read2_b64 v[110:113], v100 offset0:27 offset1:28
	v_fma_f64 v[44:45], -v[80:81], v[116:117], v[44:45]
	ds_read2_b64 v[114:117], v100 offset0:29 offset1:30
	v_fma_f64 v[40:41], -v[80:81], v[106:107], v[40:41]
	v_fma_f64 v[42:43], -v[80:81], v[108:109], v[42:43]
	ds_read2_b64 v[106:109], v100 offset0:31 offset1:32
	s_waitcnt lgkmcnt(0)
	v_fma_f64 v[38:39], -v[80:81], v[110:111], v[38:39]
	v_fma_f64 v[36:37], -v[80:81], v[112:113], v[36:37]
	ds_read2_b64 v[110:113], v100 offset0:33 offset1:34
	v_fma_f64 v[34:35], -v[80:81], v[114:115], v[34:35]
	v_fma_f64 v[32:33], -v[80:81], v[116:117], v[32:33]
	;; [unrolled: 1-line block ×3, first 2 shown]
	ds_read2_b64 v[114:117], v100 offset0:35 offset1:36
	v_fma_f64 v[28:29], -v[80:81], v[108:109], v[28:29]
	ds_read2_b64 v[106:109], v100 offset0:37 offset1:38
	s_waitcnt lgkmcnt(0)
	v_fma_f64 v[26:27], -v[80:81], v[110:111], v[26:27]
	v_fma_f64 v[24:25], -v[80:81], v[112:113], v[24:25]
	;; [unrolled: 1-line block ×3, first 2 shown]
	ds_read2_b64 v[110:113], v100 offset0:39 offset1:40
	v_fma_f64 v[20:21], -v[80:81], v[116:117], v[20:21]
	v_fma_f64 v[18:19], -v[80:81], v[106:107], v[18:19]
	;; [unrolled: 1-line block ×3, first 2 shown]
	ds_read2_b64 v[106:109], v100 offset0:41 offset1:42
	ds_read2_b64 v[114:117], v100 offset0:43 offset1:44
	s_waitcnt lgkmcnt(0)
	v_fma_f64 v[16:17], -v[80:81], v[110:111], v[16:17]
	v_fma_f64 v[12:13], -v[80:81], v[112:113], v[12:13]
	;; [unrolled: 1-line block ×7, first 2 shown]
.LBB90_114:
	s_or_b64 exec, exec, s[0:1]
	v_lshl_add_u32 v96, v101, 3, v100
	s_barrier
	ds_write_b64 v96, v[78:79]
	s_waitcnt lgkmcnt(0)
	s_barrier
	ds_read_b64 v[96:97], v100 offset:56
	s_cmp_lt_i32 s18, 9
	v_mov_b32_e32 v98, 7
	s_cbranch_scc1 .LBB90_117
; %bb.115:
	v_add3_u32 v105, v105, 0, 64
	s_mov_b32 s0, 8
	v_mov_b32_e32 v98, 7
.LBB90_116:                             ; =>This Inner Loop Header: Depth=1
	ds_read_b64 v[106:107], v105
	v_mov_b32_e32 v108, s0
	s_add_i32 s0, s0, 1
	v_add_u32_e32 v105, 8, v105
	s_cmp_lg_u32 s18, s0
	s_waitcnt lgkmcnt(0)
	v_cmp_lt_f64_e64 vcc, |v[96:97]|, |v[106:107]|
	v_cndmask_b32_e32 v97, v97, v107, vcc
	v_cndmask_b32_e32 v96, v96, v106, vcc
	;; [unrolled: 1-line block ×3, first 2 shown]
	s_cbranch_scc1 .LBB90_116
.LBB90_117:
	s_waitcnt lgkmcnt(0)
	v_cmp_eq_f64_e32 vcc, 0, v[96:97]
	s_and_saveexec_b64 s[0:1], vcc
	s_xor_b64 s[0:1], exec, s[0:1]
; %bb.118:
	v_cmp_ne_u32_e32 vcc, 0, v104
	v_cndmask_b32_e32 v104, 8, v104, vcc
; %bb.119:
	s_andn2_saveexec_b64 s[0:1], s[0:1]
; %bb.120:
	v_div_scale_f64 v[106:107], s[2:3], v[96:97], v[96:97], 1.0
	v_rcp_f64_e32 v[108:109], v[106:107]
	v_div_scale_f64 v[110:111], vcc, 1.0, v[96:97], 1.0
	v_fma_f64 v[112:113], -v[106:107], v[108:109], 1.0
	v_fmac_f64_e32 v[108:109], v[108:109], v[112:113]
	v_fma_f64 v[112:113], -v[106:107], v[108:109], 1.0
	v_fmac_f64_e32 v[108:109], v[108:109], v[112:113]
	v_mul_f64 v[112:113], v[110:111], v[108:109]
	v_fma_f64 v[106:107], -v[106:107], v[112:113], v[110:111]
	v_div_fmas_f64 v[106:107], v[106:107], v[108:109], v[112:113]
	v_div_fixup_f64 v[96:97], v[106:107], v[96:97], 1.0
; %bb.121:
	s_or_b64 exec, exec, s[0:1]
	v_cmp_ne_u32_e32 vcc, v101, v98
	s_and_saveexec_b64 s[0:1], vcc
	s_xor_b64 s[0:1], exec, s[0:1]
	s_cbranch_execz .LBB90_127
; %bb.122:
	v_cmp_eq_u32_e32 vcc, 7, v101
	s_and_saveexec_b64 s[2:3], vcc
	s_cbranch_execz .LBB90_126
; %bb.123:
	v_cmp_ne_u32_e32 vcc, 7, v98
	s_xor_b64 s[14:15], s[6:7], -1
	s_and_b64 s[16:17], s[14:15], vcc
	s_and_saveexec_b64 s[14:15], s[16:17]
	s_cbranch_execz .LBB90_125
; %bb.124:
	v_ashrrev_i32_e32 v99, 31, v98
	v_lshlrev_b64 v[106:107], 2, v[98:99]
	v_add_co_u32_e32 v106, vcc, v4, v106
	v_addc_co_u32_e32 v107, vcc, v5, v107, vcc
	flat_load_dword v99, v[106:107]
	flat_load_dword v101, v[4:5] offset:28
	s_waitcnt vmcnt(0) lgkmcnt(0)
	flat_store_dword v[4:5], v99 offset:28
	flat_store_dword v[106:107], v101
.LBB90_125:
	s_or_b64 exec, exec, s[14:15]
	v_mov_b32_e32 v99, v98
	v_mov_b32_e32 v101, v98
.LBB90_126:
	s_or_b64 exec, exec, s[2:3]
.LBB90_127:
	s_andn2_saveexec_b64 s[0:1], s[0:1]
	s_cbranch_execz .LBB90_129
; %bb.128:
	v_mov_b32_e32 v106, v76
	v_mov_b32_e32 v107, v77
	v_mov_b32_e32 v108, v74
	v_mov_b32_e32 v109, v75
	ds_write2_b64 v100, v[106:107], v[108:109] offset0:8 offset1:9
	v_mov_b32_e32 v106, v72
	v_mov_b32_e32 v107, v73
	v_mov_b32_e32 v108, v70
	v_mov_b32_e32 v109, v71
	ds_write2_b64 v100, v[106:107], v[108:109] offset0:10 offset1:11
	v_mov_b32_e32 v106, v66
	v_mov_b32_e32 v107, v67
	v_mov_b32_e32 v108, v68
	v_mov_b32_e32 v109, v69
	ds_write2_b64 v100, v[106:107], v[108:109] offset0:12 offset1:13
	v_mov_b32_e32 v106, v64
	v_mov_b32_e32 v107, v65
	v_mov_b32_e32 v108, v62
	v_mov_b32_e32 v109, v63
	ds_write2_b64 v100, v[106:107], v[108:109] offset0:14 offset1:15
	v_mov_b32_e32 v106, v60
	v_mov_b32_e32 v107, v61
	v_mov_b32_e32 v108, v58
	v_mov_b32_e32 v109, v59
	ds_write2_b64 v100, v[106:107], v[108:109] offset0:16 offset1:17
	v_mov_b32_e32 v106, v56
	v_mov_b32_e32 v107, v57
	v_mov_b32_e32 v108, v54
	v_mov_b32_e32 v109, v55
	ds_write2_b64 v100, v[106:107], v[108:109] offset0:18 offset1:19
	v_mov_b32_e32 v106, v52
	v_mov_b32_e32 v107, v53
	v_mov_b32_e32 v108, v50
	v_mov_b32_e32 v109, v51
	ds_write2_b64 v100, v[106:107], v[108:109] offset0:20 offset1:21
	v_mov_b32_e32 v106, v48
	v_mov_b32_e32 v107, v49
	v_mov_b32_e32 v108, v46
	v_mov_b32_e32 v109, v47
	ds_write2_b64 v100, v[106:107], v[108:109] offset0:22 offset1:23
	v_mov_b32_e32 v106, v44
	v_mov_b32_e32 v107, v45
	v_mov_b32_e32 v108, v40
	v_mov_b32_e32 v109, v41
	ds_write2_b64 v100, v[106:107], v[108:109] offset0:24 offset1:25
	v_mov_b32_e32 v106, v42
	v_mov_b32_e32 v107, v43
	v_mov_b32_e32 v108, v38
	v_mov_b32_e32 v109, v39
	ds_write2_b64 v100, v[106:107], v[108:109] offset0:26 offset1:27
	v_mov_b32_e32 v106, v36
	v_mov_b32_e32 v107, v37
	v_mov_b32_e32 v108, v34
	v_mov_b32_e32 v109, v35
	ds_write2_b64 v100, v[106:107], v[108:109] offset0:28 offset1:29
	v_mov_b32_e32 v106, v32
	v_mov_b32_e32 v107, v33
	v_mov_b32_e32 v108, v30
	v_mov_b32_e32 v109, v31
	ds_write2_b64 v100, v[106:107], v[108:109] offset0:30 offset1:31
	v_mov_b32_e32 v106, v28
	v_mov_b32_e32 v107, v29
	v_mov_b32_e32 v108, v26
	v_mov_b32_e32 v109, v27
	ds_write2_b64 v100, v[106:107], v[108:109] offset0:32 offset1:33
	v_mov_b32_e32 v106, v24
	v_mov_b32_e32 v107, v25
	v_mov_b32_e32 v108, v22
	v_mov_b32_e32 v109, v23
	ds_write2_b64 v100, v[106:107], v[108:109] offset0:34 offset1:35
	v_mov_b32_e32 v106, v20
	v_mov_b32_e32 v107, v21
	v_mov_b32_e32 v108, v18
	v_mov_b32_e32 v109, v19
	ds_write2_b64 v100, v[106:107], v[108:109] offset0:36 offset1:37
	v_mov_b32_e32 v106, v14
	v_mov_b32_e32 v107, v15
	v_mov_b32_e32 v108, v16
	v_mov_b32_e32 v109, v17
	ds_write2_b64 v100, v[106:107], v[108:109] offset0:38 offset1:39
	v_mov_b32_e32 v106, v12
	v_mov_b32_e32 v107, v13
	v_mov_b32_e32 v108, v10
	v_mov_b32_e32 v109, v11
	ds_write2_b64 v100, v[106:107], v[108:109] offset0:40 offset1:41
	v_mov_b32_e32 v106, v8
	v_mov_b32_e32 v107, v9
	v_mov_b32_e32 v108, v6
	v_mov_b32_e32 v109, v7
	ds_write2_b64 v100, v[106:107], v[108:109] offset0:42 offset1:43
	v_mov_b32_e32 v106, v0
	v_mov_b32_e32 v107, v1
	;; [unrolled: 1-line block ×3, first 2 shown]
	ds_write2_b64 v100, v[106:107], v[94:95] offset0:44 offset1:45
.LBB90_129:
	s_or_b64 exec, exec, s[0:1]
	v_cmp_lt_i32_e32 vcc, 7, v101
	s_waitcnt lgkmcnt(0)
	s_barrier
	s_and_saveexec_b64 s[0:1], vcc
	s_cbranch_execz .LBB90_131
; %bb.130:
	ds_read2_b64 v[106:109], v100 offset0:8 offset1:9
	ds_read2_b64 v[110:113], v100 offset0:10 offset1:11
	v_mul_f64 v[78:79], v[96:97], v[78:79]
	ds_read2_b64 v[114:117], v100 offset0:12 offset1:13
	s_waitcnt lgkmcnt(0)
	v_fma_f64 v[76:77], -v[78:79], v[106:107], v[76:77]
	v_fma_f64 v[74:75], -v[78:79], v[108:109], v[74:75]
	ds_read2_b64 v[106:109], v100 offset0:14 offset1:15
	v_fma_f64 v[72:73], -v[78:79], v[110:111], v[72:73]
	v_fma_f64 v[70:71], -v[78:79], v[112:113], v[70:71]
	;; [unrolled: 1-line block ×3, first 2 shown]
	ds_read2_b64 v[110:113], v100 offset0:16 offset1:17
	v_fma_f64 v[68:69], -v[78:79], v[116:117], v[68:69]
	ds_read2_b64 v[114:117], v100 offset0:18 offset1:19
	s_waitcnt lgkmcnt(0)
	v_fma_f64 v[64:65], -v[78:79], v[106:107], v[64:65]
	v_fma_f64 v[62:63], -v[78:79], v[108:109], v[62:63]
	ds_read2_b64 v[106:109], v100 offset0:20 offset1:21
	v_fma_f64 v[60:61], -v[78:79], v[110:111], v[60:61]
	v_fma_f64 v[58:59], -v[78:79], v[112:113], v[58:59]
	ds_read2_b64 v[110:113], v100 offset0:22 offset1:23
	v_fma_f64 v[56:57], -v[78:79], v[114:115], v[56:57]
	v_fma_f64 v[54:55], -v[78:79], v[116:117], v[54:55]
	s_waitcnt lgkmcnt(0)
	v_fma_f64 v[52:53], -v[78:79], v[106:107], v[52:53]
	ds_read2_b64 v[114:117], v100 offset0:24 offset1:25
	v_fma_f64 v[50:51], -v[78:79], v[108:109], v[50:51]
	ds_read2_b64 v[106:109], v100 offset0:26 offset1:27
	v_fma_f64 v[48:49], -v[78:79], v[110:111], v[48:49]
	v_fma_f64 v[46:47], -v[78:79], v[112:113], v[46:47]
	s_waitcnt lgkmcnt(0)
	v_fma_f64 v[44:45], -v[78:79], v[114:115], v[44:45]
	ds_read2_b64 v[110:113], v100 offset0:28 offset1:29
	v_fma_f64 v[40:41], -v[78:79], v[116:117], v[40:41]
	ds_read2_b64 v[114:117], v100 offset0:30 offset1:31
	v_fma_f64 v[42:43], -v[78:79], v[106:107], v[42:43]
	v_fma_f64 v[38:39], -v[78:79], v[108:109], v[38:39]
	ds_read2_b64 v[106:109], v100 offset0:32 offset1:33
	s_waitcnt lgkmcnt(0)
	v_fma_f64 v[36:37], -v[78:79], v[110:111], v[36:37]
	v_fma_f64 v[34:35], -v[78:79], v[112:113], v[34:35]
	ds_read2_b64 v[110:113], v100 offset0:34 offset1:35
	v_fma_f64 v[32:33], -v[78:79], v[114:115], v[32:33]
	v_fma_f64 v[30:31], -v[78:79], v[116:117], v[30:31]
	;; [unrolled: 1-line block ×3, first 2 shown]
	ds_read2_b64 v[114:117], v100 offset0:36 offset1:37
	v_fma_f64 v[26:27], -v[78:79], v[108:109], v[26:27]
	ds_read2_b64 v[106:109], v100 offset0:38 offset1:39
	s_waitcnt lgkmcnt(0)
	v_fma_f64 v[24:25], -v[78:79], v[110:111], v[24:25]
	v_fma_f64 v[22:23], -v[78:79], v[112:113], v[22:23]
	;; [unrolled: 1-line block ×4, first 2 shown]
	ds_read2_b64 v[110:113], v100 offset0:40 offset1:41
	ds_read2_b64 v[114:117], v100 offset0:42 offset1:43
	v_fma_f64 v[14:15], -v[78:79], v[106:107], v[14:15]
	v_fma_f64 v[16:17], -v[78:79], v[108:109], v[16:17]
	ds_read2_b64 v[106:109], v100 offset0:44 offset1:45
	s_waitcnt lgkmcnt(0)
	v_fma_f64 v[12:13], -v[78:79], v[110:111], v[12:13]
	v_fma_f64 v[10:11], -v[78:79], v[112:113], v[10:11]
	v_fma_f64 v[8:9], -v[78:79], v[114:115], v[8:9]
	v_fma_f64 v[6:7], -v[78:79], v[116:117], v[6:7]
	v_fma_f64 v[0:1], -v[78:79], v[106:107], v[0:1]
	v_fma_f64 v[94:95], -v[78:79], v[108:109], v[94:95]
.LBB90_131:
	s_or_b64 exec, exec, s[0:1]
	v_lshl_add_u32 v96, v101, 3, v100
	s_barrier
	ds_write_b64 v96, v[76:77]
	s_waitcnt lgkmcnt(0)
	s_barrier
	ds_read_b64 v[96:97], v100 offset:64
	s_cmp_lt_i32 s18, 10
	v_mov_b32_e32 v98, 8
	s_cbranch_scc1 .LBB90_134
; %bb.132:
	v_add_u32_e32 v105, 0x48, v100
	s_mov_b32 s0, 9
	v_mov_b32_e32 v98, 8
.LBB90_133:                             ; =>This Inner Loop Header: Depth=1
	ds_read_b64 v[106:107], v105
	v_mov_b32_e32 v108, s0
	s_add_i32 s0, s0, 1
	v_add_u32_e32 v105, 8, v105
	s_cmp_lg_u32 s18, s0
	s_waitcnt lgkmcnt(0)
	v_cmp_lt_f64_e64 vcc, |v[96:97]|, |v[106:107]|
	v_cndmask_b32_e32 v97, v97, v107, vcc
	v_cndmask_b32_e32 v96, v96, v106, vcc
	;; [unrolled: 1-line block ×3, first 2 shown]
	s_cbranch_scc1 .LBB90_133
.LBB90_134:
	s_waitcnt lgkmcnt(0)
	v_cmp_eq_f64_e32 vcc, 0, v[96:97]
	s_and_saveexec_b64 s[0:1], vcc
	s_xor_b64 s[0:1], exec, s[0:1]
; %bb.135:
	v_cmp_ne_u32_e32 vcc, 0, v104
	v_cndmask_b32_e32 v104, 9, v104, vcc
; %bb.136:
	s_andn2_saveexec_b64 s[0:1], s[0:1]
; %bb.137:
	v_div_scale_f64 v[106:107], s[2:3], v[96:97], v[96:97], 1.0
	v_rcp_f64_e32 v[108:109], v[106:107]
	v_div_scale_f64 v[110:111], vcc, 1.0, v[96:97], 1.0
	v_fma_f64 v[112:113], -v[106:107], v[108:109], 1.0
	v_fmac_f64_e32 v[108:109], v[108:109], v[112:113]
	v_fma_f64 v[112:113], -v[106:107], v[108:109], 1.0
	v_fmac_f64_e32 v[108:109], v[108:109], v[112:113]
	v_mul_f64 v[112:113], v[110:111], v[108:109]
	v_fma_f64 v[106:107], -v[106:107], v[112:113], v[110:111]
	v_div_fmas_f64 v[106:107], v[106:107], v[108:109], v[112:113]
	v_div_fixup_f64 v[96:97], v[106:107], v[96:97], 1.0
; %bb.138:
	s_or_b64 exec, exec, s[0:1]
	v_cmp_ne_u32_e32 vcc, v101, v98
	s_and_saveexec_b64 s[0:1], vcc
	s_xor_b64 s[0:1], exec, s[0:1]
	s_cbranch_execz .LBB90_144
; %bb.139:
	v_cmp_eq_u32_e32 vcc, 8, v101
	s_and_saveexec_b64 s[2:3], vcc
	s_cbranch_execz .LBB90_143
; %bb.140:
	v_cmp_ne_u32_e32 vcc, 8, v98
	s_xor_b64 s[14:15], s[6:7], -1
	s_and_b64 s[16:17], s[14:15], vcc
	s_and_saveexec_b64 s[14:15], s[16:17]
	s_cbranch_execz .LBB90_142
; %bb.141:
	v_ashrrev_i32_e32 v99, 31, v98
	v_lshlrev_b64 v[106:107], 2, v[98:99]
	v_add_co_u32_e32 v106, vcc, v4, v106
	v_addc_co_u32_e32 v107, vcc, v5, v107, vcc
	flat_load_dword v99, v[106:107]
	flat_load_dword v101, v[4:5] offset:32
	s_waitcnt vmcnt(0) lgkmcnt(0)
	flat_store_dword v[4:5], v99 offset:32
	flat_store_dword v[106:107], v101
.LBB90_142:
	s_or_b64 exec, exec, s[14:15]
	v_mov_b32_e32 v99, v98
	v_mov_b32_e32 v101, v98
.LBB90_143:
	s_or_b64 exec, exec, s[2:3]
.LBB90_144:
	s_andn2_saveexec_b64 s[0:1], s[0:1]
	s_cbranch_execz .LBB90_146
; %bb.145:
	v_mov_b32_e32 v101, 8
	ds_write2_b64 v100, v[74:75], v[72:73] offset0:9 offset1:10
	ds_write2_b64 v100, v[70:71], v[66:67] offset0:11 offset1:12
	;; [unrolled: 1-line block ×18, first 2 shown]
	ds_write_b64 v100, v[94:95] offset:360
.LBB90_146:
	s_or_b64 exec, exec, s[0:1]
	v_cmp_lt_i32_e32 vcc, 8, v101
	s_waitcnt lgkmcnt(0)
	s_barrier
	s_and_saveexec_b64 s[0:1], vcc
	s_cbranch_execz .LBB90_148
; %bb.147:
	ds_read2_b64 v[106:109], v100 offset0:9 offset1:10
	ds_read2_b64 v[110:113], v100 offset0:11 offset1:12
	;; [unrolled: 1-line block ×3, first 2 shown]
	v_mul_f64 v[76:77], v[96:97], v[76:77]
	ds_read_b64 v[96:97], v100 offset:360
	s_waitcnt lgkmcnt(0)
	v_fma_f64 v[74:75], -v[76:77], v[106:107], v[74:75]
	v_fma_f64 v[72:73], -v[76:77], v[108:109], v[72:73]
	ds_read2_b64 v[106:109], v100 offset0:15 offset1:16
	v_fma_f64 v[70:71], -v[76:77], v[110:111], v[70:71]
	v_fma_f64 v[66:67], -v[76:77], v[112:113], v[66:67]
	;; [unrolled: 1-line block ×3, first 2 shown]
	ds_read2_b64 v[110:113], v100 offset0:17 offset1:18
	v_fma_f64 v[64:65], -v[76:77], v[116:117], v[64:65]
	ds_read2_b64 v[114:117], v100 offset0:19 offset1:20
	s_waitcnt lgkmcnt(0)
	v_fma_f64 v[62:63], -v[76:77], v[106:107], v[62:63]
	v_fma_f64 v[60:61], -v[76:77], v[108:109], v[60:61]
	;; [unrolled: 1-line block ×3, first 2 shown]
	ds_read2_b64 v[106:109], v100 offset0:21 offset1:22
	v_fma_f64 v[56:57], -v[76:77], v[112:113], v[56:57]
	ds_read2_b64 v[110:113], v100 offset0:23 offset1:24
	v_fma_f64 v[54:55], -v[76:77], v[114:115], v[54:55]
	v_fma_f64 v[52:53], -v[76:77], v[116:117], v[52:53]
	ds_read2_b64 v[114:117], v100 offset0:25 offset1:26
	s_waitcnt lgkmcnt(0)
	v_fma_f64 v[50:51], -v[76:77], v[106:107], v[50:51]
	v_fma_f64 v[48:49], -v[76:77], v[108:109], v[48:49]
	ds_read2_b64 v[106:109], v100 offset0:27 offset1:28
	v_fma_f64 v[46:47], -v[76:77], v[110:111], v[46:47]
	v_fma_f64 v[44:45], -v[76:77], v[112:113], v[44:45]
	;; [unrolled: 1-line block ×3, first 2 shown]
	ds_read2_b64 v[110:113], v100 offset0:29 offset1:30
	v_fma_f64 v[42:43], -v[76:77], v[116:117], v[42:43]
	ds_read2_b64 v[114:117], v100 offset0:31 offset1:32
	s_waitcnt lgkmcnt(0)
	v_fma_f64 v[38:39], -v[76:77], v[106:107], v[38:39]
	v_fma_f64 v[36:37], -v[76:77], v[108:109], v[36:37]
	;; [unrolled: 1-line block ×3, first 2 shown]
	ds_read2_b64 v[106:109], v100 offset0:33 offset1:34
	v_fma_f64 v[32:33], -v[76:77], v[112:113], v[32:33]
	ds_read2_b64 v[110:113], v100 offset0:35 offset1:36
	v_fma_f64 v[30:31], -v[76:77], v[114:115], v[30:31]
	v_fma_f64 v[28:29], -v[76:77], v[116:117], v[28:29]
	ds_read2_b64 v[114:117], v100 offset0:37 offset1:38
	s_waitcnt lgkmcnt(0)
	v_fma_f64 v[26:27], -v[76:77], v[106:107], v[26:27]
	v_fma_f64 v[24:25], -v[76:77], v[108:109], v[24:25]
	ds_read2_b64 v[106:109], v100 offset0:39 offset1:40
	v_fma_f64 v[22:23], -v[76:77], v[110:111], v[22:23]
	v_fma_f64 v[20:21], -v[76:77], v[112:113], v[20:21]
	v_fma_f64 v[18:19], -v[76:77], v[114:115], v[18:19]
	v_fma_f64 v[14:15], -v[76:77], v[116:117], v[14:15]
	ds_read2_b64 v[110:113], v100 offset0:41 offset1:42
	ds_read2_b64 v[114:117], v100 offset0:43 offset1:44
	s_waitcnt lgkmcnt(0)
	v_fma_f64 v[16:17], -v[76:77], v[106:107], v[16:17]
	v_fma_f64 v[12:13], -v[76:77], v[108:109], v[12:13]
	v_fma_f64 v[94:95], -v[76:77], v[96:97], v[94:95]
	v_fma_f64 v[10:11], -v[76:77], v[110:111], v[10:11]
	v_fma_f64 v[8:9], -v[76:77], v[112:113], v[8:9]
	v_fma_f64 v[6:7], -v[76:77], v[114:115], v[6:7]
	v_fma_f64 v[0:1], -v[76:77], v[116:117], v[0:1]
.LBB90_148:
	s_or_b64 exec, exec, s[0:1]
	v_lshl_add_u32 v96, v101, 3, v100
	s_barrier
	ds_write_b64 v96, v[74:75]
	s_waitcnt lgkmcnt(0)
	s_barrier
	ds_read_b64 v[96:97], v100 offset:72
	s_cmp_lt_i32 s18, 11
	v_mov_b32_e32 v98, 9
	s_cbranch_scc1 .LBB90_151
; %bb.149:
	v_add_u32_e32 v105, 0x50, v100
	s_mov_b32 s0, 10
	v_mov_b32_e32 v98, 9
.LBB90_150:                             ; =>This Inner Loop Header: Depth=1
	ds_read_b64 v[106:107], v105
	v_mov_b32_e32 v108, s0
	s_add_i32 s0, s0, 1
	v_add_u32_e32 v105, 8, v105
	s_cmp_lg_u32 s18, s0
	s_waitcnt lgkmcnt(0)
	v_cmp_lt_f64_e64 vcc, |v[96:97]|, |v[106:107]|
	v_cndmask_b32_e32 v97, v97, v107, vcc
	v_cndmask_b32_e32 v96, v96, v106, vcc
	v_cndmask_b32_e32 v98, v98, v108, vcc
	s_cbranch_scc1 .LBB90_150
.LBB90_151:
	s_waitcnt lgkmcnt(0)
	v_cmp_eq_f64_e32 vcc, 0, v[96:97]
	s_and_saveexec_b64 s[0:1], vcc
	s_xor_b64 s[0:1], exec, s[0:1]
; %bb.152:
	v_cmp_ne_u32_e32 vcc, 0, v104
	v_cndmask_b32_e32 v104, 10, v104, vcc
; %bb.153:
	s_andn2_saveexec_b64 s[0:1], s[0:1]
; %bb.154:
	v_div_scale_f64 v[106:107], s[2:3], v[96:97], v[96:97], 1.0
	v_rcp_f64_e32 v[108:109], v[106:107]
	v_div_scale_f64 v[110:111], vcc, 1.0, v[96:97], 1.0
	v_fma_f64 v[112:113], -v[106:107], v[108:109], 1.0
	v_fmac_f64_e32 v[108:109], v[108:109], v[112:113]
	v_fma_f64 v[112:113], -v[106:107], v[108:109], 1.0
	v_fmac_f64_e32 v[108:109], v[108:109], v[112:113]
	v_mul_f64 v[112:113], v[110:111], v[108:109]
	v_fma_f64 v[106:107], -v[106:107], v[112:113], v[110:111]
	v_div_fmas_f64 v[106:107], v[106:107], v[108:109], v[112:113]
	v_div_fixup_f64 v[96:97], v[106:107], v[96:97], 1.0
; %bb.155:
	s_or_b64 exec, exec, s[0:1]
	v_cmp_ne_u32_e32 vcc, v101, v98
	s_and_saveexec_b64 s[0:1], vcc
	s_xor_b64 s[0:1], exec, s[0:1]
	s_cbranch_execz .LBB90_161
; %bb.156:
	v_cmp_eq_u32_e32 vcc, 9, v101
	s_and_saveexec_b64 s[2:3], vcc
	s_cbranch_execz .LBB90_160
; %bb.157:
	v_cmp_ne_u32_e32 vcc, 9, v98
	s_xor_b64 s[14:15], s[6:7], -1
	s_and_b64 s[16:17], s[14:15], vcc
	s_and_saveexec_b64 s[14:15], s[16:17]
	s_cbranch_execz .LBB90_159
; %bb.158:
	v_ashrrev_i32_e32 v99, 31, v98
	v_lshlrev_b64 v[106:107], 2, v[98:99]
	v_add_co_u32_e32 v106, vcc, v4, v106
	v_addc_co_u32_e32 v107, vcc, v5, v107, vcc
	flat_load_dword v99, v[106:107]
	flat_load_dword v101, v[4:5] offset:36
	s_waitcnt vmcnt(0) lgkmcnt(0)
	flat_store_dword v[4:5], v99 offset:36
	flat_store_dword v[106:107], v101
.LBB90_159:
	s_or_b64 exec, exec, s[14:15]
	v_mov_b32_e32 v99, v98
	v_mov_b32_e32 v101, v98
.LBB90_160:
	s_or_b64 exec, exec, s[2:3]
.LBB90_161:
	s_andn2_saveexec_b64 s[0:1], s[0:1]
	s_cbranch_execz .LBB90_163
; %bb.162:
	v_mov_b32_e32 v106, v72
	v_mov_b32_e32 v107, v73
	v_mov_b32_e32 v108, v70
	v_mov_b32_e32 v109, v71
	ds_write2_b64 v100, v[106:107], v[108:109] offset0:10 offset1:11
	v_mov_b32_e32 v106, v66
	v_mov_b32_e32 v107, v67
	v_mov_b32_e32 v108, v68
	v_mov_b32_e32 v109, v69
	ds_write2_b64 v100, v[106:107], v[108:109] offset0:12 offset1:13
	v_mov_b32_e32 v106, v64
	v_mov_b32_e32 v107, v65
	v_mov_b32_e32 v108, v62
	v_mov_b32_e32 v109, v63
	ds_write2_b64 v100, v[106:107], v[108:109] offset0:14 offset1:15
	v_mov_b32_e32 v106, v60
	v_mov_b32_e32 v107, v61
	v_mov_b32_e32 v108, v58
	v_mov_b32_e32 v109, v59
	ds_write2_b64 v100, v[106:107], v[108:109] offset0:16 offset1:17
	v_mov_b32_e32 v106, v56
	v_mov_b32_e32 v107, v57
	v_mov_b32_e32 v108, v54
	v_mov_b32_e32 v109, v55
	ds_write2_b64 v100, v[106:107], v[108:109] offset0:18 offset1:19
	v_mov_b32_e32 v106, v52
	v_mov_b32_e32 v107, v53
	v_mov_b32_e32 v108, v50
	v_mov_b32_e32 v109, v51
	ds_write2_b64 v100, v[106:107], v[108:109] offset0:20 offset1:21
	v_mov_b32_e32 v106, v48
	v_mov_b32_e32 v107, v49
	v_mov_b32_e32 v108, v46
	v_mov_b32_e32 v109, v47
	ds_write2_b64 v100, v[106:107], v[108:109] offset0:22 offset1:23
	v_mov_b32_e32 v106, v44
	v_mov_b32_e32 v107, v45
	v_mov_b32_e32 v108, v40
	v_mov_b32_e32 v109, v41
	ds_write2_b64 v100, v[106:107], v[108:109] offset0:24 offset1:25
	v_mov_b32_e32 v106, v42
	v_mov_b32_e32 v107, v43
	v_mov_b32_e32 v108, v38
	v_mov_b32_e32 v109, v39
	ds_write2_b64 v100, v[106:107], v[108:109] offset0:26 offset1:27
	v_mov_b32_e32 v106, v36
	v_mov_b32_e32 v107, v37
	v_mov_b32_e32 v108, v34
	v_mov_b32_e32 v109, v35
	ds_write2_b64 v100, v[106:107], v[108:109] offset0:28 offset1:29
	v_mov_b32_e32 v106, v32
	v_mov_b32_e32 v107, v33
	v_mov_b32_e32 v108, v30
	v_mov_b32_e32 v109, v31
	ds_write2_b64 v100, v[106:107], v[108:109] offset0:30 offset1:31
	v_mov_b32_e32 v106, v28
	v_mov_b32_e32 v107, v29
	v_mov_b32_e32 v108, v26
	v_mov_b32_e32 v109, v27
	ds_write2_b64 v100, v[106:107], v[108:109] offset0:32 offset1:33
	v_mov_b32_e32 v106, v24
	v_mov_b32_e32 v107, v25
	v_mov_b32_e32 v108, v22
	v_mov_b32_e32 v109, v23
	ds_write2_b64 v100, v[106:107], v[108:109] offset0:34 offset1:35
	v_mov_b32_e32 v106, v20
	v_mov_b32_e32 v107, v21
	v_mov_b32_e32 v108, v18
	v_mov_b32_e32 v109, v19
	ds_write2_b64 v100, v[106:107], v[108:109] offset0:36 offset1:37
	v_mov_b32_e32 v106, v14
	v_mov_b32_e32 v107, v15
	v_mov_b32_e32 v108, v16
	v_mov_b32_e32 v109, v17
	ds_write2_b64 v100, v[106:107], v[108:109] offset0:38 offset1:39
	v_mov_b32_e32 v106, v12
	v_mov_b32_e32 v107, v13
	v_mov_b32_e32 v108, v10
	v_mov_b32_e32 v109, v11
	ds_write2_b64 v100, v[106:107], v[108:109] offset0:40 offset1:41
	v_mov_b32_e32 v106, v8
	v_mov_b32_e32 v107, v9
	v_mov_b32_e32 v108, v6
	v_mov_b32_e32 v109, v7
	ds_write2_b64 v100, v[106:107], v[108:109] offset0:42 offset1:43
	v_mov_b32_e32 v106, v0
	v_mov_b32_e32 v107, v1
	;; [unrolled: 1-line block ×3, first 2 shown]
	ds_write2_b64 v100, v[106:107], v[94:95] offset0:44 offset1:45
.LBB90_163:
	s_or_b64 exec, exec, s[0:1]
	v_cmp_lt_i32_e32 vcc, 9, v101
	s_waitcnt lgkmcnt(0)
	s_barrier
	s_and_saveexec_b64 s[0:1], vcc
	s_cbranch_execz .LBB90_165
; %bb.164:
	ds_read2_b64 v[106:109], v100 offset0:10 offset1:11
	ds_read2_b64 v[110:113], v100 offset0:12 offset1:13
	;; [unrolled: 1-line block ×3, first 2 shown]
	v_mul_f64 v[74:75], v[96:97], v[74:75]
	s_waitcnt lgkmcnt(0)
	v_fma_f64 v[72:73], -v[74:75], v[106:107], v[72:73]
	v_fma_f64 v[70:71], -v[74:75], v[108:109], v[70:71]
	ds_read2_b64 v[106:109], v100 offset0:16 offset1:17
	v_fma_f64 v[66:67], -v[74:75], v[110:111], v[66:67]
	v_fma_f64 v[68:69], -v[74:75], v[112:113], v[68:69]
	;; [unrolled: 1-line block ×3, first 2 shown]
	ds_read2_b64 v[110:113], v100 offset0:18 offset1:19
	v_fma_f64 v[62:63], -v[74:75], v[116:117], v[62:63]
	ds_read2_b64 v[114:117], v100 offset0:20 offset1:21
	s_waitcnt lgkmcnt(0)
	v_fma_f64 v[60:61], -v[74:75], v[106:107], v[60:61]
	v_fma_f64 v[58:59], -v[74:75], v[108:109], v[58:59]
	;; [unrolled: 1-line block ×3, first 2 shown]
	ds_read2_b64 v[106:109], v100 offset0:22 offset1:23
	v_fma_f64 v[54:55], -v[74:75], v[112:113], v[54:55]
	ds_read2_b64 v[110:113], v100 offset0:24 offset1:25
	v_fma_f64 v[52:53], -v[74:75], v[114:115], v[52:53]
	v_fma_f64 v[50:51], -v[74:75], v[116:117], v[50:51]
	ds_read2_b64 v[114:117], v100 offset0:26 offset1:27
	s_waitcnt lgkmcnt(0)
	v_fma_f64 v[48:49], -v[74:75], v[106:107], v[48:49]
	v_fma_f64 v[46:47], -v[74:75], v[108:109], v[46:47]
	ds_read2_b64 v[106:109], v100 offset0:28 offset1:29
	v_fma_f64 v[44:45], -v[74:75], v[110:111], v[44:45]
	v_fma_f64 v[40:41], -v[74:75], v[112:113], v[40:41]
	;; [unrolled: 1-line block ×3, first 2 shown]
	ds_read2_b64 v[110:113], v100 offset0:30 offset1:31
	v_fma_f64 v[38:39], -v[74:75], v[116:117], v[38:39]
	ds_read2_b64 v[114:117], v100 offset0:32 offset1:33
	s_waitcnt lgkmcnt(0)
	v_fma_f64 v[36:37], -v[74:75], v[106:107], v[36:37]
	v_fma_f64 v[34:35], -v[74:75], v[108:109], v[34:35]
	;; [unrolled: 1-line block ×3, first 2 shown]
	ds_read2_b64 v[106:109], v100 offset0:34 offset1:35
	v_fma_f64 v[30:31], -v[74:75], v[112:113], v[30:31]
	ds_read2_b64 v[110:113], v100 offset0:36 offset1:37
	v_fma_f64 v[28:29], -v[74:75], v[114:115], v[28:29]
	v_fma_f64 v[26:27], -v[74:75], v[116:117], v[26:27]
	ds_read2_b64 v[114:117], v100 offset0:38 offset1:39
	s_waitcnt lgkmcnt(0)
	v_fma_f64 v[24:25], -v[74:75], v[106:107], v[24:25]
	v_fma_f64 v[22:23], -v[74:75], v[108:109], v[22:23]
	ds_read2_b64 v[106:109], v100 offset0:40 offset1:41
	v_fma_f64 v[20:21], -v[74:75], v[110:111], v[20:21]
	v_fma_f64 v[18:19], -v[74:75], v[112:113], v[18:19]
	;; [unrolled: 1-line block ×3, first 2 shown]
	ds_read2_b64 v[110:113], v100 offset0:42 offset1:43
	v_fma_f64 v[16:17], -v[74:75], v[116:117], v[16:17]
	ds_read2_b64 v[114:117], v100 offset0:44 offset1:45
	s_waitcnt lgkmcnt(0)
	v_fma_f64 v[12:13], -v[74:75], v[106:107], v[12:13]
	v_fma_f64 v[10:11], -v[74:75], v[108:109], v[10:11]
	;; [unrolled: 1-line block ×6, first 2 shown]
.LBB90_165:
	s_or_b64 exec, exec, s[0:1]
	v_lshl_add_u32 v96, v101, 3, v100
	s_barrier
	ds_write_b64 v96, v[72:73]
	s_waitcnt lgkmcnt(0)
	s_barrier
	ds_read_b64 v[96:97], v100 offset:80
	s_cmp_lt_i32 s18, 12
	v_mov_b32_e32 v98, 10
	s_cbranch_scc1 .LBB90_168
; %bb.166:
	v_add_u32_e32 v105, 0x58, v100
	s_mov_b32 s0, 11
	v_mov_b32_e32 v98, 10
.LBB90_167:                             ; =>This Inner Loop Header: Depth=1
	ds_read_b64 v[106:107], v105
	v_mov_b32_e32 v108, s0
	s_add_i32 s0, s0, 1
	v_add_u32_e32 v105, 8, v105
	s_cmp_lg_u32 s18, s0
	s_waitcnt lgkmcnt(0)
	v_cmp_lt_f64_e64 vcc, |v[96:97]|, |v[106:107]|
	v_cndmask_b32_e32 v97, v97, v107, vcc
	v_cndmask_b32_e32 v96, v96, v106, vcc
	;; [unrolled: 1-line block ×3, first 2 shown]
	s_cbranch_scc1 .LBB90_167
.LBB90_168:
	s_waitcnt lgkmcnt(0)
	v_cmp_eq_f64_e32 vcc, 0, v[96:97]
	s_and_saveexec_b64 s[0:1], vcc
	s_xor_b64 s[0:1], exec, s[0:1]
; %bb.169:
	v_cmp_ne_u32_e32 vcc, 0, v104
	v_cndmask_b32_e32 v104, 11, v104, vcc
; %bb.170:
	s_andn2_saveexec_b64 s[0:1], s[0:1]
; %bb.171:
	v_div_scale_f64 v[106:107], s[2:3], v[96:97], v[96:97], 1.0
	v_rcp_f64_e32 v[108:109], v[106:107]
	v_div_scale_f64 v[110:111], vcc, 1.0, v[96:97], 1.0
	v_fma_f64 v[112:113], -v[106:107], v[108:109], 1.0
	v_fmac_f64_e32 v[108:109], v[108:109], v[112:113]
	v_fma_f64 v[112:113], -v[106:107], v[108:109], 1.0
	v_fmac_f64_e32 v[108:109], v[108:109], v[112:113]
	v_mul_f64 v[112:113], v[110:111], v[108:109]
	v_fma_f64 v[106:107], -v[106:107], v[112:113], v[110:111]
	v_div_fmas_f64 v[106:107], v[106:107], v[108:109], v[112:113]
	v_div_fixup_f64 v[96:97], v[106:107], v[96:97], 1.0
; %bb.172:
	s_or_b64 exec, exec, s[0:1]
	v_cmp_ne_u32_e32 vcc, v101, v98
	s_and_saveexec_b64 s[0:1], vcc
	s_xor_b64 s[0:1], exec, s[0:1]
	s_cbranch_execz .LBB90_178
; %bb.173:
	v_cmp_eq_u32_e32 vcc, 10, v101
	s_and_saveexec_b64 s[2:3], vcc
	s_cbranch_execz .LBB90_177
; %bb.174:
	v_cmp_ne_u32_e32 vcc, 10, v98
	s_xor_b64 s[14:15], s[6:7], -1
	s_and_b64 s[16:17], s[14:15], vcc
	s_and_saveexec_b64 s[14:15], s[16:17]
	s_cbranch_execz .LBB90_176
; %bb.175:
	v_ashrrev_i32_e32 v99, 31, v98
	v_lshlrev_b64 v[106:107], 2, v[98:99]
	v_add_co_u32_e32 v106, vcc, v4, v106
	v_addc_co_u32_e32 v107, vcc, v5, v107, vcc
	flat_load_dword v99, v[106:107]
	flat_load_dword v101, v[4:5] offset:40
	s_waitcnt vmcnt(0) lgkmcnt(0)
	flat_store_dword v[4:5], v99 offset:40
	flat_store_dword v[106:107], v101
.LBB90_176:
	s_or_b64 exec, exec, s[14:15]
	v_mov_b32_e32 v99, v98
	v_mov_b32_e32 v101, v98
.LBB90_177:
	s_or_b64 exec, exec, s[2:3]
.LBB90_178:
	s_andn2_saveexec_b64 s[0:1], s[0:1]
	s_cbranch_execz .LBB90_180
; %bb.179:
	v_mov_b32_e32 v101, 10
	ds_write2_b64 v100, v[70:71], v[66:67] offset0:11 offset1:12
	ds_write2_b64 v100, v[68:69], v[64:65] offset0:13 offset1:14
	;; [unrolled: 1-line block ×17, first 2 shown]
	ds_write_b64 v100, v[94:95] offset:360
.LBB90_180:
	s_or_b64 exec, exec, s[0:1]
	v_cmp_lt_i32_e32 vcc, 10, v101
	s_waitcnt lgkmcnt(0)
	s_barrier
	s_and_saveexec_b64 s[0:1], vcc
	s_cbranch_execz .LBB90_182
; %bb.181:
	ds_read2_b64 v[106:109], v100 offset0:11 offset1:12
	ds_read2_b64 v[110:113], v100 offset0:13 offset1:14
	v_mul_f64 v[72:73], v[96:97], v[72:73]
	ds_read2_b64 v[114:117], v100 offset0:15 offset1:16
	ds_read_b64 v[96:97], v100 offset:360
	s_waitcnt lgkmcnt(0)
	v_fma_f64 v[70:71], -v[72:73], v[106:107], v[70:71]
	v_fma_f64 v[66:67], -v[72:73], v[108:109], v[66:67]
	ds_read2_b64 v[106:109], v100 offset0:17 offset1:18
	v_fma_f64 v[68:69], -v[72:73], v[110:111], v[68:69]
	v_fma_f64 v[64:65], -v[72:73], v[112:113], v[64:65]
	ds_read2_b64 v[110:113], v100 offset0:19 offset1:20
	;; [unrolled: 3-line block ×3, first 2 shown]
	s_waitcnt lgkmcnt(0)
	v_fma_f64 v[58:59], -v[72:73], v[106:107], v[58:59]
	v_fma_f64 v[56:57], -v[72:73], v[108:109], v[56:57]
	;; [unrolled: 1-line block ×3, first 2 shown]
	ds_read2_b64 v[106:109], v100 offset0:23 offset1:24
	v_fma_f64 v[52:53], -v[72:73], v[112:113], v[52:53]
	ds_read2_b64 v[110:113], v100 offset0:25 offset1:26
	v_fma_f64 v[50:51], -v[72:73], v[114:115], v[50:51]
	v_fma_f64 v[48:49], -v[72:73], v[116:117], v[48:49]
	s_waitcnt lgkmcnt(0)
	v_fma_f64 v[46:47], -v[72:73], v[106:107], v[46:47]
	ds_read2_b64 v[114:117], v100 offset0:27 offset1:28
	v_fma_f64 v[44:45], -v[72:73], v[108:109], v[44:45]
	ds_read2_b64 v[106:109], v100 offset0:29 offset1:30
	v_fma_f64 v[40:41], -v[72:73], v[110:111], v[40:41]
	v_fma_f64 v[42:43], -v[72:73], v[112:113], v[42:43]
	ds_read2_b64 v[110:113], v100 offset0:31 offset1:32
	s_waitcnt lgkmcnt(0)
	v_fma_f64 v[38:39], -v[72:73], v[114:115], v[38:39]
	v_fma_f64 v[36:37], -v[72:73], v[116:117], v[36:37]
	ds_read2_b64 v[114:117], v100 offset0:33 offset1:34
	v_fma_f64 v[34:35], -v[72:73], v[106:107], v[34:35]
	v_fma_f64 v[32:33], -v[72:73], v[108:109], v[32:33]
	;; [unrolled: 1-line block ×3, first 2 shown]
	ds_read2_b64 v[106:109], v100 offset0:35 offset1:36
	v_fma_f64 v[28:29], -v[72:73], v[112:113], v[28:29]
	ds_read2_b64 v[110:113], v100 offset0:37 offset1:38
	s_waitcnt lgkmcnt(0)
	v_fma_f64 v[26:27], -v[72:73], v[114:115], v[26:27]
	v_fma_f64 v[24:25], -v[72:73], v[116:117], v[24:25]
	;; [unrolled: 1-line block ×3, first 2 shown]
	ds_read2_b64 v[114:117], v100 offset0:39 offset1:40
	v_fma_f64 v[20:21], -v[72:73], v[108:109], v[20:21]
	ds_read2_b64 v[106:109], v100 offset0:41 offset1:42
	v_fma_f64 v[18:19], -v[72:73], v[110:111], v[18:19]
	v_fma_f64 v[14:15], -v[72:73], v[112:113], v[14:15]
	ds_read2_b64 v[110:113], v100 offset0:43 offset1:44
	s_waitcnt lgkmcnt(0)
	v_fma_f64 v[16:17], -v[72:73], v[114:115], v[16:17]
	v_fma_f64 v[12:13], -v[72:73], v[116:117], v[12:13]
	;; [unrolled: 1-line block ×7, first 2 shown]
.LBB90_182:
	s_or_b64 exec, exec, s[0:1]
	v_lshl_add_u32 v96, v101, 3, v100
	s_barrier
	ds_write_b64 v96, v[70:71]
	s_waitcnt lgkmcnt(0)
	s_barrier
	ds_read_b64 v[96:97], v100 offset:88
	s_cmp_lt_i32 s18, 13
	v_mov_b32_e32 v98, 11
	s_cbranch_scc1 .LBB90_185
; %bb.183:
	v_add_u32_e32 v105, 0x60, v100
	s_mov_b32 s0, 12
	v_mov_b32_e32 v98, 11
.LBB90_184:                             ; =>This Inner Loop Header: Depth=1
	ds_read_b64 v[106:107], v105
	v_mov_b32_e32 v108, s0
	s_add_i32 s0, s0, 1
	v_add_u32_e32 v105, 8, v105
	s_cmp_lg_u32 s18, s0
	s_waitcnt lgkmcnt(0)
	v_cmp_lt_f64_e64 vcc, |v[96:97]|, |v[106:107]|
	v_cndmask_b32_e32 v97, v97, v107, vcc
	v_cndmask_b32_e32 v96, v96, v106, vcc
	;; [unrolled: 1-line block ×3, first 2 shown]
	s_cbranch_scc1 .LBB90_184
.LBB90_185:
	s_waitcnt lgkmcnt(0)
	v_cmp_eq_f64_e32 vcc, 0, v[96:97]
	s_and_saveexec_b64 s[0:1], vcc
	s_xor_b64 s[0:1], exec, s[0:1]
; %bb.186:
	v_cmp_ne_u32_e32 vcc, 0, v104
	v_cndmask_b32_e32 v104, 12, v104, vcc
; %bb.187:
	s_andn2_saveexec_b64 s[0:1], s[0:1]
; %bb.188:
	v_div_scale_f64 v[106:107], s[2:3], v[96:97], v[96:97], 1.0
	v_rcp_f64_e32 v[108:109], v[106:107]
	v_div_scale_f64 v[110:111], vcc, 1.0, v[96:97], 1.0
	v_fma_f64 v[112:113], -v[106:107], v[108:109], 1.0
	v_fmac_f64_e32 v[108:109], v[108:109], v[112:113]
	v_fma_f64 v[112:113], -v[106:107], v[108:109], 1.0
	v_fmac_f64_e32 v[108:109], v[108:109], v[112:113]
	v_mul_f64 v[112:113], v[110:111], v[108:109]
	v_fma_f64 v[106:107], -v[106:107], v[112:113], v[110:111]
	v_div_fmas_f64 v[106:107], v[106:107], v[108:109], v[112:113]
	v_div_fixup_f64 v[96:97], v[106:107], v[96:97], 1.0
; %bb.189:
	s_or_b64 exec, exec, s[0:1]
	v_cmp_ne_u32_e32 vcc, v101, v98
	s_and_saveexec_b64 s[0:1], vcc
	s_xor_b64 s[0:1], exec, s[0:1]
	s_cbranch_execz .LBB90_195
; %bb.190:
	v_cmp_eq_u32_e32 vcc, 11, v101
	s_and_saveexec_b64 s[2:3], vcc
	s_cbranch_execz .LBB90_194
; %bb.191:
	v_cmp_ne_u32_e32 vcc, 11, v98
	s_xor_b64 s[14:15], s[6:7], -1
	s_and_b64 s[16:17], s[14:15], vcc
	s_and_saveexec_b64 s[14:15], s[16:17]
	s_cbranch_execz .LBB90_193
; %bb.192:
	v_ashrrev_i32_e32 v99, 31, v98
	v_lshlrev_b64 v[106:107], 2, v[98:99]
	v_add_co_u32_e32 v106, vcc, v4, v106
	v_addc_co_u32_e32 v107, vcc, v5, v107, vcc
	flat_load_dword v99, v[106:107]
	flat_load_dword v101, v[4:5] offset:44
	s_waitcnt vmcnt(0) lgkmcnt(0)
	flat_store_dword v[4:5], v99 offset:44
	flat_store_dword v[106:107], v101
.LBB90_193:
	s_or_b64 exec, exec, s[14:15]
	v_mov_b32_e32 v99, v98
	v_mov_b32_e32 v101, v98
.LBB90_194:
	s_or_b64 exec, exec, s[2:3]
.LBB90_195:
	s_andn2_saveexec_b64 s[0:1], s[0:1]
	s_cbranch_execz .LBB90_197
; %bb.196:
	v_mov_b32_e32 v106, v66
	v_mov_b32_e32 v107, v67
	v_mov_b32_e32 v108, v68
	v_mov_b32_e32 v109, v69
	ds_write2_b64 v100, v[106:107], v[108:109] offset0:12 offset1:13
	v_mov_b32_e32 v106, v64
	v_mov_b32_e32 v107, v65
	v_mov_b32_e32 v108, v62
	v_mov_b32_e32 v109, v63
	ds_write2_b64 v100, v[106:107], v[108:109] offset0:14 offset1:15
	;; [unrolled: 5-line block ×16, first 2 shown]
	v_mov_b32_e32 v106, v0
	v_mov_b32_e32 v107, v1
	;; [unrolled: 1-line block ×3, first 2 shown]
	ds_write2_b64 v100, v[106:107], v[94:95] offset0:44 offset1:45
.LBB90_197:
	s_or_b64 exec, exec, s[0:1]
	v_cmp_lt_i32_e32 vcc, 11, v101
	s_waitcnt lgkmcnt(0)
	s_barrier
	s_and_saveexec_b64 s[0:1], vcc
	s_cbranch_execz .LBB90_199
; %bb.198:
	ds_read2_b64 v[106:109], v100 offset0:12 offset1:13
	ds_read2_b64 v[110:113], v100 offset0:14 offset1:15
	v_mul_f64 v[70:71], v[96:97], v[70:71]
	ds_read2_b64 v[114:117], v100 offset0:16 offset1:17
	s_waitcnt lgkmcnt(0)
	v_fma_f64 v[66:67], -v[70:71], v[106:107], v[66:67]
	v_fma_f64 v[68:69], -v[70:71], v[108:109], v[68:69]
	ds_read2_b64 v[106:109], v100 offset0:18 offset1:19
	v_fma_f64 v[64:65], -v[70:71], v[110:111], v[64:65]
	v_fma_f64 v[62:63], -v[70:71], v[112:113], v[62:63]
	ds_read2_b64 v[110:113], v100 offset0:20 offset1:21
	;; [unrolled: 3-line block ×3, first 2 shown]
	s_waitcnt lgkmcnt(0)
	v_fma_f64 v[56:57], -v[70:71], v[106:107], v[56:57]
	v_fma_f64 v[54:55], -v[70:71], v[108:109], v[54:55]
	;; [unrolled: 1-line block ×3, first 2 shown]
	ds_read2_b64 v[106:109], v100 offset0:24 offset1:25
	v_fma_f64 v[50:51], -v[70:71], v[112:113], v[50:51]
	ds_read2_b64 v[110:113], v100 offset0:26 offset1:27
	v_fma_f64 v[48:49], -v[70:71], v[114:115], v[48:49]
	v_fma_f64 v[46:47], -v[70:71], v[116:117], v[46:47]
	s_waitcnt lgkmcnt(0)
	v_fma_f64 v[44:45], -v[70:71], v[106:107], v[44:45]
	ds_read2_b64 v[114:117], v100 offset0:28 offset1:29
	v_fma_f64 v[40:41], -v[70:71], v[108:109], v[40:41]
	ds_read2_b64 v[106:109], v100 offset0:30 offset1:31
	v_fma_f64 v[42:43], -v[70:71], v[110:111], v[42:43]
	v_fma_f64 v[38:39], -v[70:71], v[112:113], v[38:39]
	ds_read2_b64 v[110:113], v100 offset0:32 offset1:33
	s_waitcnt lgkmcnt(0)
	v_fma_f64 v[36:37], -v[70:71], v[114:115], v[36:37]
	v_fma_f64 v[34:35], -v[70:71], v[116:117], v[34:35]
	ds_read2_b64 v[114:117], v100 offset0:34 offset1:35
	v_fma_f64 v[32:33], -v[70:71], v[106:107], v[32:33]
	v_fma_f64 v[30:31], -v[70:71], v[108:109], v[30:31]
	;; [unrolled: 1-line block ×3, first 2 shown]
	ds_read2_b64 v[106:109], v100 offset0:36 offset1:37
	v_fma_f64 v[26:27], -v[70:71], v[112:113], v[26:27]
	ds_read2_b64 v[110:113], v100 offset0:38 offset1:39
	s_waitcnt lgkmcnt(0)
	v_fma_f64 v[24:25], -v[70:71], v[114:115], v[24:25]
	v_fma_f64 v[22:23], -v[70:71], v[116:117], v[22:23]
	;; [unrolled: 1-line block ×4, first 2 shown]
	ds_read2_b64 v[106:109], v100 offset0:40 offset1:41
	ds_read2_b64 v[114:117], v100 offset0:42 offset1:43
	v_fma_f64 v[14:15], -v[70:71], v[110:111], v[14:15]
	v_fma_f64 v[16:17], -v[70:71], v[112:113], v[16:17]
	ds_read2_b64 v[110:113], v100 offset0:44 offset1:45
	s_waitcnt lgkmcnt(0)
	v_fma_f64 v[12:13], -v[70:71], v[106:107], v[12:13]
	v_fma_f64 v[10:11], -v[70:71], v[108:109], v[10:11]
	;; [unrolled: 1-line block ×6, first 2 shown]
.LBB90_199:
	s_or_b64 exec, exec, s[0:1]
	v_lshl_add_u32 v96, v101, 3, v100
	s_barrier
	ds_write_b64 v96, v[66:67]
	s_waitcnt lgkmcnt(0)
	s_barrier
	ds_read_b64 v[96:97], v100 offset:96
	s_cmp_lt_i32 s18, 14
	v_mov_b32_e32 v98, 12
	s_cbranch_scc1 .LBB90_202
; %bb.200:
	v_add_u32_e32 v105, 0x68, v100
	s_mov_b32 s0, 13
	v_mov_b32_e32 v98, 12
.LBB90_201:                             ; =>This Inner Loop Header: Depth=1
	ds_read_b64 v[106:107], v105
	v_mov_b32_e32 v108, s0
	s_add_i32 s0, s0, 1
	v_add_u32_e32 v105, 8, v105
	s_cmp_lg_u32 s18, s0
	s_waitcnt lgkmcnt(0)
	v_cmp_lt_f64_e64 vcc, |v[96:97]|, |v[106:107]|
	v_cndmask_b32_e32 v97, v97, v107, vcc
	v_cndmask_b32_e32 v96, v96, v106, vcc
	;; [unrolled: 1-line block ×3, first 2 shown]
	s_cbranch_scc1 .LBB90_201
.LBB90_202:
	s_waitcnt lgkmcnt(0)
	v_cmp_eq_f64_e32 vcc, 0, v[96:97]
	s_and_saveexec_b64 s[0:1], vcc
	s_xor_b64 s[0:1], exec, s[0:1]
; %bb.203:
	v_cmp_ne_u32_e32 vcc, 0, v104
	v_cndmask_b32_e32 v104, 13, v104, vcc
; %bb.204:
	s_andn2_saveexec_b64 s[0:1], s[0:1]
; %bb.205:
	v_div_scale_f64 v[106:107], s[2:3], v[96:97], v[96:97], 1.0
	v_rcp_f64_e32 v[108:109], v[106:107]
	v_div_scale_f64 v[110:111], vcc, 1.0, v[96:97], 1.0
	v_fma_f64 v[112:113], -v[106:107], v[108:109], 1.0
	v_fmac_f64_e32 v[108:109], v[108:109], v[112:113]
	v_fma_f64 v[112:113], -v[106:107], v[108:109], 1.0
	v_fmac_f64_e32 v[108:109], v[108:109], v[112:113]
	v_mul_f64 v[112:113], v[110:111], v[108:109]
	v_fma_f64 v[106:107], -v[106:107], v[112:113], v[110:111]
	v_div_fmas_f64 v[106:107], v[106:107], v[108:109], v[112:113]
	v_div_fixup_f64 v[96:97], v[106:107], v[96:97], 1.0
; %bb.206:
	s_or_b64 exec, exec, s[0:1]
	v_cmp_ne_u32_e32 vcc, v101, v98
	s_and_saveexec_b64 s[0:1], vcc
	s_xor_b64 s[0:1], exec, s[0:1]
	s_cbranch_execz .LBB90_212
; %bb.207:
	v_cmp_eq_u32_e32 vcc, 12, v101
	s_and_saveexec_b64 s[2:3], vcc
	s_cbranch_execz .LBB90_211
; %bb.208:
	v_cmp_ne_u32_e32 vcc, 12, v98
	s_xor_b64 s[14:15], s[6:7], -1
	s_and_b64 s[16:17], s[14:15], vcc
	s_and_saveexec_b64 s[14:15], s[16:17]
	s_cbranch_execz .LBB90_210
; %bb.209:
	v_ashrrev_i32_e32 v99, 31, v98
	v_lshlrev_b64 v[106:107], 2, v[98:99]
	v_add_co_u32_e32 v106, vcc, v4, v106
	v_addc_co_u32_e32 v107, vcc, v5, v107, vcc
	flat_load_dword v99, v[106:107]
	flat_load_dword v101, v[4:5] offset:48
	s_waitcnt vmcnt(0) lgkmcnt(0)
	flat_store_dword v[4:5], v99 offset:48
	flat_store_dword v[106:107], v101
.LBB90_210:
	s_or_b64 exec, exec, s[14:15]
	v_mov_b32_e32 v99, v98
	v_mov_b32_e32 v101, v98
.LBB90_211:
	s_or_b64 exec, exec, s[2:3]
.LBB90_212:
	s_andn2_saveexec_b64 s[0:1], s[0:1]
	s_cbranch_execz .LBB90_214
; %bb.213:
	v_mov_b32_e32 v101, 12
	ds_write2_b64 v100, v[68:69], v[64:65] offset0:13 offset1:14
	ds_write2_b64 v100, v[62:63], v[60:61] offset0:15 offset1:16
	;; [unrolled: 1-line block ×16, first 2 shown]
	ds_write_b64 v100, v[94:95] offset:360
.LBB90_214:
	s_or_b64 exec, exec, s[0:1]
	v_cmp_lt_i32_e32 vcc, 12, v101
	s_waitcnt lgkmcnt(0)
	s_barrier
	s_and_saveexec_b64 s[0:1], vcc
	s_cbranch_execz .LBB90_216
; %bb.215:
	ds_read2_b64 v[106:109], v100 offset0:13 offset1:14
	ds_read2_b64 v[110:113], v100 offset0:15 offset1:16
	v_mul_f64 v[66:67], v[96:97], v[66:67]
	ds_read2_b64 v[114:117], v100 offset0:17 offset1:18
	ds_read_b64 v[96:97], v100 offset:360
	s_waitcnt lgkmcnt(0)
	v_fma_f64 v[68:69], -v[66:67], v[106:107], v[68:69]
	v_fma_f64 v[64:65], -v[66:67], v[108:109], v[64:65]
	ds_read2_b64 v[106:109], v100 offset0:19 offset1:20
	v_fma_f64 v[62:63], -v[66:67], v[110:111], v[62:63]
	v_fma_f64 v[60:61], -v[66:67], v[112:113], v[60:61]
	v_fma_f64 v[58:59], -v[66:67], v[114:115], v[58:59]
	ds_read2_b64 v[110:113], v100 offset0:21 offset1:22
	v_fma_f64 v[56:57], -v[66:67], v[116:117], v[56:57]
	ds_read2_b64 v[114:117], v100 offset0:23 offset1:24
	s_waitcnt lgkmcnt(0)
	v_fma_f64 v[54:55], -v[66:67], v[106:107], v[54:55]
	v_fma_f64 v[52:53], -v[66:67], v[108:109], v[52:53]
	ds_read2_b64 v[106:109], v100 offset0:25 offset1:26
	v_fma_f64 v[50:51], -v[66:67], v[110:111], v[50:51]
	v_fma_f64 v[48:49], -v[66:67], v[112:113], v[48:49]
	ds_read2_b64 v[110:113], v100 offset0:27 offset1:28
	v_fma_f64 v[46:47], -v[66:67], v[114:115], v[46:47]
	v_fma_f64 v[44:45], -v[66:67], v[116:117], v[44:45]
	s_waitcnt lgkmcnt(0)
	v_fma_f64 v[40:41], -v[66:67], v[106:107], v[40:41]
	ds_read2_b64 v[114:117], v100 offset0:29 offset1:30
	v_fma_f64 v[42:43], -v[66:67], v[108:109], v[42:43]
	ds_read2_b64 v[106:109], v100 offset0:31 offset1:32
	v_fma_f64 v[38:39], -v[66:67], v[110:111], v[38:39]
	v_fma_f64 v[36:37], -v[66:67], v[112:113], v[36:37]
	s_waitcnt lgkmcnt(0)
	v_fma_f64 v[34:35], -v[66:67], v[114:115], v[34:35]
	ds_read2_b64 v[110:113], v100 offset0:33 offset1:34
	v_fma_f64 v[32:33], -v[66:67], v[116:117], v[32:33]
	ds_read2_b64 v[114:117], v100 offset0:35 offset1:36
	v_fma_f64 v[30:31], -v[66:67], v[106:107], v[30:31]
	v_fma_f64 v[28:29], -v[66:67], v[108:109], v[28:29]
	ds_read2_b64 v[106:109], v100 offset0:37 offset1:38
	s_waitcnt lgkmcnt(0)
	v_fma_f64 v[26:27], -v[66:67], v[110:111], v[26:27]
	v_fma_f64 v[24:25], -v[66:67], v[112:113], v[24:25]
	ds_read2_b64 v[110:113], v100 offset0:39 offset1:40
	v_fma_f64 v[22:23], -v[66:67], v[114:115], v[22:23]
	v_fma_f64 v[20:21], -v[66:67], v[116:117], v[20:21]
	;; [unrolled: 1-line block ×4, first 2 shown]
	ds_read2_b64 v[106:109], v100 offset0:41 offset1:42
	ds_read2_b64 v[114:117], v100 offset0:43 offset1:44
	s_waitcnt lgkmcnt(0)
	v_fma_f64 v[16:17], -v[66:67], v[110:111], v[16:17]
	v_fma_f64 v[12:13], -v[66:67], v[112:113], v[12:13]
	;; [unrolled: 1-line block ×7, first 2 shown]
.LBB90_216:
	s_or_b64 exec, exec, s[0:1]
	v_lshl_add_u32 v96, v101, 3, v100
	s_barrier
	ds_write_b64 v96, v[68:69]
	s_waitcnt lgkmcnt(0)
	s_barrier
	ds_read_b64 v[96:97], v100 offset:104
	s_cmp_lt_i32 s18, 15
	v_mov_b32_e32 v98, 13
	s_cbranch_scc1 .LBB90_219
; %bb.217:
	v_add_u32_e32 v105, 0x70, v100
	s_mov_b32 s0, 14
	v_mov_b32_e32 v98, 13
.LBB90_218:                             ; =>This Inner Loop Header: Depth=1
	ds_read_b64 v[106:107], v105
	v_mov_b32_e32 v108, s0
	s_add_i32 s0, s0, 1
	v_add_u32_e32 v105, 8, v105
	s_cmp_lg_u32 s18, s0
	s_waitcnt lgkmcnt(0)
	v_cmp_lt_f64_e64 vcc, |v[96:97]|, |v[106:107]|
	v_cndmask_b32_e32 v97, v97, v107, vcc
	v_cndmask_b32_e32 v96, v96, v106, vcc
	;; [unrolled: 1-line block ×3, first 2 shown]
	s_cbranch_scc1 .LBB90_218
.LBB90_219:
	s_waitcnt lgkmcnt(0)
	v_cmp_eq_f64_e32 vcc, 0, v[96:97]
	s_and_saveexec_b64 s[0:1], vcc
	s_xor_b64 s[0:1], exec, s[0:1]
; %bb.220:
	v_cmp_ne_u32_e32 vcc, 0, v104
	v_cndmask_b32_e32 v104, 14, v104, vcc
; %bb.221:
	s_andn2_saveexec_b64 s[0:1], s[0:1]
; %bb.222:
	v_div_scale_f64 v[106:107], s[2:3], v[96:97], v[96:97], 1.0
	v_rcp_f64_e32 v[108:109], v[106:107]
	v_div_scale_f64 v[110:111], vcc, 1.0, v[96:97], 1.0
	v_fma_f64 v[112:113], -v[106:107], v[108:109], 1.0
	v_fmac_f64_e32 v[108:109], v[108:109], v[112:113]
	v_fma_f64 v[112:113], -v[106:107], v[108:109], 1.0
	v_fmac_f64_e32 v[108:109], v[108:109], v[112:113]
	v_mul_f64 v[112:113], v[110:111], v[108:109]
	v_fma_f64 v[106:107], -v[106:107], v[112:113], v[110:111]
	v_div_fmas_f64 v[106:107], v[106:107], v[108:109], v[112:113]
	v_div_fixup_f64 v[96:97], v[106:107], v[96:97], 1.0
; %bb.223:
	s_or_b64 exec, exec, s[0:1]
	v_cmp_ne_u32_e32 vcc, v101, v98
	s_and_saveexec_b64 s[0:1], vcc
	s_xor_b64 s[0:1], exec, s[0:1]
	s_cbranch_execz .LBB90_229
; %bb.224:
	v_cmp_eq_u32_e32 vcc, 13, v101
	s_and_saveexec_b64 s[2:3], vcc
	s_cbranch_execz .LBB90_228
; %bb.225:
	v_cmp_ne_u32_e32 vcc, 13, v98
	s_xor_b64 s[14:15], s[6:7], -1
	s_and_b64 s[16:17], s[14:15], vcc
	s_and_saveexec_b64 s[14:15], s[16:17]
	s_cbranch_execz .LBB90_227
; %bb.226:
	v_ashrrev_i32_e32 v99, 31, v98
	v_lshlrev_b64 v[106:107], 2, v[98:99]
	v_add_co_u32_e32 v106, vcc, v4, v106
	v_addc_co_u32_e32 v107, vcc, v5, v107, vcc
	flat_load_dword v99, v[106:107]
	flat_load_dword v101, v[4:5] offset:52
	s_waitcnt vmcnt(0) lgkmcnt(0)
	flat_store_dword v[4:5], v99 offset:52
	flat_store_dword v[106:107], v101
.LBB90_227:
	s_or_b64 exec, exec, s[14:15]
	v_mov_b32_e32 v99, v98
	v_mov_b32_e32 v101, v98
.LBB90_228:
	s_or_b64 exec, exec, s[2:3]
.LBB90_229:
	s_andn2_saveexec_b64 s[0:1], s[0:1]
	s_cbranch_execz .LBB90_231
; %bb.230:
	v_mov_b32_e32 v106, v64
	v_mov_b32_e32 v107, v65
	v_mov_b32_e32 v108, v62
	v_mov_b32_e32 v109, v63
	ds_write2_b64 v100, v[106:107], v[108:109] offset0:14 offset1:15
	v_mov_b32_e32 v106, v60
	v_mov_b32_e32 v107, v61
	v_mov_b32_e32 v108, v58
	v_mov_b32_e32 v109, v59
	ds_write2_b64 v100, v[106:107], v[108:109] offset0:16 offset1:17
	;; [unrolled: 5-line block ×15, first 2 shown]
	v_mov_b32_e32 v106, v0
	v_mov_b32_e32 v107, v1
	;; [unrolled: 1-line block ×3, first 2 shown]
	ds_write2_b64 v100, v[106:107], v[94:95] offset0:44 offset1:45
.LBB90_231:
	s_or_b64 exec, exec, s[0:1]
	v_cmp_lt_i32_e32 vcc, 13, v101
	s_waitcnt lgkmcnt(0)
	s_barrier
	s_and_saveexec_b64 s[0:1], vcc
	s_cbranch_execz .LBB90_233
; %bb.232:
	ds_read2_b64 v[106:109], v100 offset0:14 offset1:15
	ds_read2_b64 v[110:113], v100 offset0:16 offset1:17
	v_mul_f64 v[68:69], v[96:97], v[68:69]
	ds_read2_b64 v[114:117], v100 offset0:18 offset1:19
	s_waitcnt lgkmcnt(0)
	v_fma_f64 v[64:65], -v[68:69], v[106:107], v[64:65]
	v_fma_f64 v[62:63], -v[68:69], v[108:109], v[62:63]
	ds_read2_b64 v[106:109], v100 offset0:20 offset1:21
	v_fma_f64 v[60:61], -v[68:69], v[110:111], v[60:61]
	v_fma_f64 v[58:59], -v[68:69], v[112:113], v[58:59]
	;; [unrolled: 1-line block ×3, first 2 shown]
	ds_read2_b64 v[110:113], v100 offset0:22 offset1:23
	v_fma_f64 v[54:55], -v[68:69], v[116:117], v[54:55]
	ds_read2_b64 v[114:117], v100 offset0:24 offset1:25
	s_waitcnt lgkmcnt(0)
	v_fma_f64 v[52:53], -v[68:69], v[106:107], v[52:53]
	v_fma_f64 v[50:51], -v[68:69], v[108:109], v[50:51]
	ds_read2_b64 v[106:109], v100 offset0:26 offset1:27
	v_fma_f64 v[48:49], -v[68:69], v[110:111], v[48:49]
	v_fma_f64 v[46:47], -v[68:69], v[112:113], v[46:47]
	ds_read2_b64 v[110:113], v100 offset0:28 offset1:29
	v_fma_f64 v[44:45], -v[68:69], v[114:115], v[44:45]
	v_fma_f64 v[40:41], -v[68:69], v[116:117], v[40:41]
	s_waitcnt lgkmcnt(0)
	v_fma_f64 v[42:43], -v[68:69], v[106:107], v[42:43]
	ds_read2_b64 v[114:117], v100 offset0:30 offset1:31
	v_fma_f64 v[38:39], -v[68:69], v[108:109], v[38:39]
	ds_read2_b64 v[106:109], v100 offset0:32 offset1:33
	v_fma_f64 v[36:37], -v[68:69], v[110:111], v[36:37]
	v_fma_f64 v[34:35], -v[68:69], v[112:113], v[34:35]
	s_waitcnt lgkmcnt(0)
	v_fma_f64 v[32:33], -v[68:69], v[114:115], v[32:33]
	ds_read2_b64 v[110:113], v100 offset0:34 offset1:35
	v_fma_f64 v[30:31], -v[68:69], v[116:117], v[30:31]
	ds_read2_b64 v[114:117], v100 offset0:36 offset1:37
	v_fma_f64 v[28:29], -v[68:69], v[106:107], v[28:29]
	v_fma_f64 v[26:27], -v[68:69], v[108:109], v[26:27]
	ds_read2_b64 v[106:109], v100 offset0:38 offset1:39
	s_waitcnt lgkmcnt(0)
	v_fma_f64 v[24:25], -v[68:69], v[110:111], v[24:25]
	v_fma_f64 v[22:23], -v[68:69], v[112:113], v[22:23]
	ds_read2_b64 v[110:113], v100 offset0:40 offset1:41
	v_fma_f64 v[20:21], -v[68:69], v[114:115], v[20:21]
	v_fma_f64 v[18:19], -v[68:69], v[116:117], v[18:19]
	;; [unrolled: 1-line block ×3, first 2 shown]
	ds_read2_b64 v[114:117], v100 offset0:42 offset1:43
	v_fma_f64 v[16:17], -v[68:69], v[108:109], v[16:17]
	ds_read2_b64 v[106:109], v100 offset0:44 offset1:45
	s_waitcnt lgkmcnt(0)
	v_fma_f64 v[12:13], -v[68:69], v[110:111], v[12:13]
	v_fma_f64 v[10:11], -v[68:69], v[112:113], v[10:11]
	;; [unrolled: 1-line block ×6, first 2 shown]
.LBB90_233:
	s_or_b64 exec, exec, s[0:1]
	v_lshl_add_u32 v96, v101, 3, v100
	s_barrier
	ds_write_b64 v96, v[64:65]
	s_waitcnt lgkmcnt(0)
	s_barrier
	ds_read_b64 v[96:97], v100 offset:112
	s_cmp_lt_i32 s18, 16
	v_mov_b32_e32 v98, 14
	s_cbranch_scc1 .LBB90_236
; %bb.234:
	v_add_u32_e32 v105, 0x78, v100
	s_mov_b32 s0, 15
	v_mov_b32_e32 v98, 14
.LBB90_235:                             ; =>This Inner Loop Header: Depth=1
	ds_read_b64 v[106:107], v105
	v_mov_b32_e32 v108, s0
	s_add_i32 s0, s0, 1
	v_add_u32_e32 v105, 8, v105
	s_cmp_lg_u32 s18, s0
	s_waitcnt lgkmcnt(0)
	v_cmp_lt_f64_e64 vcc, |v[96:97]|, |v[106:107]|
	v_cndmask_b32_e32 v97, v97, v107, vcc
	v_cndmask_b32_e32 v96, v96, v106, vcc
	;; [unrolled: 1-line block ×3, first 2 shown]
	s_cbranch_scc1 .LBB90_235
.LBB90_236:
	s_waitcnt lgkmcnt(0)
	v_cmp_eq_f64_e32 vcc, 0, v[96:97]
	s_and_saveexec_b64 s[0:1], vcc
	s_xor_b64 s[0:1], exec, s[0:1]
; %bb.237:
	v_cmp_ne_u32_e32 vcc, 0, v104
	v_cndmask_b32_e32 v104, 15, v104, vcc
; %bb.238:
	s_andn2_saveexec_b64 s[0:1], s[0:1]
; %bb.239:
	v_div_scale_f64 v[106:107], s[2:3], v[96:97], v[96:97], 1.0
	v_rcp_f64_e32 v[108:109], v[106:107]
	v_div_scale_f64 v[110:111], vcc, 1.0, v[96:97], 1.0
	v_fma_f64 v[112:113], -v[106:107], v[108:109], 1.0
	v_fmac_f64_e32 v[108:109], v[108:109], v[112:113]
	v_fma_f64 v[112:113], -v[106:107], v[108:109], 1.0
	v_fmac_f64_e32 v[108:109], v[108:109], v[112:113]
	v_mul_f64 v[112:113], v[110:111], v[108:109]
	v_fma_f64 v[106:107], -v[106:107], v[112:113], v[110:111]
	v_div_fmas_f64 v[106:107], v[106:107], v[108:109], v[112:113]
	v_div_fixup_f64 v[96:97], v[106:107], v[96:97], 1.0
; %bb.240:
	s_or_b64 exec, exec, s[0:1]
	v_cmp_ne_u32_e32 vcc, v101, v98
	s_and_saveexec_b64 s[0:1], vcc
	s_xor_b64 s[0:1], exec, s[0:1]
	s_cbranch_execz .LBB90_246
; %bb.241:
	v_cmp_eq_u32_e32 vcc, 14, v101
	s_and_saveexec_b64 s[2:3], vcc
	s_cbranch_execz .LBB90_245
; %bb.242:
	v_cmp_ne_u32_e32 vcc, 14, v98
	s_xor_b64 s[14:15], s[6:7], -1
	s_and_b64 s[16:17], s[14:15], vcc
	s_and_saveexec_b64 s[14:15], s[16:17]
	s_cbranch_execz .LBB90_244
; %bb.243:
	v_ashrrev_i32_e32 v99, 31, v98
	v_lshlrev_b64 v[106:107], 2, v[98:99]
	v_add_co_u32_e32 v106, vcc, v4, v106
	v_addc_co_u32_e32 v107, vcc, v5, v107, vcc
	flat_load_dword v99, v[106:107]
	flat_load_dword v101, v[4:5] offset:56
	s_waitcnt vmcnt(0) lgkmcnt(0)
	flat_store_dword v[4:5], v99 offset:56
	flat_store_dword v[106:107], v101
.LBB90_244:
	s_or_b64 exec, exec, s[14:15]
	v_mov_b32_e32 v99, v98
	v_mov_b32_e32 v101, v98
.LBB90_245:
	s_or_b64 exec, exec, s[2:3]
.LBB90_246:
	s_andn2_saveexec_b64 s[0:1], s[0:1]
	s_cbranch_execz .LBB90_248
; %bb.247:
	v_mov_b32_e32 v101, 14
	ds_write2_b64 v100, v[62:63], v[60:61] offset0:15 offset1:16
	ds_write2_b64 v100, v[58:59], v[56:57] offset0:17 offset1:18
	;; [unrolled: 1-line block ×15, first 2 shown]
	ds_write_b64 v100, v[94:95] offset:360
.LBB90_248:
	s_or_b64 exec, exec, s[0:1]
	v_cmp_lt_i32_e32 vcc, 14, v101
	s_waitcnt lgkmcnt(0)
	s_barrier
	s_and_saveexec_b64 s[0:1], vcc
	s_cbranch_execz .LBB90_250
; %bb.249:
	ds_read2_b64 v[106:109], v100 offset0:15 offset1:16
	ds_read2_b64 v[110:113], v100 offset0:17 offset1:18
	;; [unrolled: 1-line block ×3, first 2 shown]
	v_mul_f64 v[64:65], v[96:97], v[64:65]
	ds_read_b64 v[96:97], v100 offset:360
	s_waitcnt lgkmcnt(0)
	v_fma_f64 v[62:63], -v[64:65], v[106:107], v[62:63]
	v_fma_f64 v[60:61], -v[64:65], v[108:109], v[60:61]
	ds_read2_b64 v[106:109], v100 offset0:21 offset1:22
	v_fma_f64 v[58:59], -v[64:65], v[110:111], v[58:59]
	v_fma_f64 v[56:57], -v[64:65], v[112:113], v[56:57]
	;; [unrolled: 1-line block ×3, first 2 shown]
	ds_read2_b64 v[110:113], v100 offset0:23 offset1:24
	v_fma_f64 v[52:53], -v[64:65], v[116:117], v[52:53]
	ds_read2_b64 v[114:117], v100 offset0:25 offset1:26
	s_waitcnt lgkmcnt(0)
	v_fma_f64 v[50:51], -v[64:65], v[106:107], v[50:51]
	v_fma_f64 v[48:49], -v[64:65], v[108:109], v[48:49]
	;; [unrolled: 1-line block ×3, first 2 shown]
	ds_read2_b64 v[106:109], v100 offset0:27 offset1:28
	v_fma_f64 v[44:45], -v[64:65], v[112:113], v[44:45]
	ds_read2_b64 v[110:113], v100 offset0:29 offset1:30
	v_fma_f64 v[40:41], -v[64:65], v[114:115], v[40:41]
	v_fma_f64 v[42:43], -v[64:65], v[116:117], v[42:43]
	ds_read2_b64 v[114:117], v100 offset0:31 offset1:32
	s_waitcnt lgkmcnt(0)
	v_fma_f64 v[38:39], -v[64:65], v[106:107], v[38:39]
	v_fma_f64 v[36:37], -v[64:65], v[108:109], v[36:37]
	ds_read2_b64 v[106:109], v100 offset0:33 offset1:34
	v_fma_f64 v[34:35], -v[64:65], v[110:111], v[34:35]
	v_fma_f64 v[32:33], -v[64:65], v[112:113], v[32:33]
	;; [unrolled: 1-line block ×3, first 2 shown]
	ds_read2_b64 v[110:113], v100 offset0:35 offset1:36
	v_fma_f64 v[28:29], -v[64:65], v[116:117], v[28:29]
	ds_read2_b64 v[114:117], v100 offset0:37 offset1:38
	s_waitcnt lgkmcnt(0)
	v_fma_f64 v[26:27], -v[64:65], v[106:107], v[26:27]
	v_fma_f64 v[24:25], -v[64:65], v[108:109], v[24:25]
	;; [unrolled: 1-line block ×3, first 2 shown]
	ds_read2_b64 v[106:109], v100 offset0:39 offset1:40
	v_fma_f64 v[20:21], -v[64:65], v[112:113], v[20:21]
	ds_read2_b64 v[110:113], v100 offset0:41 offset1:42
	v_fma_f64 v[18:19], -v[64:65], v[114:115], v[18:19]
	v_fma_f64 v[14:15], -v[64:65], v[116:117], v[14:15]
	ds_read2_b64 v[114:117], v100 offset0:43 offset1:44
	s_waitcnt lgkmcnt(0)
	v_fma_f64 v[16:17], -v[64:65], v[106:107], v[16:17]
	v_fma_f64 v[12:13], -v[64:65], v[108:109], v[12:13]
	;; [unrolled: 1-line block ×7, first 2 shown]
.LBB90_250:
	s_or_b64 exec, exec, s[0:1]
	v_lshl_add_u32 v96, v101, 3, v100
	s_barrier
	ds_write_b64 v96, v[62:63]
	s_waitcnt lgkmcnt(0)
	s_barrier
	ds_read_b64 v[96:97], v100 offset:120
	s_cmp_lt_i32 s18, 17
	v_mov_b32_e32 v98, 15
	s_cbranch_scc1 .LBB90_253
; %bb.251:
	v_add_u32_e32 v105, 0x80, v100
	s_mov_b32 s0, 16
	v_mov_b32_e32 v98, 15
.LBB90_252:                             ; =>This Inner Loop Header: Depth=1
	ds_read_b64 v[106:107], v105
	v_mov_b32_e32 v108, s0
	s_add_i32 s0, s0, 1
	v_add_u32_e32 v105, 8, v105
	s_cmp_lg_u32 s18, s0
	s_waitcnt lgkmcnt(0)
	v_cmp_lt_f64_e64 vcc, |v[96:97]|, |v[106:107]|
	v_cndmask_b32_e32 v97, v97, v107, vcc
	v_cndmask_b32_e32 v96, v96, v106, vcc
	;; [unrolled: 1-line block ×3, first 2 shown]
	s_cbranch_scc1 .LBB90_252
.LBB90_253:
	s_waitcnt lgkmcnt(0)
	v_cmp_eq_f64_e32 vcc, 0, v[96:97]
	s_and_saveexec_b64 s[0:1], vcc
	s_xor_b64 s[0:1], exec, s[0:1]
; %bb.254:
	v_cmp_ne_u32_e32 vcc, 0, v104
	v_cndmask_b32_e32 v104, 16, v104, vcc
; %bb.255:
	s_andn2_saveexec_b64 s[0:1], s[0:1]
; %bb.256:
	v_div_scale_f64 v[106:107], s[2:3], v[96:97], v[96:97], 1.0
	v_rcp_f64_e32 v[108:109], v[106:107]
	v_div_scale_f64 v[110:111], vcc, 1.0, v[96:97], 1.0
	v_fma_f64 v[112:113], -v[106:107], v[108:109], 1.0
	v_fmac_f64_e32 v[108:109], v[108:109], v[112:113]
	v_fma_f64 v[112:113], -v[106:107], v[108:109], 1.0
	v_fmac_f64_e32 v[108:109], v[108:109], v[112:113]
	v_mul_f64 v[112:113], v[110:111], v[108:109]
	v_fma_f64 v[106:107], -v[106:107], v[112:113], v[110:111]
	v_div_fmas_f64 v[106:107], v[106:107], v[108:109], v[112:113]
	v_div_fixup_f64 v[96:97], v[106:107], v[96:97], 1.0
; %bb.257:
	s_or_b64 exec, exec, s[0:1]
	v_cmp_ne_u32_e32 vcc, v101, v98
	s_and_saveexec_b64 s[0:1], vcc
	s_xor_b64 s[0:1], exec, s[0:1]
	s_cbranch_execz .LBB90_263
; %bb.258:
	v_cmp_eq_u32_e32 vcc, 15, v101
	s_and_saveexec_b64 s[2:3], vcc
	s_cbranch_execz .LBB90_262
; %bb.259:
	v_cmp_ne_u32_e32 vcc, 15, v98
	s_xor_b64 s[14:15], s[6:7], -1
	s_and_b64 s[16:17], s[14:15], vcc
	s_and_saveexec_b64 s[14:15], s[16:17]
	s_cbranch_execz .LBB90_261
; %bb.260:
	v_ashrrev_i32_e32 v99, 31, v98
	v_lshlrev_b64 v[106:107], 2, v[98:99]
	v_add_co_u32_e32 v106, vcc, v4, v106
	v_addc_co_u32_e32 v107, vcc, v5, v107, vcc
	flat_load_dword v99, v[106:107]
	flat_load_dword v101, v[4:5] offset:60
	s_waitcnt vmcnt(0) lgkmcnt(0)
	flat_store_dword v[4:5], v99 offset:60
	flat_store_dword v[106:107], v101
.LBB90_261:
	s_or_b64 exec, exec, s[14:15]
	v_mov_b32_e32 v99, v98
	v_mov_b32_e32 v101, v98
.LBB90_262:
	s_or_b64 exec, exec, s[2:3]
.LBB90_263:
	s_andn2_saveexec_b64 s[0:1], s[0:1]
	s_cbranch_execz .LBB90_265
; %bb.264:
	v_mov_b32_e32 v106, v60
	v_mov_b32_e32 v107, v61
	v_mov_b32_e32 v108, v58
	v_mov_b32_e32 v109, v59
	ds_write2_b64 v100, v[106:107], v[108:109] offset0:16 offset1:17
	v_mov_b32_e32 v106, v56
	v_mov_b32_e32 v107, v57
	v_mov_b32_e32 v108, v54
	v_mov_b32_e32 v109, v55
	ds_write2_b64 v100, v[106:107], v[108:109] offset0:18 offset1:19
	;; [unrolled: 5-line block ×14, first 2 shown]
	v_mov_b32_e32 v106, v0
	v_mov_b32_e32 v107, v1
	;; [unrolled: 1-line block ×3, first 2 shown]
	ds_write2_b64 v100, v[106:107], v[94:95] offset0:44 offset1:45
.LBB90_265:
	s_or_b64 exec, exec, s[0:1]
	v_cmp_lt_i32_e32 vcc, 15, v101
	s_waitcnt lgkmcnt(0)
	s_barrier
	s_and_saveexec_b64 s[0:1], vcc
	s_cbranch_execz .LBB90_267
; %bb.266:
	ds_read2_b64 v[106:109], v100 offset0:16 offset1:17
	ds_read2_b64 v[110:113], v100 offset0:18 offset1:19
	;; [unrolled: 1-line block ×3, first 2 shown]
	v_mul_f64 v[62:63], v[96:97], v[62:63]
	s_waitcnt lgkmcnt(0)
	v_fma_f64 v[60:61], -v[62:63], v[106:107], v[60:61]
	v_fma_f64 v[58:59], -v[62:63], v[108:109], v[58:59]
	ds_read2_b64 v[106:109], v100 offset0:22 offset1:23
	v_fma_f64 v[56:57], -v[62:63], v[110:111], v[56:57]
	v_fma_f64 v[54:55], -v[62:63], v[112:113], v[54:55]
	v_fma_f64 v[52:53], -v[62:63], v[114:115], v[52:53]
	ds_read2_b64 v[110:113], v100 offset0:24 offset1:25
	v_fma_f64 v[50:51], -v[62:63], v[116:117], v[50:51]
	ds_read2_b64 v[114:117], v100 offset0:26 offset1:27
	s_waitcnt lgkmcnt(0)
	v_fma_f64 v[48:49], -v[62:63], v[106:107], v[48:49]
	v_fma_f64 v[46:47], -v[62:63], v[108:109], v[46:47]
	;; [unrolled: 1-line block ×3, first 2 shown]
	ds_read2_b64 v[106:109], v100 offset0:28 offset1:29
	v_fma_f64 v[40:41], -v[62:63], v[112:113], v[40:41]
	ds_read2_b64 v[110:113], v100 offset0:30 offset1:31
	v_fma_f64 v[42:43], -v[62:63], v[114:115], v[42:43]
	v_fma_f64 v[38:39], -v[62:63], v[116:117], v[38:39]
	ds_read2_b64 v[114:117], v100 offset0:32 offset1:33
	s_waitcnt lgkmcnt(0)
	v_fma_f64 v[36:37], -v[62:63], v[106:107], v[36:37]
	v_fma_f64 v[34:35], -v[62:63], v[108:109], v[34:35]
	ds_read2_b64 v[106:109], v100 offset0:34 offset1:35
	v_fma_f64 v[32:33], -v[62:63], v[110:111], v[32:33]
	v_fma_f64 v[30:31], -v[62:63], v[112:113], v[30:31]
	v_fma_f64 v[28:29], -v[62:63], v[114:115], v[28:29]
	ds_read2_b64 v[110:113], v100 offset0:36 offset1:37
	v_fma_f64 v[26:27], -v[62:63], v[116:117], v[26:27]
	ds_read2_b64 v[114:117], v100 offset0:38 offset1:39
	s_waitcnt lgkmcnt(0)
	v_fma_f64 v[24:25], -v[62:63], v[106:107], v[24:25]
	v_fma_f64 v[22:23], -v[62:63], v[108:109], v[22:23]
	;; [unrolled: 1-line block ×4, first 2 shown]
	ds_read2_b64 v[106:109], v100 offset0:40 offset1:41
	ds_read2_b64 v[110:113], v100 offset0:42 offset1:43
	v_fma_f64 v[14:15], -v[62:63], v[114:115], v[14:15]
	v_fma_f64 v[16:17], -v[62:63], v[116:117], v[16:17]
	ds_read2_b64 v[114:117], v100 offset0:44 offset1:45
	s_waitcnt lgkmcnt(0)
	v_fma_f64 v[12:13], -v[62:63], v[106:107], v[12:13]
	v_fma_f64 v[10:11], -v[62:63], v[108:109], v[10:11]
	v_fma_f64 v[8:9], -v[62:63], v[110:111], v[8:9]
	v_fma_f64 v[6:7], -v[62:63], v[112:113], v[6:7]
	v_fma_f64 v[0:1], -v[62:63], v[114:115], v[0:1]
	v_fma_f64 v[94:95], -v[62:63], v[116:117], v[94:95]
.LBB90_267:
	s_or_b64 exec, exec, s[0:1]
	v_lshl_add_u32 v96, v101, 3, v100
	s_barrier
	ds_write_b64 v96, v[60:61]
	s_waitcnt lgkmcnt(0)
	s_barrier
	ds_read_b64 v[96:97], v100 offset:128
	s_cmp_lt_i32 s18, 18
	v_mov_b32_e32 v98, 16
	s_cbranch_scc1 .LBB90_270
; %bb.268:
	v_add_u32_e32 v105, 0x88, v100
	s_mov_b32 s0, 17
	v_mov_b32_e32 v98, 16
.LBB90_269:                             ; =>This Inner Loop Header: Depth=1
	ds_read_b64 v[106:107], v105
	v_mov_b32_e32 v108, s0
	s_add_i32 s0, s0, 1
	v_add_u32_e32 v105, 8, v105
	s_cmp_lg_u32 s18, s0
	s_waitcnt lgkmcnt(0)
	v_cmp_lt_f64_e64 vcc, |v[96:97]|, |v[106:107]|
	v_cndmask_b32_e32 v97, v97, v107, vcc
	v_cndmask_b32_e32 v96, v96, v106, vcc
	;; [unrolled: 1-line block ×3, first 2 shown]
	s_cbranch_scc1 .LBB90_269
.LBB90_270:
	s_waitcnt lgkmcnt(0)
	v_cmp_eq_f64_e32 vcc, 0, v[96:97]
	s_and_saveexec_b64 s[0:1], vcc
	s_xor_b64 s[0:1], exec, s[0:1]
; %bb.271:
	v_cmp_ne_u32_e32 vcc, 0, v104
	v_cndmask_b32_e32 v104, 17, v104, vcc
; %bb.272:
	s_andn2_saveexec_b64 s[0:1], s[0:1]
; %bb.273:
	v_div_scale_f64 v[106:107], s[2:3], v[96:97], v[96:97], 1.0
	v_rcp_f64_e32 v[108:109], v[106:107]
	v_div_scale_f64 v[110:111], vcc, 1.0, v[96:97], 1.0
	v_fma_f64 v[112:113], -v[106:107], v[108:109], 1.0
	v_fmac_f64_e32 v[108:109], v[108:109], v[112:113]
	v_fma_f64 v[112:113], -v[106:107], v[108:109], 1.0
	v_fmac_f64_e32 v[108:109], v[108:109], v[112:113]
	v_mul_f64 v[112:113], v[110:111], v[108:109]
	v_fma_f64 v[106:107], -v[106:107], v[112:113], v[110:111]
	v_div_fmas_f64 v[106:107], v[106:107], v[108:109], v[112:113]
	v_div_fixup_f64 v[96:97], v[106:107], v[96:97], 1.0
; %bb.274:
	s_or_b64 exec, exec, s[0:1]
	v_cmp_ne_u32_e32 vcc, v101, v98
	s_and_saveexec_b64 s[0:1], vcc
	s_xor_b64 s[0:1], exec, s[0:1]
	s_cbranch_execz .LBB90_280
; %bb.275:
	v_cmp_eq_u32_e32 vcc, 16, v101
	s_and_saveexec_b64 s[2:3], vcc
	s_cbranch_execz .LBB90_279
; %bb.276:
	v_cmp_ne_u32_e32 vcc, 16, v98
	s_xor_b64 s[14:15], s[6:7], -1
	s_and_b64 s[16:17], s[14:15], vcc
	s_and_saveexec_b64 s[14:15], s[16:17]
	s_cbranch_execz .LBB90_278
; %bb.277:
	v_ashrrev_i32_e32 v99, 31, v98
	v_lshlrev_b64 v[106:107], 2, v[98:99]
	v_add_co_u32_e32 v106, vcc, v4, v106
	v_addc_co_u32_e32 v107, vcc, v5, v107, vcc
	flat_load_dword v99, v[106:107]
	flat_load_dword v101, v[4:5] offset:64
	s_waitcnt vmcnt(0) lgkmcnt(0)
	flat_store_dword v[4:5], v99 offset:64
	flat_store_dword v[106:107], v101
.LBB90_278:
	s_or_b64 exec, exec, s[14:15]
	v_mov_b32_e32 v99, v98
	v_mov_b32_e32 v101, v98
.LBB90_279:
	s_or_b64 exec, exec, s[2:3]
.LBB90_280:
	s_andn2_saveexec_b64 s[0:1], s[0:1]
	s_cbranch_execz .LBB90_282
; %bb.281:
	v_mov_b32_e32 v101, 16
	ds_write2_b64 v100, v[58:59], v[56:57] offset0:17 offset1:18
	ds_write2_b64 v100, v[54:55], v[52:53] offset0:19 offset1:20
	ds_write2_b64 v100, v[50:51], v[48:49] offset0:21 offset1:22
	ds_write2_b64 v100, v[46:47], v[44:45] offset0:23 offset1:24
	ds_write2_b64 v100, v[40:41], v[42:43] offset0:25 offset1:26
	ds_write2_b64 v100, v[38:39], v[36:37] offset0:27 offset1:28
	ds_write2_b64 v100, v[34:35], v[32:33] offset0:29 offset1:30
	ds_write2_b64 v100, v[30:31], v[28:29] offset0:31 offset1:32
	ds_write2_b64 v100, v[26:27], v[24:25] offset0:33 offset1:34
	ds_write2_b64 v100, v[22:23], v[20:21] offset0:35 offset1:36
	ds_write2_b64 v100, v[18:19], v[14:15] offset0:37 offset1:38
	ds_write2_b64 v100, v[16:17], v[12:13] offset0:39 offset1:40
	ds_write2_b64 v100, v[10:11], v[8:9] offset0:41 offset1:42
	ds_write2_b64 v100, v[6:7], v[0:1] offset0:43 offset1:44
	ds_write_b64 v100, v[94:95] offset:360
.LBB90_282:
	s_or_b64 exec, exec, s[0:1]
	v_cmp_lt_i32_e32 vcc, 16, v101
	s_waitcnt lgkmcnt(0)
	s_barrier
	s_and_saveexec_b64 s[0:1], vcc
	s_cbranch_execz .LBB90_284
; %bb.283:
	ds_read2_b64 v[106:109], v100 offset0:17 offset1:18
	ds_read2_b64 v[110:113], v100 offset0:19 offset1:20
	v_mul_f64 v[60:61], v[96:97], v[60:61]
	ds_read2_b64 v[114:117], v100 offset0:21 offset1:22
	ds_read_b64 v[96:97], v100 offset:360
	s_waitcnt lgkmcnt(0)
	v_fma_f64 v[58:59], -v[60:61], v[106:107], v[58:59]
	v_fma_f64 v[56:57], -v[60:61], v[108:109], v[56:57]
	ds_read2_b64 v[106:109], v100 offset0:23 offset1:24
	v_fma_f64 v[54:55], -v[60:61], v[110:111], v[54:55]
	v_fma_f64 v[52:53], -v[60:61], v[112:113], v[52:53]
	ds_read2_b64 v[110:113], v100 offset0:25 offset1:26
	;; [unrolled: 3-line block ×3, first 2 shown]
	s_waitcnt lgkmcnt(0)
	v_fma_f64 v[46:47], -v[60:61], v[106:107], v[46:47]
	v_fma_f64 v[44:45], -v[60:61], v[108:109], v[44:45]
	;; [unrolled: 1-line block ×3, first 2 shown]
	ds_read2_b64 v[106:109], v100 offset0:29 offset1:30
	v_fma_f64 v[42:43], -v[60:61], v[112:113], v[42:43]
	ds_read2_b64 v[110:113], v100 offset0:31 offset1:32
	v_fma_f64 v[38:39], -v[60:61], v[114:115], v[38:39]
	v_fma_f64 v[36:37], -v[60:61], v[116:117], v[36:37]
	s_waitcnt lgkmcnt(0)
	v_fma_f64 v[34:35], -v[60:61], v[106:107], v[34:35]
	ds_read2_b64 v[114:117], v100 offset0:33 offset1:34
	v_fma_f64 v[32:33], -v[60:61], v[108:109], v[32:33]
	ds_read2_b64 v[106:109], v100 offset0:35 offset1:36
	v_fma_f64 v[30:31], -v[60:61], v[110:111], v[30:31]
	v_fma_f64 v[28:29], -v[60:61], v[112:113], v[28:29]
	ds_read2_b64 v[110:113], v100 offset0:37 offset1:38
	s_waitcnt lgkmcnt(0)
	v_fma_f64 v[26:27], -v[60:61], v[114:115], v[26:27]
	v_fma_f64 v[24:25], -v[60:61], v[116:117], v[24:25]
	ds_read2_b64 v[114:117], v100 offset0:39 offset1:40
	v_fma_f64 v[22:23], -v[60:61], v[106:107], v[22:23]
	v_fma_f64 v[20:21], -v[60:61], v[108:109], v[20:21]
	;; [unrolled: 1-line block ×4, first 2 shown]
	ds_read2_b64 v[106:109], v100 offset0:41 offset1:42
	ds_read2_b64 v[110:113], v100 offset0:43 offset1:44
	s_waitcnt lgkmcnt(0)
	v_fma_f64 v[16:17], -v[60:61], v[114:115], v[16:17]
	v_fma_f64 v[12:13], -v[60:61], v[116:117], v[12:13]
	v_fma_f64 v[94:95], -v[60:61], v[96:97], v[94:95]
	v_fma_f64 v[10:11], -v[60:61], v[106:107], v[10:11]
	v_fma_f64 v[8:9], -v[60:61], v[108:109], v[8:9]
	v_fma_f64 v[6:7], -v[60:61], v[110:111], v[6:7]
	v_fma_f64 v[0:1], -v[60:61], v[112:113], v[0:1]
.LBB90_284:
	s_or_b64 exec, exec, s[0:1]
	v_lshl_add_u32 v96, v101, 3, v100
	s_barrier
	ds_write_b64 v96, v[58:59]
	s_waitcnt lgkmcnt(0)
	s_barrier
	ds_read_b64 v[96:97], v100 offset:136
	s_cmp_lt_i32 s18, 19
	v_mov_b32_e32 v98, 17
	s_cbranch_scc1 .LBB90_287
; %bb.285:
	v_add_u32_e32 v105, 0x90, v100
	s_mov_b32 s0, 18
	v_mov_b32_e32 v98, 17
.LBB90_286:                             ; =>This Inner Loop Header: Depth=1
	ds_read_b64 v[106:107], v105
	v_mov_b32_e32 v108, s0
	s_add_i32 s0, s0, 1
	v_add_u32_e32 v105, 8, v105
	s_cmp_lg_u32 s18, s0
	s_waitcnt lgkmcnt(0)
	v_cmp_lt_f64_e64 vcc, |v[96:97]|, |v[106:107]|
	v_cndmask_b32_e32 v97, v97, v107, vcc
	v_cndmask_b32_e32 v96, v96, v106, vcc
	v_cndmask_b32_e32 v98, v98, v108, vcc
	s_cbranch_scc1 .LBB90_286
.LBB90_287:
	s_waitcnt lgkmcnt(0)
	v_cmp_eq_f64_e32 vcc, 0, v[96:97]
	s_and_saveexec_b64 s[0:1], vcc
	s_xor_b64 s[0:1], exec, s[0:1]
; %bb.288:
	v_cmp_ne_u32_e32 vcc, 0, v104
	v_cndmask_b32_e32 v104, 18, v104, vcc
; %bb.289:
	s_andn2_saveexec_b64 s[0:1], s[0:1]
; %bb.290:
	v_div_scale_f64 v[106:107], s[2:3], v[96:97], v[96:97], 1.0
	v_rcp_f64_e32 v[108:109], v[106:107]
	v_div_scale_f64 v[110:111], vcc, 1.0, v[96:97], 1.0
	v_fma_f64 v[112:113], -v[106:107], v[108:109], 1.0
	v_fmac_f64_e32 v[108:109], v[108:109], v[112:113]
	v_fma_f64 v[112:113], -v[106:107], v[108:109], 1.0
	v_fmac_f64_e32 v[108:109], v[108:109], v[112:113]
	v_mul_f64 v[112:113], v[110:111], v[108:109]
	v_fma_f64 v[106:107], -v[106:107], v[112:113], v[110:111]
	v_div_fmas_f64 v[106:107], v[106:107], v[108:109], v[112:113]
	v_div_fixup_f64 v[96:97], v[106:107], v[96:97], 1.0
; %bb.291:
	s_or_b64 exec, exec, s[0:1]
	v_cmp_ne_u32_e32 vcc, v101, v98
	s_and_saveexec_b64 s[0:1], vcc
	s_xor_b64 s[0:1], exec, s[0:1]
	s_cbranch_execz .LBB90_297
; %bb.292:
	v_cmp_eq_u32_e32 vcc, 17, v101
	s_and_saveexec_b64 s[2:3], vcc
	s_cbranch_execz .LBB90_296
; %bb.293:
	v_cmp_ne_u32_e32 vcc, 17, v98
	s_xor_b64 s[14:15], s[6:7], -1
	s_and_b64 s[16:17], s[14:15], vcc
	s_and_saveexec_b64 s[14:15], s[16:17]
	s_cbranch_execz .LBB90_295
; %bb.294:
	v_ashrrev_i32_e32 v99, 31, v98
	v_lshlrev_b64 v[106:107], 2, v[98:99]
	v_add_co_u32_e32 v106, vcc, v4, v106
	v_addc_co_u32_e32 v107, vcc, v5, v107, vcc
	flat_load_dword v99, v[106:107]
	flat_load_dword v101, v[4:5] offset:68
	s_waitcnt vmcnt(0) lgkmcnt(0)
	flat_store_dword v[4:5], v99 offset:68
	flat_store_dword v[106:107], v101
.LBB90_295:
	s_or_b64 exec, exec, s[14:15]
	v_mov_b32_e32 v99, v98
	v_mov_b32_e32 v101, v98
.LBB90_296:
	s_or_b64 exec, exec, s[2:3]
.LBB90_297:
	s_andn2_saveexec_b64 s[0:1], s[0:1]
	s_cbranch_execz .LBB90_299
; %bb.298:
	v_mov_b32_e32 v106, v56
	v_mov_b32_e32 v107, v57
	v_mov_b32_e32 v108, v54
	v_mov_b32_e32 v109, v55
	ds_write2_b64 v100, v[106:107], v[108:109] offset0:18 offset1:19
	v_mov_b32_e32 v106, v52
	v_mov_b32_e32 v107, v53
	v_mov_b32_e32 v108, v50
	v_mov_b32_e32 v109, v51
	ds_write2_b64 v100, v[106:107], v[108:109] offset0:20 offset1:21
	;; [unrolled: 5-line block ×13, first 2 shown]
	v_mov_b32_e32 v106, v0
	v_mov_b32_e32 v107, v1
	;; [unrolled: 1-line block ×3, first 2 shown]
	ds_write2_b64 v100, v[106:107], v[94:95] offset0:44 offset1:45
.LBB90_299:
	s_or_b64 exec, exec, s[0:1]
	v_cmp_lt_i32_e32 vcc, 17, v101
	s_waitcnt lgkmcnt(0)
	s_barrier
	s_and_saveexec_b64 s[0:1], vcc
	s_cbranch_execz .LBB90_301
; %bb.300:
	ds_read2_b64 v[106:109], v100 offset0:18 offset1:19
	ds_read2_b64 v[110:113], v100 offset0:20 offset1:21
	v_mul_f64 v[58:59], v[96:97], v[58:59]
	ds_read2_b64 v[114:117], v100 offset0:22 offset1:23
	s_waitcnt lgkmcnt(0)
	v_fma_f64 v[56:57], -v[58:59], v[106:107], v[56:57]
	v_fma_f64 v[54:55], -v[58:59], v[108:109], v[54:55]
	ds_read2_b64 v[106:109], v100 offset0:24 offset1:25
	v_fma_f64 v[52:53], -v[58:59], v[110:111], v[52:53]
	v_fma_f64 v[50:51], -v[58:59], v[112:113], v[50:51]
	ds_read2_b64 v[110:113], v100 offset0:26 offset1:27
	;; [unrolled: 3-line block ×3, first 2 shown]
	s_waitcnt lgkmcnt(0)
	v_fma_f64 v[44:45], -v[58:59], v[106:107], v[44:45]
	v_fma_f64 v[40:41], -v[58:59], v[108:109], v[40:41]
	;; [unrolled: 1-line block ×3, first 2 shown]
	ds_read2_b64 v[106:109], v100 offset0:30 offset1:31
	v_fma_f64 v[38:39], -v[58:59], v[112:113], v[38:39]
	ds_read2_b64 v[110:113], v100 offset0:32 offset1:33
	v_fma_f64 v[36:37], -v[58:59], v[114:115], v[36:37]
	v_fma_f64 v[34:35], -v[58:59], v[116:117], v[34:35]
	s_waitcnt lgkmcnt(0)
	v_fma_f64 v[32:33], -v[58:59], v[106:107], v[32:33]
	ds_read2_b64 v[114:117], v100 offset0:34 offset1:35
	v_fma_f64 v[30:31], -v[58:59], v[108:109], v[30:31]
	ds_read2_b64 v[106:109], v100 offset0:36 offset1:37
	v_fma_f64 v[28:29], -v[58:59], v[110:111], v[28:29]
	v_fma_f64 v[26:27], -v[58:59], v[112:113], v[26:27]
	ds_read2_b64 v[110:113], v100 offset0:38 offset1:39
	s_waitcnt lgkmcnt(0)
	v_fma_f64 v[24:25], -v[58:59], v[114:115], v[24:25]
	v_fma_f64 v[22:23], -v[58:59], v[116:117], v[22:23]
	;; [unrolled: 1-line block ×4, first 2 shown]
	ds_read2_b64 v[106:109], v100 offset0:40 offset1:41
	v_fma_f64 v[14:15], -v[58:59], v[110:111], v[14:15]
	ds_read2_b64 v[114:117], v100 offset0:42 offset1:43
	v_fma_f64 v[16:17], -v[58:59], v[112:113], v[16:17]
	ds_read2_b64 v[110:113], v100 offset0:44 offset1:45
	s_waitcnt lgkmcnt(0)
	v_fma_f64 v[12:13], -v[58:59], v[106:107], v[12:13]
	v_fma_f64 v[10:11], -v[58:59], v[108:109], v[10:11]
	;; [unrolled: 1-line block ×6, first 2 shown]
.LBB90_301:
	s_or_b64 exec, exec, s[0:1]
	v_lshl_add_u32 v96, v101, 3, v100
	s_barrier
	ds_write_b64 v96, v[56:57]
	s_waitcnt lgkmcnt(0)
	s_barrier
	ds_read_b64 v[96:97], v100 offset:144
	s_cmp_lt_i32 s18, 20
	v_mov_b32_e32 v98, 18
	s_cbranch_scc1 .LBB90_304
; %bb.302:
	v_add_u32_e32 v105, 0x98, v100
	s_mov_b32 s0, 19
	v_mov_b32_e32 v98, 18
.LBB90_303:                             ; =>This Inner Loop Header: Depth=1
	ds_read_b64 v[106:107], v105
	v_mov_b32_e32 v108, s0
	s_add_i32 s0, s0, 1
	v_add_u32_e32 v105, 8, v105
	s_cmp_lg_u32 s18, s0
	s_waitcnt lgkmcnt(0)
	v_cmp_lt_f64_e64 vcc, |v[96:97]|, |v[106:107]|
	v_cndmask_b32_e32 v97, v97, v107, vcc
	v_cndmask_b32_e32 v96, v96, v106, vcc
	;; [unrolled: 1-line block ×3, first 2 shown]
	s_cbranch_scc1 .LBB90_303
.LBB90_304:
	s_waitcnt lgkmcnt(0)
	v_cmp_eq_f64_e32 vcc, 0, v[96:97]
	s_and_saveexec_b64 s[0:1], vcc
	s_xor_b64 s[0:1], exec, s[0:1]
; %bb.305:
	v_cmp_ne_u32_e32 vcc, 0, v104
	v_cndmask_b32_e32 v104, 19, v104, vcc
; %bb.306:
	s_andn2_saveexec_b64 s[0:1], s[0:1]
; %bb.307:
	v_div_scale_f64 v[106:107], s[2:3], v[96:97], v[96:97], 1.0
	v_rcp_f64_e32 v[108:109], v[106:107]
	v_div_scale_f64 v[110:111], vcc, 1.0, v[96:97], 1.0
	v_fma_f64 v[112:113], -v[106:107], v[108:109], 1.0
	v_fmac_f64_e32 v[108:109], v[108:109], v[112:113]
	v_fma_f64 v[112:113], -v[106:107], v[108:109], 1.0
	v_fmac_f64_e32 v[108:109], v[108:109], v[112:113]
	v_mul_f64 v[112:113], v[110:111], v[108:109]
	v_fma_f64 v[106:107], -v[106:107], v[112:113], v[110:111]
	v_div_fmas_f64 v[106:107], v[106:107], v[108:109], v[112:113]
	v_div_fixup_f64 v[96:97], v[106:107], v[96:97], 1.0
; %bb.308:
	s_or_b64 exec, exec, s[0:1]
	v_cmp_ne_u32_e32 vcc, v101, v98
	s_and_saveexec_b64 s[0:1], vcc
	s_xor_b64 s[0:1], exec, s[0:1]
	s_cbranch_execz .LBB90_314
; %bb.309:
	v_cmp_eq_u32_e32 vcc, 18, v101
	s_and_saveexec_b64 s[2:3], vcc
	s_cbranch_execz .LBB90_313
; %bb.310:
	v_cmp_ne_u32_e32 vcc, 18, v98
	s_xor_b64 s[14:15], s[6:7], -1
	s_and_b64 s[16:17], s[14:15], vcc
	s_and_saveexec_b64 s[14:15], s[16:17]
	s_cbranch_execz .LBB90_312
; %bb.311:
	v_ashrrev_i32_e32 v99, 31, v98
	v_lshlrev_b64 v[106:107], 2, v[98:99]
	v_add_co_u32_e32 v106, vcc, v4, v106
	v_addc_co_u32_e32 v107, vcc, v5, v107, vcc
	flat_load_dword v99, v[106:107]
	flat_load_dword v101, v[4:5] offset:72
	s_waitcnt vmcnt(0) lgkmcnt(0)
	flat_store_dword v[4:5], v99 offset:72
	flat_store_dword v[106:107], v101
.LBB90_312:
	s_or_b64 exec, exec, s[14:15]
	v_mov_b32_e32 v99, v98
	v_mov_b32_e32 v101, v98
.LBB90_313:
	s_or_b64 exec, exec, s[2:3]
.LBB90_314:
	s_andn2_saveexec_b64 s[0:1], s[0:1]
	s_cbranch_execz .LBB90_316
; %bb.315:
	v_mov_b32_e32 v101, 18
	ds_write2_b64 v100, v[54:55], v[52:53] offset0:19 offset1:20
	ds_write2_b64 v100, v[50:51], v[48:49] offset0:21 offset1:22
	;; [unrolled: 1-line block ×13, first 2 shown]
	ds_write_b64 v100, v[94:95] offset:360
.LBB90_316:
	s_or_b64 exec, exec, s[0:1]
	v_cmp_lt_i32_e32 vcc, 18, v101
	s_waitcnt lgkmcnt(0)
	s_barrier
	s_and_saveexec_b64 s[0:1], vcc
	s_cbranch_execz .LBB90_318
; %bb.317:
	ds_read2_b64 v[106:109], v100 offset0:19 offset1:20
	ds_read2_b64 v[110:113], v100 offset0:21 offset1:22
	v_mul_f64 v[56:57], v[96:97], v[56:57]
	ds_read2_b64 v[114:117], v100 offset0:23 offset1:24
	ds_read_b64 v[96:97], v100 offset:360
	s_waitcnt lgkmcnt(0)
	v_fma_f64 v[54:55], -v[56:57], v[106:107], v[54:55]
	v_fma_f64 v[52:53], -v[56:57], v[108:109], v[52:53]
	ds_read2_b64 v[106:109], v100 offset0:25 offset1:26
	v_fma_f64 v[50:51], -v[56:57], v[110:111], v[50:51]
	v_fma_f64 v[48:49], -v[56:57], v[112:113], v[48:49]
	;; [unrolled: 1-line block ×3, first 2 shown]
	ds_read2_b64 v[110:113], v100 offset0:27 offset1:28
	v_fma_f64 v[44:45], -v[56:57], v[116:117], v[44:45]
	ds_read2_b64 v[114:117], v100 offset0:29 offset1:30
	s_waitcnt lgkmcnt(0)
	v_fma_f64 v[40:41], -v[56:57], v[106:107], v[40:41]
	v_fma_f64 v[42:43], -v[56:57], v[108:109], v[42:43]
	ds_read2_b64 v[106:109], v100 offset0:31 offset1:32
	v_fma_f64 v[38:39], -v[56:57], v[110:111], v[38:39]
	v_fma_f64 v[36:37], -v[56:57], v[112:113], v[36:37]
	ds_read2_b64 v[110:113], v100 offset0:33 offset1:34
	v_fma_f64 v[34:35], -v[56:57], v[114:115], v[34:35]
	v_fma_f64 v[32:33], -v[56:57], v[116:117], v[32:33]
	s_waitcnt lgkmcnt(0)
	v_fma_f64 v[30:31], -v[56:57], v[106:107], v[30:31]
	ds_read2_b64 v[114:117], v100 offset0:35 offset1:36
	v_fma_f64 v[28:29], -v[56:57], v[108:109], v[28:29]
	ds_read2_b64 v[106:109], v100 offset0:37 offset1:38
	v_fma_f64 v[26:27], -v[56:57], v[110:111], v[26:27]
	v_fma_f64 v[24:25], -v[56:57], v[112:113], v[24:25]
	s_waitcnt lgkmcnt(0)
	v_fma_f64 v[22:23], -v[56:57], v[114:115], v[22:23]
	ds_read2_b64 v[110:113], v100 offset0:39 offset1:40
	v_fma_f64 v[20:21], -v[56:57], v[116:117], v[20:21]
	v_fma_f64 v[18:19], -v[56:57], v[106:107], v[18:19]
	;; [unrolled: 1-line block ×3, first 2 shown]
	ds_read2_b64 v[106:109], v100 offset0:41 offset1:42
	ds_read2_b64 v[114:117], v100 offset0:43 offset1:44
	s_waitcnt lgkmcnt(0)
	v_fma_f64 v[16:17], -v[56:57], v[110:111], v[16:17]
	v_fma_f64 v[12:13], -v[56:57], v[112:113], v[12:13]
	;; [unrolled: 1-line block ×7, first 2 shown]
.LBB90_318:
	s_or_b64 exec, exec, s[0:1]
	v_lshl_add_u32 v96, v101, 3, v100
	s_barrier
	ds_write_b64 v96, v[54:55]
	s_waitcnt lgkmcnt(0)
	s_barrier
	ds_read_b64 v[96:97], v100 offset:152
	s_cmp_lt_i32 s18, 21
	v_mov_b32_e32 v98, 19
	s_cbranch_scc1 .LBB90_321
; %bb.319:
	v_add_u32_e32 v105, 0xa0, v100
	s_mov_b32 s0, 20
	v_mov_b32_e32 v98, 19
.LBB90_320:                             ; =>This Inner Loop Header: Depth=1
	ds_read_b64 v[106:107], v105
	v_mov_b32_e32 v108, s0
	s_add_i32 s0, s0, 1
	v_add_u32_e32 v105, 8, v105
	s_cmp_lg_u32 s18, s0
	s_waitcnt lgkmcnt(0)
	v_cmp_lt_f64_e64 vcc, |v[96:97]|, |v[106:107]|
	v_cndmask_b32_e32 v97, v97, v107, vcc
	v_cndmask_b32_e32 v96, v96, v106, vcc
	;; [unrolled: 1-line block ×3, first 2 shown]
	s_cbranch_scc1 .LBB90_320
.LBB90_321:
	s_waitcnt lgkmcnt(0)
	v_cmp_eq_f64_e32 vcc, 0, v[96:97]
	s_and_saveexec_b64 s[0:1], vcc
	s_xor_b64 s[0:1], exec, s[0:1]
; %bb.322:
	v_cmp_ne_u32_e32 vcc, 0, v104
	v_cndmask_b32_e32 v104, 20, v104, vcc
; %bb.323:
	s_andn2_saveexec_b64 s[0:1], s[0:1]
; %bb.324:
	v_div_scale_f64 v[106:107], s[2:3], v[96:97], v[96:97], 1.0
	v_rcp_f64_e32 v[108:109], v[106:107]
	v_div_scale_f64 v[110:111], vcc, 1.0, v[96:97], 1.0
	v_fma_f64 v[112:113], -v[106:107], v[108:109], 1.0
	v_fmac_f64_e32 v[108:109], v[108:109], v[112:113]
	v_fma_f64 v[112:113], -v[106:107], v[108:109], 1.0
	v_fmac_f64_e32 v[108:109], v[108:109], v[112:113]
	v_mul_f64 v[112:113], v[110:111], v[108:109]
	v_fma_f64 v[106:107], -v[106:107], v[112:113], v[110:111]
	v_div_fmas_f64 v[106:107], v[106:107], v[108:109], v[112:113]
	v_div_fixup_f64 v[96:97], v[106:107], v[96:97], 1.0
; %bb.325:
	s_or_b64 exec, exec, s[0:1]
	v_cmp_ne_u32_e32 vcc, v101, v98
	s_and_saveexec_b64 s[0:1], vcc
	s_xor_b64 s[0:1], exec, s[0:1]
	s_cbranch_execz .LBB90_331
; %bb.326:
	v_cmp_eq_u32_e32 vcc, 19, v101
	s_and_saveexec_b64 s[2:3], vcc
	s_cbranch_execz .LBB90_330
; %bb.327:
	v_cmp_ne_u32_e32 vcc, 19, v98
	s_xor_b64 s[14:15], s[6:7], -1
	s_and_b64 s[16:17], s[14:15], vcc
	s_and_saveexec_b64 s[14:15], s[16:17]
	s_cbranch_execz .LBB90_329
; %bb.328:
	v_ashrrev_i32_e32 v99, 31, v98
	v_lshlrev_b64 v[106:107], 2, v[98:99]
	v_add_co_u32_e32 v106, vcc, v4, v106
	v_addc_co_u32_e32 v107, vcc, v5, v107, vcc
	flat_load_dword v99, v[106:107]
	flat_load_dword v101, v[4:5] offset:76
	s_waitcnt vmcnt(0) lgkmcnt(0)
	flat_store_dword v[4:5], v99 offset:76
	flat_store_dword v[106:107], v101
.LBB90_329:
	s_or_b64 exec, exec, s[14:15]
	v_mov_b32_e32 v99, v98
	v_mov_b32_e32 v101, v98
.LBB90_330:
	s_or_b64 exec, exec, s[2:3]
.LBB90_331:
	s_andn2_saveexec_b64 s[0:1], s[0:1]
	s_cbranch_execz .LBB90_333
; %bb.332:
	v_mov_b32_e32 v106, v52
	v_mov_b32_e32 v107, v53
	v_mov_b32_e32 v108, v50
	v_mov_b32_e32 v109, v51
	ds_write2_b64 v100, v[106:107], v[108:109] offset0:20 offset1:21
	v_mov_b32_e32 v106, v48
	v_mov_b32_e32 v107, v49
	v_mov_b32_e32 v108, v46
	v_mov_b32_e32 v109, v47
	ds_write2_b64 v100, v[106:107], v[108:109] offset0:22 offset1:23
	v_mov_b32_e32 v106, v44
	v_mov_b32_e32 v107, v45
	v_mov_b32_e32 v108, v40
	v_mov_b32_e32 v109, v41
	ds_write2_b64 v100, v[106:107], v[108:109] offset0:24 offset1:25
	v_mov_b32_e32 v106, v42
	v_mov_b32_e32 v107, v43
	v_mov_b32_e32 v108, v38
	v_mov_b32_e32 v109, v39
	ds_write2_b64 v100, v[106:107], v[108:109] offset0:26 offset1:27
	v_mov_b32_e32 v106, v36
	v_mov_b32_e32 v107, v37
	v_mov_b32_e32 v108, v34
	v_mov_b32_e32 v109, v35
	ds_write2_b64 v100, v[106:107], v[108:109] offset0:28 offset1:29
	v_mov_b32_e32 v106, v32
	v_mov_b32_e32 v107, v33
	v_mov_b32_e32 v108, v30
	v_mov_b32_e32 v109, v31
	ds_write2_b64 v100, v[106:107], v[108:109] offset0:30 offset1:31
	v_mov_b32_e32 v106, v28
	v_mov_b32_e32 v107, v29
	v_mov_b32_e32 v108, v26
	v_mov_b32_e32 v109, v27
	ds_write2_b64 v100, v[106:107], v[108:109] offset0:32 offset1:33
	v_mov_b32_e32 v106, v24
	v_mov_b32_e32 v107, v25
	v_mov_b32_e32 v108, v22
	v_mov_b32_e32 v109, v23
	ds_write2_b64 v100, v[106:107], v[108:109] offset0:34 offset1:35
	v_mov_b32_e32 v106, v20
	v_mov_b32_e32 v107, v21
	v_mov_b32_e32 v108, v18
	v_mov_b32_e32 v109, v19
	ds_write2_b64 v100, v[106:107], v[108:109] offset0:36 offset1:37
	v_mov_b32_e32 v106, v14
	v_mov_b32_e32 v107, v15
	v_mov_b32_e32 v108, v16
	v_mov_b32_e32 v109, v17
	ds_write2_b64 v100, v[106:107], v[108:109] offset0:38 offset1:39
	v_mov_b32_e32 v106, v12
	v_mov_b32_e32 v107, v13
	v_mov_b32_e32 v108, v10
	v_mov_b32_e32 v109, v11
	ds_write2_b64 v100, v[106:107], v[108:109] offset0:40 offset1:41
	v_mov_b32_e32 v106, v8
	v_mov_b32_e32 v107, v9
	v_mov_b32_e32 v108, v6
	v_mov_b32_e32 v109, v7
	ds_write2_b64 v100, v[106:107], v[108:109] offset0:42 offset1:43
	v_mov_b32_e32 v106, v0
	v_mov_b32_e32 v107, v1
	;; [unrolled: 1-line block ×3, first 2 shown]
	ds_write2_b64 v100, v[106:107], v[94:95] offset0:44 offset1:45
.LBB90_333:
	s_or_b64 exec, exec, s[0:1]
	v_cmp_lt_i32_e32 vcc, 19, v101
	s_waitcnt lgkmcnt(0)
	s_barrier
	s_and_saveexec_b64 s[0:1], vcc
	s_cbranch_execz .LBB90_335
; %bb.334:
	ds_read2_b64 v[106:109], v100 offset0:20 offset1:21
	ds_read2_b64 v[110:113], v100 offset0:22 offset1:23
	v_mul_f64 v[54:55], v[96:97], v[54:55]
	ds_read2_b64 v[114:117], v100 offset0:24 offset1:25
	s_waitcnt lgkmcnt(0)
	v_fma_f64 v[52:53], -v[54:55], v[106:107], v[52:53]
	v_fma_f64 v[50:51], -v[54:55], v[108:109], v[50:51]
	ds_read2_b64 v[106:109], v100 offset0:26 offset1:27
	v_fma_f64 v[48:49], -v[54:55], v[110:111], v[48:49]
	v_fma_f64 v[46:47], -v[54:55], v[112:113], v[46:47]
	;; [unrolled: 1-line block ×3, first 2 shown]
	ds_read2_b64 v[110:113], v100 offset0:28 offset1:29
	v_fma_f64 v[40:41], -v[54:55], v[116:117], v[40:41]
	ds_read2_b64 v[114:117], v100 offset0:30 offset1:31
	s_waitcnt lgkmcnt(0)
	v_fma_f64 v[42:43], -v[54:55], v[106:107], v[42:43]
	v_fma_f64 v[38:39], -v[54:55], v[108:109], v[38:39]
	ds_read2_b64 v[106:109], v100 offset0:32 offset1:33
	v_fma_f64 v[36:37], -v[54:55], v[110:111], v[36:37]
	v_fma_f64 v[34:35], -v[54:55], v[112:113], v[34:35]
	ds_read2_b64 v[110:113], v100 offset0:34 offset1:35
	v_fma_f64 v[32:33], -v[54:55], v[114:115], v[32:33]
	v_fma_f64 v[30:31], -v[54:55], v[116:117], v[30:31]
	s_waitcnt lgkmcnt(0)
	v_fma_f64 v[28:29], -v[54:55], v[106:107], v[28:29]
	ds_read2_b64 v[114:117], v100 offset0:36 offset1:37
	v_fma_f64 v[26:27], -v[54:55], v[108:109], v[26:27]
	ds_read2_b64 v[106:109], v100 offset0:38 offset1:39
	v_fma_f64 v[24:25], -v[54:55], v[110:111], v[24:25]
	v_fma_f64 v[22:23], -v[54:55], v[112:113], v[22:23]
	s_waitcnt lgkmcnt(0)
	v_fma_f64 v[20:21], -v[54:55], v[114:115], v[20:21]
	v_fma_f64 v[18:19], -v[54:55], v[116:117], v[18:19]
	ds_read2_b64 v[110:113], v100 offset0:40 offset1:41
	ds_read2_b64 v[114:117], v100 offset0:42 offset1:43
	v_fma_f64 v[14:15], -v[54:55], v[106:107], v[14:15]
	v_fma_f64 v[16:17], -v[54:55], v[108:109], v[16:17]
	ds_read2_b64 v[106:109], v100 offset0:44 offset1:45
	s_waitcnt lgkmcnt(0)
	v_fma_f64 v[12:13], -v[54:55], v[110:111], v[12:13]
	v_fma_f64 v[10:11], -v[54:55], v[112:113], v[10:11]
	v_fma_f64 v[8:9], -v[54:55], v[114:115], v[8:9]
	v_fma_f64 v[6:7], -v[54:55], v[116:117], v[6:7]
	v_fma_f64 v[0:1], -v[54:55], v[106:107], v[0:1]
	v_fma_f64 v[94:95], -v[54:55], v[108:109], v[94:95]
.LBB90_335:
	s_or_b64 exec, exec, s[0:1]
	v_lshl_add_u32 v96, v101, 3, v100
	s_barrier
	ds_write_b64 v96, v[52:53]
	s_waitcnt lgkmcnt(0)
	s_barrier
	ds_read_b64 v[96:97], v100 offset:160
	s_cmp_lt_i32 s18, 22
	v_mov_b32_e32 v98, 20
	s_cbranch_scc1 .LBB90_338
; %bb.336:
	v_add_u32_e32 v105, 0xa8, v100
	s_mov_b32 s0, 21
	v_mov_b32_e32 v98, 20
.LBB90_337:                             ; =>This Inner Loop Header: Depth=1
	ds_read_b64 v[106:107], v105
	v_mov_b32_e32 v108, s0
	s_add_i32 s0, s0, 1
	v_add_u32_e32 v105, 8, v105
	s_cmp_lg_u32 s18, s0
	s_waitcnt lgkmcnt(0)
	v_cmp_lt_f64_e64 vcc, |v[96:97]|, |v[106:107]|
	v_cndmask_b32_e32 v97, v97, v107, vcc
	v_cndmask_b32_e32 v96, v96, v106, vcc
	;; [unrolled: 1-line block ×3, first 2 shown]
	s_cbranch_scc1 .LBB90_337
.LBB90_338:
	s_waitcnt lgkmcnt(0)
	v_cmp_eq_f64_e32 vcc, 0, v[96:97]
	s_and_saveexec_b64 s[0:1], vcc
	s_xor_b64 s[0:1], exec, s[0:1]
; %bb.339:
	v_cmp_ne_u32_e32 vcc, 0, v104
	v_cndmask_b32_e32 v104, 21, v104, vcc
; %bb.340:
	s_andn2_saveexec_b64 s[0:1], s[0:1]
; %bb.341:
	v_div_scale_f64 v[106:107], s[2:3], v[96:97], v[96:97], 1.0
	v_rcp_f64_e32 v[108:109], v[106:107]
	v_div_scale_f64 v[110:111], vcc, 1.0, v[96:97], 1.0
	v_fma_f64 v[112:113], -v[106:107], v[108:109], 1.0
	v_fmac_f64_e32 v[108:109], v[108:109], v[112:113]
	v_fma_f64 v[112:113], -v[106:107], v[108:109], 1.0
	v_fmac_f64_e32 v[108:109], v[108:109], v[112:113]
	v_mul_f64 v[112:113], v[110:111], v[108:109]
	v_fma_f64 v[106:107], -v[106:107], v[112:113], v[110:111]
	v_div_fmas_f64 v[106:107], v[106:107], v[108:109], v[112:113]
	v_div_fixup_f64 v[96:97], v[106:107], v[96:97], 1.0
; %bb.342:
	s_or_b64 exec, exec, s[0:1]
	v_cmp_ne_u32_e32 vcc, v101, v98
	s_and_saveexec_b64 s[0:1], vcc
	s_xor_b64 s[0:1], exec, s[0:1]
	s_cbranch_execz .LBB90_348
; %bb.343:
	v_cmp_eq_u32_e32 vcc, 20, v101
	s_and_saveexec_b64 s[2:3], vcc
	s_cbranch_execz .LBB90_347
; %bb.344:
	v_cmp_ne_u32_e32 vcc, 20, v98
	s_xor_b64 s[14:15], s[6:7], -1
	s_and_b64 s[16:17], s[14:15], vcc
	s_and_saveexec_b64 s[14:15], s[16:17]
	s_cbranch_execz .LBB90_346
; %bb.345:
	v_ashrrev_i32_e32 v99, 31, v98
	v_lshlrev_b64 v[106:107], 2, v[98:99]
	v_add_co_u32_e32 v106, vcc, v4, v106
	v_addc_co_u32_e32 v107, vcc, v5, v107, vcc
	flat_load_dword v99, v[106:107]
	flat_load_dword v101, v[4:5] offset:80
	s_waitcnt vmcnt(0) lgkmcnt(0)
	flat_store_dword v[4:5], v99 offset:80
	flat_store_dword v[106:107], v101
.LBB90_346:
	s_or_b64 exec, exec, s[14:15]
	v_mov_b32_e32 v99, v98
	v_mov_b32_e32 v101, v98
.LBB90_347:
	s_or_b64 exec, exec, s[2:3]
.LBB90_348:
	s_andn2_saveexec_b64 s[0:1], s[0:1]
	s_cbranch_execz .LBB90_350
; %bb.349:
	v_mov_b32_e32 v101, 20
	ds_write2_b64 v100, v[50:51], v[48:49] offset0:21 offset1:22
	ds_write2_b64 v100, v[46:47], v[44:45] offset0:23 offset1:24
	;; [unrolled: 1-line block ×12, first 2 shown]
	ds_write_b64 v100, v[94:95] offset:360
.LBB90_350:
	s_or_b64 exec, exec, s[0:1]
	v_cmp_lt_i32_e32 vcc, 20, v101
	s_waitcnt lgkmcnt(0)
	s_barrier
	s_and_saveexec_b64 s[0:1], vcc
	s_cbranch_execz .LBB90_352
; %bb.351:
	ds_read2_b64 v[106:109], v100 offset0:21 offset1:22
	ds_read2_b64 v[110:113], v100 offset0:23 offset1:24
	;; [unrolled: 1-line block ×3, first 2 shown]
	v_mul_f64 v[52:53], v[96:97], v[52:53]
	ds_read_b64 v[96:97], v100 offset:360
	s_waitcnt lgkmcnt(0)
	v_fma_f64 v[50:51], -v[52:53], v[106:107], v[50:51]
	v_fma_f64 v[48:49], -v[52:53], v[108:109], v[48:49]
	ds_read2_b64 v[106:109], v100 offset0:27 offset1:28
	v_fma_f64 v[46:47], -v[52:53], v[110:111], v[46:47]
	v_fma_f64 v[44:45], -v[52:53], v[112:113], v[44:45]
	v_fma_f64 v[40:41], -v[52:53], v[114:115], v[40:41]
	ds_read2_b64 v[110:113], v100 offset0:29 offset1:30
	v_fma_f64 v[42:43], -v[52:53], v[116:117], v[42:43]
	ds_read2_b64 v[114:117], v100 offset0:31 offset1:32
	s_waitcnt lgkmcnt(0)
	v_fma_f64 v[38:39], -v[52:53], v[106:107], v[38:39]
	v_fma_f64 v[36:37], -v[52:53], v[108:109], v[36:37]
	;; [unrolled: 1-line block ×3, first 2 shown]
	ds_read2_b64 v[106:109], v100 offset0:33 offset1:34
	v_fma_f64 v[32:33], -v[52:53], v[112:113], v[32:33]
	ds_read2_b64 v[110:113], v100 offset0:35 offset1:36
	v_fma_f64 v[30:31], -v[52:53], v[114:115], v[30:31]
	v_fma_f64 v[28:29], -v[52:53], v[116:117], v[28:29]
	ds_read2_b64 v[114:117], v100 offset0:37 offset1:38
	s_waitcnt lgkmcnt(0)
	v_fma_f64 v[26:27], -v[52:53], v[106:107], v[26:27]
	v_fma_f64 v[24:25], -v[52:53], v[108:109], v[24:25]
	ds_read2_b64 v[106:109], v100 offset0:39 offset1:40
	v_fma_f64 v[22:23], -v[52:53], v[110:111], v[22:23]
	v_fma_f64 v[20:21], -v[52:53], v[112:113], v[20:21]
	;; [unrolled: 1-line block ×4, first 2 shown]
	ds_read2_b64 v[110:113], v100 offset0:41 offset1:42
	ds_read2_b64 v[114:117], v100 offset0:43 offset1:44
	s_waitcnt lgkmcnt(0)
	v_fma_f64 v[16:17], -v[52:53], v[106:107], v[16:17]
	v_fma_f64 v[12:13], -v[52:53], v[108:109], v[12:13]
	;; [unrolled: 1-line block ×7, first 2 shown]
.LBB90_352:
	s_or_b64 exec, exec, s[0:1]
	v_lshl_add_u32 v96, v101, 3, v100
	s_barrier
	ds_write_b64 v96, v[50:51]
	s_waitcnt lgkmcnt(0)
	s_barrier
	ds_read_b64 v[96:97], v100 offset:168
	s_cmp_lt_i32 s18, 23
	v_mov_b32_e32 v98, 21
	s_cbranch_scc1 .LBB90_355
; %bb.353:
	v_add_u32_e32 v105, 0xb0, v100
	s_mov_b32 s0, 22
	v_mov_b32_e32 v98, 21
.LBB90_354:                             ; =>This Inner Loop Header: Depth=1
	ds_read_b64 v[106:107], v105
	v_mov_b32_e32 v108, s0
	s_add_i32 s0, s0, 1
	v_add_u32_e32 v105, 8, v105
	s_cmp_lg_u32 s18, s0
	s_waitcnt lgkmcnt(0)
	v_cmp_lt_f64_e64 vcc, |v[96:97]|, |v[106:107]|
	v_cndmask_b32_e32 v97, v97, v107, vcc
	v_cndmask_b32_e32 v96, v96, v106, vcc
	;; [unrolled: 1-line block ×3, first 2 shown]
	s_cbranch_scc1 .LBB90_354
.LBB90_355:
	s_waitcnt lgkmcnt(0)
	v_cmp_eq_f64_e32 vcc, 0, v[96:97]
	s_and_saveexec_b64 s[0:1], vcc
	s_xor_b64 s[0:1], exec, s[0:1]
; %bb.356:
	v_cmp_ne_u32_e32 vcc, 0, v104
	v_cndmask_b32_e32 v104, 22, v104, vcc
; %bb.357:
	s_andn2_saveexec_b64 s[0:1], s[0:1]
; %bb.358:
	v_div_scale_f64 v[106:107], s[2:3], v[96:97], v[96:97], 1.0
	v_rcp_f64_e32 v[108:109], v[106:107]
	v_div_scale_f64 v[110:111], vcc, 1.0, v[96:97], 1.0
	v_fma_f64 v[112:113], -v[106:107], v[108:109], 1.0
	v_fmac_f64_e32 v[108:109], v[108:109], v[112:113]
	v_fma_f64 v[112:113], -v[106:107], v[108:109], 1.0
	v_fmac_f64_e32 v[108:109], v[108:109], v[112:113]
	v_mul_f64 v[112:113], v[110:111], v[108:109]
	v_fma_f64 v[106:107], -v[106:107], v[112:113], v[110:111]
	v_div_fmas_f64 v[106:107], v[106:107], v[108:109], v[112:113]
	v_div_fixup_f64 v[96:97], v[106:107], v[96:97], 1.0
; %bb.359:
	s_or_b64 exec, exec, s[0:1]
	v_cmp_ne_u32_e32 vcc, v101, v98
	s_and_saveexec_b64 s[0:1], vcc
	s_xor_b64 s[0:1], exec, s[0:1]
	s_cbranch_execz .LBB90_365
; %bb.360:
	v_cmp_eq_u32_e32 vcc, 21, v101
	s_and_saveexec_b64 s[2:3], vcc
	s_cbranch_execz .LBB90_364
; %bb.361:
	v_cmp_ne_u32_e32 vcc, 21, v98
	s_xor_b64 s[14:15], s[6:7], -1
	s_and_b64 s[16:17], s[14:15], vcc
	s_and_saveexec_b64 s[14:15], s[16:17]
	s_cbranch_execz .LBB90_363
; %bb.362:
	v_ashrrev_i32_e32 v99, 31, v98
	v_lshlrev_b64 v[106:107], 2, v[98:99]
	v_add_co_u32_e32 v106, vcc, v4, v106
	v_addc_co_u32_e32 v107, vcc, v5, v107, vcc
	flat_load_dword v99, v[106:107]
	flat_load_dword v101, v[4:5] offset:84
	s_waitcnt vmcnt(0) lgkmcnt(0)
	flat_store_dword v[4:5], v99 offset:84
	flat_store_dword v[106:107], v101
.LBB90_363:
	s_or_b64 exec, exec, s[14:15]
	v_mov_b32_e32 v99, v98
	v_mov_b32_e32 v101, v98
.LBB90_364:
	s_or_b64 exec, exec, s[2:3]
.LBB90_365:
	s_andn2_saveexec_b64 s[0:1], s[0:1]
	s_cbranch_execz .LBB90_367
; %bb.366:
	v_mov_b32_e32 v106, v48
	v_mov_b32_e32 v107, v49
	v_mov_b32_e32 v108, v46
	v_mov_b32_e32 v109, v47
	ds_write2_b64 v100, v[106:107], v[108:109] offset0:22 offset1:23
	v_mov_b32_e32 v106, v44
	v_mov_b32_e32 v107, v45
	v_mov_b32_e32 v108, v40
	v_mov_b32_e32 v109, v41
	ds_write2_b64 v100, v[106:107], v[108:109] offset0:24 offset1:25
	v_mov_b32_e32 v106, v42
	v_mov_b32_e32 v107, v43
	v_mov_b32_e32 v108, v38
	v_mov_b32_e32 v109, v39
	ds_write2_b64 v100, v[106:107], v[108:109] offset0:26 offset1:27
	v_mov_b32_e32 v106, v36
	v_mov_b32_e32 v107, v37
	v_mov_b32_e32 v108, v34
	v_mov_b32_e32 v109, v35
	ds_write2_b64 v100, v[106:107], v[108:109] offset0:28 offset1:29
	v_mov_b32_e32 v106, v32
	v_mov_b32_e32 v107, v33
	v_mov_b32_e32 v108, v30
	v_mov_b32_e32 v109, v31
	ds_write2_b64 v100, v[106:107], v[108:109] offset0:30 offset1:31
	v_mov_b32_e32 v106, v28
	v_mov_b32_e32 v107, v29
	v_mov_b32_e32 v108, v26
	v_mov_b32_e32 v109, v27
	ds_write2_b64 v100, v[106:107], v[108:109] offset0:32 offset1:33
	v_mov_b32_e32 v106, v24
	v_mov_b32_e32 v107, v25
	v_mov_b32_e32 v108, v22
	v_mov_b32_e32 v109, v23
	ds_write2_b64 v100, v[106:107], v[108:109] offset0:34 offset1:35
	v_mov_b32_e32 v106, v20
	v_mov_b32_e32 v107, v21
	v_mov_b32_e32 v108, v18
	v_mov_b32_e32 v109, v19
	ds_write2_b64 v100, v[106:107], v[108:109] offset0:36 offset1:37
	v_mov_b32_e32 v106, v14
	v_mov_b32_e32 v107, v15
	v_mov_b32_e32 v108, v16
	v_mov_b32_e32 v109, v17
	ds_write2_b64 v100, v[106:107], v[108:109] offset0:38 offset1:39
	v_mov_b32_e32 v106, v12
	v_mov_b32_e32 v107, v13
	v_mov_b32_e32 v108, v10
	v_mov_b32_e32 v109, v11
	ds_write2_b64 v100, v[106:107], v[108:109] offset0:40 offset1:41
	v_mov_b32_e32 v106, v8
	v_mov_b32_e32 v107, v9
	v_mov_b32_e32 v108, v6
	v_mov_b32_e32 v109, v7
	ds_write2_b64 v100, v[106:107], v[108:109] offset0:42 offset1:43
	v_mov_b32_e32 v106, v0
	v_mov_b32_e32 v107, v1
	;; [unrolled: 1-line block ×3, first 2 shown]
	ds_write2_b64 v100, v[106:107], v[94:95] offset0:44 offset1:45
.LBB90_367:
	s_or_b64 exec, exec, s[0:1]
	v_cmp_lt_i32_e32 vcc, 21, v101
	s_waitcnt lgkmcnt(0)
	s_barrier
	s_and_saveexec_b64 s[0:1], vcc
	s_cbranch_execz .LBB90_369
; %bb.368:
	ds_read2_b64 v[106:109], v100 offset0:22 offset1:23
	ds_read2_b64 v[110:113], v100 offset0:24 offset1:25
	;; [unrolled: 1-line block ×3, first 2 shown]
	v_mul_f64 v[50:51], v[96:97], v[50:51]
	s_waitcnt lgkmcnt(0)
	v_fma_f64 v[48:49], -v[50:51], v[106:107], v[48:49]
	v_fma_f64 v[46:47], -v[50:51], v[108:109], v[46:47]
	ds_read2_b64 v[106:109], v100 offset0:28 offset1:29
	v_fma_f64 v[44:45], -v[50:51], v[110:111], v[44:45]
	v_fma_f64 v[40:41], -v[50:51], v[112:113], v[40:41]
	;; [unrolled: 1-line block ×3, first 2 shown]
	ds_read2_b64 v[110:113], v100 offset0:30 offset1:31
	v_fma_f64 v[38:39], -v[50:51], v[116:117], v[38:39]
	ds_read2_b64 v[114:117], v100 offset0:32 offset1:33
	s_waitcnt lgkmcnt(0)
	v_fma_f64 v[36:37], -v[50:51], v[106:107], v[36:37]
	v_fma_f64 v[34:35], -v[50:51], v[108:109], v[34:35]
	v_fma_f64 v[32:33], -v[50:51], v[110:111], v[32:33]
	ds_read2_b64 v[106:109], v100 offset0:34 offset1:35
	v_fma_f64 v[30:31], -v[50:51], v[112:113], v[30:31]
	ds_read2_b64 v[110:113], v100 offset0:36 offset1:37
	v_fma_f64 v[28:29], -v[50:51], v[114:115], v[28:29]
	v_fma_f64 v[26:27], -v[50:51], v[116:117], v[26:27]
	ds_read2_b64 v[114:117], v100 offset0:38 offset1:39
	s_waitcnt lgkmcnt(0)
	v_fma_f64 v[24:25], -v[50:51], v[106:107], v[24:25]
	v_fma_f64 v[22:23], -v[50:51], v[108:109], v[22:23]
	ds_read2_b64 v[106:109], v100 offset0:40 offset1:41
	v_fma_f64 v[20:21], -v[50:51], v[110:111], v[20:21]
	v_fma_f64 v[18:19], -v[50:51], v[112:113], v[18:19]
	;; [unrolled: 1-line block ×3, first 2 shown]
	ds_read2_b64 v[110:113], v100 offset0:42 offset1:43
	v_fma_f64 v[16:17], -v[50:51], v[116:117], v[16:17]
	ds_read2_b64 v[114:117], v100 offset0:44 offset1:45
	s_waitcnt lgkmcnt(0)
	v_fma_f64 v[12:13], -v[50:51], v[106:107], v[12:13]
	v_fma_f64 v[10:11], -v[50:51], v[108:109], v[10:11]
	;; [unrolled: 1-line block ×6, first 2 shown]
.LBB90_369:
	s_or_b64 exec, exec, s[0:1]
	v_lshl_add_u32 v96, v101, 3, v100
	s_barrier
	ds_write_b64 v96, v[48:49]
	s_waitcnt lgkmcnt(0)
	s_barrier
	ds_read_b64 v[96:97], v100 offset:176
	s_cmp_lt_i32 s18, 24
	v_mov_b32_e32 v98, 22
	s_cbranch_scc1 .LBB90_372
; %bb.370:
	v_add_u32_e32 v105, 0xb8, v100
	s_mov_b32 s0, 23
	v_mov_b32_e32 v98, 22
.LBB90_371:                             ; =>This Inner Loop Header: Depth=1
	ds_read_b64 v[106:107], v105
	v_mov_b32_e32 v108, s0
	s_add_i32 s0, s0, 1
	v_add_u32_e32 v105, 8, v105
	s_cmp_lg_u32 s18, s0
	s_waitcnt lgkmcnt(0)
	v_cmp_lt_f64_e64 vcc, |v[96:97]|, |v[106:107]|
	v_cndmask_b32_e32 v97, v97, v107, vcc
	v_cndmask_b32_e32 v96, v96, v106, vcc
	;; [unrolled: 1-line block ×3, first 2 shown]
	s_cbranch_scc1 .LBB90_371
.LBB90_372:
	s_waitcnt lgkmcnt(0)
	v_cmp_eq_f64_e32 vcc, 0, v[96:97]
	s_and_saveexec_b64 s[0:1], vcc
	s_xor_b64 s[0:1], exec, s[0:1]
; %bb.373:
	v_cmp_ne_u32_e32 vcc, 0, v104
	v_cndmask_b32_e32 v104, 23, v104, vcc
; %bb.374:
	s_andn2_saveexec_b64 s[0:1], s[0:1]
; %bb.375:
	v_div_scale_f64 v[106:107], s[2:3], v[96:97], v[96:97], 1.0
	v_rcp_f64_e32 v[108:109], v[106:107]
	v_div_scale_f64 v[110:111], vcc, 1.0, v[96:97], 1.0
	v_fma_f64 v[112:113], -v[106:107], v[108:109], 1.0
	v_fmac_f64_e32 v[108:109], v[108:109], v[112:113]
	v_fma_f64 v[112:113], -v[106:107], v[108:109], 1.0
	v_fmac_f64_e32 v[108:109], v[108:109], v[112:113]
	v_mul_f64 v[112:113], v[110:111], v[108:109]
	v_fma_f64 v[106:107], -v[106:107], v[112:113], v[110:111]
	v_div_fmas_f64 v[106:107], v[106:107], v[108:109], v[112:113]
	v_div_fixup_f64 v[96:97], v[106:107], v[96:97], 1.0
; %bb.376:
	s_or_b64 exec, exec, s[0:1]
	v_cmp_ne_u32_e32 vcc, v101, v98
	s_and_saveexec_b64 s[0:1], vcc
	s_xor_b64 s[0:1], exec, s[0:1]
	s_cbranch_execz .LBB90_382
; %bb.377:
	v_cmp_eq_u32_e32 vcc, 22, v101
	s_and_saveexec_b64 s[2:3], vcc
	s_cbranch_execz .LBB90_381
; %bb.378:
	v_cmp_ne_u32_e32 vcc, 22, v98
	s_xor_b64 s[14:15], s[6:7], -1
	s_and_b64 s[16:17], s[14:15], vcc
	s_and_saveexec_b64 s[14:15], s[16:17]
	s_cbranch_execz .LBB90_380
; %bb.379:
	v_ashrrev_i32_e32 v99, 31, v98
	v_lshlrev_b64 v[106:107], 2, v[98:99]
	v_add_co_u32_e32 v106, vcc, v4, v106
	v_addc_co_u32_e32 v107, vcc, v5, v107, vcc
	flat_load_dword v99, v[106:107]
	flat_load_dword v101, v[4:5] offset:88
	s_waitcnt vmcnt(0) lgkmcnt(0)
	flat_store_dword v[4:5], v99 offset:88
	flat_store_dword v[106:107], v101
.LBB90_380:
	s_or_b64 exec, exec, s[14:15]
	v_mov_b32_e32 v99, v98
	v_mov_b32_e32 v101, v98
.LBB90_381:
	s_or_b64 exec, exec, s[2:3]
.LBB90_382:
	s_andn2_saveexec_b64 s[0:1], s[0:1]
	s_cbranch_execz .LBB90_384
; %bb.383:
	v_mov_b32_e32 v101, 22
	ds_write2_b64 v100, v[46:47], v[44:45] offset0:23 offset1:24
	ds_write2_b64 v100, v[40:41], v[42:43] offset0:25 offset1:26
	;; [unrolled: 1-line block ×11, first 2 shown]
	ds_write_b64 v100, v[94:95] offset:360
.LBB90_384:
	s_or_b64 exec, exec, s[0:1]
	v_cmp_lt_i32_e32 vcc, 22, v101
	s_waitcnt lgkmcnt(0)
	s_barrier
	s_and_saveexec_b64 s[0:1], vcc
	s_cbranch_execz .LBB90_386
; %bb.385:
	ds_read2_b64 v[106:109], v100 offset0:23 offset1:24
	ds_read2_b64 v[110:113], v100 offset0:25 offset1:26
	v_mul_f64 v[48:49], v[96:97], v[48:49]
	ds_read2_b64 v[114:117], v100 offset0:27 offset1:28
	ds_read_b64 v[96:97], v100 offset:360
	s_waitcnt lgkmcnt(0)
	v_fma_f64 v[46:47], -v[48:49], v[106:107], v[46:47]
	v_fma_f64 v[44:45], -v[48:49], v[108:109], v[44:45]
	ds_read2_b64 v[106:109], v100 offset0:29 offset1:30
	v_fma_f64 v[40:41], -v[48:49], v[110:111], v[40:41]
	v_fma_f64 v[42:43], -v[48:49], v[112:113], v[42:43]
	ds_read2_b64 v[110:113], v100 offset0:31 offset1:32
	;; [unrolled: 3-line block ×3, first 2 shown]
	s_waitcnt lgkmcnt(0)
	v_fma_f64 v[34:35], -v[48:49], v[106:107], v[34:35]
	v_fma_f64 v[32:33], -v[48:49], v[108:109], v[32:33]
	;; [unrolled: 1-line block ×3, first 2 shown]
	ds_read2_b64 v[106:109], v100 offset0:35 offset1:36
	v_fma_f64 v[28:29], -v[48:49], v[112:113], v[28:29]
	ds_read2_b64 v[110:113], v100 offset0:37 offset1:38
	v_fma_f64 v[26:27], -v[48:49], v[114:115], v[26:27]
	v_fma_f64 v[24:25], -v[48:49], v[116:117], v[24:25]
	s_waitcnt lgkmcnt(0)
	v_fma_f64 v[22:23], -v[48:49], v[106:107], v[22:23]
	ds_read2_b64 v[114:117], v100 offset0:39 offset1:40
	v_fma_f64 v[20:21], -v[48:49], v[108:109], v[20:21]
	ds_read2_b64 v[106:109], v100 offset0:41 offset1:42
	v_fma_f64 v[18:19], -v[48:49], v[110:111], v[18:19]
	v_fma_f64 v[14:15], -v[48:49], v[112:113], v[14:15]
	ds_read2_b64 v[110:113], v100 offset0:43 offset1:44
	s_waitcnt lgkmcnt(0)
	v_fma_f64 v[16:17], -v[48:49], v[114:115], v[16:17]
	v_fma_f64 v[12:13], -v[48:49], v[116:117], v[12:13]
	;; [unrolled: 1-line block ×7, first 2 shown]
.LBB90_386:
	s_or_b64 exec, exec, s[0:1]
	v_lshl_add_u32 v96, v101, 3, v100
	s_barrier
	ds_write_b64 v96, v[46:47]
	s_waitcnt lgkmcnt(0)
	s_barrier
	ds_read_b64 v[96:97], v100 offset:184
	s_cmp_lt_i32 s18, 25
	v_mov_b32_e32 v98, 23
	s_cbranch_scc1 .LBB90_389
; %bb.387:
	v_add_u32_e32 v105, 0xc0, v100
	s_mov_b32 s0, 24
	v_mov_b32_e32 v98, 23
.LBB90_388:                             ; =>This Inner Loop Header: Depth=1
	ds_read_b64 v[106:107], v105
	v_mov_b32_e32 v108, s0
	s_add_i32 s0, s0, 1
	v_add_u32_e32 v105, 8, v105
	s_cmp_lg_u32 s18, s0
	s_waitcnt lgkmcnt(0)
	v_cmp_lt_f64_e64 vcc, |v[96:97]|, |v[106:107]|
	v_cndmask_b32_e32 v97, v97, v107, vcc
	v_cndmask_b32_e32 v96, v96, v106, vcc
	;; [unrolled: 1-line block ×3, first 2 shown]
	s_cbranch_scc1 .LBB90_388
.LBB90_389:
	s_waitcnt lgkmcnt(0)
	v_cmp_eq_f64_e32 vcc, 0, v[96:97]
	s_and_saveexec_b64 s[0:1], vcc
	s_xor_b64 s[0:1], exec, s[0:1]
; %bb.390:
	v_cmp_ne_u32_e32 vcc, 0, v104
	v_cndmask_b32_e32 v104, 24, v104, vcc
; %bb.391:
	s_andn2_saveexec_b64 s[0:1], s[0:1]
; %bb.392:
	v_div_scale_f64 v[106:107], s[2:3], v[96:97], v[96:97], 1.0
	v_rcp_f64_e32 v[108:109], v[106:107]
	v_div_scale_f64 v[110:111], vcc, 1.0, v[96:97], 1.0
	v_fma_f64 v[112:113], -v[106:107], v[108:109], 1.0
	v_fmac_f64_e32 v[108:109], v[108:109], v[112:113]
	v_fma_f64 v[112:113], -v[106:107], v[108:109], 1.0
	v_fmac_f64_e32 v[108:109], v[108:109], v[112:113]
	v_mul_f64 v[112:113], v[110:111], v[108:109]
	v_fma_f64 v[106:107], -v[106:107], v[112:113], v[110:111]
	v_div_fmas_f64 v[106:107], v[106:107], v[108:109], v[112:113]
	v_div_fixup_f64 v[96:97], v[106:107], v[96:97], 1.0
; %bb.393:
	s_or_b64 exec, exec, s[0:1]
	v_cmp_ne_u32_e32 vcc, v101, v98
	s_and_saveexec_b64 s[0:1], vcc
	s_xor_b64 s[0:1], exec, s[0:1]
	s_cbranch_execz .LBB90_399
; %bb.394:
	v_cmp_eq_u32_e32 vcc, 23, v101
	s_and_saveexec_b64 s[2:3], vcc
	s_cbranch_execz .LBB90_398
; %bb.395:
	v_cmp_ne_u32_e32 vcc, 23, v98
	s_xor_b64 s[14:15], s[6:7], -1
	s_and_b64 s[16:17], s[14:15], vcc
	s_and_saveexec_b64 s[14:15], s[16:17]
	s_cbranch_execz .LBB90_397
; %bb.396:
	v_ashrrev_i32_e32 v99, 31, v98
	v_lshlrev_b64 v[106:107], 2, v[98:99]
	v_add_co_u32_e32 v106, vcc, v4, v106
	v_addc_co_u32_e32 v107, vcc, v5, v107, vcc
	flat_load_dword v99, v[106:107]
	flat_load_dword v101, v[4:5] offset:92
	s_waitcnt vmcnt(0) lgkmcnt(0)
	flat_store_dword v[4:5], v99 offset:92
	flat_store_dword v[106:107], v101
.LBB90_397:
	s_or_b64 exec, exec, s[14:15]
	v_mov_b32_e32 v99, v98
	v_mov_b32_e32 v101, v98
.LBB90_398:
	s_or_b64 exec, exec, s[2:3]
.LBB90_399:
	s_andn2_saveexec_b64 s[0:1], s[0:1]
	s_cbranch_execz .LBB90_401
; %bb.400:
	v_mov_b32_e32 v106, v44
	v_mov_b32_e32 v107, v45
	v_mov_b32_e32 v108, v40
	v_mov_b32_e32 v109, v41
	ds_write2_b64 v100, v[106:107], v[108:109] offset0:24 offset1:25
	v_mov_b32_e32 v106, v42
	v_mov_b32_e32 v107, v43
	v_mov_b32_e32 v108, v38
	v_mov_b32_e32 v109, v39
	ds_write2_b64 v100, v[106:107], v[108:109] offset0:26 offset1:27
	;; [unrolled: 5-line block ×10, first 2 shown]
	v_mov_b32_e32 v106, v0
	v_mov_b32_e32 v107, v1
	;; [unrolled: 1-line block ×3, first 2 shown]
	ds_write2_b64 v100, v[106:107], v[94:95] offset0:44 offset1:45
.LBB90_401:
	s_or_b64 exec, exec, s[0:1]
	v_cmp_lt_i32_e32 vcc, 23, v101
	s_waitcnt lgkmcnt(0)
	s_barrier
	s_and_saveexec_b64 s[0:1], vcc
	s_cbranch_execz .LBB90_403
; %bb.402:
	ds_read2_b64 v[106:109], v100 offset0:24 offset1:25
	ds_read2_b64 v[110:113], v100 offset0:26 offset1:27
	v_mul_f64 v[46:47], v[96:97], v[46:47]
	ds_read2_b64 v[114:117], v100 offset0:28 offset1:29
	s_waitcnt lgkmcnt(0)
	v_fma_f64 v[44:45], -v[46:47], v[106:107], v[44:45]
	v_fma_f64 v[40:41], -v[46:47], v[108:109], v[40:41]
	ds_read2_b64 v[106:109], v100 offset0:30 offset1:31
	v_fma_f64 v[42:43], -v[46:47], v[110:111], v[42:43]
	v_fma_f64 v[38:39], -v[46:47], v[112:113], v[38:39]
	ds_read2_b64 v[110:113], v100 offset0:32 offset1:33
	;; [unrolled: 3-line block ×3, first 2 shown]
	s_waitcnt lgkmcnt(0)
	v_fma_f64 v[32:33], -v[46:47], v[106:107], v[32:33]
	v_fma_f64 v[30:31], -v[46:47], v[108:109], v[30:31]
	;; [unrolled: 1-line block ×3, first 2 shown]
	ds_read2_b64 v[106:109], v100 offset0:36 offset1:37
	v_fma_f64 v[26:27], -v[46:47], v[112:113], v[26:27]
	ds_read2_b64 v[110:113], v100 offset0:38 offset1:39
	v_fma_f64 v[24:25], -v[46:47], v[114:115], v[24:25]
	v_fma_f64 v[22:23], -v[46:47], v[116:117], v[22:23]
	s_waitcnt lgkmcnt(0)
	v_fma_f64 v[20:21], -v[46:47], v[106:107], v[20:21]
	v_fma_f64 v[18:19], -v[46:47], v[108:109], v[18:19]
	ds_read2_b64 v[106:109], v100 offset0:40 offset1:41
	ds_read2_b64 v[114:117], v100 offset0:42 offset1:43
	v_fma_f64 v[14:15], -v[46:47], v[110:111], v[14:15]
	v_fma_f64 v[16:17], -v[46:47], v[112:113], v[16:17]
	ds_read2_b64 v[110:113], v100 offset0:44 offset1:45
	s_waitcnt lgkmcnt(0)
	v_fma_f64 v[12:13], -v[46:47], v[106:107], v[12:13]
	v_fma_f64 v[10:11], -v[46:47], v[108:109], v[10:11]
	;; [unrolled: 1-line block ×6, first 2 shown]
.LBB90_403:
	s_or_b64 exec, exec, s[0:1]
	v_lshl_add_u32 v96, v101, 3, v100
	s_barrier
	ds_write_b64 v96, v[44:45]
	s_waitcnt lgkmcnt(0)
	s_barrier
	ds_read_b64 v[96:97], v100 offset:192
	s_cmp_lt_i32 s18, 26
	v_mov_b32_e32 v98, 24
	s_cbranch_scc1 .LBB90_406
; %bb.404:
	v_add_u32_e32 v105, 0xc8, v100
	s_mov_b32 s0, 25
	v_mov_b32_e32 v98, 24
.LBB90_405:                             ; =>This Inner Loop Header: Depth=1
	ds_read_b64 v[106:107], v105
	v_mov_b32_e32 v108, s0
	s_add_i32 s0, s0, 1
	v_add_u32_e32 v105, 8, v105
	s_cmp_lg_u32 s18, s0
	s_waitcnt lgkmcnt(0)
	v_cmp_lt_f64_e64 vcc, |v[96:97]|, |v[106:107]|
	v_cndmask_b32_e32 v97, v97, v107, vcc
	v_cndmask_b32_e32 v96, v96, v106, vcc
	;; [unrolled: 1-line block ×3, first 2 shown]
	s_cbranch_scc1 .LBB90_405
.LBB90_406:
	s_waitcnt lgkmcnt(0)
	v_cmp_eq_f64_e32 vcc, 0, v[96:97]
	s_and_saveexec_b64 s[0:1], vcc
	s_xor_b64 s[0:1], exec, s[0:1]
; %bb.407:
	v_cmp_ne_u32_e32 vcc, 0, v104
	v_cndmask_b32_e32 v104, 25, v104, vcc
; %bb.408:
	s_andn2_saveexec_b64 s[0:1], s[0:1]
; %bb.409:
	v_div_scale_f64 v[106:107], s[2:3], v[96:97], v[96:97], 1.0
	v_rcp_f64_e32 v[108:109], v[106:107]
	v_div_scale_f64 v[110:111], vcc, 1.0, v[96:97], 1.0
	v_fma_f64 v[112:113], -v[106:107], v[108:109], 1.0
	v_fmac_f64_e32 v[108:109], v[108:109], v[112:113]
	v_fma_f64 v[112:113], -v[106:107], v[108:109], 1.0
	v_fmac_f64_e32 v[108:109], v[108:109], v[112:113]
	v_mul_f64 v[112:113], v[110:111], v[108:109]
	v_fma_f64 v[106:107], -v[106:107], v[112:113], v[110:111]
	v_div_fmas_f64 v[106:107], v[106:107], v[108:109], v[112:113]
	v_div_fixup_f64 v[96:97], v[106:107], v[96:97], 1.0
; %bb.410:
	s_or_b64 exec, exec, s[0:1]
	v_cmp_ne_u32_e32 vcc, v101, v98
	s_and_saveexec_b64 s[0:1], vcc
	s_xor_b64 s[0:1], exec, s[0:1]
	s_cbranch_execz .LBB90_416
; %bb.411:
	v_cmp_eq_u32_e32 vcc, 24, v101
	s_and_saveexec_b64 s[2:3], vcc
	s_cbranch_execz .LBB90_415
; %bb.412:
	v_cmp_ne_u32_e32 vcc, 24, v98
	s_xor_b64 s[14:15], s[6:7], -1
	s_and_b64 s[16:17], s[14:15], vcc
	s_and_saveexec_b64 s[14:15], s[16:17]
	s_cbranch_execz .LBB90_414
; %bb.413:
	v_ashrrev_i32_e32 v99, 31, v98
	v_lshlrev_b64 v[106:107], 2, v[98:99]
	v_add_co_u32_e32 v106, vcc, v4, v106
	v_addc_co_u32_e32 v107, vcc, v5, v107, vcc
	flat_load_dword v99, v[106:107]
	flat_load_dword v101, v[4:5] offset:96
	s_waitcnt vmcnt(0) lgkmcnt(0)
	flat_store_dword v[4:5], v99 offset:96
	flat_store_dword v[106:107], v101
.LBB90_414:
	s_or_b64 exec, exec, s[14:15]
	v_mov_b32_e32 v99, v98
	v_mov_b32_e32 v101, v98
.LBB90_415:
	s_or_b64 exec, exec, s[2:3]
.LBB90_416:
	s_andn2_saveexec_b64 s[0:1], s[0:1]
	s_cbranch_execz .LBB90_418
; %bb.417:
	v_mov_b32_e32 v101, 24
	ds_write2_b64 v100, v[40:41], v[42:43] offset0:25 offset1:26
	ds_write2_b64 v100, v[38:39], v[36:37] offset0:27 offset1:28
	;; [unrolled: 1-line block ×10, first 2 shown]
	ds_write_b64 v100, v[94:95] offset:360
.LBB90_418:
	s_or_b64 exec, exec, s[0:1]
	v_cmp_lt_i32_e32 vcc, 24, v101
	s_waitcnt lgkmcnt(0)
	s_barrier
	s_and_saveexec_b64 s[0:1], vcc
	s_cbranch_execz .LBB90_420
; %bb.419:
	ds_read2_b64 v[106:109], v100 offset0:25 offset1:26
	ds_read2_b64 v[110:113], v100 offset0:27 offset1:28
	v_mul_f64 v[44:45], v[96:97], v[44:45]
	ds_read2_b64 v[114:117], v100 offset0:29 offset1:30
	ds_read_b64 v[96:97], v100 offset:360
	s_waitcnt lgkmcnt(0)
	v_fma_f64 v[40:41], -v[44:45], v[106:107], v[40:41]
	v_fma_f64 v[42:43], -v[44:45], v[108:109], v[42:43]
	ds_read2_b64 v[106:109], v100 offset0:31 offset1:32
	v_fma_f64 v[38:39], -v[44:45], v[110:111], v[38:39]
	v_fma_f64 v[36:37], -v[44:45], v[112:113], v[36:37]
	;; [unrolled: 1-line block ×3, first 2 shown]
	ds_read2_b64 v[110:113], v100 offset0:33 offset1:34
	v_fma_f64 v[32:33], -v[44:45], v[116:117], v[32:33]
	ds_read2_b64 v[114:117], v100 offset0:35 offset1:36
	s_waitcnt lgkmcnt(0)
	v_fma_f64 v[30:31], -v[44:45], v[106:107], v[30:31]
	v_fma_f64 v[28:29], -v[44:45], v[108:109], v[28:29]
	ds_read2_b64 v[106:109], v100 offset0:37 offset1:38
	v_fma_f64 v[26:27], -v[44:45], v[110:111], v[26:27]
	v_fma_f64 v[24:25], -v[44:45], v[112:113], v[24:25]
	ds_read2_b64 v[110:113], v100 offset0:39 offset1:40
	v_fma_f64 v[22:23], -v[44:45], v[114:115], v[22:23]
	v_fma_f64 v[20:21], -v[44:45], v[116:117], v[20:21]
	s_waitcnt lgkmcnt(0)
	v_fma_f64 v[18:19], -v[44:45], v[106:107], v[18:19]
	v_fma_f64 v[14:15], -v[44:45], v[108:109], v[14:15]
	ds_read2_b64 v[106:109], v100 offset0:41 offset1:42
	ds_read2_b64 v[114:117], v100 offset0:43 offset1:44
	v_fma_f64 v[16:17], -v[44:45], v[110:111], v[16:17]
	v_fma_f64 v[12:13], -v[44:45], v[112:113], v[12:13]
	;; [unrolled: 1-line block ×3, first 2 shown]
	s_waitcnt lgkmcnt(0)
	v_fma_f64 v[10:11], -v[44:45], v[106:107], v[10:11]
	v_fma_f64 v[8:9], -v[44:45], v[108:109], v[8:9]
	;; [unrolled: 1-line block ×4, first 2 shown]
.LBB90_420:
	s_or_b64 exec, exec, s[0:1]
	v_lshl_add_u32 v96, v101, 3, v100
	s_barrier
	ds_write_b64 v96, v[40:41]
	s_waitcnt lgkmcnt(0)
	s_barrier
	ds_read_b64 v[96:97], v100 offset:200
	s_cmp_lt_i32 s18, 27
	v_mov_b32_e32 v98, 25
	s_cbranch_scc1 .LBB90_423
; %bb.421:
	v_add_u32_e32 v105, 0xd0, v100
	s_mov_b32 s0, 26
	v_mov_b32_e32 v98, 25
.LBB90_422:                             ; =>This Inner Loop Header: Depth=1
	ds_read_b64 v[106:107], v105
	v_mov_b32_e32 v108, s0
	s_add_i32 s0, s0, 1
	v_add_u32_e32 v105, 8, v105
	s_cmp_lg_u32 s18, s0
	s_waitcnt lgkmcnt(0)
	v_cmp_lt_f64_e64 vcc, |v[96:97]|, |v[106:107]|
	v_cndmask_b32_e32 v97, v97, v107, vcc
	v_cndmask_b32_e32 v96, v96, v106, vcc
	;; [unrolled: 1-line block ×3, first 2 shown]
	s_cbranch_scc1 .LBB90_422
.LBB90_423:
	s_waitcnt lgkmcnt(0)
	v_cmp_eq_f64_e32 vcc, 0, v[96:97]
	s_and_saveexec_b64 s[0:1], vcc
	s_xor_b64 s[0:1], exec, s[0:1]
; %bb.424:
	v_cmp_ne_u32_e32 vcc, 0, v104
	v_cndmask_b32_e32 v104, 26, v104, vcc
; %bb.425:
	s_andn2_saveexec_b64 s[0:1], s[0:1]
; %bb.426:
	v_div_scale_f64 v[106:107], s[2:3], v[96:97], v[96:97], 1.0
	v_rcp_f64_e32 v[108:109], v[106:107]
	v_div_scale_f64 v[110:111], vcc, 1.0, v[96:97], 1.0
	v_fma_f64 v[112:113], -v[106:107], v[108:109], 1.0
	v_fmac_f64_e32 v[108:109], v[108:109], v[112:113]
	v_fma_f64 v[112:113], -v[106:107], v[108:109], 1.0
	v_fmac_f64_e32 v[108:109], v[108:109], v[112:113]
	v_mul_f64 v[112:113], v[110:111], v[108:109]
	v_fma_f64 v[106:107], -v[106:107], v[112:113], v[110:111]
	v_div_fmas_f64 v[106:107], v[106:107], v[108:109], v[112:113]
	v_div_fixup_f64 v[96:97], v[106:107], v[96:97], 1.0
; %bb.427:
	s_or_b64 exec, exec, s[0:1]
	v_cmp_ne_u32_e32 vcc, v101, v98
	s_and_saveexec_b64 s[0:1], vcc
	s_xor_b64 s[0:1], exec, s[0:1]
	s_cbranch_execz .LBB90_433
; %bb.428:
	v_cmp_eq_u32_e32 vcc, 25, v101
	s_and_saveexec_b64 s[2:3], vcc
	s_cbranch_execz .LBB90_432
; %bb.429:
	v_cmp_ne_u32_e32 vcc, 25, v98
	s_xor_b64 s[14:15], s[6:7], -1
	s_and_b64 s[16:17], s[14:15], vcc
	s_and_saveexec_b64 s[14:15], s[16:17]
	s_cbranch_execz .LBB90_431
; %bb.430:
	v_ashrrev_i32_e32 v99, 31, v98
	v_lshlrev_b64 v[106:107], 2, v[98:99]
	v_add_co_u32_e32 v106, vcc, v4, v106
	v_addc_co_u32_e32 v107, vcc, v5, v107, vcc
	flat_load_dword v99, v[106:107]
	flat_load_dword v101, v[4:5] offset:100
	s_waitcnt vmcnt(0) lgkmcnt(0)
	flat_store_dword v[4:5], v99 offset:100
	flat_store_dword v[106:107], v101
.LBB90_431:
	s_or_b64 exec, exec, s[14:15]
	v_mov_b32_e32 v99, v98
	v_mov_b32_e32 v101, v98
.LBB90_432:
	s_or_b64 exec, exec, s[2:3]
.LBB90_433:
	s_andn2_saveexec_b64 s[0:1], s[0:1]
	s_cbranch_execz .LBB90_435
; %bb.434:
	v_mov_b32_e32 v106, v42
	v_mov_b32_e32 v107, v43
	v_mov_b32_e32 v108, v38
	v_mov_b32_e32 v109, v39
	ds_write2_b64 v100, v[106:107], v[108:109] offset0:26 offset1:27
	v_mov_b32_e32 v106, v36
	v_mov_b32_e32 v107, v37
	v_mov_b32_e32 v108, v34
	v_mov_b32_e32 v109, v35
	ds_write2_b64 v100, v[106:107], v[108:109] offset0:28 offset1:29
	v_mov_b32_e32 v106, v32
	v_mov_b32_e32 v107, v33
	v_mov_b32_e32 v108, v30
	v_mov_b32_e32 v109, v31
	ds_write2_b64 v100, v[106:107], v[108:109] offset0:30 offset1:31
	v_mov_b32_e32 v106, v28
	v_mov_b32_e32 v107, v29
	v_mov_b32_e32 v108, v26
	v_mov_b32_e32 v109, v27
	ds_write2_b64 v100, v[106:107], v[108:109] offset0:32 offset1:33
	v_mov_b32_e32 v106, v24
	v_mov_b32_e32 v107, v25
	v_mov_b32_e32 v108, v22
	v_mov_b32_e32 v109, v23
	ds_write2_b64 v100, v[106:107], v[108:109] offset0:34 offset1:35
	v_mov_b32_e32 v106, v20
	v_mov_b32_e32 v107, v21
	v_mov_b32_e32 v108, v18
	v_mov_b32_e32 v109, v19
	ds_write2_b64 v100, v[106:107], v[108:109] offset0:36 offset1:37
	v_mov_b32_e32 v106, v14
	v_mov_b32_e32 v107, v15
	v_mov_b32_e32 v108, v16
	v_mov_b32_e32 v109, v17
	ds_write2_b64 v100, v[106:107], v[108:109] offset0:38 offset1:39
	v_mov_b32_e32 v106, v12
	v_mov_b32_e32 v107, v13
	v_mov_b32_e32 v108, v10
	v_mov_b32_e32 v109, v11
	ds_write2_b64 v100, v[106:107], v[108:109] offset0:40 offset1:41
	v_mov_b32_e32 v106, v8
	v_mov_b32_e32 v107, v9
	v_mov_b32_e32 v108, v6
	v_mov_b32_e32 v109, v7
	ds_write2_b64 v100, v[106:107], v[108:109] offset0:42 offset1:43
	v_mov_b32_e32 v106, v0
	v_mov_b32_e32 v107, v1
	;; [unrolled: 1-line block ×3, first 2 shown]
	ds_write2_b64 v100, v[106:107], v[94:95] offset0:44 offset1:45
.LBB90_435:
	s_or_b64 exec, exec, s[0:1]
	v_cmp_lt_i32_e32 vcc, 25, v101
	s_waitcnt lgkmcnt(0)
	s_barrier
	s_and_saveexec_b64 s[0:1], vcc
	s_cbranch_execz .LBB90_437
; %bb.436:
	ds_read2_b64 v[106:109], v100 offset0:26 offset1:27
	ds_read2_b64 v[110:113], v100 offset0:28 offset1:29
	v_mul_f64 v[40:41], v[96:97], v[40:41]
	ds_read2_b64 v[114:117], v100 offset0:30 offset1:31
	s_waitcnt lgkmcnt(0)
	v_fma_f64 v[42:43], -v[40:41], v[106:107], v[42:43]
	v_fma_f64 v[38:39], -v[40:41], v[108:109], v[38:39]
	ds_read2_b64 v[106:109], v100 offset0:32 offset1:33
	v_fma_f64 v[36:37], -v[40:41], v[110:111], v[36:37]
	v_fma_f64 v[34:35], -v[40:41], v[112:113], v[34:35]
	;; [unrolled: 1-line block ×3, first 2 shown]
	ds_read2_b64 v[110:113], v100 offset0:34 offset1:35
	v_fma_f64 v[30:31], -v[40:41], v[116:117], v[30:31]
	ds_read2_b64 v[114:117], v100 offset0:36 offset1:37
	s_waitcnt lgkmcnt(0)
	v_fma_f64 v[28:29], -v[40:41], v[106:107], v[28:29]
	v_fma_f64 v[26:27], -v[40:41], v[108:109], v[26:27]
	ds_read2_b64 v[106:109], v100 offset0:38 offset1:39
	v_fma_f64 v[24:25], -v[40:41], v[110:111], v[24:25]
	v_fma_f64 v[22:23], -v[40:41], v[112:113], v[22:23]
	ds_read2_b64 v[110:113], v100 offset0:40 offset1:41
	v_fma_f64 v[20:21], -v[40:41], v[114:115], v[20:21]
	v_fma_f64 v[18:19], -v[40:41], v[116:117], v[18:19]
	s_waitcnt lgkmcnt(0)
	v_fma_f64 v[14:15], -v[40:41], v[106:107], v[14:15]
	ds_read2_b64 v[114:117], v100 offset0:42 offset1:43
	v_fma_f64 v[16:17], -v[40:41], v[108:109], v[16:17]
	ds_read2_b64 v[106:109], v100 offset0:44 offset1:45
	v_fma_f64 v[12:13], -v[40:41], v[110:111], v[12:13]
	v_fma_f64 v[10:11], -v[40:41], v[112:113], v[10:11]
	s_waitcnt lgkmcnt(0)
	v_fma_f64 v[8:9], -v[40:41], v[114:115], v[8:9]
	v_fma_f64 v[6:7], -v[40:41], v[116:117], v[6:7]
	;; [unrolled: 1-line block ×4, first 2 shown]
.LBB90_437:
	s_or_b64 exec, exec, s[0:1]
	v_lshl_add_u32 v96, v101, 3, v100
	s_barrier
	ds_write_b64 v96, v[42:43]
	s_waitcnt lgkmcnt(0)
	s_barrier
	ds_read_b64 v[96:97], v100 offset:208
	s_cmp_lt_i32 s18, 28
	v_mov_b32_e32 v98, 26
	s_cbranch_scc1 .LBB90_440
; %bb.438:
	v_add_u32_e32 v105, 0xd8, v100
	s_mov_b32 s0, 27
	v_mov_b32_e32 v98, 26
.LBB90_439:                             ; =>This Inner Loop Header: Depth=1
	ds_read_b64 v[106:107], v105
	v_mov_b32_e32 v108, s0
	s_add_i32 s0, s0, 1
	v_add_u32_e32 v105, 8, v105
	s_cmp_lg_u32 s18, s0
	s_waitcnt lgkmcnt(0)
	v_cmp_lt_f64_e64 vcc, |v[96:97]|, |v[106:107]|
	v_cndmask_b32_e32 v97, v97, v107, vcc
	v_cndmask_b32_e32 v96, v96, v106, vcc
	;; [unrolled: 1-line block ×3, first 2 shown]
	s_cbranch_scc1 .LBB90_439
.LBB90_440:
	s_waitcnt lgkmcnt(0)
	v_cmp_eq_f64_e32 vcc, 0, v[96:97]
	s_and_saveexec_b64 s[0:1], vcc
	s_xor_b64 s[0:1], exec, s[0:1]
; %bb.441:
	v_cmp_ne_u32_e32 vcc, 0, v104
	v_cndmask_b32_e32 v104, 27, v104, vcc
; %bb.442:
	s_andn2_saveexec_b64 s[0:1], s[0:1]
; %bb.443:
	v_div_scale_f64 v[106:107], s[2:3], v[96:97], v[96:97], 1.0
	v_rcp_f64_e32 v[108:109], v[106:107]
	v_div_scale_f64 v[110:111], vcc, 1.0, v[96:97], 1.0
	v_fma_f64 v[112:113], -v[106:107], v[108:109], 1.0
	v_fmac_f64_e32 v[108:109], v[108:109], v[112:113]
	v_fma_f64 v[112:113], -v[106:107], v[108:109], 1.0
	v_fmac_f64_e32 v[108:109], v[108:109], v[112:113]
	v_mul_f64 v[112:113], v[110:111], v[108:109]
	v_fma_f64 v[106:107], -v[106:107], v[112:113], v[110:111]
	v_div_fmas_f64 v[106:107], v[106:107], v[108:109], v[112:113]
	v_div_fixup_f64 v[96:97], v[106:107], v[96:97], 1.0
; %bb.444:
	s_or_b64 exec, exec, s[0:1]
	v_cmp_ne_u32_e32 vcc, v101, v98
	s_and_saveexec_b64 s[0:1], vcc
	s_xor_b64 s[0:1], exec, s[0:1]
	s_cbranch_execz .LBB90_450
; %bb.445:
	v_cmp_eq_u32_e32 vcc, 26, v101
	s_and_saveexec_b64 s[2:3], vcc
	s_cbranch_execz .LBB90_449
; %bb.446:
	v_cmp_ne_u32_e32 vcc, 26, v98
	s_xor_b64 s[14:15], s[6:7], -1
	s_and_b64 s[16:17], s[14:15], vcc
	s_and_saveexec_b64 s[14:15], s[16:17]
	s_cbranch_execz .LBB90_448
; %bb.447:
	v_ashrrev_i32_e32 v99, 31, v98
	v_lshlrev_b64 v[106:107], 2, v[98:99]
	v_add_co_u32_e32 v106, vcc, v4, v106
	v_addc_co_u32_e32 v107, vcc, v5, v107, vcc
	flat_load_dword v99, v[106:107]
	flat_load_dword v101, v[4:5] offset:104
	s_waitcnt vmcnt(0) lgkmcnt(0)
	flat_store_dword v[4:5], v99 offset:104
	flat_store_dword v[106:107], v101
.LBB90_448:
	s_or_b64 exec, exec, s[14:15]
	v_mov_b32_e32 v99, v98
	v_mov_b32_e32 v101, v98
.LBB90_449:
	s_or_b64 exec, exec, s[2:3]
.LBB90_450:
	s_andn2_saveexec_b64 s[0:1], s[0:1]
	s_cbranch_execz .LBB90_452
; %bb.451:
	v_mov_b32_e32 v101, 26
	ds_write2_b64 v100, v[38:39], v[36:37] offset0:27 offset1:28
	ds_write2_b64 v100, v[34:35], v[32:33] offset0:29 offset1:30
	;; [unrolled: 1-line block ×9, first 2 shown]
	ds_write_b64 v100, v[94:95] offset:360
.LBB90_452:
	s_or_b64 exec, exec, s[0:1]
	v_cmp_lt_i32_e32 vcc, 26, v101
	s_waitcnt lgkmcnt(0)
	s_barrier
	s_and_saveexec_b64 s[0:1], vcc
	s_cbranch_execz .LBB90_454
; %bb.453:
	ds_read2_b64 v[106:109], v100 offset0:27 offset1:28
	ds_read2_b64 v[110:113], v100 offset0:29 offset1:30
	;; [unrolled: 1-line block ×3, first 2 shown]
	v_mul_f64 v[42:43], v[96:97], v[42:43]
	ds_read_b64 v[96:97], v100 offset:360
	s_waitcnt lgkmcnt(0)
	v_fma_f64 v[38:39], -v[42:43], v[106:107], v[38:39]
	v_fma_f64 v[36:37], -v[42:43], v[108:109], v[36:37]
	ds_read2_b64 v[106:109], v100 offset0:33 offset1:34
	v_fma_f64 v[34:35], -v[42:43], v[110:111], v[34:35]
	v_fma_f64 v[32:33], -v[42:43], v[112:113], v[32:33]
	;; [unrolled: 1-line block ×3, first 2 shown]
	ds_read2_b64 v[110:113], v100 offset0:35 offset1:36
	v_fma_f64 v[28:29], -v[42:43], v[116:117], v[28:29]
	ds_read2_b64 v[114:117], v100 offset0:37 offset1:38
	s_waitcnt lgkmcnt(0)
	v_fma_f64 v[26:27], -v[42:43], v[106:107], v[26:27]
	v_fma_f64 v[24:25], -v[42:43], v[108:109], v[24:25]
	;; [unrolled: 1-line block ×3, first 2 shown]
	ds_read2_b64 v[106:109], v100 offset0:39 offset1:40
	v_fma_f64 v[20:21], -v[42:43], v[112:113], v[20:21]
	ds_read2_b64 v[110:113], v100 offset0:41 offset1:42
	v_fma_f64 v[18:19], -v[42:43], v[114:115], v[18:19]
	v_fma_f64 v[14:15], -v[42:43], v[116:117], v[14:15]
	ds_read2_b64 v[114:117], v100 offset0:43 offset1:44
	s_waitcnt lgkmcnt(0)
	v_fma_f64 v[16:17], -v[42:43], v[106:107], v[16:17]
	v_fma_f64 v[12:13], -v[42:43], v[108:109], v[12:13]
	;; [unrolled: 1-line block ×7, first 2 shown]
.LBB90_454:
	s_or_b64 exec, exec, s[0:1]
	v_lshl_add_u32 v96, v101, 3, v100
	s_barrier
	ds_write_b64 v96, v[38:39]
	s_waitcnt lgkmcnt(0)
	s_barrier
	ds_read_b64 v[96:97], v100 offset:216
	s_cmp_lt_i32 s18, 29
	v_mov_b32_e32 v98, 27
	s_cbranch_scc1 .LBB90_457
; %bb.455:
	v_add_u32_e32 v105, 0xe0, v100
	s_mov_b32 s0, 28
	v_mov_b32_e32 v98, 27
.LBB90_456:                             ; =>This Inner Loop Header: Depth=1
	ds_read_b64 v[106:107], v105
	v_mov_b32_e32 v108, s0
	s_add_i32 s0, s0, 1
	v_add_u32_e32 v105, 8, v105
	s_cmp_lg_u32 s18, s0
	s_waitcnt lgkmcnt(0)
	v_cmp_lt_f64_e64 vcc, |v[96:97]|, |v[106:107]|
	v_cndmask_b32_e32 v97, v97, v107, vcc
	v_cndmask_b32_e32 v96, v96, v106, vcc
	;; [unrolled: 1-line block ×3, first 2 shown]
	s_cbranch_scc1 .LBB90_456
.LBB90_457:
	s_waitcnt lgkmcnt(0)
	v_cmp_eq_f64_e32 vcc, 0, v[96:97]
	s_and_saveexec_b64 s[0:1], vcc
	s_xor_b64 s[0:1], exec, s[0:1]
; %bb.458:
	v_cmp_ne_u32_e32 vcc, 0, v104
	v_cndmask_b32_e32 v104, 28, v104, vcc
; %bb.459:
	s_andn2_saveexec_b64 s[0:1], s[0:1]
; %bb.460:
	v_div_scale_f64 v[106:107], s[2:3], v[96:97], v[96:97], 1.0
	v_rcp_f64_e32 v[108:109], v[106:107]
	v_div_scale_f64 v[110:111], vcc, 1.0, v[96:97], 1.0
	v_fma_f64 v[112:113], -v[106:107], v[108:109], 1.0
	v_fmac_f64_e32 v[108:109], v[108:109], v[112:113]
	v_fma_f64 v[112:113], -v[106:107], v[108:109], 1.0
	v_fmac_f64_e32 v[108:109], v[108:109], v[112:113]
	v_mul_f64 v[112:113], v[110:111], v[108:109]
	v_fma_f64 v[106:107], -v[106:107], v[112:113], v[110:111]
	v_div_fmas_f64 v[106:107], v[106:107], v[108:109], v[112:113]
	v_div_fixup_f64 v[96:97], v[106:107], v[96:97], 1.0
; %bb.461:
	s_or_b64 exec, exec, s[0:1]
	v_cmp_ne_u32_e32 vcc, v101, v98
	s_and_saveexec_b64 s[0:1], vcc
	s_xor_b64 s[0:1], exec, s[0:1]
	s_cbranch_execz .LBB90_467
; %bb.462:
	v_cmp_eq_u32_e32 vcc, 27, v101
	s_and_saveexec_b64 s[2:3], vcc
	s_cbranch_execz .LBB90_466
; %bb.463:
	v_cmp_ne_u32_e32 vcc, 27, v98
	s_xor_b64 s[14:15], s[6:7], -1
	s_and_b64 s[16:17], s[14:15], vcc
	s_and_saveexec_b64 s[14:15], s[16:17]
	s_cbranch_execz .LBB90_465
; %bb.464:
	v_ashrrev_i32_e32 v99, 31, v98
	v_lshlrev_b64 v[106:107], 2, v[98:99]
	v_add_co_u32_e32 v106, vcc, v4, v106
	v_addc_co_u32_e32 v107, vcc, v5, v107, vcc
	flat_load_dword v99, v[106:107]
	flat_load_dword v101, v[4:5] offset:108
	s_waitcnt vmcnt(0) lgkmcnt(0)
	flat_store_dword v[4:5], v99 offset:108
	flat_store_dword v[106:107], v101
.LBB90_465:
	s_or_b64 exec, exec, s[14:15]
	v_mov_b32_e32 v99, v98
	v_mov_b32_e32 v101, v98
.LBB90_466:
	s_or_b64 exec, exec, s[2:3]
.LBB90_467:
	s_andn2_saveexec_b64 s[0:1], s[0:1]
	s_cbranch_execz .LBB90_469
; %bb.468:
	v_mov_b32_e32 v106, v36
	v_mov_b32_e32 v107, v37
	v_mov_b32_e32 v108, v34
	v_mov_b32_e32 v109, v35
	ds_write2_b64 v100, v[106:107], v[108:109] offset0:28 offset1:29
	v_mov_b32_e32 v106, v32
	v_mov_b32_e32 v107, v33
	v_mov_b32_e32 v108, v30
	v_mov_b32_e32 v109, v31
	ds_write2_b64 v100, v[106:107], v[108:109] offset0:30 offset1:31
	;; [unrolled: 5-line block ×8, first 2 shown]
	v_mov_b32_e32 v106, v0
	v_mov_b32_e32 v107, v1
	;; [unrolled: 1-line block ×3, first 2 shown]
	ds_write2_b64 v100, v[106:107], v[94:95] offset0:44 offset1:45
.LBB90_469:
	s_or_b64 exec, exec, s[0:1]
	v_cmp_lt_i32_e32 vcc, 27, v101
	s_waitcnt lgkmcnt(0)
	s_barrier
	s_and_saveexec_b64 s[0:1], vcc
	s_cbranch_execz .LBB90_471
; %bb.470:
	ds_read2_b64 v[106:109], v100 offset0:28 offset1:29
	ds_read2_b64 v[110:113], v100 offset0:30 offset1:31
	;; [unrolled: 1-line block ×3, first 2 shown]
	v_mul_f64 v[38:39], v[96:97], v[38:39]
	s_waitcnt lgkmcnt(0)
	v_fma_f64 v[36:37], -v[38:39], v[106:107], v[36:37]
	v_fma_f64 v[34:35], -v[38:39], v[108:109], v[34:35]
	ds_read2_b64 v[106:109], v100 offset0:34 offset1:35
	v_fma_f64 v[32:33], -v[38:39], v[110:111], v[32:33]
	v_fma_f64 v[30:31], -v[38:39], v[112:113], v[30:31]
	;; [unrolled: 1-line block ×3, first 2 shown]
	ds_read2_b64 v[110:113], v100 offset0:36 offset1:37
	v_fma_f64 v[26:27], -v[38:39], v[116:117], v[26:27]
	ds_read2_b64 v[114:117], v100 offset0:38 offset1:39
	s_waitcnt lgkmcnt(0)
	v_fma_f64 v[24:25], -v[38:39], v[106:107], v[24:25]
	v_fma_f64 v[22:23], -v[38:39], v[108:109], v[22:23]
	v_fma_f64 v[20:21], -v[38:39], v[110:111], v[20:21]
	v_fma_f64 v[18:19], -v[38:39], v[112:113], v[18:19]
	ds_read2_b64 v[106:109], v100 offset0:40 offset1:41
	ds_read2_b64 v[110:113], v100 offset0:42 offset1:43
	v_fma_f64 v[14:15], -v[38:39], v[114:115], v[14:15]
	v_fma_f64 v[16:17], -v[38:39], v[116:117], v[16:17]
	ds_read2_b64 v[114:117], v100 offset0:44 offset1:45
	s_waitcnt lgkmcnt(0)
	v_fma_f64 v[12:13], -v[38:39], v[106:107], v[12:13]
	v_fma_f64 v[10:11], -v[38:39], v[108:109], v[10:11]
	;; [unrolled: 1-line block ×6, first 2 shown]
.LBB90_471:
	s_or_b64 exec, exec, s[0:1]
	v_lshl_add_u32 v96, v101, 3, v100
	s_barrier
	ds_write_b64 v96, v[36:37]
	s_waitcnt lgkmcnt(0)
	s_barrier
	ds_read_b64 v[96:97], v100 offset:224
	s_cmp_lt_i32 s18, 30
	v_mov_b32_e32 v98, 28
	s_cbranch_scc1 .LBB90_474
; %bb.472:
	v_add_u32_e32 v105, 0xe8, v100
	s_mov_b32 s0, 29
	v_mov_b32_e32 v98, 28
.LBB90_473:                             ; =>This Inner Loop Header: Depth=1
	ds_read_b64 v[106:107], v105
	v_mov_b32_e32 v108, s0
	s_add_i32 s0, s0, 1
	v_add_u32_e32 v105, 8, v105
	s_cmp_lg_u32 s18, s0
	s_waitcnt lgkmcnt(0)
	v_cmp_lt_f64_e64 vcc, |v[96:97]|, |v[106:107]|
	v_cndmask_b32_e32 v97, v97, v107, vcc
	v_cndmask_b32_e32 v96, v96, v106, vcc
	;; [unrolled: 1-line block ×3, first 2 shown]
	s_cbranch_scc1 .LBB90_473
.LBB90_474:
	s_waitcnt lgkmcnt(0)
	v_cmp_eq_f64_e32 vcc, 0, v[96:97]
	s_and_saveexec_b64 s[0:1], vcc
	s_xor_b64 s[0:1], exec, s[0:1]
; %bb.475:
	v_cmp_ne_u32_e32 vcc, 0, v104
	v_cndmask_b32_e32 v104, 29, v104, vcc
; %bb.476:
	s_andn2_saveexec_b64 s[0:1], s[0:1]
; %bb.477:
	v_div_scale_f64 v[106:107], s[2:3], v[96:97], v[96:97], 1.0
	v_rcp_f64_e32 v[108:109], v[106:107]
	v_div_scale_f64 v[110:111], vcc, 1.0, v[96:97], 1.0
	v_fma_f64 v[112:113], -v[106:107], v[108:109], 1.0
	v_fmac_f64_e32 v[108:109], v[108:109], v[112:113]
	v_fma_f64 v[112:113], -v[106:107], v[108:109], 1.0
	v_fmac_f64_e32 v[108:109], v[108:109], v[112:113]
	v_mul_f64 v[112:113], v[110:111], v[108:109]
	v_fma_f64 v[106:107], -v[106:107], v[112:113], v[110:111]
	v_div_fmas_f64 v[106:107], v[106:107], v[108:109], v[112:113]
	v_div_fixup_f64 v[96:97], v[106:107], v[96:97], 1.0
; %bb.478:
	s_or_b64 exec, exec, s[0:1]
	v_cmp_ne_u32_e32 vcc, v101, v98
	s_and_saveexec_b64 s[0:1], vcc
	s_xor_b64 s[0:1], exec, s[0:1]
	s_cbranch_execz .LBB90_484
; %bb.479:
	v_cmp_eq_u32_e32 vcc, 28, v101
	s_and_saveexec_b64 s[2:3], vcc
	s_cbranch_execz .LBB90_483
; %bb.480:
	v_cmp_ne_u32_e32 vcc, 28, v98
	s_xor_b64 s[14:15], s[6:7], -1
	s_and_b64 s[16:17], s[14:15], vcc
	s_and_saveexec_b64 s[14:15], s[16:17]
	s_cbranch_execz .LBB90_482
; %bb.481:
	v_ashrrev_i32_e32 v99, 31, v98
	v_lshlrev_b64 v[106:107], 2, v[98:99]
	v_add_co_u32_e32 v106, vcc, v4, v106
	v_addc_co_u32_e32 v107, vcc, v5, v107, vcc
	flat_load_dword v99, v[106:107]
	flat_load_dword v101, v[4:5] offset:112
	s_waitcnt vmcnt(0) lgkmcnt(0)
	flat_store_dword v[4:5], v99 offset:112
	flat_store_dword v[106:107], v101
.LBB90_482:
	s_or_b64 exec, exec, s[14:15]
	v_mov_b32_e32 v99, v98
	v_mov_b32_e32 v101, v98
.LBB90_483:
	s_or_b64 exec, exec, s[2:3]
.LBB90_484:
	s_andn2_saveexec_b64 s[0:1], s[0:1]
	s_cbranch_execz .LBB90_486
; %bb.485:
	v_mov_b32_e32 v101, 28
	ds_write2_b64 v100, v[34:35], v[32:33] offset0:29 offset1:30
	ds_write2_b64 v100, v[30:31], v[28:29] offset0:31 offset1:32
	;; [unrolled: 1-line block ×8, first 2 shown]
	ds_write_b64 v100, v[94:95] offset:360
.LBB90_486:
	s_or_b64 exec, exec, s[0:1]
	v_cmp_lt_i32_e32 vcc, 28, v101
	s_waitcnt lgkmcnt(0)
	s_barrier
	s_and_saveexec_b64 s[0:1], vcc
	s_cbranch_execz .LBB90_488
; %bb.487:
	ds_read2_b64 v[106:109], v100 offset0:29 offset1:30
	ds_read2_b64 v[110:113], v100 offset0:31 offset1:32
	v_mul_f64 v[36:37], v[96:97], v[36:37]
	ds_read2_b64 v[114:117], v100 offset0:33 offset1:34
	ds_read_b64 v[96:97], v100 offset:360
	s_waitcnt lgkmcnt(0)
	v_fma_f64 v[34:35], -v[36:37], v[106:107], v[34:35]
	v_fma_f64 v[32:33], -v[36:37], v[108:109], v[32:33]
	ds_read2_b64 v[106:109], v100 offset0:35 offset1:36
	v_fma_f64 v[30:31], -v[36:37], v[110:111], v[30:31]
	v_fma_f64 v[28:29], -v[36:37], v[112:113], v[28:29]
	ds_read2_b64 v[110:113], v100 offset0:37 offset1:38
	;; [unrolled: 3-line block ×3, first 2 shown]
	s_waitcnt lgkmcnt(0)
	v_fma_f64 v[22:23], -v[36:37], v[106:107], v[22:23]
	v_fma_f64 v[20:21], -v[36:37], v[108:109], v[20:21]
	;; [unrolled: 1-line block ×4, first 2 shown]
	ds_read2_b64 v[106:109], v100 offset0:41 offset1:42
	ds_read2_b64 v[110:113], v100 offset0:43 offset1:44
	v_fma_f64 v[16:17], -v[36:37], v[114:115], v[16:17]
	v_fma_f64 v[12:13], -v[36:37], v[116:117], v[12:13]
	;; [unrolled: 1-line block ×3, first 2 shown]
	s_waitcnt lgkmcnt(0)
	v_fma_f64 v[10:11], -v[36:37], v[106:107], v[10:11]
	v_fma_f64 v[8:9], -v[36:37], v[108:109], v[8:9]
	;; [unrolled: 1-line block ×4, first 2 shown]
.LBB90_488:
	s_or_b64 exec, exec, s[0:1]
	v_lshl_add_u32 v96, v101, 3, v100
	s_barrier
	ds_write_b64 v96, v[34:35]
	s_waitcnt lgkmcnt(0)
	s_barrier
	ds_read_b64 v[96:97], v100 offset:232
	s_cmp_lt_i32 s18, 31
	v_mov_b32_e32 v98, 29
	s_cbranch_scc1 .LBB90_491
; %bb.489:
	v_add_u32_e32 v105, 0xf0, v100
	s_mov_b32 s0, 30
	v_mov_b32_e32 v98, 29
.LBB90_490:                             ; =>This Inner Loop Header: Depth=1
	ds_read_b64 v[106:107], v105
	v_mov_b32_e32 v108, s0
	s_add_i32 s0, s0, 1
	v_add_u32_e32 v105, 8, v105
	s_cmp_lg_u32 s18, s0
	s_waitcnt lgkmcnt(0)
	v_cmp_lt_f64_e64 vcc, |v[96:97]|, |v[106:107]|
	v_cndmask_b32_e32 v97, v97, v107, vcc
	v_cndmask_b32_e32 v96, v96, v106, vcc
	v_cndmask_b32_e32 v98, v98, v108, vcc
	s_cbranch_scc1 .LBB90_490
.LBB90_491:
	s_waitcnt lgkmcnt(0)
	v_cmp_eq_f64_e32 vcc, 0, v[96:97]
	s_and_saveexec_b64 s[0:1], vcc
	s_xor_b64 s[0:1], exec, s[0:1]
; %bb.492:
	v_cmp_ne_u32_e32 vcc, 0, v104
	v_cndmask_b32_e32 v104, 30, v104, vcc
; %bb.493:
	s_andn2_saveexec_b64 s[0:1], s[0:1]
; %bb.494:
	v_div_scale_f64 v[106:107], s[2:3], v[96:97], v[96:97], 1.0
	v_rcp_f64_e32 v[108:109], v[106:107]
	v_div_scale_f64 v[110:111], vcc, 1.0, v[96:97], 1.0
	v_fma_f64 v[112:113], -v[106:107], v[108:109], 1.0
	v_fmac_f64_e32 v[108:109], v[108:109], v[112:113]
	v_fma_f64 v[112:113], -v[106:107], v[108:109], 1.0
	v_fmac_f64_e32 v[108:109], v[108:109], v[112:113]
	v_mul_f64 v[112:113], v[110:111], v[108:109]
	v_fma_f64 v[106:107], -v[106:107], v[112:113], v[110:111]
	v_div_fmas_f64 v[106:107], v[106:107], v[108:109], v[112:113]
	v_div_fixup_f64 v[96:97], v[106:107], v[96:97], 1.0
; %bb.495:
	s_or_b64 exec, exec, s[0:1]
	v_cmp_ne_u32_e32 vcc, v101, v98
	s_and_saveexec_b64 s[0:1], vcc
	s_xor_b64 s[0:1], exec, s[0:1]
	s_cbranch_execz .LBB90_501
; %bb.496:
	v_cmp_eq_u32_e32 vcc, 29, v101
	s_and_saveexec_b64 s[2:3], vcc
	s_cbranch_execz .LBB90_500
; %bb.497:
	v_cmp_ne_u32_e32 vcc, 29, v98
	s_xor_b64 s[14:15], s[6:7], -1
	s_and_b64 s[16:17], s[14:15], vcc
	s_and_saveexec_b64 s[14:15], s[16:17]
	s_cbranch_execz .LBB90_499
; %bb.498:
	v_ashrrev_i32_e32 v99, 31, v98
	v_lshlrev_b64 v[106:107], 2, v[98:99]
	v_add_co_u32_e32 v106, vcc, v4, v106
	v_addc_co_u32_e32 v107, vcc, v5, v107, vcc
	flat_load_dword v99, v[106:107]
	flat_load_dword v101, v[4:5] offset:116
	s_waitcnt vmcnt(0) lgkmcnt(0)
	flat_store_dword v[4:5], v99 offset:116
	flat_store_dword v[106:107], v101
.LBB90_499:
	s_or_b64 exec, exec, s[14:15]
	v_mov_b32_e32 v99, v98
	v_mov_b32_e32 v101, v98
.LBB90_500:
	s_or_b64 exec, exec, s[2:3]
.LBB90_501:
	s_andn2_saveexec_b64 s[0:1], s[0:1]
	s_cbranch_execz .LBB90_503
; %bb.502:
	v_mov_b32_e32 v106, v32
	v_mov_b32_e32 v107, v33
	v_mov_b32_e32 v108, v30
	v_mov_b32_e32 v109, v31
	ds_write2_b64 v100, v[106:107], v[108:109] offset0:30 offset1:31
	v_mov_b32_e32 v106, v28
	v_mov_b32_e32 v107, v29
	v_mov_b32_e32 v108, v26
	v_mov_b32_e32 v109, v27
	ds_write2_b64 v100, v[106:107], v[108:109] offset0:32 offset1:33
	;; [unrolled: 5-line block ×7, first 2 shown]
	v_mov_b32_e32 v106, v0
	v_mov_b32_e32 v107, v1
	;; [unrolled: 1-line block ×3, first 2 shown]
	ds_write2_b64 v100, v[106:107], v[94:95] offset0:44 offset1:45
.LBB90_503:
	s_or_b64 exec, exec, s[0:1]
	v_cmp_lt_i32_e32 vcc, 29, v101
	s_waitcnt lgkmcnt(0)
	s_barrier
	s_and_saveexec_b64 s[0:1], vcc
	s_cbranch_execz .LBB90_505
; %bb.504:
	ds_read2_b64 v[106:109], v100 offset0:30 offset1:31
	ds_read2_b64 v[110:113], v100 offset0:32 offset1:33
	v_mul_f64 v[34:35], v[96:97], v[34:35]
	ds_read2_b64 v[114:117], v100 offset0:34 offset1:35
	s_waitcnt lgkmcnt(0)
	v_fma_f64 v[32:33], -v[34:35], v[106:107], v[32:33]
	v_fma_f64 v[30:31], -v[34:35], v[108:109], v[30:31]
	ds_read2_b64 v[106:109], v100 offset0:36 offset1:37
	v_fma_f64 v[28:29], -v[34:35], v[110:111], v[28:29]
	v_fma_f64 v[26:27], -v[34:35], v[112:113], v[26:27]
	ds_read2_b64 v[110:113], v100 offset0:38 offset1:39
	v_fma_f64 v[24:25], -v[34:35], v[114:115], v[24:25]
	v_fma_f64 v[22:23], -v[34:35], v[116:117], v[22:23]
	s_waitcnt lgkmcnt(0)
	v_fma_f64 v[20:21], -v[34:35], v[106:107], v[20:21]
	v_fma_f64 v[18:19], -v[34:35], v[108:109], v[18:19]
	ds_read2_b64 v[106:109], v100 offset0:40 offset1:41
	v_fma_f64 v[14:15], -v[34:35], v[110:111], v[14:15]
	ds_read2_b64 v[114:117], v100 offset0:42 offset1:43
	;; [unrolled: 2-line block ×3, first 2 shown]
	s_waitcnt lgkmcnt(0)
	v_fma_f64 v[12:13], -v[34:35], v[106:107], v[12:13]
	v_fma_f64 v[10:11], -v[34:35], v[108:109], v[10:11]
	;; [unrolled: 1-line block ×6, first 2 shown]
.LBB90_505:
	s_or_b64 exec, exec, s[0:1]
	v_lshl_add_u32 v96, v101, 3, v100
	s_barrier
	ds_write_b64 v96, v[32:33]
	s_waitcnt lgkmcnt(0)
	s_barrier
	ds_read_b64 v[96:97], v100 offset:240
	s_cmp_lt_i32 s18, 32
	v_mov_b32_e32 v98, 30
	s_cbranch_scc1 .LBB90_508
; %bb.506:
	v_add_u32_e32 v105, 0xf8, v100
	s_mov_b32 s0, 31
	v_mov_b32_e32 v98, 30
.LBB90_507:                             ; =>This Inner Loop Header: Depth=1
	ds_read_b64 v[106:107], v105
	v_mov_b32_e32 v108, s0
	s_add_i32 s0, s0, 1
	v_add_u32_e32 v105, 8, v105
	s_cmp_lg_u32 s18, s0
	s_waitcnt lgkmcnt(0)
	v_cmp_lt_f64_e64 vcc, |v[96:97]|, |v[106:107]|
	v_cndmask_b32_e32 v97, v97, v107, vcc
	v_cndmask_b32_e32 v96, v96, v106, vcc
	v_cndmask_b32_e32 v98, v98, v108, vcc
	s_cbranch_scc1 .LBB90_507
.LBB90_508:
	s_waitcnt lgkmcnt(0)
	v_cmp_eq_f64_e32 vcc, 0, v[96:97]
	s_and_saveexec_b64 s[0:1], vcc
	s_xor_b64 s[0:1], exec, s[0:1]
; %bb.509:
	v_cmp_ne_u32_e32 vcc, 0, v104
	v_cndmask_b32_e32 v104, 31, v104, vcc
; %bb.510:
	s_andn2_saveexec_b64 s[0:1], s[0:1]
; %bb.511:
	v_div_scale_f64 v[106:107], s[2:3], v[96:97], v[96:97], 1.0
	v_rcp_f64_e32 v[108:109], v[106:107]
	v_div_scale_f64 v[110:111], vcc, 1.0, v[96:97], 1.0
	v_fma_f64 v[112:113], -v[106:107], v[108:109], 1.0
	v_fmac_f64_e32 v[108:109], v[108:109], v[112:113]
	v_fma_f64 v[112:113], -v[106:107], v[108:109], 1.0
	v_fmac_f64_e32 v[108:109], v[108:109], v[112:113]
	v_mul_f64 v[112:113], v[110:111], v[108:109]
	v_fma_f64 v[106:107], -v[106:107], v[112:113], v[110:111]
	v_div_fmas_f64 v[106:107], v[106:107], v[108:109], v[112:113]
	v_div_fixup_f64 v[96:97], v[106:107], v[96:97], 1.0
; %bb.512:
	s_or_b64 exec, exec, s[0:1]
	v_cmp_ne_u32_e32 vcc, v101, v98
	s_and_saveexec_b64 s[0:1], vcc
	s_xor_b64 s[0:1], exec, s[0:1]
	s_cbranch_execz .LBB90_518
; %bb.513:
	v_cmp_eq_u32_e32 vcc, 30, v101
	s_and_saveexec_b64 s[2:3], vcc
	s_cbranch_execz .LBB90_517
; %bb.514:
	v_cmp_ne_u32_e32 vcc, 30, v98
	s_xor_b64 s[14:15], s[6:7], -1
	s_and_b64 s[16:17], s[14:15], vcc
	s_and_saveexec_b64 s[14:15], s[16:17]
	s_cbranch_execz .LBB90_516
; %bb.515:
	v_ashrrev_i32_e32 v99, 31, v98
	v_lshlrev_b64 v[106:107], 2, v[98:99]
	v_add_co_u32_e32 v106, vcc, v4, v106
	v_addc_co_u32_e32 v107, vcc, v5, v107, vcc
	flat_load_dword v99, v[106:107]
	flat_load_dword v101, v[4:5] offset:120
	s_waitcnt vmcnt(0) lgkmcnt(0)
	flat_store_dword v[4:5], v99 offset:120
	flat_store_dword v[106:107], v101
.LBB90_516:
	s_or_b64 exec, exec, s[14:15]
	v_mov_b32_e32 v99, v98
	v_mov_b32_e32 v101, v98
.LBB90_517:
	s_or_b64 exec, exec, s[2:3]
.LBB90_518:
	s_andn2_saveexec_b64 s[0:1], s[0:1]
	s_cbranch_execz .LBB90_520
; %bb.519:
	v_mov_b32_e32 v101, 30
	ds_write2_b64 v100, v[30:31], v[28:29] offset0:31 offset1:32
	ds_write2_b64 v100, v[26:27], v[24:25] offset0:33 offset1:34
	;; [unrolled: 1-line block ×7, first 2 shown]
	ds_write_b64 v100, v[94:95] offset:360
.LBB90_520:
	s_or_b64 exec, exec, s[0:1]
	v_cmp_lt_i32_e32 vcc, 30, v101
	s_waitcnt lgkmcnt(0)
	s_barrier
	s_and_saveexec_b64 s[0:1], vcc
	s_cbranch_execz .LBB90_522
; %bb.521:
	ds_read2_b64 v[106:109], v100 offset0:31 offset1:32
	ds_read2_b64 v[110:113], v100 offset0:33 offset1:34
	v_mul_f64 v[32:33], v[96:97], v[32:33]
	ds_read2_b64 v[114:117], v100 offset0:35 offset1:36
	ds_read_b64 v[96:97], v100 offset:360
	s_waitcnt lgkmcnt(0)
	v_fma_f64 v[30:31], -v[32:33], v[106:107], v[30:31]
	v_fma_f64 v[28:29], -v[32:33], v[108:109], v[28:29]
	ds_read2_b64 v[106:109], v100 offset0:37 offset1:38
	v_fma_f64 v[26:27], -v[32:33], v[110:111], v[26:27]
	v_fma_f64 v[24:25], -v[32:33], v[112:113], v[24:25]
	;; [unrolled: 1-line block ×3, first 2 shown]
	ds_read2_b64 v[110:113], v100 offset0:39 offset1:40
	v_fma_f64 v[20:21], -v[32:33], v[116:117], v[20:21]
	s_waitcnt lgkmcnt(0)
	v_fma_f64 v[18:19], -v[32:33], v[106:107], v[18:19]
	v_fma_f64 v[14:15], -v[32:33], v[108:109], v[14:15]
	ds_read2_b64 v[106:109], v100 offset0:41 offset1:42
	ds_read2_b64 v[114:117], v100 offset0:43 offset1:44
	v_fma_f64 v[16:17], -v[32:33], v[110:111], v[16:17]
	v_fma_f64 v[12:13], -v[32:33], v[112:113], v[12:13]
	;; [unrolled: 1-line block ×3, first 2 shown]
	s_waitcnt lgkmcnt(0)
	v_fma_f64 v[10:11], -v[32:33], v[106:107], v[10:11]
	v_fma_f64 v[8:9], -v[32:33], v[108:109], v[8:9]
	;; [unrolled: 1-line block ×4, first 2 shown]
.LBB90_522:
	s_or_b64 exec, exec, s[0:1]
	v_lshl_add_u32 v96, v101, 3, v100
	s_barrier
	ds_write_b64 v96, v[30:31]
	s_waitcnt lgkmcnt(0)
	s_barrier
	ds_read_b64 v[96:97], v100 offset:248
	s_cmp_lt_i32 s18, 33
	v_mov_b32_e32 v98, 31
	s_cbranch_scc1 .LBB90_525
; %bb.523:
	v_add_u32_e32 v105, 0x100, v100
	s_mov_b32 s0, 32
	v_mov_b32_e32 v98, 31
.LBB90_524:                             ; =>This Inner Loop Header: Depth=1
	ds_read_b64 v[106:107], v105
	v_mov_b32_e32 v108, s0
	s_add_i32 s0, s0, 1
	v_add_u32_e32 v105, 8, v105
	s_cmp_lg_u32 s18, s0
	s_waitcnt lgkmcnt(0)
	v_cmp_lt_f64_e64 vcc, |v[96:97]|, |v[106:107]|
	v_cndmask_b32_e32 v97, v97, v107, vcc
	v_cndmask_b32_e32 v96, v96, v106, vcc
	;; [unrolled: 1-line block ×3, first 2 shown]
	s_cbranch_scc1 .LBB90_524
.LBB90_525:
	s_waitcnt lgkmcnt(0)
	v_cmp_eq_f64_e32 vcc, 0, v[96:97]
	s_and_saveexec_b64 s[0:1], vcc
	s_xor_b64 s[0:1], exec, s[0:1]
; %bb.526:
	v_cmp_ne_u32_e32 vcc, 0, v104
	v_cndmask_b32_e32 v104, 32, v104, vcc
; %bb.527:
	s_andn2_saveexec_b64 s[0:1], s[0:1]
; %bb.528:
	v_div_scale_f64 v[106:107], s[2:3], v[96:97], v[96:97], 1.0
	v_rcp_f64_e32 v[108:109], v[106:107]
	v_div_scale_f64 v[110:111], vcc, 1.0, v[96:97], 1.0
	v_fma_f64 v[112:113], -v[106:107], v[108:109], 1.0
	v_fmac_f64_e32 v[108:109], v[108:109], v[112:113]
	v_fma_f64 v[112:113], -v[106:107], v[108:109], 1.0
	v_fmac_f64_e32 v[108:109], v[108:109], v[112:113]
	v_mul_f64 v[112:113], v[110:111], v[108:109]
	v_fma_f64 v[106:107], -v[106:107], v[112:113], v[110:111]
	v_div_fmas_f64 v[106:107], v[106:107], v[108:109], v[112:113]
	v_div_fixup_f64 v[96:97], v[106:107], v[96:97], 1.0
; %bb.529:
	s_or_b64 exec, exec, s[0:1]
	v_cmp_ne_u32_e32 vcc, v101, v98
	s_and_saveexec_b64 s[0:1], vcc
	s_xor_b64 s[0:1], exec, s[0:1]
	s_cbranch_execz .LBB90_535
; %bb.530:
	v_cmp_eq_u32_e32 vcc, 31, v101
	s_and_saveexec_b64 s[2:3], vcc
	s_cbranch_execz .LBB90_534
; %bb.531:
	v_cmp_ne_u32_e32 vcc, 31, v98
	s_xor_b64 s[14:15], s[6:7], -1
	s_and_b64 s[16:17], s[14:15], vcc
	s_and_saveexec_b64 s[14:15], s[16:17]
	s_cbranch_execz .LBB90_533
; %bb.532:
	v_ashrrev_i32_e32 v99, 31, v98
	v_lshlrev_b64 v[106:107], 2, v[98:99]
	v_add_co_u32_e32 v106, vcc, v4, v106
	v_addc_co_u32_e32 v107, vcc, v5, v107, vcc
	flat_load_dword v99, v[106:107]
	flat_load_dword v101, v[4:5] offset:124
	s_waitcnt vmcnt(0) lgkmcnt(0)
	flat_store_dword v[4:5], v99 offset:124
	flat_store_dword v[106:107], v101
.LBB90_533:
	s_or_b64 exec, exec, s[14:15]
	v_mov_b32_e32 v99, v98
	v_mov_b32_e32 v101, v98
.LBB90_534:
	s_or_b64 exec, exec, s[2:3]
.LBB90_535:
	s_andn2_saveexec_b64 s[0:1], s[0:1]
	s_cbranch_execz .LBB90_537
; %bb.536:
	v_mov_b32_e32 v106, v28
	v_mov_b32_e32 v107, v29
	v_mov_b32_e32 v108, v26
	v_mov_b32_e32 v109, v27
	ds_write2_b64 v100, v[106:107], v[108:109] offset0:32 offset1:33
	v_mov_b32_e32 v106, v24
	v_mov_b32_e32 v107, v25
	v_mov_b32_e32 v108, v22
	v_mov_b32_e32 v109, v23
	ds_write2_b64 v100, v[106:107], v[108:109] offset0:34 offset1:35
	;; [unrolled: 5-line block ×6, first 2 shown]
	v_mov_b32_e32 v106, v0
	v_mov_b32_e32 v107, v1
	v_mov_b32_e32 v101, 31
	ds_write2_b64 v100, v[106:107], v[94:95] offset0:44 offset1:45
.LBB90_537:
	s_or_b64 exec, exec, s[0:1]
	v_cmp_lt_i32_e32 vcc, 31, v101
	s_waitcnt lgkmcnt(0)
	s_barrier
	s_and_saveexec_b64 s[0:1], vcc
	s_cbranch_execz .LBB90_539
; %bb.538:
	ds_read2_b64 v[106:109], v100 offset0:32 offset1:33
	ds_read2_b64 v[110:113], v100 offset0:34 offset1:35
	v_mul_f64 v[30:31], v[96:97], v[30:31]
	ds_read2_b64 v[114:117], v100 offset0:36 offset1:37
	s_waitcnt lgkmcnt(0)
	v_fma_f64 v[28:29], -v[30:31], v[106:107], v[28:29]
	v_fma_f64 v[26:27], -v[30:31], v[108:109], v[26:27]
	ds_read2_b64 v[106:109], v100 offset0:38 offset1:39
	v_fma_f64 v[24:25], -v[30:31], v[110:111], v[24:25]
	v_fma_f64 v[22:23], -v[30:31], v[112:113], v[22:23]
	;; [unrolled: 1-line block ×4, first 2 shown]
	ds_read2_b64 v[110:113], v100 offset0:40 offset1:41
	ds_read2_b64 v[114:117], v100 offset0:42 offset1:43
	s_waitcnt lgkmcnt(0)
	v_fma_f64 v[14:15], -v[30:31], v[106:107], v[14:15]
	v_fma_f64 v[16:17], -v[30:31], v[108:109], v[16:17]
	ds_read2_b64 v[106:109], v100 offset0:44 offset1:45
	v_fma_f64 v[12:13], -v[30:31], v[110:111], v[12:13]
	v_fma_f64 v[10:11], -v[30:31], v[112:113], v[10:11]
	v_fma_f64 v[8:9], -v[30:31], v[114:115], v[8:9]
	v_fma_f64 v[6:7], -v[30:31], v[116:117], v[6:7]
	s_waitcnt lgkmcnt(0)
	v_fma_f64 v[0:1], -v[30:31], v[106:107], v[0:1]
	v_fma_f64 v[94:95], -v[30:31], v[108:109], v[94:95]
.LBB90_539:
	s_or_b64 exec, exec, s[0:1]
	v_lshl_add_u32 v96, v101, 3, v100
	s_barrier
	ds_write_b64 v96, v[28:29]
	s_waitcnt lgkmcnt(0)
	s_barrier
	ds_read_b64 v[96:97], v100 offset:256
	s_cmp_lt_i32 s18, 34
	v_mov_b32_e32 v98, 32
	s_cbranch_scc1 .LBB90_542
; %bb.540:
	v_add_u32_e32 v105, 0x108, v100
	s_mov_b32 s0, 33
	v_mov_b32_e32 v98, 32
.LBB90_541:                             ; =>This Inner Loop Header: Depth=1
	ds_read_b64 v[106:107], v105
	v_mov_b32_e32 v108, s0
	s_add_i32 s0, s0, 1
	v_add_u32_e32 v105, 8, v105
	s_cmp_lg_u32 s18, s0
	s_waitcnt lgkmcnt(0)
	v_cmp_lt_f64_e64 vcc, |v[96:97]|, |v[106:107]|
	v_cndmask_b32_e32 v97, v97, v107, vcc
	v_cndmask_b32_e32 v96, v96, v106, vcc
	v_cndmask_b32_e32 v98, v98, v108, vcc
	s_cbranch_scc1 .LBB90_541
.LBB90_542:
	s_waitcnt lgkmcnt(0)
	v_cmp_eq_f64_e32 vcc, 0, v[96:97]
	s_and_saveexec_b64 s[0:1], vcc
	s_xor_b64 s[0:1], exec, s[0:1]
; %bb.543:
	v_cmp_ne_u32_e32 vcc, 0, v104
	v_cndmask_b32_e32 v104, 33, v104, vcc
; %bb.544:
	s_andn2_saveexec_b64 s[0:1], s[0:1]
; %bb.545:
	v_div_scale_f64 v[106:107], s[2:3], v[96:97], v[96:97], 1.0
	v_rcp_f64_e32 v[108:109], v[106:107]
	v_div_scale_f64 v[110:111], vcc, 1.0, v[96:97], 1.0
	v_fma_f64 v[112:113], -v[106:107], v[108:109], 1.0
	v_fmac_f64_e32 v[108:109], v[108:109], v[112:113]
	v_fma_f64 v[112:113], -v[106:107], v[108:109], 1.0
	v_fmac_f64_e32 v[108:109], v[108:109], v[112:113]
	v_mul_f64 v[112:113], v[110:111], v[108:109]
	v_fma_f64 v[106:107], -v[106:107], v[112:113], v[110:111]
	v_div_fmas_f64 v[106:107], v[106:107], v[108:109], v[112:113]
	v_div_fixup_f64 v[96:97], v[106:107], v[96:97], 1.0
; %bb.546:
	s_or_b64 exec, exec, s[0:1]
	v_cmp_ne_u32_e32 vcc, v101, v98
	s_and_saveexec_b64 s[0:1], vcc
	s_xor_b64 s[0:1], exec, s[0:1]
	s_cbranch_execz .LBB90_552
; %bb.547:
	v_cmp_eq_u32_e32 vcc, 32, v101
	s_and_saveexec_b64 s[2:3], vcc
	s_cbranch_execz .LBB90_551
; %bb.548:
	v_cmp_ne_u32_e32 vcc, 32, v98
	s_xor_b64 s[14:15], s[6:7], -1
	s_and_b64 s[16:17], s[14:15], vcc
	s_and_saveexec_b64 s[14:15], s[16:17]
	s_cbranch_execz .LBB90_550
; %bb.549:
	v_ashrrev_i32_e32 v99, 31, v98
	v_lshlrev_b64 v[106:107], 2, v[98:99]
	v_add_co_u32_e32 v106, vcc, v4, v106
	v_addc_co_u32_e32 v107, vcc, v5, v107, vcc
	flat_load_dword v99, v[106:107]
	flat_load_dword v101, v[4:5] offset:128
	s_waitcnt vmcnt(0) lgkmcnt(0)
	flat_store_dword v[4:5], v99 offset:128
	flat_store_dword v[106:107], v101
.LBB90_550:
	s_or_b64 exec, exec, s[14:15]
	v_mov_b32_e32 v99, v98
	v_mov_b32_e32 v101, v98
.LBB90_551:
	s_or_b64 exec, exec, s[2:3]
.LBB90_552:
	s_andn2_saveexec_b64 s[0:1], s[0:1]
	s_cbranch_execz .LBB90_554
; %bb.553:
	v_mov_b32_e32 v101, 32
	ds_write2_b64 v100, v[26:27], v[24:25] offset0:33 offset1:34
	ds_write2_b64 v100, v[22:23], v[20:21] offset0:35 offset1:36
	;; [unrolled: 1-line block ×6, first 2 shown]
	ds_write_b64 v100, v[94:95] offset:360
.LBB90_554:
	s_or_b64 exec, exec, s[0:1]
	v_cmp_lt_i32_e32 vcc, 32, v101
	s_waitcnt lgkmcnt(0)
	s_barrier
	s_and_saveexec_b64 s[0:1], vcc
	s_cbranch_execz .LBB90_556
; %bb.555:
	ds_read2_b64 v[106:109], v100 offset0:33 offset1:34
	ds_read2_b64 v[110:113], v100 offset0:35 offset1:36
	;; [unrolled: 1-line block ×3, first 2 shown]
	v_mul_f64 v[28:29], v[96:97], v[28:29]
	ds_read_b64 v[96:97], v100 offset:360
	s_waitcnt lgkmcnt(0)
	v_fma_f64 v[26:27], -v[28:29], v[106:107], v[26:27]
	v_fma_f64 v[24:25], -v[28:29], v[108:109], v[24:25]
	ds_read2_b64 v[106:109], v100 offset0:39 offset1:40
	v_fma_f64 v[22:23], -v[28:29], v[110:111], v[22:23]
	v_fma_f64 v[20:21], -v[28:29], v[112:113], v[20:21]
	;; [unrolled: 1-line block ×4, first 2 shown]
	ds_read2_b64 v[110:113], v100 offset0:41 offset1:42
	ds_read2_b64 v[114:117], v100 offset0:43 offset1:44
	s_waitcnt lgkmcnt(0)
	v_fma_f64 v[16:17], -v[28:29], v[106:107], v[16:17]
	v_fma_f64 v[12:13], -v[28:29], v[108:109], v[12:13]
	;; [unrolled: 1-line block ×7, first 2 shown]
.LBB90_556:
	s_or_b64 exec, exec, s[0:1]
	v_lshl_add_u32 v96, v101, 3, v100
	s_barrier
	ds_write_b64 v96, v[26:27]
	s_waitcnt lgkmcnt(0)
	s_barrier
	ds_read_b64 v[96:97], v100 offset:264
	s_cmp_lt_i32 s18, 35
	v_mov_b32_e32 v98, 33
	s_cbranch_scc1 .LBB90_559
; %bb.557:
	v_add_u32_e32 v105, 0x110, v100
	s_mov_b32 s0, 34
	v_mov_b32_e32 v98, 33
.LBB90_558:                             ; =>This Inner Loop Header: Depth=1
	ds_read_b64 v[106:107], v105
	v_mov_b32_e32 v108, s0
	s_add_i32 s0, s0, 1
	v_add_u32_e32 v105, 8, v105
	s_cmp_lg_u32 s18, s0
	s_waitcnt lgkmcnt(0)
	v_cmp_lt_f64_e64 vcc, |v[96:97]|, |v[106:107]|
	v_cndmask_b32_e32 v97, v97, v107, vcc
	v_cndmask_b32_e32 v96, v96, v106, vcc
	;; [unrolled: 1-line block ×3, first 2 shown]
	s_cbranch_scc1 .LBB90_558
.LBB90_559:
	s_waitcnt lgkmcnt(0)
	v_cmp_eq_f64_e32 vcc, 0, v[96:97]
	s_and_saveexec_b64 s[0:1], vcc
	s_xor_b64 s[0:1], exec, s[0:1]
; %bb.560:
	v_cmp_ne_u32_e32 vcc, 0, v104
	v_cndmask_b32_e32 v104, 34, v104, vcc
; %bb.561:
	s_andn2_saveexec_b64 s[0:1], s[0:1]
; %bb.562:
	v_div_scale_f64 v[106:107], s[2:3], v[96:97], v[96:97], 1.0
	v_rcp_f64_e32 v[108:109], v[106:107]
	v_div_scale_f64 v[110:111], vcc, 1.0, v[96:97], 1.0
	v_fma_f64 v[112:113], -v[106:107], v[108:109], 1.0
	v_fmac_f64_e32 v[108:109], v[108:109], v[112:113]
	v_fma_f64 v[112:113], -v[106:107], v[108:109], 1.0
	v_fmac_f64_e32 v[108:109], v[108:109], v[112:113]
	v_mul_f64 v[112:113], v[110:111], v[108:109]
	v_fma_f64 v[106:107], -v[106:107], v[112:113], v[110:111]
	v_div_fmas_f64 v[106:107], v[106:107], v[108:109], v[112:113]
	v_div_fixup_f64 v[96:97], v[106:107], v[96:97], 1.0
; %bb.563:
	s_or_b64 exec, exec, s[0:1]
	v_cmp_ne_u32_e32 vcc, v101, v98
	s_and_saveexec_b64 s[0:1], vcc
	s_xor_b64 s[0:1], exec, s[0:1]
	s_cbranch_execz .LBB90_569
; %bb.564:
	v_cmp_eq_u32_e32 vcc, 33, v101
	s_and_saveexec_b64 s[2:3], vcc
	s_cbranch_execz .LBB90_568
; %bb.565:
	v_cmp_ne_u32_e32 vcc, 33, v98
	s_xor_b64 s[14:15], s[6:7], -1
	s_and_b64 s[16:17], s[14:15], vcc
	s_and_saveexec_b64 s[14:15], s[16:17]
	s_cbranch_execz .LBB90_567
; %bb.566:
	v_ashrrev_i32_e32 v99, 31, v98
	v_lshlrev_b64 v[106:107], 2, v[98:99]
	v_add_co_u32_e32 v106, vcc, v4, v106
	v_addc_co_u32_e32 v107, vcc, v5, v107, vcc
	flat_load_dword v99, v[106:107]
	flat_load_dword v101, v[4:5] offset:132
	s_waitcnt vmcnt(0) lgkmcnt(0)
	flat_store_dword v[4:5], v99 offset:132
	flat_store_dword v[106:107], v101
.LBB90_567:
	s_or_b64 exec, exec, s[14:15]
	v_mov_b32_e32 v99, v98
	v_mov_b32_e32 v101, v98
.LBB90_568:
	s_or_b64 exec, exec, s[2:3]
.LBB90_569:
	s_andn2_saveexec_b64 s[0:1], s[0:1]
	s_cbranch_execz .LBB90_571
; %bb.570:
	v_mov_b32_e32 v106, v24
	v_mov_b32_e32 v107, v25
	v_mov_b32_e32 v108, v22
	v_mov_b32_e32 v109, v23
	ds_write2_b64 v100, v[106:107], v[108:109] offset0:34 offset1:35
	v_mov_b32_e32 v106, v20
	v_mov_b32_e32 v107, v21
	v_mov_b32_e32 v108, v18
	v_mov_b32_e32 v109, v19
	ds_write2_b64 v100, v[106:107], v[108:109] offset0:36 offset1:37
	v_mov_b32_e32 v106, v14
	v_mov_b32_e32 v107, v15
	v_mov_b32_e32 v108, v16
	v_mov_b32_e32 v109, v17
	ds_write2_b64 v100, v[106:107], v[108:109] offset0:38 offset1:39
	v_mov_b32_e32 v106, v12
	v_mov_b32_e32 v107, v13
	v_mov_b32_e32 v108, v10
	v_mov_b32_e32 v109, v11
	ds_write2_b64 v100, v[106:107], v[108:109] offset0:40 offset1:41
	v_mov_b32_e32 v106, v8
	v_mov_b32_e32 v107, v9
	v_mov_b32_e32 v108, v6
	v_mov_b32_e32 v109, v7
	ds_write2_b64 v100, v[106:107], v[108:109] offset0:42 offset1:43
	v_mov_b32_e32 v106, v0
	v_mov_b32_e32 v107, v1
	;; [unrolled: 1-line block ×3, first 2 shown]
	ds_write2_b64 v100, v[106:107], v[94:95] offset0:44 offset1:45
.LBB90_571:
	s_or_b64 exec, exec, s[0:1]
	v_cmp_lt_i32_e32 vcc, 33, v101
	s_waitcnt lgkmcnt(0)
	s_barrier
	s_and_saveexec_b64 s[0:1], vcc
	s_cbranch_execz .LBB90_573
; %bb.572:
	ds_read2_b64 v[106:109], v100 offset0:34 offset1:35
	ds_read2_b64 v[110:113], v100 offset0:36 offset1:37
	ds_read2_b64 v[114:117], v100 offset0:38 offset1:39
	v_mul_f64 v[26:27], v[96:97], v[26:27]
	s_waitcnt lgkmcnt(0)
	v_fma_f64 v[24:25], -v[26:27], v[106:107], v[24:25]
	v_fma_f64 v[22:23], -v[26:27], v[108:109], v[22:23]
	ds_read2_b64 v[106:109], v100 offset0:40 offset1:41
	v_fma_f64 v[20:21], -v[26:27], v[110:111], v[20:21]
	v_fma_f64 v[18:19], -v[26:27], v[112:113], v[18:19]
	;; [unrolled: 1-line block ×3, first 2 shown]
	ds_read2_b64 v[110:113], v100 offset0:42 offset1:43
	v_fma_f64 v[16:17], -v[26:27], v[116:117], v[16:17]
	ds_read2_b64 v[114:117], v100 offset0:44 offset1:45
	s_waitcnt lgkmcnt(0)
	v_fma_f64 v[12:13], -v[26:27], v[106:107], v[12:13]
	v_fma_f64 v[10:11], -v[26:27], v[108:109], v[10:11]
	;; [unrolled: 1-line block ×6, first 2 shown]
.LBB90_573:
	s_or_b64 exec, exec, s[0:1]
	v_lshl_add_u32 v96, v101, 3, v100
	s_barrier
	ds_write_b64 v96, v[24:25]
	s_waitcnt lgkmcnt(0)
	s_barrier
	ds_read_b64 v[96:97], v100 offset:272
	s_cmp_lt_i32 s18, 36
	v_mov_b32_e32 v98, 34
	s_cbranch_scc1 .LBB90_576
; %bb.574:
	v_add_u32_e32 v105, 0x118, v100
	s_mov_b32 s0, 35
	v_mov_b32_e32 v98, 34
.LBB90_575:                             ; =>This Inner Loop Header: Depth=1
	ds_read_b64 v[106:107], v105
	v_mov_b32_e32 v108, s0
	s_add_i32 s0, s0, 1
	v_add_u32_e32 v105, 8, v105
	s_cmp_lg_u32 s18, s0
	s_waitcnt lgkmcnt(0)
	v_cmp_lt_f64_e64 vcc, |v[96:97]|, |v[106:107]|
	v_cndmask_b32_e32 v97, v97, v107, vcc
	v_cndmask_b32_e32 v96, v96, v106, vcc
	;; [unrolled: 1-line block ×3, first 2 shown]
	s_cbranch_scc1 .LBB90_575
.LBB90_576:
	s_waitcnt lgkmcnt(0)
	v_cmp_eq_f64_e32 vcc, 0, v[96:97]
	s_and_saveexec_b64 s[0:1], vcc
	s_xor_b64 s[0:1], exec, s[0:1]
; %bb.577:
	v_cmp_ne_u32_e32 vcc, 0, v104
	v_cndmask_b32_e32 v104, 35, v104, vcc
; %bb.578:
	s_andn2_saveexec_b64 s[0:1], s[0:1]
; %bb.579:
	v_div_scale_f64 v[106:107], s[2:3], v[96:97], v[96:97], 1.0
	v_rcp_f64_e32 v[108:109], v[106:107]
	v_div_scale_f64 v[110:111], vcc, 1.0, v[96:97], 1.0
	v_fma_f64 v[112:113], -v[106:107], v[108:109], 1.0
	v_fmac_f64_e32 v[108:109], v[108:109], v[112:113]
	v_fma_f64 v[112:113], -v[106:107], v[108:109], 1.0
	v_fmac_f64_e32 v[108:109], v[108:109], v[112:113]
	v_mul_f64 v[112:113], v[110:111], v[108:109]
	v_fma_f64 v[106:107], -v[106:107], v[112:113], v[110:111]
	v_div_fmas_f64 v[106:107], v[106:107], v[108:109], v[112:113]
	v_div_fixup_f64 v[96:97], v[106:107], v[96:97], 1.0
; %bb.580:
	s_or_b64 exec, exec, s[0:1]
	v_cmp_ne_u32_e32 vcc, v101, v98
	s_and_saveexec_b64 s[0:1], vcc
	s_xor_b64 s[0:1], exec, s[0:1]
	s_cbranch_execz .LBB90_586
; %bb.581:
	v_cmp_eq_u32_e32 vcc, 34, v101
	s_and_saveexec_b64 s[2:3], vcc
	s_cbranch_execz .LBB90_585
; %bb.582:
	v_cmp_ne_u32_e32 vcc, 34, v98
	s_xor_b64 s[14:15], s[6:7], -1
	s_and_b64 s[16:17], s[14:15], vcc
	s_and_saveexec_b64 s[14:15], s[16:17]
	s_cbranch_execz .LBB90_584
; %bb.583:
	v_ashrrev_i32_e32 v99, 31, v98
	v_lshlrev_b64 v[106:107], 2, v[98:99]
	v_add_co_u32_e32 v106, vcc, v4, v106
	v_addc_co_u32_e32 v107, vcc, v5, v107, vcc
	flat_load_dword v99, v[106:107]
	flat_load_dword v101, v[4:5] offset:136
	s_waitcnt vmcnt(0) lgkmcnt(0)
	flat_store_dword v[4:5], v99 offset:136
	flat_store_dword v[106:107], v101
.LBB90_584:
	s_or_b64 exec, exec, s[14:15]
	v_mov_b32_e32 v99, v98
	v_mov_b32_e32 v101, v98
.LBB90_585:
	s_or_b64 exec, exec, s[2:3]
.LBB90_586:
	s_andn2_saveexec_b64 s[0:1], s[0:1]
	s_cbranch_execz .LBB90_588
; %bb.587:
	v_mov_b32_e32 v101, 34
	ds_write2_b64 v100, v[22:23], v[20:21] offset0:35 offset1:36
	ds_write2_b64 v100, v[18:19], v[14:15] offset0:37 offset1:38
	;; [unrolled: 1-line block ×5, first 2 shown]
	ds_write_b64 v100, v[94:95] offset:360
.LBB90_588:
	s_or_b64 exec, exec, s[0:1]
	v_cmp_lt_i32_e32 vcc, 34, v101
	s_waitcnt lgkmcnt(0)
	s_barrier
	s_and_saveexec_b64 s[0:1], vcc
	s_cbranch_execz .LBB90_590
; %bb.589:
	ds_read2_b64 v[106:109], v100 offset0:35 offset1:36
	ds_read2_b64 v[110:113], v100 offset0:37 offset1:38
	v_mul_f64 v[24:25], v[96:97], v[24:25]
	ds_read2_b64 v[114:117], v100 offset0:39 offset1:40
	ds_read_b64 v[96:97], v100 offset:360
	s_waitcnt lgkmcnt(0)
	v_fma_f64 v[22:23], -v[24:25], v[106:107], v[22:23]
	v_fma_f64 v[20:21], -v[24:25], v[108:109], v[20:21]
	ds_read2_b64 v[106:109], v100 offset0:41 offset1:42
	v_fma_f64 v[18:19], -v[24:25], v[110:111], v[18:19]
	v_fma_f64 v[14:15], -v[24:25], v[112:113], v[14:15]
	ds_read2_b64 v[110:113], v100 offset0:43 offset1:44
	v_fma_f64 v[16:17], -v[24:25], v[114:115], v[16:17]
	v_fma_f64 v[12:13], -v[24:25], v[116:117], v[12:13]
	s_waitcnt lgkmcnt(0)
	v_fma_f64 v[10:11], -v[24:25], v[106:107], v[10:11]
	v_fma_f64 v[8:9], -v[24:25], v[108:109], v[8:9]
	;; [unrolled: 1-line block ×5, first 2 shown]
.LBB90_590:
	s_or_b64 exec, exec, s[0:1]
	v_lshl_add_u32 v96, v101, 3, v100
	s_barrier
	ds_write_b64 v96, v[22:23]
	s_waitcnt lgkmcnt(0)
	s_barrier
	ds_read_b64 v[96:97], v100 offset:280
	s_cmp_lt_i32 s18, 37
	v_mov_b32_e32 v98, 35
	s_cbranch_scc1 .LBB90_593
; %bb.591:
	v_add_u32_e32 v105, 0x120, v100
	s_mov_b32 s0, 36
	v_mov_b32_e32 v98, 35
.LBB90_592:                             ; =>This Inner Loop Header: Depth=1
	ds_read_b64 v[106:107], v105
	v_mov_b32_e32 v108, s0
	s_add_i32 s0, s0, 1
	v_add_u32_e32 v105, 8, v105
	s_cmp_lg_u32 s18, s0
	s_waitcnt lgkmcnt(0)
	v_cmp_lt_f64_e64 vcc, |v[96:97]|, |v[106:107]|
	v_cndmask_b32_e32 v97, v97, v107, vcc
	v_cndmask_b32_e32 v96, v96, v106, vcc
	;; [unrolled: 1-line block ×3, first 2 shown]
	s_cbranch_scc1 .LBB90_592
.LBB90_593:
	s_waitcnt lgkmcnt(0)
	v_cmp_eq_f64_e32 vcc, 0, v[96:97]
	s_and_saveexec_b64 s[0:1], vcc
	s_xor_b64 s[0:1], exec, s[0:1]
; %bb.594:
	v_cmp_ne_u32_e32 vcc, 0, v104
	v_cndmask_b32_e32 v104, 36, v104, vcc
; %bb.595:
	s_andn2_saveexec_b64 s[0:1], s[0:1]
; %bb.596:
	v_div_scale_f64 v[106:107], s[2:3], v[96:97], v[96:97], 1.0
	v_rcp_f64_e32 v[108:109], v[106:107]
	v_div_scale_f64 v[110:111], vcc, 1.0, v[96:97], 1.0
	v_fma_f64 v[112:113], -v[106:107], v[108:109], 1.0
	v_fmac_f64_e32 v[108:109], v[108:109], v[112:113]
	v_fma_f64 v[112:113], -v[106:107], v[108:109], 1.0
	v_fmac_f64_e32 v[108:109], v[108:109], v[112:113]
	v_mul_f64 v[112:113], v[110:111], v[108:109]
	v_fma_f64 v[106:107], -v[106:107], v[112:113], v[110:111]
	v_div_fmas_f64 v[106:107], v[106:107], v[108:109], v[112:113]
	v_div_fixup_f64 v[96:97], v[106:107], v[96:97], 1.0
; %bb.597:
	s_or_b64 exec, exec, s[0:1]
	v_cmp_ne_u32_e32 vcc, v101, v98
	s_and_saveexec_b64 s[0:1], vcc
	s_xor_b64 s[0:1], exec, s[0:1]
	s_cbranch_execz .LBB90_603
; %bb.598:
	v_cmp_eq_u32_e32 vcc, 35, v101
	s_and_saveexec_b64 s[2:3], vcc
	s_cbranch_execz .LBB90_602
; %bb.599:
	v_cmp_ne_u32_e32 vcc, 35, v98
	s_xor_b64 s[14:15], s[6:7], -1
	s_and_b64 s[16:17], s[14:15], vcc
	s_and_saveexec_b64 s[14:15], s[16:17]
	s_cbranch_execz .LBB90_601
; %bb.600:
	v_ashrrev_i32_e32 v99, 31, v98
	v_lshlrev_b64 v[106:107], 2, v[98:99]
	v_add_co_u32_e32 v106, vcc, v4, v106
	v_addc_co_u32_e32 v107, vcc, v5, v107, vcc
	flat_load_dword v99, v[106:107]
	flat_load_dword v101, v[4:5] offset:140
	s_waitcnt vmcnt(0) lgkmcnt(0)
	flat_store_dword v[4:5], v99 offset:140
	flat_store_dword v[106:107], v101
.LBB90_601:
	s_or_b64 exec, exec, s[14:15]
	v_mov_b32_e32 v99, v98
	v_mov_b32_e32 v101, v98
.LBB90_602:
	s_or_b64 exec, exec, s[2:3]
.LBB90_603:
	s_andn2_saveexec_b64 s[0:1], s[0:1]
	s_cbranch_execz .LBB90_605
; %bb.604:
	v_mov_b32_e32 v106, v20
	v_mov_b32_e32 v107, v21
	v_mov_b32_e32 v108, v18
	v_mov_b32_e32 v109, v19
	ds_write2_b64 v100, v[106:107], v[108:109] offset0:36 offset1:37
	v_mov_b32_e32 v106, v14
	v_mov_b32_e32 v107, v15
	v_mov_b32_e32 v108, v16
	v_mov_b32_e32 v109, v17
	ds_write2_b64 v100, v[106:107], v[108:109] offset0:38 offset1:39
	v_mov_b32_e32 v106, v12
	v_mov_b32_e32 v107, v13
	v_mov_b32_e32 v108, v10
	v_mov_b32_e32 v109, v11
	ds_write2_b64 v100, v[106:107], v[108:109] offset0:40 offset1:41
	v_mov_b32_e32 v106, v8
	v_mov_b32_e32 v107, v9
	v_mov_b32_e32 v108, v6
	v_mov_b32_e32 v109, v7
	ds_write2_b64 v100, v[106:107], v[108:109] offset0:42 offset1:43
	v_mov_b32_e32 v106, v0
	v_mov_b32_e32 v107, v1
	;; [unrolled: 1-line block ×3, first 2 shown]
	ds_write2_b64 v100, v[106:107], v[94:95] offset0:44 offset1:45
.LBB90_605:
	s_or_b64 exec, exec, s[0:1]
	v_cmp_lt_i32_e32 vcc, 35, v101
	s_waitcnt lgkmcnt(0)
	s_barrier
	s_and_saveexec_b64 s[0:1], vcc
	s_cbranch_execz .LBB90_607
; %bb.606:
	ds_read2_b64 v[106:109], v100 offset0:36 offset1:37
	ds_read2_b64 v[110:113], v100 offset0:38 offset1:39
	v_mul_f64 v[22:23], v[96:97], v[22:23]
	ds_read2_b64 v[114:117], v100 offset0:42 offset1:43
	s_waitcnt lgkmcnt(0)
	v_fma_f64 v[20:21], -v[22:23], v[106:107], v[20:21]
	v_fma_f64 v[18:19], -v[22:23], v[108:109], v[18:19]
	ds_read2_b64 v[106:109], v100 offset0:40 offset1:41
	v_fma_f64 v[14:15], -v[22:23], v[110:111], v[14:15]
	v_fma_f64 v[16:17], -v[22:23], v[112:113], v[16:17]
	ds_read2_b64 v[110:113], v100 offset0:44 offset1:45
	v_fma_f64 v[8:9], -v[22:23], v[114:115], v[8:9]
	s_waitcnt lgkmcnt(0)
	v_fma_f64 v[12:13], -v[22:23], v[106:107], v[12:13]
	v_fma_f64 v[10:11], -v[22:23], v[108:109], v[10:11]
	;; [unrolled: 1-line block ×5, first 2 shown]
.LBB90_607:
	s_or_b64 exec, exec, s[0:1]
	v_lshl_add_u32 v96, v101, 3, v100
	s_barrier
	ds_write_b64 v96, v[20:21]
	s_waitcnt lgkmcnt(0)
	s_barrier
	ds_read_b64 v[96:97], v100 offset:288
	s_cmp_lt_i32 s18, 38
	v_mov_b32_e32 v98, 36
	s_cbranch_scc1 .LBB90_610
; %bb.608:
	v_add_u32_e32 v105, 0x128, v100
	s_mov_b32 s0, 37
	v_mov_b32_e32 v98, 36
.LBB90_609:                             ; =>This Inner Loop Header: Depth=1
	ds_read_b64 v[106:107], v105
	v_mov_b32_e32 v108, s0
	s_add_i32 s0, s0, 1
	v_add_u32_e32 v105, 8, v105
	s_cmp_lg_u32 s18, s0
	s_waitcnt lgkmcnt(0)
	v_cmp_lt_f64_e64 vcc, |v[96:97]|, |v[106:107]|
	v_cndmask_b32_e32 v97, v97, v107, vcc
	v_cndmask_b32_e32 v96, v96, v106, vcc
	;; [unrolled: 1-line block ×3, first 2 shown]
	s_cbranch_scc1 .LBB90_609
.LBB90_610:
	s_waitcnt lgkmcnt(0)
	v_cmp_eq_f64_e32 vcc, 0, v[96:97]
	s_and_saveexec_b64 s[0:1], vcc
	s_xor_b64 s[0:1], exec, s[0:1]
; %bb.611:
	v_cmp_ne_u32_e32 vcc, 0, v104
	v_cndmask_b32_e32 v104, 37, v104, vcc
; %bb.612:
	s_andn2_saveexec_b64 s[0:1], s[0:1]
; %bb.613:
	v_div_scale_f64 v[106:107], s[2:3], v[96:97], v[96:97], 1.0
	v_rcp_f64_e32 v[108:109], v[106:107]
	v_div_scale_f64 v[110:111], vcc, 1.0, v[96:97], 1.0
	v_fma_f64 v[112:113], -v[106:107], v[108:109], 1.0
	v_fmac_f64_e32 v[108:109], v[108:109], v[112:113]
	v_fma_f64 v[112:113], -v[106:107], v[108:109], 1.0
	v_fmac_f64_e32 v[108:109], v[108:109], v[112:113]
	v_mul_f64 v[112:113], v[110:111], v[108:109]
	v_fma_f64 v[106:107], -v[106:107], v[112:113], v[110:111]
	v_div_fmas_f64 v[106:107], v[106:107], v[108:109], v[112:113]
	v_div_fixup_f64 v[96:97], v[106:107], v[96:97], 1.0
; %bb.614:
	s_or_b64 exec, exec, s[0:1]
	v_cmp_ne_u32_e32 vcc, v101, v98
	s_and_saveexec_b64 s[0:1], vcc
	s_xor_b64 s[0:1], exec, s[0:1]
	s_cbranch_execz .LBB90_620
; %bb.615:
	v_cmp_eq_u32_e32 vcc, 36, v101
	s_and_saveexec_b64 s[2:3], vcc
	s_cbranch_execz .LBB90_619
; %bb.616:
	v_cmp_ne_u32_e32 vcc, 36, v98
	s_xor_b64 s[14:15], s[6:7], -1
	s_and_b64 s[16:17], s[14:15], vcc
	s_and_saveexec_b64 s[14:15], s[16:17]
	s_cbranch_execz .LBB90_618
; %bb.617:
	v_ashrrev_i32_e32 v99, 31, v98
	v_lshlrev_b64 v[106:107], 2, v[98:99]
	v_add_co_u32_e32 v106, vcc, v4, v106
	v_addc_co_u32_e32 v107, vcc, v5, v107, vcc
	flat_load_dword v99, v[106:107]
	flat_load_dword v101, v[4:5] offset:144
	s_waitcnt vmcnt(0) lgkmcnt(0)
	flat_store_dword v[4:5], v99 offset:144
	flat_store_dword v[106:107], v101
.LBB90_618:
	s_or_b64 exec, exec, s[14:15]
	v_mov_b32_e32 v99, v98
	v_mov_b32_e32 v101, v98
.LBB90_619:
	s_or_b64 exec, exec, s[2:3]
.LBB90_620:
	s_andn2_saveexec_b64 s[0:1], s[0:1]
	s_cbranch_execz .LBB90_622
; %bb.621:
	v_mov_b32_e32 v101, 36
	ds_write2_b64 v100, v[18:19], v[14:15] offset0:37 offset1:38
	ds_write2_b64 v100, v[16:17], v[12:13] offset0:39 offset1:40
	;; [unrolled: 1-line block ×4, first 2 shown]
	ds_write_b64 v100, v[94:95] offset:360
.LBB90_622:
	s_or_b64 exec, exec, s[0:1]
	v_cmp_lt_i32_e32 vcc, 36, v101
	s_waitcnt lgkmcnt(0)
	s_barrier
	s_and_saveexec_b64 s[0:1], vcc
	s_cbranch_execz .LBB90_624
; %bb.623:
	ds_read2_b64 v[106:109], v100 offset0:37 offset1:38
	ds_read2_b64 v[110:113], v100 offset0:39 offset1:40
	v_mul_f64 v[20:21], v[96:97], v[20:21]
	ds_read_b64 v[96:97], v100 offset:360
	ds_read2_b64 v[114:117], v100 offset0:43 offset1:44
	s_waitcnt lgkmcnt(0)
	v_fma_f64 v[18:19], -v[20:21], v[106:107], v[18:19]
	v_fma_f64 v[14:15], -v[20:21], v[108:109], v[14:15]
	ds_read2_b64 v[106:109], v100 offset0:41 offset1:42
	v_fma_f64 v[16:17], -v[20:21], v[110:111], v[16:17]
	v_fma_f64 v[12:13], -v[20:21], v[112:113], v[12:13]
	;; [unrolled: 1-line block ×4, first 2 shown]
	s_waitcnt lgkmcnt(0)
	v_fma_f64 v[10:11], -v[20:21], v[106:107], v[10:11]
	v_fma_f64 v[8:9], -v[20:21], v[108:109], v[8:9]
	;; [unrolled: 1-line block ×3, first 2 shown]
.LBB90_624:
	s_or_b64 exec, exec, s[0:1]
	v_lshl_add_u32 v96, v101, 3, v100
	s_barrier
	ds_write_b64 v96, v[18:19]
	s_waitcnt lgkmcnt(0)
	s_barrier
	ds_read_b64 v[96:97], v100 offset:296
	s_cmp_lt_i32 s18, 39
	v_mov_b32_e32 v98, 37
	s_cbranch_scc1 .LBB90_627
; %bb.625:
	v_add_u32_e32 v105, 0x130, v100
	s_mov_b32 s0, 38
	v_mov_b32_e32 v98, 37
.LBB90_626:                             ; =>This Inner Loop Header: Depth=1
	ds_read_b64 v[106:107], v105
	v_mov_b32_e32 v108, s0
	s_add_i32 s0, s0, 1
	v_add_u32_e32 v105, 8, v105
	s_cmp_lg_u32 s18, s0
	s_waitcnt lgkmcnt(0)
	v_cmp_lt_f64_e64 vcc, |v[96:97]|, |v[106:107]|
	v_cndmask_b32_e32 v97, v97, v107, vcc
	v_cndmask_b32_e32 v96, v96, v106, vcc
	;; [unrolled: 1-line block ×3, first 2 shown]
	s_cbranch_scc1 .LBB90_626
.LBB90_627:
	s_waitcnt lgkmcnt(0)
	v_cmp_eq_f64_e32 vcc, 0, v[96:97]
	s_and_saveexec_b64 s[0:1], vcc
	s_xor_b64 s[0:1], exec, s[0:1]
; %bb.628:
	v_cmp_ne_u32_e32 vcc, 0, v104
	v_cndmask_b32_e32 v104, 38, v104, vcc
; %bb.629:
	s_andn2_saveexec_b64 s[0:1], s[0:1]
; %bb.630:
	v_div_scale_f64 v[106:107], s[2:3], v[96:97], v[96:97], 1.0
	v_rcp_f64_e32 v[108:109], v[106:107]
	v_div_scale_f64 v[110:111], vcc, 1.0, v[96:97], 1.0
	v_fma_f64 v[112:113], -v[106:107], v[108:109], 1.0
	v_fmac_f64_e32 v[108:109], v[108:109], v[112:113]
	v_fma_f64 v[112:113], -v[106:107], v[108:109], 1.0
	v_fmac_f64_e32 v[108:109], v[108:109], v[112:113]
	v_mul_f64 v[112:113], v[110:111], v[108:109]
	v_fma_f64 v[106:107], -v[106:107], v[112:113], v[110:111]
	v_div_fmas_f64 v[106:107], v[106:107], v[108:109], v[112:113]
	v_div_fixup_f64 v[96:97], v[106:107], v[96:97], 1.0
; %bb.631:
	s_or_b64 exec, exec, s[0:1]
	v_cmp_ne_u32_e32 vcc, v101, v98
	s_and_saveexec_b64 s[0:1], vcc
	s_xor_b64 s[0:1], exec, s[0:1]
	s_cbranch_execz .LBB90_637
; %bb.632:
	v_cmp_eq_u32_e32 vcc, 37, v101
	s_and_saveexec_b64 s[2:3], vcc
	s_cbranch_execz .LBB90_636
; %bb.633:
	v_cmp_ne_u32_e32 vcc, 37, v98
	s_xor_b64 s[14:15], s[6:7], -1
	s_and_b64 s[16:17], s[14:15], vcc
	s_and_saveexec_b64 s[14:15], s[16:17]
	s_cbranch_execz .LBB90_635
; %bb.634:
	v_ashrrev_i32_e32 v99, 31, v98
	v_lshlrev_b64 v[106:107], 2, v[98:99]
	v_add_co_u32_e32 v106, vcc, v4, v106
	v_addc_co_u32_e32 v107, vcc, v5, v107, vcc
	flat_load_dword v99, v[106:107]
	flat_load_dword v101, v[4:5] offset:148
	s_waitcnt vmcnt(0) lgkmcnt(0)
	flat_store_dword v[4:5], v99 offset:148
	flat_store_dword v[106:107], v101
.LBB90_635:
	s_or_b64 exec, exec, s[14:15]
	v_mov_b32_e32 v99, v98
	v_mov_b32_e32 v101, v98
.LBB90_636:
	s_or_b64 exec, exec, s[2:3]
.LBB90_637:
	s_andn2_saveexec_b64 s[0:1], s[0:1]
	s_cbranch_execz .LBB90_639
; %bb.638:
	v_mov_b32_e32 v106, v14
	v_mov_b32_e32 v107, v15
	v_mov_b32_e32 v108, v16
	v_mov_b32_e32 v109, v17
	ds_write2_b64 v100, v[106:107], v[108:109] offset0:38 offset1:39
	v_mov_b32_e32 v106, v12
	v_mov_b32_e32 v107, v13
	v_mov_b32_e32 v108, v10
	v_mov_b32_e32 v109, v11
	ds_write2_b64 v100, v[106:107], v[108:109] offset0:40 offset1:41
	;; [unrolled: 5-line block ×3, first 2 shown]
	v_mov_b32_e32 v106, v0
	v_mov_b32_e32 v107, v1
	;; [unrolled: 1-line block ×3, first 2 shown]
	ds_write2_b64 v100, v[106:107], v[94:95] offset0:44 offset1:45
.LBB90_639:
	s_or_b64 exec, exec, s[0:1]
	v_cmp_lt_i32_e32 vcc, 37, v101
	s_waitcnt lgkmcnt(0)
	s_barrier
	s_and_saveexec_b64 s[0:1], vcc
	s_cbranch_execz .LBB90_641
; %bb.640:
	ds_read2_b64 v[106:109], v100 offset0:38 offset1:39
	ds_read2_b64 v[110:113], v100 offset0:40 offset1:41
	v_mul_f64 v[18:19], v[96:97], v[18:19]
	ds_read2_b64 v[114:117], v100 offset0:42 offset1:43
	s_waitcnt lgkmcnt(0)
	v_fma_f64 v[14:15], -v[18:19], v[106:107], v[14:15]
	v_fma_f64 v[16:17], -v[18:19], v[108:109], v[16:17]
	ds_read2_b64 v[106:109], v100 offset0:44 offset1:45
	v_fma_f64 v[12:13], -v[18:19], v[110:111], v[12:13]
	v_fma_f64 v[10:11], -v[18:19], v[112:113], v[10:11]
	;; [unrolled: 1-line block ×4, first 2 shown]
	s_waitcnt lgkmcnt(0)
	v_fma_f64 v[0:1], -v[18:19], v[106:107], v[0:1]
	v_fma_f64 v[94:95], -v[18:19], v[108:109], v[94:95]
.LBB90_641:
	s_or_b64 exec, exec, s[0:1]
	v_lshl_add_u32 v96, v101, 3, v100
	s_barrier
	ds_write_b64 v96, v[14:15]
	s_waitcnt lgkmcnt(0)
	s_barrier
	ds_read_b64 v[96:97], v100 offset:304
	s_cmp_lt_i32 s18, 40
	v_mov_b32_e32 v98, 38
	s_cbranch_scc1 .LBB90_644
; %bb.642:
	v_add_u32_e32 v105, 0x138, v100
	s_mov_b32 s0, 39
	v_mov_b32_e32 v98, 38
.LBB90_643:                             ; =>This Inner Loop Header: Depth=1
	ds_read_b64 v[106:107], v105
	v_mov_b32_e32 v108, s0
	s_add_i32 s0, s0, 1
	v_add_u32_e32 v105, 8, v105
	s_cmp_lg_u32 s18, s0
	s_waitcnt lgkmcnt(0)
	v_cmp_lt_f64_e64 vcc, |v[96:97]|, |v[106:107]|
	v_cndmask_b32_e32 v97, v97, v107, vcc
	v_cndmask_b32_e32 v96, v96, v106, vcc
	;; [unrolled: 1-line block ×3, first 2 shown]
	s_cbranch_scc1 .LBB90_643
.LBB90_644:
	s_waitcnt lgkmcnt(0)
	v_cmp_eq_f64_e32 vcc, 0, v[96:97]
	s_and_saveexec_b64 s[0:1], vcc
	s_xor_b64 s[0:1], exec, s[0:1]
; %bb.645:
	v_cmp_ne_u32_e32 vcc, 0, v104
	v_cndmask_b32_e32 v104, 39, v104, vcc
; %bb.646:
	s_andn2_saveexec_b64 s[0:1], s[0:1]
; %bb.647:
	v_div_scale_f64 v[106:107], s[2:3], v[96:97], v[96:97], 1.0
	v_rcp_f64_e32 v[108:109], v[106:107]
	v_div_scale_f64 v[110:111], vcc, 1.0, v[96:97], 1.0
	v_fma_f64 v[112:113], -v[106:107], v[108:109], 1.0
	v_fmac_f64_e32 v[108:109], v[108:109], v[112:113]
	v_fma_f64 v[112:113], -v[106:107], v[108:109], 1.0
	v_fmac_f64_e32 v[108:109], v[108:109], v[112:113]
	v_mul_f64 v[112:113], v[110:111], v[108:109]
	v_fma_f64 v[106:107], -v[106:107], v[112:113], v[110:111]
	v_div_fmas_f64 v[106:107], v[106:107], v[108:109], v[112:113]
	v_div_fixup_f64 v[96:97], v[106:107], v[96:97], 1.0
; %bb.648:
	s_or_b64 exec, exec, s[0:1]
	v_cmp_ne_u32_e32 vcc, v101, v98
	s_and_saveexec_b64 s[0:1], vcc
	s_xor_b64 s[0:1], exec, s[0:1]
	s_cbranch_execz .LBB90_654
; %bb.649:
	v_cmp_eq_u32_e32 vcc, 38, v101
	s_and_saveexec_b64 s[2:3], vcc
	s_cbranch_execz .LBB90_653
; %bb.650:
	v_cmp_ne_u32_e32 vcc, 38, v98
	s_xor_b64 s[14:15], s[6:7], -1
	s_and_b64 s[16:17], s[14:15], vcc
	s_and_saveexec_b64 s[14:15], s[16:17]
	s_cbranch_execz .LBB90_652
; %bb.651:
	v_ashrrev_i32_e32 v99, 31, v98
	v_lshlrev_b64 v[106:107], 2, v[98:99]
	v_add_co_u32_e32 v106, vcc, v4, v106
	v_addc_co_u32_e32 v107, vcc, v5, v107, vcc
	flat_load_dword v99, v[106:107]
	flat_load_dword v101, v[4:5] offset:152
	s_waitcnt vmcnt(0) lgkmcnt(0)
	flat_store_dword v[4:5], v99 offset:152
	flat_store_dword v[106:107], v101
.LBB90_652:
	s_or_b64 exec, exec, s[14:15]
	v_mov_b32_e32 v99, v98
	v_mov_b32_e32 v101, v98
.LBB90_653:
	s_or_b64 exec, exec, s[2:3]
.LBB90_654:
	s_andn2_saveexec_b64 s[0:1], s[0:1]
	s_cbranch_execz .LBB90_656
; %bb.655:
	v_mov_b32_e32 v101, 38
	ds_write2_b64 v100, v[16:17], v[12:13] offset0:39 offset1:40
	ds_write2_b64 v100, v[10:11], v[8:9] offset0:41 offset1:42
	;; [unrolled: 1-line block ×3, first 2 shown]
	ds_write_b64 v100, v[94:95] offset:360
.LBB90_656:
	s_or_b64 exec, exec, s[0:1]
	v_cmp_lt_i32_e32 vcc, 38, v101
	s_waitcnt lgkmcnt(0)
	s_barrier
	s_and_saveexec_b64 s[0:1], vcc
	s_cbranch_execz .LBB90_658
; %bb.657:
	ds_read2_b64 v[106:109], v100 offset0:39 offset1:40
	ds_read2_b64 v[110:113], v100 offset0:41 offset1:42
	v_mul_f64 v[14:15], v[96:97], v[14:15]
	ds_read2_b64 v[114:117], v100 offset0:43 offset1:44
	ds_read_b64 v[96:97], v100 offset:360
	s_waitcnt lgkmcnt(0)
	v_fma_f64 v[16:17], -v[14:15], v[106:107], v[16:17]
	v_fma_f64 v[12:13], -v[14:15], v[108:109], v[12:13]
	;; [unrolled: 1-line block ×7, first 2 shown]
.LBB90_658:
	s_or_b64 exec, exec, s[0:1]
	v_lshl_add_u32 v96, v101, 3, v100
	s_barrier
	ds_write_b64 v96, v[16:17]
	s_waitcnt lgkmcnt(0)
	s_barrier
	ds_read_b64 v[96:97], v100 offset:312
	s_cmp_lt_i32 s18, 41
	v_mov_b32_e32 v98, 39
	s_cbranch_scc1 .LBB90_661
; %bb.659:
	v_add_u32_e32 v105, 0x140, v100
	s_mov_b32 s0, 40
	v_mov_b32_e32 v98, 39
.LBB90_660:                             ; =>This Inner Loop Header: Depth=1
	ds_read_b64 v[106:107], v105
	v_mov_b32_e32 v108, s0
	s_add_i32 s0, s0, 1
	v_add_u32_e32 v105, 8, v105
	s_cmp_lg_u32 s18, s0
	s_waitcnt lgkmcnt(0)
	v_cmp_lt_f64_e64 vcc, |v[96:97]|, |v[106:107]|
	v_cndmask_b32_e32 v97, v97, v107, vcc
	v_cndmask_b32_e32 v96, v96, v106, vcc
	;; [unrolled: 1-line block ×3, first 2 shown]
	s_cbranch_scc1 .LBB90_660
.LBB90_661:
	s_waitcnt lgkmcnt(0)
	v_cmp_eq_f64_e32 vcc, 0, v[96:97]
	s_and_saveexec_b64 s[0:1], vcc
	s_xor_b64 s[0:1], exec, s[0:1]
; %bb.662:
	v_cmp_ne_u32_e32 vcc, 0, v104
	v_cndmask_b32_e32 v104, 40, v104, vcc
; %bb.663:
	s_andn2_saveexec_b64 s[0:1], s[0:1]
; %bb.664:
	v_div_scale_f64 v[106:107], s[2:3], v[96:97], v[96:97], 1.0
	v_rcp_f64_e32 v[108:109], v[106:107]
	v_div_scale_f64 v[110:111], vcc, 1.0, v[96:97], 1.0
	v_fma_f64 v[112:113], -v[106:107], v[108:109], 1.0
	v_fmac_f64_e32 v[108:109], v[108:109], v[112:113]
	v_fma_f64 v[112:113], -v[106:107], v[108:109], 1.0
	v_fmac_f64_e32 v[108:109], v[108:109], v[112:113]
	v_mul_f64 v[112:113], v[110:111], v[108:109]
	v_fma_f64 v[106:107], -v[106:107], v[112:113], v[110:111]
	v_div_fmas_f64 v[106:107], v[106:107], v[108:109], v[112:113]
	v_div_fixup_f64 v[96:97], v[106:107], v[96:97], 1.0
; %bb.665:
	s_or_b64 exec, exec, s[0:1]
	v_cmp_ne_u32_e32 vcc, v101, v98
	s_and_saveexec_b64 s[0:1], vcc
	s_xor_b64 s[0:1], exec, s[0:1]
	s_cbranch_execz .LBB90_671
; %bb.666:
	v_cmp_eq_u32_e32 vcc, 39, v101
	s_and_saveexec_b64 s[2:3], vcc
	s_cbranch_execz .LBB90_670
; %bb.667:
	v_cmp_ne_u32_e32 vcc, 39, v98
	s_xor_b64 s[14:15], s[6:7], -1
	s_and_b64 s[16:17], s[14:15], vcc
	s_and_saveexec_b64 s[14:15], s[16:17]
	s_cbranch_execz .LBB90_669
; %bb.668:
	v_ashrrev_i32_e32 v99, 31, v98
	v_lshlrev_b64 v[106:107], 2, v[98:99]
	v_add_co_u32_e32 v106, vcc, v4, v106
	v_addc_co_u32_e32 v107, vcc, v5, v107, vcc
	flat_load_dword v99, v[106:107]
	flat_load_dword v101, v[4:5] offset:156
	s_waitcnt vmcnt(0) lgkmcnt(0)
	flat_store_dword v[4:5], v99 offset:156
	flat_store_dword v[106:107], v101
.LBB90_669:
	s_or_b64 exec, exec, s[14:15]
	v_mov_b32_e32 v99, v98
	v_mov_b32_e32 v101, v98
.LBB90_670:
	s_or_b64 exec, exec, s[2:3]
.LBB90_671:
	s_andn2_saveexec_b64 s[0:1], s[0:1]
	s_cbranch_execz .LBB90_673
; %bb.672:
	v_mov_b32_e32 v106, v12
	v_mov_b32_e32 v107, v13
	;; [unrolled: 1-line block ×4, first 2 shown]
	ds_write2_b64 v100, v[106:107], v[108:109] offset0:40 offset1:41
	v_mov_b32_e32 v106, v8
	v_mov_b32_e32 v107, v9
	;; [unrolled: 1-line block ×4, first 2 shown]
	ds_write2_b64 v100, v[106:107], v[108:109] offset0:42 offset1:43
	v_mov_b32_e32 v106, v0
	v_mov_b32_e32 v107, v1
	;; [unrolled: 1-line block ×3, first 2 shown]
	ds_write2_b64 v100, v[106:107], v[94:95] offset0:44 offset1:45
.LBB90_673:
	s_or_b64 exec, exec, s[0:1]
	v_cmp_lt_i32_e32 vcc, 39, v101
	s_waitcnt lgkmcnt(0)
	s_barrier
	s_and_saveexec_b64 s[0:1], vcc
	s_cbranch_execz .LBB90_675
; %bb.674:
	ds_read2_b64 v[106:109], v100 offset0:40 offset1:41
	ds_read2_b64 v[110:113], v100 offset0:42 offset1:43
	;; [unrolled: 1-line block ×3, first 2 shown]
	v_mul_f64 v[16:17], v[96:97], v[16:17]
	s_waitcnt lgkmcnt(0)
	v_fma_f64 v[12:13], -v[16:17], v[106:107], v[12:13]
	v_fma_f64 v[10:11], -v[16:17], v[108:109], v[10:11]
	;; [unrolled: 1-line block ×6, first 2 shown]
.LBB90_675:
	s_or_b64 exec, exec, s[0:1]
	v_lshl_add_u32 v96, v101, 3, v100
	s_barrier
	ds_write_b64 v96, v[12:13]
	s_waitcnt lgkmcnt(0)
	s_barrier
	ds_read_b64 v[96:97], v100 offset:320
	s_cmp_lt_i32 s18, 42
	v_mov_b32_e32 v98, 40
	s_cbranch_scc1 .LBB90_678
; %bb.676:
	v_add_u32_e32 v105, 0x148, v100
	s_mov_b32 s0, 41
	v_mov_b32_e32 v98, 40
.LBB90_677:                             ; =>This Inner Loop Header: Depth=1
	ds_read_b64 v[106:107], v105
	v_mov_b32_e32 v108, s0
	s_add_i32 s0, s0, 1
	v_add_u32_e32 v105, 8, v105
	s_cmp_lg_u32 s18, s0
	s_waitcnt lgkmcnt(0)
	v_cmp_lt_f64_e64 vcc, |v[96:97]|, |v[106:107]|
	v_cndmask_b32_e32 v97, v97, v107, vcc
	v_cndmask_b32_e32 v96, v96, v106, vcc
	;; [unrolled: 1-line block ×3, first 2 shown]
	s_cbranch_scc1 .LBB90_677
.LBB90_678:
	s_waitcnt lgkmcnt(0)
	v_cmp_eq_f64_e32 vcc, 0, v[96:97]
	s_and_saveexec_b64 s[0:1], vcc
	s_xor_b64 s[0:1], exec, s[0:1]
; %bb.679:
	v_cmp_ne_u32_e32 vcc, 0, v104
	v_cndmask_b32_e32 v104, 41, v104, vcc
; %bb.680:
	s_andn2_saveexec_b64 s[0:1], s[0:1]
; %bb.681:
	v_div_scale_f64 v[106:107], s[2:3], v[96:97], v[96:97], 1.0
	v_rcp_f64_e32 v[108:109], v[106:107]
	v_div_scale_f64 v[110:111], vcc, 1.0, v[96:97], 1.0
	v_fma_f64 v[112:113], -v[106:107], v[108:109], 1.0
	v_fmac_f64_e32 v[108:109], v[108:109], v[112:113]
	v_fma_f64 v[112:113], -v[106:107], v[108:109], 1.0
	v_fmac_f64_e32 v[108:109], v[108:109], v[112:113]
	v_mul_f64 v[112:113], v[110:111], v[108:109]
	v_fma_f64 v[106:107], -v[106:107], v[112:113], v[110:111]
	v_div_fmas_f64 v[106:107], v[106:107], v[108:109], v[112:113]
	v_div_fixup_f64 v[96:97], v[106:107], v[96:97], 1.0
; %bb.682:
	s_or_b64 exec, exec, s[0:1]
	v_cmp_ne_u32_e32 vcc, v101, v98
	s_and_saveexec_b64 s[0:1], vcc
	s_xor_b64 s[0:1], exec, s[0:1]
	s_cbranch_execz .LBB90_688
; %bb.683:
	v_cmp_eq_u32_e32 vcc, 40, v101
	s_and_saveexec_b64 s[2:3], vcc
	s_cbranch_execz .LBB90_687
; %bb.684:
	v_cmp_ne_u32_e32 vcc, 40, v98
	s_xor_b64 s[14:15], s[6:7], -1
	s_and_b64 s[16:17], s[14:15], vcc
	s_and_saveexec_b64 s[14:15], s[16:17]
	s_cbranch_execz .LBB90_686
; %bb.685:
	v_ashrrev_i32_e32 v99, 31, v98
	v_lshlrev_b64 v[106:107], 2, v[98:99]
	v_add_co_u32_e32 v106, vcc, v4, v106
	v_addc_co_u32_e32 v107, vcc, v5, v107, vcc
	flat_load_dword v99, v[106:107]
	flat_load_dword v101, v[4:5] offset:160
	s_waitcnt vmcnt(0) lgkmcnt(0)
	flat_store_dword v[4:5], v99 offset:160
	flat_store_dword v[106:107], v101
.LBB90_686:
	s_or_b64 exec, exec, s[14:15]
	v_mov_b32_e32 v99, v98
	v_mov_b32_e32 v101, v98
.LBB90_687:
	s_or_b64 exec, exec, s[2:3]
.LBB90_688:
	s_andn2_saveexec_b64 s[0:1], s[0:1]
	s_cbranch_execz .LBB90_690
; %bb.689:
	v_mov_b32_e32 v101, 40
	ds_write2_b64 v100, v[10:11], v[8:9] offset0:41 offset1:42
	ds_write2_b64 v100, v[6:7], v[0:1] offset0:43 offset1:44
	ds_write_b64 v100, v[94:95] offset:360
.LBB90_690:
	s_or_b64 exec, exec, s[0:1]
	v_cmp_lt_i32_e32 vcc, 40, v101
	s_waitcnt lgkmcnt(0)
	s_barrier
	s_and_saveexec_b64 s[0:1], vcc
	s_cbranch_execz .LBB90_692
; %bb.691:
	ds_read2_b64 v[106:109], v100 offset0:41 offset1:42
	ds_read2_b64 v[110:113], v100 offset0:43 offset1:44
	v_mul_f64 v[12:13], v[96:97], v[12:13]
	ds_read_b64 v[96:97], v100 offset:360
	s_waitcnt lgkmcnt(0)
	v_fma_f64 v[10:11], -v[12:13], v[106:107], v[10:11]
	v_fma_f64 v[8:9], -v[12:13], v[108:109], v[8:9]
	;; [unrolled: 1-line block ×5, first 2 shown]
.LBB90_692:
	s_or_b64 exec, exec, s[0:1]
	v_lshl_add_u32 v96, v101, 3, v100
	s_barrier
	ds_write_b64 v96, v[10:11]
	s_waitcnt lgkmcnt(0)
	s_barrier
	ds_read_b64 v[96:97], v100 offset:328
	s_cmp_lt_i32 s18, 43
	v_mov_b32_e32 v98, 41
	s_cbranch_scc1 .LBB90_695
; %bb.693:
	v_add_u32_e32 v105, 0x150, v100
	s_mov_b32 s0, 42
	v_mov_b32_e32 v98, 41
.LBB90_694:                             ; =>This Inner Loop Header: Depth=1
	ds_read_b64 v[106:107], v105
	v_mov_b32_e32 v108, s0
	s_add_i32 s0, s0, 1
	v_add_u32_e32 v105, 8, v105
	s_cmp_lg_u32 s18, s0
	s_waitcnt lgkmcnt(0)
	v_cmp_lt_f64_e64 vcc, |v[96:97]|, |v[106:107]|
	v_cndmask_b32_e32 v97, v97, v107, vcc
	v_cndmask_b32_e32 v96, v96, v106, vcc
	v_cndmask_b32_e32 v98, v98, v108, vcc
	s_cbranch_scc1 .LBB90_694
.LBB90_695:
	s_waitcnt lgkmcnt(0)
	v_cmp_eq_f64_e32 vcc, 0, v[96:97]
	s_and_saveexec_b64 s[0:1], vcc
	s_xor_b64 s[0:1], exec, s[0:1]
; %bb.696:
	v_cmp_ne_u32_e32 vcc, 0, v104
	v_cndmask_b32_e32 v104, 42, v104, vcc
; %bb.697:
	s_andn2_saveexec_b64 s[0:1], s[0:1]
; %bb.698:
	v_div_scale_f64 v[106:107], s[2:3], v[96:97], v[96:97], 1.0
	v_rcp_f64_e32 v[108:109], v[106:107]
	v_div_scale_f64 v[110:111], vcc, 1.0, v[96:97], 1.0
	v_fma_f64 v[112:113], -v[106:107], v[108:109], 1.0
	v_fmac_f64_e32 v[108:109], v[108:109], v[112:113]
	v_fma_f64 v[112:113], -v[106:107], v[108:109], 1.0
	v_fmac_f64_e32 v[108:109], v[108:109], v[112:113]
	v_mul_f64 v[112:113], v[110:111], v[108:109]
	v_fma_f64 v[106:107], -v[106:107], v[112:113], v[110:111]
	v_div_fmas_f64 v[106:107], v[106:107], v[108:109], v[112:113]
	v_div_fixup_f64 v[96:97], v[106:107], v[96:97], 1.0
; %bb.699:
	s_or_b64 exec, exec, s[0:1]
	v_cmp_ne_u32_e32 vcc, v101, v98
	s_and_saveexec_b64 s[0:1], vcc
	s_xor_b64 s[0:1], exec, s[0:1]
	s_cbranch_execz .LBB90_705
; %bb.700:
	v_cmp_eq_u32_e32 vcc, 41, v101
	s_and_saveexec_b64 s[2:3], vcc
	s_cbranch_execz .LBB90_704
; %bb.701:
	v_cmp_ne_u32_e32 vcc, 41, v98
	s_xor_b64 s[14:15], s[6:7], -1
	s_and_b64 s[16:17], s[14:15], vcc
	s_and_saveexec_b64 s[14:15], s[16:17]
	s_cbranch_execz .LBB90_703
; %bb.702:
	v_ashrrev_i32_e32 v99, 31, v98
	v_lshlrev_b64 v[106:107], 2, v[98:99]
	v_add_co_u32_e32 v106, vcc, v4, v106
	v_addc_co_u32_e32 v107, vcc, v5, v107, vcc
	flat_load_dword v99, v[106:107]
	flat_load_dword v101, v[4:5] offset:164
	s_waitcnt vmcnt(0) lgkmcnt(0)
	flat_store_dword v[4:5], v99 offset:164
	flat_store_dword v[106:107], v101
.LBB90_703:
	s_or_b64 exec, exec, s[14:15]
	v_mov_b32_e32 v99, v98
	v_mov_b32_e32 v101, v98
.LBB90_704:
	s_or_b64 exec, exec, s[2:3]
.LBB90_705:
	s_andn2_saveexec_b64 s[0:1], s[0:1]
	s_cbranch_execz .LBB90_707
; %bb.706:
	v_mov_b32_e32 v106, v8
	v_mov_b32_e32 v107, v9
	;; [unrolled: 1-line block ×4, first 2 shown]
	ds_write2_b64 v100, v[106:107], v[108:109] offset0:42 offset1:43
	v_mov_b32_e32 v106, v0
	v_mov_b32_e32 v107, v1
	;; [unrolled: 1-line block ×3, first 2 shown]
	ds_write2_b64 v100, v[106:107], v[94:95] offset0:44 offset1:45
.LBB90_707:
	s_or_b64 exec, exec, s[0:1]
	v_cmp_lt_i32_e32 vcc, 41, v101
	s_waitcnt lgkmcnt(0)
	s_barrier
	s_and_saveexec_b64 s[0:1], vcc
	s_cbranch_execz .LBB90_709
; %bb.708:
	ds_read2_b64 v[106:109], v100 offset0:42 offset1:43
	ds_read2_b64 v[110:113], v100 offset0:44 offset1:45
	v_mul_f64 v[10:11], v[96:97], v[10:11]
	s_waitcnt lgkmcnt(0)
	v_fma_f64 v[8:9], -v[10:11], v[106:107], v[8:9]
	v_fma_f64 v[6:7], -v[10:11], v[108:109], v[6:7]
	;; [unrolled: 1-line block ×4, first 2 shown]
.LBB90_709:
	s_or_b64 exec, exec, s[0:1]
	v_lshl_add_u32 v96, v101, 3, v100
	s_barrier
	ds_write_b64 v96, v[8:9]
	s_waitcnt lgkmcnt(0)
	s_barrier
	ds_read_b64 v[96:97], v100 offset:336
	s_cmp_lt_i32 s18, 44
	v_mov_b32_e32 v98, 42
	s_cbranch_scc1 .LBB90_712
; %bb.710:
	v_add_u32_e32 v105, 0x158, v100
	s_mov_b32 s0, 43
	v_mov_b32_e32 v98, 42
.LBB90_711:                             ; =>This Inner Loop Header: Depth=1
	ds_read_b64 v[106:107], v105
	v_mov_b32_e32 v108, s0
	s_add_i32 s0, s0, 1
	v_add_u32_e32 v105, 8, v105
	s_cmp_lg_u32 s18, s0
	s_waitcnt lgkmcnt(0)
	v_cmp_lt_f64_e64 vcc, |v[96:97]|, |v[106:107]|
	v_cndmask_b32_e32 v97, v97, v107, vcc
	v_cndmask_b32_e32 v96, v96, v106, vcc
	v_cndmask_b32_e32 v98, v98, v108, vcc
	s_cbranch_scc1 .LBB90_711
.LBB90_712:
	s_waitcnt lgkmcnt(0)
	v_cmp_eq_f64_e32 vcc, 0, v[96:97]
	s_and_saveexec_b64 s[0:1], vcc
	s_xor_b64 s[0:1], exec, s[0:1]
; %bb.713:
	v_cmp_ne_u32_e32 vcc, 0, v104
	v_cndmask_b32_e32 v104, 43, v104, vcc
; %bb.714:
	s_andn2_saveexec_b64 s[0:1], s[0:1]
; %bb.715:
	v_div_scale_f64 v[106:107], s[2:3], v[96:97], v[96:97], 1.0
	v_rcp_f64_e32 v[108:109], v[106:107]
	v_div_scale_f64 v[110:111], vcc, 1.0, v[96:97], 1.0
	v_fma_f64 v[112:113], -v[106:107], v[108:109], 1.0
	v_fmac_f64_e32 v[108:109], v[108:109], v[112:113]
	v_fma_f64 v[112:113], -v[106:107], v[108:109], 1.0
	v_fmac_f64_e32 v[108:109], v[108:109], v[112:113]
	v_mul_f64 v[112:113], v[110:111], v[108:109]
	v_fma_f64 v[106:107], -v[106:107], v[112:113], v[110:111]
	v_div_fmas_f64 v[106:107], v[106:107], v[108:109], v[112:113]
	v_div_fixup_f64 v[96:97], v[106:107], v[96:97], 1.0
; %bb.716:
	s_or_b64 exec, exec, s[0:1]
	v_cmp_ne_u32_e32 vcc, v101, v98
	s_and_saveexec_b64 s[0:1], vcc
	s_xor_b64 s[0:1], exec, s[0:1]
	s_cbranch_execz .LBB90_722
; %bb.717:
	v_cmp_eq_u32_e32 vcc, 42, v101
	s_and_saveexec_b64 s[2:3], vcc
	s_cbranch_execz .LBB90_721
; %bb.718:
	v_cmp_ne_u32_e32 vcc, 42, v98
	s_xor_b64 s[14:15], s[6:7], -1
	s_and_b64 s[16:17], s[14:15], vcc
	s_and_saveexec_b64 s[14:15], s[16:17]
	s_cbranch_execz .LBB90_720
; %bb.719:
	v_ashrrev_i32_e32 v99, 31, v98
	v_lshlrev_b64 v[106:107], 2, v[98:99]
	v_add_co_u32_e32 v106, vcc, v4, v106
	v_addc_co_u32_e32 v107, vcc, v5, v107, vcc
	flat_load_dword v99, v[106:107]
	flat_load_dword v101, v[4:5] offset:168
	s_waitcnt vmcnt(0) lgkmcnt(0)
	flat_store_dword v[4:5], v99 offset:168
	flat_store_dword v[106:107], v101
.LBB90_720:
	s_or_b64 exec, exec, s[14:15]
	v_mov_b32_e32 v99, v98
	v_mov_b32_e32 v101, v98
.LBB90_721:
	s_or_b64 exec, exec, s[2:3]
.LBB90_722:
	s_andn2_saveexec_b64 s[0:1], s[0:1]
	s_cbranch_execz .LBB90_724
; %bb.723:
	v_mov_b32_e32 v101, 42
	ds_write2_b64 v100, v[6:7], v[0:1] offset0:43 offset1:44
	ds_write_b64 v100, v[94:95] offset:360
.LBB90_724:
	s_or_b64 exec, exec, s[0:1]
	v_cmp_lt_i32_e32 vcc, 42, v101
	s_waitcnt lgkmcnt(0)
	s_barrier
	s_and_saveexec_b64 s[0:1], vcc
	s_cbranch_execz .LBB90_726
; %bb.725:
	ds_read2_b64 v[106:109], v100 offset0:43 offset1:44
	ds_read_b64 v[110:111], v100 offset:360
	v_mul_f64 v[8:9], v[96:97], v[8:9]
	s_waitcnt lgkmcnt(0)
	v_fma_f64 v[6:7], -v[8:9], v[106:107], v[6:7]
	v_fma_f64 v[0:1], -v[8:9], v[108:109], v[0:1]
	;; [unrolled: 1-line block ×3, first 2 shown]
.LBB90_726:
	s_or_b64 exec, exec, s[0:1]
	v_lshl_add_u32 v96, v101, 3, v100
	s_barrier
	ds_write_b64 v96, v[6:7]
	s_waitcnt lgkmcnt(0)
	s_barrier
	ds_read_b64 v[96:97], v100 offset:344
	s_cmp_lt_i32 s18, 45
	v_mov_b32_e32 v98, 43
	s_cbranch_scc1 .LBB90_729
; %bb.727:
	v_add_u32_e32 v105, 0x160, v100
	s_mov_b32 s0, 44
	v_mov_b32_e32 v98, 43
.LBB90_728:                             ; =>This Inner Loop Header: Depth=1
	ds_read_b64 v[106:107], v105
	v_mov_b32_e32 v108, s0
	s_add_i32 s0, s0, 1
	v_add_u32_e32 v105, 8, v105
	s_cmp_lg_u32 s18, s0
	s_waitcnt lgkmcnt(0)
	v_cmp_lt_f64_e64 vcc, |v[96:97]|, |v[106:107]|
	v_cndmask_b32_e32 v97, v97, v107, vcc
	v_cndmask_b32_e32 v96, v96, v106, vcc
	v_cndmask_b32_e32 v98, v98, v108, vcc
	s_cbranch_scc1 .LBB90_728
.LBB90_729:
	s_waitcnt lgkmcnt(0)
	v_cmp_eq_f64_e32 vcc, 0, v[96:97]
	s_and_saveexec_b64 s[0:1], vcc
	s_xor_b64 s[0:1], exec, s[0:1]
; %bb.730:
	v_cmp_ne_u32_e32 vcc, 0, v104
	v_cndmask_b32_e32 v104, 44, v104, vcc
; %bb.731:
	s_andn2_saveexec_b64 s[0:1], s[0:1]
; %bb.732:
	v_div_scale_f64 v[106:107], s[2:3], v[96:97], v[96:97], 1.0
	v_rcp_f64_e32 v[108:109], v[106:107]
	v_div_scale_f64 v[110:111], vcc, 1.0, v[96:97], 1.0
	v_fma_f64 v[112:113], -v[106:107], v[108:109], 1.0
	v_fmac_f64_e32 v[108:109], v[108:109], v[112:113]
	v_fma_f64 v[112:113], -v[106:107], v[108:109], 1.0
	v_fmac_f64_e32 v[108:109], v[108:109], v[112:113]
	v_mul_f64 v[112:113], v[110:111], v[108:109]
	v_fma_f64 v[106:107], -v[106:107], v[112:113], v[110:111]
	v_div_fmas_f64 v[106:107], v[106:107], v[108:109], v[112:113]
	v_div_fixup_f64 v[96:97], v[106:107], v[96:97], 1.0
; %bb.733:
	s_or_b64 exec, exec, s[0:1]
	v_cmp_ne_u32_e32 vcc, v101, v98
	s_and_saveexec_b64 s[0:1], vcc
	s_xor_b64 s[0:1], exec, s[0:1]
	s_cbranch_execz .LBB90_739
; %bb.734:
	v_cmp_eq_u32_e32 vcc, 43, v101
	s_and_saveexec_b64 s[2:3], vcc
	s_cbranch_execz .LBB90_738
; %bb.735:
	v_cmp_ne_u32_e32 vcc, 43, v98
	s_xor_b64 s[14:15], s[6:7], -1
	s_and_b64 s[16:17], s[14:15], vcc
	s_and_saveexec_b64 s[14:15], s[16:17]
	s_cbranch_execz .LBB90_737
; %bb.736:
	v_ashrrev_i32_e32 v99, 31, v98
	v_lshlrev_b64 v[106:107], 2, v[98:99]
	v_add_co_u32_e32 v106, vcc, v4, v106
	v_addc_co_u32_e32 v107, vcc, v5, v107, vcc
	flat_load_dword v99, v[106:107]
	flat_load_dword v101, v[4:5] offset:172
	s_waitcnt vmcnt(0) lgkmcnt(0)
	flat_store_dword v[4:5], v99 offset:172
	flat_store_dword v[106:107], v101
.LBB90_737:
	s_or_b64 exec, exec, s[14:15]
	v_mov_b32_e32 v99, v98
	v_mov_b32_e32 v101, v98
.LBB90_738:
	s_or_b64 exec, exec, s[2:3]
.LBB90_739:
	s_andn2_saveexec_b64 s[0:1], s[0:1]
	s_cbranch_execz .LBB90_741
; %bb.740:
	v_mov_b32_e32 v106, v0
	v_mov_b32_e32 v107, v1
	;; [unrolled: 1-line block ×3, first 2 shown]
	ds_write2_b64 v100, v[106:107], v[94:95] offset0:44 offset1:45
.LBB90_741:
	s_or_b64 exec, exec, s[0:1]
	v_cmp_lt_i32_e32 vcc, 43, v101
	s_waitcnt lgkmcnt(0)
	s_barrier
	s_and_saveexec_b64 s[0:1], vcc
	s_cbranch_execz .LBB90_743
; %bb.742:
	ds_read2_b64 v[106:109], v100 offset0:44 offset1:45
	v_mul_f64 v[6:7], v[96:97], v[6:7]
	s_waitcnt lgkmcnt(0)
	v_fma_f64 v[0:1], -v[6:7], v[106:107], v[0:1]
	v_fma_f64 v[94:95], -v[6:7], v[108:109], v[94:95]
.LBB90_743:
	s_or_b64 exec, exec, s[0:1]
	v_lshl_add_u32 v96, v101, 3, v100
	s_barrier
	ds_write_b64 v96, v[0:1]
	s_waitcnt lgkmcnt(0)
	s_barrier
	ds_read_b64 v[96:97], v100 offset:352
	s_cmp_lt_i32 s18, 46
	v_mov_b32_e32 v98, 44
	s_cbranch_scc1 .LBB90_746
; %bb.744:
	v_add_u32_e32 v105, 0x168, v100
	s_mov_b32 s0, 45
	v_mov_b32_e32 v98, 44
.LBB90_745:                             ; =>This Inner Loop Header: Depth=1
	ds_read_b64 v[106:107], v105
	v_mov_b32_e32 v108, s0
	s_add_i32 s0, s0, 1
	v_add_u32_e32 v105, 8, v105
	s_cmp_lg_u32 s18, s0
	s_waitcnt lgkmcnt(0)
	v_cmp_lt_f64_e64 vcc, |v[96:97]|, |v[106:107]|
	v_cndmask_b32_e32 v97, v97, v107, vcc
	v_cndmask_b32_e32 v96, v96, v106, vcc
	;; [unrolled: 1-line block ×3, first 2 shown]
	s_cbranch_scc1 .LBB90_745
.LBB90_746:
	s_waitcnt lgkmcnt(0)
	v_cmp_eq_f64_e32 vcc, 0, v[96:97]
	s_and_saveexec_b64 s[0:1], vcc
	s_xor_b64 s[0:1], exec, s[0:1]
; %bb.747:
	v_cmp_ne_u32_e32 vcc, 0, v104
	v_cndmask_b32_e32 v104, 45, v104, vcc
; %bb.748:
	s_andn2_saveexec_b64 s[0:1], s[0:1]
; %bb.749:
	v_div_scale_f64 v[106:107], s[2:3], v[96:97], v[96:97], 1.0
	v_rcp_f64_e32 v[108:109], v[106:107]
	v_div_scale_f64 v[110:111], vcc, 1.0, v[96:97], 1.0
	v_fma_f64 v[112:113], -v[106:107], v[108:109], 1.0
	v_fmac_f64_e32 v[108:109], v[108:109], v[112:113]
	v_fma_f64 v[112:113], -v[106:107], v[108:109], 1.0
	v_fmac_f64_e32 v[108:109], v[108:109], v[112:113]
	v_mul_f64 v[112:113], v[110:111], v[108:109]
	v_fma_f64 v[106:107], -v[106:107], v[112:113], v[110:111]
	v_div_fmas_f64 v[106:107], v[106:107], v[108:109], v[112:113]
	v_div_fixup_f64 v[96:97], v[106:107], v[96:97], 1.0
; %bb.750:
	s_or_b64 exec, exec, s[0:1]
	v_cmp_ne_u32_e32 vcc, v101, v98
	s_and_saveexec_b64 s[0:1], vcc
	s_xor_b64 s[0:1], exec, s[0:1]
	s_cbranch_execz .LBB90_756
; %bb.751:
	v_cmp_eq_u32_e32 vcc, 44, v101
	s_and_saveexec_b64 s[2:3], vcc
	s_cbranch_execz .LBB90_755
; %bb.752:
	v_cmp_ne_u32_e32 vcc, 44, v98
	s_xor_b64 s[14:15], s[6:7], -1
	s_and_b64 s[16:17], s[14:15], vcc
	s_and_saveexec_b64 s[14:15], s[16:17]
	s_cbranch_execz .LBB90_754
; %bb.753:
	v_ashrrev_i32_e32 v99, 31, v98
	v_lshlrev_b64 v[106:107], 2, v[98:99]
	v_add_co_u32_e32 v106, vcc, v4, v106
	v_addc_co_u32_e32 v107, vcc, v5, v107, vcc
	flat_load_dword v99, v[106:107]
	flat_load_dword v101, v[4:5] offset:176
	s_waitcnt vmcnt(0) lgkmcnt(0)
	flat_store_dword v[4:5], v99 offset:176
	flat_store_dword v[106:107], v101
.LBB90_754:
	s_or_b64 exec, exec, s[14:15]
	v_mov_b32_e32 v99, v98
	v_mov_b32_e32 v101, v98
.LBB90_755:
	s_or_b64 exec, exec, s[2:3]
.LBB90_756:
	s_andn2_saveexec_b64 s[0:1], s[0:1]
	s_cbranch_execz .LBB90_758
; %bb.757:
	v_mov_b32_e32 v101, 44
	ds_write_b64 v100, v[94:95] offset:360
.LBB90_758:
	s_or_b64 exec, exec, s[0:1]
	v_cmp_lt_i32_e32 vcc, 44, v101
	s_waitcnt lgkmcnt(0)
	s_barrier
	s_and_saveexec_b64 s[0:1], vcc
	s_cbranch_execz .LBB90_760
; %bb.759:
	ds_read_b64 v[106:107], v100 offset:360
	v_mul_f64 v[0:1], v[96:97], v[0:1]
	s_waitcnt lgkmcnt(0)
	v_fma_f64 v[94:95], -v[0:1], v[106:107], v[94:95]
.LBB90_760:
	s_or_b64 exec, exec, s[0:1]
	v_lshl_add_u32 v96, v101, 3, v100
	s_barrier
	ds_write_b64 v96, v[94:95]
	s_waitcnt lgkmcnt(0)
	s_barrier
	ds_read_b64 v[96:97], v100 offset:360
	s_cmp_lt_i32 s18, 47
	v_mov_b32_e32 v98, 45
	s_cbranch_scc1 .LBB90_763
; %bb.761:
	v_add_u32_e32 v100, 0x170, v100
	s_mov_b32 s0, 46
	v_mov_b32_e32 v98, 45
.LBB90_762:                             ; =>This Inner Loop Header: Depth=1
	ds_read_b64 v[106:107], v100
	v_mov_b32_e32 v105, s0
	s_add_i32 s0, s0, 1
	v_add_u32_e32 v100, 8, v100
	s_cmp_lg_u32 s18, s0
	s_waitcnt lgkmcnt(0)
	v_cmp_lt_f64_e64 vcc, |v[96:97]|, |v[106:107]|
	v_cndmask_b32_e32 v97, v97, v107, vcc
	v_cndmask_b32_e32 v96, v96, v106, vcc
	;; [unrolled: 1-line block ×3, first 2 shown]
	s_cbranch_scc1 .LBB90_762
.LBB90_763:
	s_waitcnt lgkmcnt(0)
	v_cmp_eq_f64_e32 vcc, 0, v[96:97]
	s_and_saveexec_b64 s[0:1], vcc
	s_xor_b64 s[0:1], exec, s[0:1]
; %bb.764:
	v_cmp_ne_u32_e32 vcc, 0, v104
	v_cndmask_b32_e32 v104, 46, v104, vcc
; %bb.765:
	s_andn2_saveexec_b64 s[0:1], s[0:1]
; %bb.766:
	v_div_scale_f64 v[106:107], s[2:3], v[96:97], v[96:97], 1.0
	v_rcp_f64_e32 v[108:109], v[106:107]
	v_div_scale_f64 v[110:111], vcc, 1.0, v[96:97], 1.0
	v_fma_f64 v[112:113], -v[106:107], v[108:109], 1.0
	v_fmac_f64_e32 v[108:109], v[108:109], v[112:113]
	v_fma_f64 v[112:113], -v[106:107], v[108:109], 1.0
	v_fmac_f64_e32 v[108:109], v[108:109], v[112:113]
	v_mul_f64 v[112:113], v[110:111], v[108:109]
	v_fma_f64 v[106:107], -v[106:107], v[112:113], v[110:111]
	v_div_fmas_f64 v[106:107], v[106:107], v[108:109], v[112:113]
	v_div_fixup_f64 v[96:97], v[106:107], v[96:97], 1.0
; %bb.767:
	s_or_b64 exec, exec, s[0:1]
	v_cmp_ne_u32_e32 vcc, v101, v98
	v_mov_b32_e32 v100, 45
	s_and_saveexec_b64 s[0:1], vcc
	s_cbranch_execz .LBB90_773
; %bb.768:
	v_cmp_eq_u32_e32 vcc, 45, v101
	s_and_saveexec_b64 s[2:3], vcc
	s_cbranch_execz .LBB90_772
; %bb.769:
	v_cmp_ne_u32_e32 vcc, 45, v98
	s_xor_b64 s[6:7], s[6:7], -1
	s_and_b64 s[14:15], s[6:7], vcc
	s_and_saveexec_b64 s[6:7], s[14:15]
	s_cbranch_execz .LBB90_771
; %bb.770:
	v_ashrrev_i32_e32 v99, 31, v98
	v_lshlrev_b64 v[100:101], 2, v[98:99]
	v_add_co_u32_e32 v100, vcc, v4, v100
	v_addc_co_u32_e32 v101, vcc, v5, v101, vcc
	flat_load_dword v99, v[100:101]
	flat_load_dword v105, v[4:5] offset:180
	s_waitcnt vmcnt(0) lgkmcnt(0)
	flat_store_dword v[4:5], v99 offset:180
	flat_store_dword v[100:101], v105
.LBB90_771:
	s_or_b64 exec, exec, s[6:7]
	v_mov_b32_e32 v99, v98
	v_mov_b32_e32 v101, v98
.LBB90_772:
	s_or_b64 exec, exec, s[2:3]
	v_mov_b32_e32 v100, v101
.LBB90_773:
	s_or_b64 exec, exec, s[0:1]
	s_load_dwordx8 s[0:7], s[4:5], 0x28
	v_cmp_gt_i32_e32 vcc, 46, v100
	v_ashrrev_i32_e32 v101, 31, v100
	s_waitcnt lgkmcnt(0)
	s_barrier
	s_barrier
	s_and_saveexec_b64 s[14:15], vcc
	s_cbranch_execz .LBB90_775
; %bb.774:
	v_mul_lo_u32 v98, v3, s4
	v_mul_lo_u32 v105, v2, s5
	v_mad_u64_u32 v[4:5], s[4:5], v2, s4, 0
	s_lshl_b64 s[2:3], s[2:3], 2
	v_add3_u32 v5, v5, v105, v98
	s_add_u32 s0, s2, s0
	v_lshlrev_b64 v[4:5], 2, v[4:5]
	s_addc_u32 s1, s3, s1
	v_mov_b32_e32 v98, s1
	v_add_co_u32_e32 v105, vcc, s0, v4
	v_addc_co_u32_e32 v98, vcc, v98, v5, vcc
	v_lshlrev_b64 v[4:5], 2, v[100:101]
	v_add_co_u32_e32 v4, vcc, v105, v4
	v_addc_co_u32_e32 v5, vcc, v98, v5, vcc
	v_add3_u32 v98, v99, s13, 1
	global_store_dword v[4:5], v98, off
.LBB90_775:
	s_or_b64 exec, exec, s[14:15]
	v_cmp_eq_u32_e32 vcc, 0, v100
	s_and_saveexec_b64 s[2:3], vcc
	s_cbranch_execz .LBB90_778
; %bb.776:
	v_lshlrev_b64 v[2:3], 2, v[2:3]
	v_mov_b32_e32 v4, s7
	v_add_co_u32_e32 v2, vcc, s6, v2
	v_addc_co_u32_e32 v3, vcc, v4, v3, vcc
	global_load_dword v4, v[2:3], off
	v_cmp_lt_i32_e64 s[0:1], 0, v104
	s_waitcnt vmcnt(0)
	v_cmp_eq_u32_e32 vcc, 0, v4
	s_and_b64 s[0:1], vcc, s[0:1]
	s_and_b64 exec, exec, s[0:1]
	s_cbranch_execz .LBB90_778
; %bb.777:
	v_add_u32_e32 v4, s13, v104
	global_store_dword v[2:3], v4, off
.LBB90_778:
	s_or_b64 exec, exec, s[2:3]
	v_mul_f64 v[2:3], v[96:97], v[94:95]
	v_cmp_lt_i32_e32 vcc, 45, v100
	v_lshlrev_b64 v[4:5], 3, v[100:101]
	v_cndmask_b32_e32 v3, v95, v3, vcc
	v_cndmask_b32_e32 v2, v94, v2, vcc
	v_add_co_u32_e32 v4, vcc, v102, v4
	v_addc_co_u32_e32 v5, vcc, v103, v5, vcc
	global_store_dwordx2 v[4:5], v[90:91], off
	v_mov_b32_e32 v90, s11
	v_add_co_u32_e32 v4, vcc, s10, v4
	v_addc_co_u32_e32 v5, vcc, v5, v90, vcc
	global_store_dwordx2 v[4:5], v[92:93], off
	v_add_u32_e32 v4, s12, v100
	v_ashrrev_i32_e32 v5, 31, v4
	v_lshlrev_b64 v[90:91], 3, v[4:5]
	v_add_co_u32_e32 v90, vcc, v102, v90
	v_add_u32_e32 v4, s8, v4
	v_addc_co_u32_e32 v91, vcc, v103, v91, vcc
	v_ashrrev_i32_e32 v5, 31, v4
	global_store_dwordx2 v[90:91], v[88:89], off
	v_lshlrev_b64 v[88:89], 3, v[4:5]
	v_add_co_u32_e32 v88, vcc, v102, v88
	v_add_u32_e32 v4, s8, v4
	v_addc_co_u32_e32 v89, vcc, v103, v89, vcc
	v_ashrrev_i32_e32 v5, 31, v4
	global_store_dwordx2 v[88:89], v[86:87], off
	;; [unrolled: 6-line block ×42, first 2 shown]
	v_lshlrev_b64 v[6:7], 3, v[4:5]
	v_add_co_u32_e32 v6, vcc, v102, v6
	v_addc_co_u32_e32 v7, vcc, v103, v7, vcc
	global_store_dwordx2 v[6:7], v[0:1], off
	v_add_u32_e32 v0, s8, v4
	v_ashrrev_i32_e32 v1, 31, v0
	v_lshlrev_b64 v[0:1], 3, v[0:1]
	v_add_co_u32_e32 v0, vcc, v102, v0
	v_addc_co_u32_e32 v1, vcc, v103, v1, vcc
	global_store_dwordx2 v[0:1], v[2:3], off
.LBB90_779:
	s_endpgm
	.section	.rodata,"a",@progbits
	.p2align	6, 0x0
	.amdhsa_kernel _ZN9rocsolver6v33100L18getf2_small_kernelILi46EdiiPKPdEEvT1_T3_lS5_lPS5_llPT2_S5_S5_S7_l
		.amdhsa_group_segment_fixed_size 0
		.amdhsa_private_segment_fixed_size 0
		.amdhsa_kernarg_size 352
		.amdhsa_user_sgpr_count 6
		.amdhsa_user_sgpr_private_segment_buffer 1
		.amdhsa_user_sgpr_dispatch_ptr 0
		.amdhsa_user_sgpr_queue_ptr 0
		.amdhsa_user_sgpr_kernarg_segment_ptr 1
		.amdhsa_user_sgpr_dispatch_id 0
		.amdhsa_user_sgpr_flat_scratch_init 0
		.amdhsa_user_sgpr_kernarg_preload_length 0
		.amdhsa_user_sgpr_kernarg_preload_offset 0
		.amdhsa_user_sgpr_private_segment_size 0
		.amdhsa_uses_dynamic_stack 0
		.amdhsa_system_sgpr_private_segment_wavefront_offset 0
		.amdhsa_system_sgpr_workgroup_id_x 1
		.amdhsa_system_sgpr_workgroup_id_y 1
		.amdhsa_system_sgpr_workgroup_id_z 0
		.amdhsa_system_sgpr_workgroup_info 0
		.amdhsa_system_vgpr_workitem_id 1
		.amdhsa_next_free_vgpr 152
		.amdhsa_next_free_sgpr 22
		.amdhsa_accum_offset 152
		.amdhsa_reserve_vcc 1
		.amdhsa_reserve_flat_scratch 0
		.amdhsa_float_round_mode_32 0
		.amdhsa_float_round_mode_16_64 0
		.amdhsa_float_denorm_mode_32 3
		.amdhsa_float_denorm_mode_16_64 3
		.amdhsa_dx10_clamp 1
		.amdhsa_ieee_mode 1
		.amdhsa_fp16_overflow 0
		.amdhsa_tg_split 0
		.amdhsa_exception_fp_ieee_invalid_op 0
		.amdhsa_exception_fp_denorm_src 0
		.amdhsa_exception_fp_ieee_div_zero 0
		.amdhsa_exception_fp_ieee_overflow 0
		.amdhsa_exception_fp_ieee_underflow 0
		.amdhsa_exception_fp_ieee_inexact 0
		.amdhsa_exception_int_div_zero 0
	.end_amdhsa_kernel
	.section	.text._ZN9rocsolver6v33100L18getf2_small_kernelILi46EdiiPKPdEEvT1_T3_lS5_lPS5_llPT2_S5_S5_S7_l,"axG",@progbits,_ZN9rocsolver6v33100L18getf2_small_kernelILi46EdiiPKPdEEvT1_T3_lS5_lPS5_llPT2_S5_S5_S7_l,comdat
.Lfunc_end90:
	.size	_ZN9rocsolver6v33100L18getf2_small_kernelILi46EdiiPKPdEEvT1_T3_lS5_lPS5_llPT2_S5_S5_S7_l, .Lfunc_end90-_ZN9rocsolver6v33100L18getf2_small_kernelILi46EdiiPKPdEEvT1_T3_lS5_lPS5_llPT2_S5_S5_S7_l
                                        ; -- End function
	.section	.AMDGPU.csdata,"",@progbits
; Kernel info:
; codeLenInByte = 42832
; NumSgprs: 26
; NumVgprs: 152
; NumAgprs: 0
; TotalNumVgprs: 152
; ScratchSize: 0
; MemoryBound: 0
; FloatMode: 240
; IeeeMode: 1
; LDSByteSize: 0 bytes/workgroup (compile time only)
; SGPRBlocks: 3
; VGPRBlocks: 18
; NumSGPRsForWavesPerEU: 26
; NumVGPRsForWavesPerEU: 152
; AccumOffset: 152
; Occupancy: 3
; WaveLimiterHint : 1
; COMPUTE_PGM_RSRC2:SCRATCH_EN: 0
; COMPUTE_PGM_RSRC2:USER_SGPR: 6
; COMPUTE_PGM_RSRC2:TRAP_HANDLER: 0
; COMPUTE_PGM_RSRC2:TGID_X_EN: 1
; COMPUTE_PGM_RSRC2:TGID_Y_EN: 1
; COMPUTE_PGM_RSRC2:TGID_Z_EN: 0
; COMPUTE_PGM_RSRC2:TIDIG_COMP_CNT: 1
; COMPUTE_PGM_RSRC3_GFX90A:ACCUM_OFFSET: 37
; COMPUTE_PGM_RSRC3_GFX90A:TG_SPLIT: 0
	.section	.text._ZN9rocsolver6v33100L23getf2_npvt_small_kernelILi46EdiiPKPdEEvT1_T3_lS5_lPT2_S5_S5_,"axG",@progbits,_ZN9rocsolver6v33100L23getf2_npvt_small_kernelILi46EdiiPKPdEEvT1_T3_lS5_lPT2_S5_S5_,comdat
	.globl	_ZN9rocsolver6v33100L23getf2_npvt_small_kernelILi46EdiiPKPdEEvT1_T3_lS5_lPT2_S5_S5_ ; -- Begin function _ZN9rocsolver6v33100L23getf2_npvt_small_kernelILi46EdiiPKPdEEvT1_T3_lS5_lPT2_S5_S5_
	.p2align	8
	.type	_ZN9rocsolver6v33100L23getf2_npvt_small_kernelILi46EdiiPKPdEEvT1_T3_lS5_lPT2_S5_S5_,@function
_ZN9rocsolver6v33100L23getf2_npvt_small_kernelILi46EdiiPKPdEEvT1_T3_lS5_lPT2_S5_S5_: ; @_ZN9rocsolver6v33100L23getf2_npvt_small_kernelILi46EdiiPKPdEEvT1_T3_lS5_lPT2_S5_S5_
; %bb.0:
	s_mov_b64 s[18:19], s[2:3]
	s_mov_b64 s[16:17], s[0:1]
	s_add_u32 s16, s16, s8
	s_load_dword s0, s[4:5], 0x44
	s_load_dwordx2 s[8:9], s[4:5], 0x30
	s_addc_u32 s17, s17, 0
	v_bfe_u32 v186, v0, 10, 10
	s_waitcnt lgkmcnt(0)
	s_lshr_b32 s6, s0, 16
	s_mul_i32 s7, s7, s6
	v_add_u32_e32 v214, s7, v186
	v_cmp_gt_i32_e32 vcc, s8, v214
	s_and_saveexec_b64 s[0:1], vcc
	s_cbranch_execz .LBB91_233
; %bb.1:
	s_load_dwordx4 s[12:15], s[4:5], 0x8
	s_load_dword s0, s[4:5], 0x18
	v_ashrrev_i32_e32 v215, 31, v214
	v_lshlrev_b64 v[2:3], 3, v[214:215]
	v_and_b32_e32 v208, 0x3ff, v0
	s_waitcnt lgkmcnt(0)
	v_mov_b32_e32 v1, s13
	v_add_co_u32_e32 v2, vcc, s12, v2
	v_addc_co_u32_e32 v3, vcc, v1, v3, vcc
	global_load_dwordx2 v[2:3], v[2:3], off
	s_add_i32 s1, s0, s0
	s_lshl_b64 s[2:3], s[14:15], 3
	v_add_u32_e32 v0, s1, v208
	v_mov_b32_e32 v22, s3
	v_ashrrev_i32_e32 v1, 31, v0
	v_add_u32_e32 v4, s0, v0
	v_lshlrev_b64 v[0:1], 3, v[0:1]
	v_ashrrev_i32_e32 v5, 31, v4
	v_add_u32_e32 v6, s0, v4
	v_lshlrev_b64 v[4:5], 3, v[4:5]
	;; [unrolled: 3-line block ×10, first 2 shown]
	v_ashrrev_i32_e32 v25, 31, v24
	s_ashr_i32 s1, s0, 31
	s_mulk_i32 s6, 0x170
	s_waitcnt vmcnt(0)
	v_add_co_u32_e32 v90, vcc, s2, v2
	v_addc_co_u32_e32 v91, vcc, v3, v22, vcc
	v_add_co_u32_e32 v0, vcc, v90, v0
	v_addc_co_u32_e32 v1, vcc, v91, v1, vcc
	;; [unrolled: 2-line block ×11, first 2 shown]
	v_lshlrev_b64 v[2:3], 3, v[24:25]
	v_add_co_u32_e32 v22, vcc, v90, v2
	v_add_u32_e32 v2, s0, v24
	v_addc_co_u32_e32 v23, vcc, v91, v3, vcc
	v_ashrrev_i32_e32 v3, 31, v2
	v_lshlrev_b64 v[24:25], 3, v[2:3]
	v_add_u32_e32 v2, s0, v2
	v_add_co_u32_e32 v24, vcc, v90, v24
	v_ashrrev_i32_e32 v3, 31, v2
	v_addc_co_u32_e32 v25, vcc, v91, v25, vcc
	v_lshlrev_b64 v[26:27], 3, v[2:3]
	v_add_u32_e32 v2, s0, v2
	v_add_co_u32_e32 v26, vcc, v90, v26
	v_ashrrev_i32_e32 v3, 31, v2
	v_addc_co_u32_e32 v27, vcc, v91, v27, vcc
	;; [unrolled: 5-line block ×32, first 2 shown]
	v_lshlrev_b64 v[2:3], 3, v[2:3]
	v_add_co_u32_e32 v88, vcc, v90, v2
	v_addc_co_u32_e32 v89, vcc, v91, v3, vcc
	v_lshlrev_b32_e32 v2, 3, v208
	v_add_co_u32_e32 v90, vcc, v90, v2
	v_addc_co_u32_e32 v91, vcc, 0, v91, vcc
	s_lshl_b64 s[0:1], s[0:1], 3
	v_mov_b32_e32 v2, s1
	v_add_co_u32_e32 v92, vcc, s0, v90
	v_addc_co_u32_e32 v93, vcc, v91, v2, vcc
	global_load_dwordx2 v[94:95], v[90:91], off
	global_load_dwordx2 v[138:139], v[92:93], off
	s_nop 0
	buffer_store_dword v0, off, s[16:19], 0 ; 4-byte Folded Spill
	s_nop 0
	buffer_store_dword v1, off, s[16:19], 0 offset:4 ; 4-byte Folded Spill
	s_movk_i32 s0, 0x170
	s_add_i32 s1, s6, 0
	v_mad_u32_u24 v207, v186, s0, 0
	v_lshl_add_u32 v206, v186, 3, s1
	v_cmp_ne_u32_e64 s[2:3], 0, v208
	v_cmp_eq_u32_e64 s[0:1], 0, v208
	global_load_dwordx2 v[182:183], v[0:1], off
	s_nop 0
	buffer_store_dword v4, off, s[16:19], 0 offset:8 ; 4-byte Folded Spill
	s_nop 0
	buffer_store_dword v5, off, s[16:19], 0 offset:12 ; 4-byte Folded Spill
	global_load_dwordx2 v[136:137], v[4:5], off
	s_nop 0
	buffer_store_dword v6, off, s[16:19], 0 offset:16 ; 4-byte Folded Spill
	s_nop 0
	buffer_store_dword v7, off, s[16:19], 0 offset:20 ; 4-byte Folded Spill
	;; [unrolled: 5-line block ×9, first 2 shown]
	global_load_dwordx2 v[128:129], v[20:21], off
	global_load_dwordx2 v[172:173], v[22:23], off
	s_nop 0
	buffer_store_dword v24, off, s[16:19], 0 offset:80 ; 4-byte Folded Spill
	s_nop 0
	buffer_store_dword v25, off, s[16:19], 0 offset:84 ; 4-byte Folded Spill
	global_load_dwordx2 v[126:127], v[24:25], off
	s_nop 0
	buffer_store_dword v26, off, s[16:19], 0 offset:88 ; 4-byte Folded Spill
	s_nop 0
	buffer_store_dword v27, off, s[16:19], 0 offset:92 ; 4-byte Folded Spill
	;; [unrolled: 5-line block ×6, first 2 shown]
	global_load_dwordx2 v[166:167], v[34:35], off
	global_load_dwordx2 v[120:121], v[36:37], off
	;; [unrolled: 1-line block ×28, first 2 shown]
	s_and_saveexec_b64 s[6:7], s[0:1]
	s_cbranch_execz .LBB91_4
; %bb.2:
	s_waitcnt vmcnt(62)
	ds_write_b64 v206, v[94:95]
	ds_write2_b64 v207, v[138:139], v[182:183] offset0:1 offset1:2
	ds_write2_b64 v207, v[136:137], v[180:181] offset0:3 offset1:4
	s_waitcnt vmcnt(61)
	ds_write2_b64 v207, v[134:135], v[178:179] offset0:5 offset1:6
	s_waitcnt vmcnt(55)
	ds_write2_b64 v207, v[132:133], v[176:177] offset0:7 offset1:8
	s_waitcnt vmcnt(49)
	ds_write2_b64 v207, v[130:131], v[174:175] offset0:9 offset1:10
	s_waitcnt vmcnt(45)
	ds_write2_b64 v207, v[128:129], v[172:173] offset0:11 offset1:12
	s_waitcnt vmcnt(39)
	ds_write2_b64 v207, v[126:127], v[170:171] offset0:13 offset1:14
	s_waitcnt vmcnt(33)
	ds_write2_b64 v207, v[124:125], v[168:169] offset0:15 offset1:16
	s_waitcnt vmcnt(27)
	ds_write2_b64 v207, v[122:123], v[166:167] offset0:17 offset1:18
	s_waitcnt vmcnt(25)
	ds_write2_b64 v207, v[120:121], v[164:165] offset0:19 offset1:20
	s_waitcnt vmcnt(23)
	ds_write2_b64 v207, v[118:119], v[162:163] offset0:21 offset1:22
	s_waitcnt vmcnt(21)
	ds_write2_b64 v207, v[116:117], v[160:161] offset0:23 offset1:24
	s_waitcnt vmcnt(19)
	ds_write2_b64 v207, v[114:115], v[158:159] offset0:25 offset1:26
	s_waitcnt vmcnt(17)
	ds_write2_b64 v207, v[112:113], v[156:157] offset0:27 offset1:28
	s_waitcnt vmcnt(15)
	ds_write2_b64 v207, v[110:111], v[154:155] offset0:29 offset1:30
	s_waitcnt vmcnt(13)
	ds_write2_b64 v207, v[108:109], v[152:153] offset0:31 offset1:32
	s_waitcnt vmcnt(11)
	ds_write2_b64 v207, v[106:107], v[150:151] offset0:33 offset1:34
	s_waitcnt vmcnt(9)
	ds_write2_b64 v207, v[104:105], v[148:149] offset0:35 offset1:36
	s_waitcnt vmcnt(7)
	ds_write2_b64 v207, v[102:103], v[146:147] offset0:37 offset1:38
	s_waitcnt vmcnt(5)
	ds_write2_b64 v207, v[100:101], v[144:145] offset0:39 offset1:40
	s_waitcnt vmcnt(3)
	ds_write2_b64 v207, v[98:99], v[142:143] offset0:41 offset1:42
	s_waitcnt vmcnt(1)
	ds_write2_b64 v207, v[96:97], v[140:141] offset0:43 offset1:44
	s_waitcnt vmcnt(0)
	ds_write_b64 v207, v[184:185] offset:360
	ds_read_b64 v[186:187], v206
	s_waitcnt lgkmcnt(0)
	v_cmp_neq_f64_e32 vcc, 0, v[186:187]
	s_and_b64 exec, exec, vcc
	s_cbranch_execz .LBB91_4
; %bb.3:
	v_div_scale_f64 v[2:3], s[10:11], v[186:187], v[186:187], 1.0
	v_rcp_f64_e32 v[188:189], v[2:3]
	v_div_scale_f64 v[190:191], vcc, 1.0, v[186:187], 1.0
	v_fma_f64 v[192:193], -v[2:3], v[188:189], 1.0
	v_fmac_f64_e32 v[188:189], v[188:189], v[192:193]
	v_fma_f64 v[192:193], -v[2:3], v[188:189], 1.0
	v_fmac_f64_e32 v[188:189], v[188:189], v[192:193]
	v_mul_f64 v[192:193], v[190:191], v[188:189]
	v_fma_f64 v[2:3], -v[2:3], v[192:193], v[190:191]
	v_div_fmas_f64 v[2:3], v[2:3], v[188:189], v[192:193]
	v_div_fixup_f64 v[2:3], v[2:3], v[186:187], 1.0
	ds_write_b64 v206, v[2:3]
.LBB91_4:
	s_or_b64 exec, exec, s[6:7]
	s_waitcnt lgkmcnt(0)
	s_barrier
	ds_read_b64 v[216:217], v206
	s_and_saveexec_b64 s[6:7], s[2:3]
	s_cbranch_execz .LBB91_6
; %bb.5:
	ds_read2_b64 v[186:189], v207 offset0:1 offset1:2
	ds_read2_b64 v[190:193], v207 offset0:3 offset1:4
	s_waitcnt lgkmcnt(2)
	v_mul_f64 v[94:95], v[216:217], v[94:95]
	ds_read2_b64 v[194:197], v207 offset0:5 offset1:6
	ds_read_b64 v[2:3], v207 offset:360
	s_waitcnt lgkmcnt(3)
	v_fma_f64 v[138:139], -v[94:95], v[186:187], v[138:139]
	v_fma_f64 v[182:183], -v[94:95], v[188:189], v[182:183]
	ds_read2_b64 v[186:189], v207 offset0:7 offset1:8
	s_waitcnt lgkmcnt(3)
	v_fma_f64 v[136:137], -v[94:95], v[190:191], v[136:137]
	v_fma_f64 v[180:181], -v[94:95], v[192:193], v[180:181]
	s_waitcnt lgkmcnt(2)
	v_fma_f64 v[134:135], -v[94:95], v[194:195], v[134:135]
	ds_read2_b64 v[190:193], v207 offset0:9 offset1:10
	s_waitcnt vmcnt(61)
	v_fma_f64 v[178:179], -v[94:95], v[196:197], v[178:179]
	ds_read2_b64 v[194:197], v207 offset0:11 offset1:12
	s_waitcnt vmcnt(58) lgkmcnt(2)
	v_fma_f64 v[132:133], -v[94:95], v[186:187], v[132:133]
	s_waitcnt vmcnt(55)
	v_fma_f64 v[176:177], -v[94:95], v[188:189], v[176:177]
	ds_read2_b64 v[186:189], v207 offset0:13 offset1:14
	s_waitcnt vmcnt(52) lgkmcnt(2)
	v_fma_f64 v[130:131], -v[94:95], v[190:191], v[130:131]
	;; [unrolled: 5-line block ×3, first 2 shown]
	s_waitcnt vmcnt(45)
	v_fma_f64 v[172:173], -v[94:95], v[196:197], v[172:173]
	s_waitcnt vmcnt(42) lgkmcnt(1)
	v_fma_f64 v[126:127], -v[94:95], v[186:187], v[126:127]
	ds_read2_b64 v[194:197], v207 offset0:17 offset1:18
	s_waitcnt vmcnt(39)
	v_fma_f64 v[170:171], -v[94:95], v[188:189], v[170:171]
	ds_read2_b64 v[186:189], v207 offset0:19 offset1:20
	s_waitcnt vmcnt(36) lgkmcnt(2)
	v_fma_f64 v[124:125], -v[94:95], v[190:191], v[124:125]
	s_waitcnt vmcnt(33)
	v_fma_f64 v[168:169], -v[94:95], v[192:193], v[168:169]
	s_waitcnt vmcnt(30) lgkmcnt(1)
	v_fma_f64 v[122:123], -v[94:95], v[194:195], v[122:123]
	ds_read2_b64 v[190:193], v207 offset0:21 offset1:22
	s_waitcnt vmcnt(27)
	v_fma_f64 v[166:167], -v[94:95], v[196:197], v[166:167]
	ds_read2_b64 v[194:197], v207 offset0:23 offset1:24
	s_waitcnt vmcnt(26) lgkmcnt(2)
	v_fma_f64 v[120:121], -v[94:95], v[186:187], v[120:121]
	s_waitcnt vmcnt(25)
	v_fma_f64 v[164:165], -v[94:95], v[188:189], v[164:165]
	ds_read2_b64 v[186:189], v207 offset0:25 offset1:26
	s_waitcnt vmcnt(24) lgkmcnt(2)
	v_fma_f64 v[118:119], -v[94:95], v[190:191], v[118:119]
	;; [unrolled: 5-line block ×3, first 2 shown]
	s_waitcnt vmcnt(21)
	v_fma_f64 v[160:161], -v[94:95], v[196:197], v[160:161]
	s_waitcnt vmcnt(20) lgkmcnt(1)
	v_fma_f64 v[114:115], -v[94:95], v[186:187], v[114:115]
	ds_read2_b64 v[194:197], v207 offset0:29 offset1:30
	s_waitcnt vmcnt(19)
	v_fma_f64 v[158:159], -v[94:95], v[188:189], v[158:159]
	ds_read2_b64 v[186:189], v207 offset0:31 offset1:32
	s_waitcnt vmcnt(18) lgkmcnt(2)
	v_fma_f64 v[112:113], -v[94:95], v[190:191], v[112:113]
	s_waitcnt vmcnt(17)
	v_fma_f64 v[156:157], -v[94:95], v[192:193], v[156:157]
	s_waitcnt vmcnt(16) lgkmcnt(1)
	v_fma_f64 v[110:111], -v[94:95], v[194:195], v[110:111]
	ds_read2_b64 v[190:193], v207 offset0:33 offset1:34
	s_waitcnt vmcnt(15)
	v_fma_f64 v[154:155], -v[94:95], v[196:197], v[154:155]
	ds_read2_b64 v[194:197], v207 offset0:35 offset1:36
	s_waitcnt vmcnt(14) lgkmcnt(2)
	v_fma_f64 v[108:109], -v[94:95], v[186:187], v[108:109]
	s_waitcnt vmcnt(13)
	v_fma_f64 v[152:153], -v[94:95], v[188:189], v[152:153]
	ds_read2_b64 v[186:189], v207 offset0:37 offset1:38
	s_waitcnt vmcnt(12) lgkmcnt(2)
	v_fma_f64 v[106:107], -v[94:95], v[190:191], v[106:107]
	;; [unrolled: 5-line block ×3, first 2 shown]
	s_waitcnt vmcnt(9)
	v_fma_f64 v[148:149], -v[94:95], v[196:197], v[148:149]
	s_waitcnt vmcnt(8) lgkmcnt(1)
	v_fma_f64 v[102:103], -v[94:95], v[186:187], v[102:103]
	s_waitcnt vmcnt(7)
	v_fma_f64 v[146:147], -v[94:95], v[188:189], v[146:147]
	ds_read2_b64 v[186:189], v207 offset0:41 offset1:42
	ds_read2_b64 v[194:197], v207 offset0:43 offset1:44
	s_waitcnt vmcnt(6) lgkmcnt(2)
	v_fma_f64 v[100:101], -v[94:95], v[190:191], v[100:101]
	s_waitcnt vmcnt(5)
	v_fma_f64 v[144:145], -v[94:95], v[192:193], v[144:145]
	s_waitcnt vmcnt(0)
	v_fma_f64 v[184:185], -v[94:95], v[2:3], v[184:185]
	s_waitcnt lgkmcnt(1)
	v_fma_f64 v[98:99], -v[94:95], v[186:187], v[98:99]
	v_fma_f64 v[142:143], -v[94:95], v[188:189], v[142:143]
	s_waitcnt lgkmcnt(0)
	v_fma_f64 v[96:97], -v[94:95], v[194:195], v[96:97]
	v_fma_f64 v[140:141], -v[94:95], v[196:197], v[140:141]
.LBB91_6:
	s_or_b64 exec, exec, s[6:7]
	v_cmp_eq_u32_e32 vcc, 1, v208
	s_waitcnt lgkmcnt(0)
	s_barrier
	s_and_saveexec_b64 s[2:3], vcc
	s_cbranch_execz .LBB91_9
; %bb.7:
	v_mov_b32_e32 v2, v182
	v_mov_b32_e32 v3, v183
	;; [unrolled: 1-line block ×4, first 2 shown]
	ds_write_b64 v206, v[138:139]
	ds_write2_b64 v207, v[2:3], v[186:187] offset0:2 offset1:3
	v_mov_b32_e32 v2, v180
	v_mov_b32_e32 v3, v181
	;; [unrolled: 1-line block ×4, first 2 shown]
	ds_write2_b64 v207, v[2:3], v[186:187] offset0:4 offset1:5
	s_waitcnt vmcnt(61)
	v_mov_b32_e32 v2, v178
	v_mov_b32_e32 v3, v179
	s_waitcnt vmcnt(58)
	v_mov_b32_e32 v186, v132
	v_mov_b32_e32 v187, v133
	ds_write2_b64 v207, v[2:3], v[186:187] offset0:6 offset1:7
	s_waitcnt vmcnt(55)
	v_mov_b32_e32 v2, v176
	v_mov_b32_e32 v3, v177
	s_waitcnt vmcnt(52)
	v_mov_b32_e32 v186, v130
	v_mov_b32_e32 v187, v131
	;; [unrolled: 7-line block ×19, first 2 shown]
	ds_write2_b64 v207, v[2:3], v[186:187] offset0:42 offset1:43
	s_waitcnt vmcnt(1)
	v_mov_b32_e32 v2, v140
	v_mov_b32_e32 v3, v141
	s_waitcnt vmcnt(0)
	ds_write2_b64 v207, v[2:3], v[184:185] offset0:44 offset1:45
	ds_read_b64 v[186:187], v206
	s_waitcnt lgkmcnt(0)
	v_cmp_neq_f64_e32 vcc, 0, v[186:187]
	s_and_b64 exec, exec, vcc
	s_cbranch_execz .LBB91_9
; %bb.8:
	v_div_scale_f64 v[2:3], s[6:7], v[186:187], v[186:187], 1.0
	v_rcp_f64_e32 v[188:189], v[2:3]
	v_div_scale_f64 v[190:191], vcc, 1.0, v[186:187], 1.0
	v_fma_f64 v[192:193], -v[2:3], v[188:189], 1.0
	v_fmac_f64_e32 v[188:189], v[188:189], v[192:193]
	v_fma_f64 v[192:193], -v[2:3], v[188:189], 1.0
	v_fmac_f64_e32 v[188:189], v[188:189], v[192:193]
	v_mul_f64 v[192:193], v[190:191], v[188:189]
	v_fma_f64 v[2:3], -v[2:3], v[192:193], v[190:191]
	v_div_fmas_f64 v[2:3], v[2:3], v[188:189], v[192:193]
	v_div_fixup_f64 v[2:3], v[2:3], v[186:187], 1.0
	ds_write_b64 v206, v[2:3]
.LBB91_9:
	s_or_b64 exec, exec, s[2:3]
	s_waitcnt lgkmcnt(0)
	s_barrier
	ds_read_b64 v[218:219], v206
	v_cmp_lt_u32_e32 vcc, 1, v208
	s_and_saveexec_b64 s[2:3], vcc
	s_cbranch_execz .LBB91_11
; %bb.10:
	ds_read2_b64 v[186:189], v207 offset0:2 offset1:3
	ds_read2_b64 v[190:193], v207 offset0:4 offset1:5
	s_waitcnt lgkmcnt(2)
	v_mul_f64 v[138:139], v[218:219], v[138:139]
	ds_read2_b64 v[194:197], v207 offset0:6 offset1:7
	s_waitcnt lgkmcnt(2)
	v_fma_f64 v[182:183], -v[138:139], v[186:187], v[182:183]
	v_fma_f64 v[136:137], -v[138:139], v[188:189], v[136:137]
	ds_read2_b64 v[186:189], v207 offset0:8 offset1:9
	s_waitcnt lgkmcnt(2)
	v_fma_f64 v[180:181], -v[138:139], v[190:191], v[180:181]
	v_fma_f64 v[134:135], -v[138:139], v[192:193], v[134:135]
	s_waitcnt vmcnt(61) lgkmcnt(1)
	v_fma_f64 v[178:179], -v[138:139], v[194:195], v[178:179]
	ds_read2_b64 v[190:193], v207 offset0:10 offset1:11
	s_waitcnt vmcnt(58)
	v_fma_f64 v[132:133], -v[138:139], v[196:197], v[132:133]
	ds_read2_b64 v[194:197], v207 offset0:12 offset1:13
	s_waitcnt vmcnt(55) lgkmcnt(2)
	v_fma_f64 v[176:177], -v[138:139], v[186:187], v[176:177]
	s_waitcnt vmcnt(52)
	v_fma_f64 v[130:131], -v[138:139], v[188:189], v[130:131]
	ds_read2_b64 v[186:189], v207 offset0:14 offset1:15
	s_waitcnt vmcnt(49) lgkmcnt(2)
	v_fma_f64 v[174:175], -v[138:139], v[190:191], v[174:175]
	s_waitcnt vmcnt(46)
	v_fma_f64 v[128:129], -v[138:139], v[192:193], v[128:129]
	ds_read2_b64 v[190:193], v207 offset0:16 offset1:17
	s_waitcnt vmcnt(45) lgkmcnt(2)
	v_fma_f64 v[172:173], -v[138:139], v[194:195], v[172:173]
	s_waitcnt vmcnt(42)
	v_fma_f64 v[126:127], -v[138:139], v[196:197], v[126:127]
	s_waitcnt vmcnt(39) lgkmcnt(1)
	v_fma_f64 v[170:171], -v[138:139], v[186:187], v[170:171]
	ds_read2_b64 v[194:197], v207 offset0:18 offset1:19
	s_waitcnt vmcnt(36)
	v_fma_f64 v[124:125], -v[138:139], v[188:189], v[124:125]
	ds_read2_b64 v[186:189], v207 offset0:20 offset1:21
	s_waitcnt vmcnt(33) lgkmcnt(2)
	v_fma_f64 v[168:169], -v[138:139], v[190:191], v[168:169]
	s_waitcnt vmcnt(30)
	v_fma_f64 v[122:123], -v[138:139], v[192:193], v[122:123]
	s_waitcnt vmcnt(27) lgkmcnt(1)
	v_fma_f64 v[166:167], -v[138:139], v[194:195], v[166:167]
	ds_read2_b64 v[190:193], v207 offset0:22 offset1:23
	s_waitcnt vmcnt(26)
	v_fma_f64 v[120:121], -v[138:139], v[196:197], v[120:121]
	ds_read2_b64 v[194:197], v207 offset0:24 offset1:25
	s_waitcnt vmcnt(25) lgkmcnt(2)
	v_fma_f64 v[164:165], -v[138:139], v[186:187], v[164:165]
	s_waitcnt vmcnt(24)
	v_fma_f64 v[118:119], -v[138:139], v[188:189], v[118:119]
	ds_read2_b64 v[186:189], v207 offset0:26 offset1:27
	s_waitcnt vmcnt(23) lgkmcnt(2)
	v_fma_f64 v[162:163], -v[138:139], v[190:191], v[162:163]
	s_waitcnt vmcnt(22)
	v_fma_f64 v[116:117], -v[138:139], v[192:193], v[116:117]
	ds_read2_b64 v[190:193], v207 offset0:28 offset1:29
	s_waitcnt vmcnt(21) lgkmcnt(2)
	v_fma_f64 v[160:161], -v[138:139], v[194:195], v[160:161]
	s_waitcnt vmcnt(20)
	v_fma_f64 v[114:115], -v[138:139], v[196:197], v[114:115]
	s_waitcnt vmcnt(19) lgkmcnt(1)
	v_fma_f64 v[158:159], -v[138:139], v[186:187], v[158:159]
	ds_read2_b64 v[194:197], v207 offset0:30 offset1:31
	s_waitcnt vmcnt(18)
	v_fma_f64 v[112:113], -v[138:139], v[188:189], v[112:113]
	ds_read2_b64 v[186:189], v207 offset0:32 offset1:33
	s_waitcnt vmcnt(17) lgkmcnt(2)
	v_fma_f64 v[156:157], -v[138:139], v[190:191], v[156:157]
	s_waitcnt vmcnt(16)
	;; [unrolled: 30-line block ×3, first 2 shown]
	v_fma_f64 v[98:99], -v[138:139], v[192:193], v[98:99]
	s_waitcnt vmcnt(3) lgkmcnt(1)
	v_fma_f64 v[142:143], -v[138:139], v[194:195], v[142:143]
	s_waitcnt vmcnt(2)
	v_fma_f64 v[96:97], -v[138:139], v[196:197], v[96:97]
	s_waitcnt vmcnt(1) lgkmcnt(0)
	v_fma_f64 v[140:141], -v[138:139], v[186:187], v[140:141]
	s_waitcnt vmcnt(0)
	v_fma_f64 v[184:185], -v[138:139], v[188:189], v[184:185]
.LBB91_11:
	s_or_b64 exec, exec, s[2:3]
	v_cmp_eq_u32_e32 vcc, 2, v208
	s_waitcnt lgkmcnt(0)
	s_barrier
	s_and_saveexec_b64 s[2:3], vcc
	s_cbranch_execz .LBB91_14
; %bb.12:
	ds_write_b64 v206, v[182:183]
	ds_write2_b64 v207, v[136:137], v[180:181] offset0:3 offset1:4
	s_waitcnt vmcnt(61)
	ds_write2_b64 v207, v[134:135], v[178:179] offset0:5 offset1:6
	s_waitcnt vmcnt(55)
	;; [unrolled: 2-line block ×21, first 2 shown]
	ds_write_b64 v207, v[184:185] offset:360
	ds_read_b64 v[186:187], v206
	s_waitcnt lgkmcnt(0)
	v_cmp_neq_f64_e32 vcc, 0, v[186:187]
	s_and_b64 exec, exec, vcc
	s_cbranch_execz .LBB91_14
; %bb.13:
	v_div_scale_f64 v[2:3], s[6:7], v[186:187], v[186:187], 1.0
	v_rcp_f64_e32 v[188:189], v[2:3]
	v_div_scale_f64 v[190:191], vcc, 1.0, v[186:187], 1.0
	v_fma_f64 v[192:193], -v[2:3], v[188:189], 1.0
	v_fmac_f64_e32 v[188:189], v[188:189], v[192:193]
	v_fma_f64 v[192:193], -v[2:3], v[188:189], 1.0
	v_fmac_f64_e32 v[188:189], v[188:189], v[192:193]
	v_mul_f64 v[192:193], v[190:191], v[188:189]
	v_fma_f64 v[2:3], -v[2:3], v[192:193], v[190:191]
	v_div_fmas_f64 v[2:3], v[2:3], v[188:189], v[192:193]
	v_div_fixup_f64 v[2:3], v[2:3], v[186:187], 1.0
	ds_write_b64 v206, v[2:3]
.LBB91_14:
	s_or_b64 exec, exec, s[2:3]
	s_waitcnt lgkmcnt(0)
	s_barrier
	ds_read_b64 v[220:221], v206
	v_cmp_lt_u32_e32 vcc, 2, v208
	s_and_saveexec_b64 s[2:3], vcc
	s_cbranch_execz .LBB91_16
; %bb.15:
	ds_read2_b64 v[186:189], v207 offset0:3 offset1:4
	ds_read2_b64 v[190:193], v207 offset0:5 offset1:6
	;; [unrolled: 1-line block ×3, first 2 shown]
	s_waitcnt lgkmcnt(3)
	v_mul_f64 v[182:183], v[220:221], v[182:183]
	ds_read_b64 v[2:3], v207 offset:360
	s_waitcnt lgkmcnt(3)
	v_fma_f64 v[136:137], -v[182:183], v[186:187], v[136:137]
	v_fma_f64 v[180:181], -v[182:183], v[188:189], v[180:181]
	ds_read2_b64 v[186:189], v207 offset0:9 offset1:10
	s_waitcnt lgkmcnt(3)
	v_fma_f64 v[134:135], -v[182:183], v[190:191], v[134:135]
	s_waitcnt vmcnt(61)
	v_fma_f64 v[178:179], -v[182:183], v[192:193], v[178:179]
	s_waitcnt vmcnt(58) lgkmcnt(2)
	v_fma_f64 v[132:133], -v[182:183], v[194:195], v[132:133]
	ds_read2_b64 v[190:193], v207 offset0:11 offset1:12
	s_waitcnt vmcnt(55)
	v_fma_f64 v[176:177], -v[182:183], v[196:197], v[176:177]
	ds_read2_b64 v[194:197], v207 offset0:13 offset1:14
	s_waitcnt vmcnt(52) lgkmcnt(2)
	v_fma_f64 v[130:131], -v[182:183], v[186:187], v[130:131]
	s_waitcnt vmcnt(49)
	v_fma_f64 v[174:175], -v[182:183], v[188:189], v[174:175]
	s_waitcnt vmcnt(46) lgkmcnt(1)
	v_fma_f64 v[128:129], -v[182:183], v[190:191], v[128:129]
	ds_read2_b64 v[186:189], v207 offset0:15 offset1:16
	s_waitcnt vmcnt(45)
	v_fma_f64 v[172:173], -v[182:183], v[192:193], v[172:173]
	ds_read2_b64 v[190:193], v207 offset0:17 offset1:18
	s_waitcnt vmcnt(42) lgkmcnt(2)
	v_fma_f64 v[126:127], -v[182:183], v[194:195], v[126:127]
	s_waitcnt vmcnt(39)
	v_fma_f64 v[170:171], -v[182:183], v[196:197], v[170:171]
	ds_read2_b64 v[194:197], v207 offset0:19 offset1:20
	s_waitcnt vmcnt(36) lgkmcnt(2)
	v_fma_f64 v[124:125], -v[182:183], v[186:187], v[124:125]
	;; [unrolled: 5-line block ×3, first 2 shown]
	s_waitcnt vmcnt(27)
	v_fma_f64 v[166:167], -v[182:183], v[192:193], v[166:167]
	s_waitcnt vmcnt(26) lgkmcnt(1)
	v_fma_f64 v[120:121], -v[182:183], v[194:195], v[120:121]
	ds_read2_b64 v[190:193], v207 offset0:23 offset1:24
	s_waitcnt vmcnt(25)
	v_fma_f64 v[164:165], -v[182:183], v[196:197], v[164:165]
	ds_read2_b64 v[194:197], v207 offset0:25 offset1:26
	s_waitcnt vmcnt(24) lgkmcnt(2)
	v_fma_f64 v[118:119], -v[182:183], v[186:187], v[118:119]
	s_waitcnt vmcnt(23)
	v_fma_f64 v[162:163], -v[182:183], v[188:189], v[162:163]
	s_waitcnt vmcnt(22) lgkmcnt(1)
	v_fma_f64 v[116:117], -v[182:183], v[190:191], v[116:117]
	ds_read2_b64 v[186:189], v207 offset0:27 offset1:28
	s_waitcnt vmcnt(21)
	v_fma_f64 v[160:161], -v[182:183], v[192:193], v[160:161]
	ds_read2_b64 v[190:193], v207 offset0:29 offset1:30
	s_waitcnt vmcnt(20) lgkmcnt(2)
	v_fma_f64 v[114:115], -v[182:183], v[194:195], v[114:115]
	s_waitcnt vmcnt(19)
	v_fma_f64 v[158:159], -v[182:183], v[196:197], v[158:159]
	ds_read2_b64 v[194:197], v207 offset0:31 offset1:32
	s_waitcnt vmcnt(18) lgkmcnt(2)
	v_fma_f64 v[112:113], -v[182:183], v[186:187], v[112:113]
	s_waitcnt vmcnt(17)
	v_fma_f64 v[156:157], -v[182:183], v[188:189], v[156:157]
	ds_read2_b64 v[186:189], v207 offset0:33 offset1:34
	s_waitcnt vmcnt(16) lgkmcnt(2)
	v_fma_f64 v[110:111], -v[182:183], v[190:191], v[110:111]
	s_waitcnt vmcnt(15)
	v_fma_f64 v[154:155], -v[182:183], v[192:193], v[154:155]
	s_waitcnt vmcnt(14) lgkmcnt(1)
	v_fma_f64 v[108:109], -v[182:183], v[194:195], v[108:109]
	ds_read2_b64 v[190:193], v207 offset0:35 offset1:36
	s_waitcnt vmcnt(13)
	v_fma_f64 v[152:153], -v[182:183], v[196:197], v[152:153]
	ds_read2_b64 v[194:197], v207 offset0:37 offset1:38
	s_waitcnt vmcnt(12) lgkmcnt(2)
	v_fma_f64 v[106:107], -v[182:183], v[186:187], v[106:107]
	s_waitcnt vmcnt(11)
	v_fma_f64 v[150:151], -v[182:183], v[188:189], v[150:151]
	s_waitcnt vmcnt(10) lgkmcnt(1)
	v_fma_f64 v[104:105], -v[182:183], v[190:191], v[104:105]
	ds_read2_b64 v[186:189], v207 offset0:39 offset1:40
	s_waitcnt vmcnt(9)
	v_fma_f64 v[148:149], -v[182:183], v[192:193], v[148:149]
	ds_read2_b64 v[190:193], v207 offset0:41 offset1:42
	s_waitcnt vmcnt(8) lgkmcnt(2)
	v_fma_f64 v[102:103], -v[182:183], v[194:195], v[102:103]
	s_waitcnt vmcnt(7)
	v_fma_f64 v[146:147], -v[182:183], v[196:197], v[146:147]
	ds_read2_b64 v[194:197], v207 offset0:43 offset1:44
	s_waitcnt vmcnt(6) lgkmcnt(2)
	v_fma_f64 v[100:101], -v[182:183], v[186:187], v[100:101]
	s_waitcnt vmcnt(5)
	v_fma_f64 v[144:145], -v[182:183], v[188:189], v[144:145]
	s_waitcnt vmcnt(4) lgkmcnt(1)
	v_fma_f64 v[98:99], -v[182:183], v[190:191], v[98:99]
	s_waitcnt vmcnt(3)
	v_fma_f64 v[142:143], -v[182:183], v[192:193], v[142:143]
	;; [unrolled: 4-line block ×3, first 2 shown]
	s_waitcnt vmcnt(0)
	v_fma_f64 v[184:185], -v[182:183], v[2:3], v[184:185]
.LBB91_16:
	s_or_b64 exec, exec, s[2:3]
	v_cmp_eq_u32_e32 vcc, 3, v208
	s_waitcnt lgkmcnt(0)
	s_barrier
	s_and_saveexec_b64 s[2:3], vcc
	s_cbranch_execz .LBB91_19
; %bb.17:
	v_mov_b32_e32 v2, v180
	v_mov_b32_e32 v3, v181
	;; [unrolled: 1-line block ×4, first 2 shown]
	ds_write_b64 v206, v[136:137]
	ds_write2_b64 v207, v[2:3], v[186:187] offset0:4 offset1:5
	s_waitcnt vmcnt(61)
	v_mov_b32_e32 v2, v178
	v_mov_b32_e32 v3, v179
	s_waitcnt vmcnt(58)
	v_mov_b32_e32 v186, v132
	v_mov_b32_e32 v187, v133
	ds_write2_b64 v207, v[2:3], v[186:187] offset0:6 offset1:7
	s_waitcnt vmcnt(55)
	v_mov_b32_e32 v2, v176
	v_mov_b32_e32 v3, v177
	s_waitcnt vmcnt(52)
	v_mov_b32_e32 v186, v130
	v_mov_b32_e32 v187, v131
	;; [unrolled: 7-line block ×19, first 2 shown]
	ds_write2_b64 v207, v[2:3], v[186:187] offset0:42 offset1:43
	s_waitcnt vmcnt(1)
	v_mov_b32_e32 v2, v140
	v_mov_b32_e32 v3, v141
	s_waitcnt vmcnt(0)
	ds_write2_b64 v207, v[2:3], v[184:185] offset0:44 offset1:45
	ds_read_b64 v[186:187], v206
	s_waitcnt lgkmcnt(0)
	v_cmp_neq_f64_e32 vcc, 0, v[186:187]
	s_and_b64 exec, exec, vcc
	s_cbranch_execz .LBB91_19
; %bb.18:
	v_div_scale_f64 v[2:3], s[6:7], v[186:187], v[186:187], 1.0
	v_rcp_f64_e32 v[188:189], v[2:3]
	v_div_scale_f64 v[190:191], vcc, 1.0, v[186:187], 1.0
	v_fma_f64 v[192:193], -v[2:3], v[188:189], 1.0
	v_fmac_f64_e32 v[188:189], v[188:189], v[192:193]
	v_fma_f64 v[192:193], -v[2:3], v[188:189], 1.0
	v_fmac_f64_e32 v[188:189], v[188:189], v[192:193]
	v_mul_f64 v[192:193], v[190:191], v[188:189]
	v_fma_f64 v[2:3], -v[2:3], v[192:193], v[190:191]
	v_div_fmas_f64 v[2:3], v[2:3], v[188:189], v[192:193]
	v_div_fixup_f64 v[2:3], v[2:3], v[186:187], 1.0
	ds_write_b64 v206, v[2:3]
.LBB91_19:
	s_or_b64 exec, exec, s[2:3]
	s_waitcnt lgkmcnt(0)
	s_barrier
	ds_read_b64 v[222:223], v206
	v_cmp_lt_u32_e32 vcc, 3, v208
	s_and_saveexec_b64 s[2:3], vcc
	s_cbranch_execz .LBB91_21
; %bb.20:
	ds_read2_b64 v[186:189], v207 offset0:4 offset1:5
	ds_read2_b64 v[190:193], v207 offset0:6 offset1:7
	ds_read2_b64 v[194:197], v207 offset0:8 offset1:9
	s_waitcnt lgkmcnt(3)
	v_mul_f64 v[136:137], v[222:223], v[136:137]
	s_waitcnt lgkmcnt(2)
	v_fma_f64 v[180:181], -v[136:137], v[186:187], v[180:181]
	v_fma_f64 v[134:135], -v[136:137], v[188:189], v[134:135]
	ds_read2_b64 v[186:189], v207 offset0:10 offset1:11
	s_waitcnt vmcnt(61) lgkmcnt(2)
	v_fma_f64 v[178:179], -v[136:137], v[190:191], v[178:179]
	s_waitcnt vmcnt(58)
	v_fma_f64 v[132:133], -v[136:137], v[192:193], v[132:133]
	s_waitcnt vmcnt(55) lgkmcnt(1)
	v_fma_f64 v[176:177], -v[136:137], v[194:195], v[176:177]
	ds_read2_b64 v[190:193], v207 offset0:12 offset1:13
	s_waitcnt vmcnt(52)
	v_fma_f64 v[130:131], -v[136:137], v[196:197], v[130:131]
	ds_read2_b64 v[194:197], v207 offset0:14 offset1:15
	s_waitcnt vmcnt(49) lgkmcnt(2)
	v_fma_f64 v[174:175], -v[136:137], v[186:187], v[174:175]
	s_waitcnt vmcnt(46)
	v_fma_f64 v[128:129], -v[136:137], v[188:189], v[128:129]
	s_waitcnt vmcnt(45) lgkmcnt(1)
	v_fma_f64 v[172:173], -v[136:137], v[190:191], v[172:173]
	ds_read2_b64 v[186:189], v207 offset0:16 offset1:17
	s_waitcnt vmcnt(42)
	v_fma_f64 v[126:127], -v[136:137], v[192:193], v[126:127]
	ds_read2_b64 v[190:193], v207 offset0:18 offset1:19
	s_waitcnt vmcnt(39) lgkmcnt(2)
	v_fma_f64 v[170:171], -v[136:137], v[194:195], v[170:171]
	s_waitcnt vmcnt(36)
	v_fma_f64 v[124:125], -v[136:137], v[196:197], v[124:125]
	ds_read2_b64 v[194:197], v207 offset0:20 offset1:21
	s_waitcnt vmcnt(33) lgkmcnt(2)
	v_fma_f64 v[168:169], -v[136:137], v[186:187], v[168:169]
	;; [unrolled: 5-line block ×3, first 2 shown]
	s_waitcnt vmcnt(26)
	v_fma_f64 v[120:121], -v[136:137], v[192:193], v[120:121]
	s_waitcnt vmcnt(25) lgkmcnt(1)
	v_fma_f64 v[164:165], -v[136:137], v[194:195], v[164:165]
	ds_read2_b64 v[190:193], v207 offset0:24 offset1:25
	s_waitcnt vmcnt(24)
	v_fma_f64 v[118:119], -v[136:137], v[196:197], v[118:119]
	ds_read2_b64 v[194:197], v207 offset0:26 offset1:27
	s_waitcnt vmcnt(23) lgkmcnt(2)
	v_fma_f64 v[162:163], -v[136:137], v[186:187], v[162:163]
	s_waitcnt vmcnt(22)
	v_fma_f64 v[116:117], -v[136:137], v[188:189], v[116:117]
	s_waitcnt vmcnt(21) lgkmcnt(1)
	v_fma_f64 v[160:161], -v[136:137], v[190:191], v[160:161]
	ds_read2_b64 v[186:189], v207 offset0:28 offset1:29
	s_waitcnt vmcnt(20)
	v_fma_f64 v[114:115], -v[136:137], v[192:193], v[114:115]
	ds_read2_b64 v[190:193], v207 offset0:30 offset1:31
	s_waitcnt vmcnt(19) lgkmcnt(2)
	v_fma_f64 v[158:159], -v[136:137], v[194:195], v[158:159]
	s_waitcnt vmcnt(18)
	v_fma_f64 v[112:113], -v[136:137], v[196:197], v[112:113]
	ds_read2_b64 v[194:197], v207 offset0:32 offset1:33
	s_waitcnt vmcnt(17) lgkmcnt(2)
	v_fma_f64 v[156:157], -v[136:137], v[186:187], v[156:157]
	;; [unrolled: 5-line block ×3, first 2 shown]
	s_waitcnt vmcnt(14)
	v_fma_f64 v[108:109], -v[136:137], v[192:193], v[108:109]
	s_waitcnt vmcnt(13) lgkmcnt(1)
	v_fma_f64 v[152:153], -v[136:137], v[194:195], v[152:153]
	ds_read2_b64 v[190:193], v207 offset0:36 offset1:37
	s_waitcnt vmcnt(12)
	v_fma_f64 v[106:107], -v[136:137], v[196:197], v[106:107]
	ds_read2_b64 v[194:197], v207 offset0:38 offset1:39
	s_waitcnt vmcnt(11) lgkmcnt(2)
	v_fma_f64 v[150:151], -v[136:137], v[186:187], v[150:151]
	s_waitcnt vmcnt(10)
	v_fma_f64 v[104:105], -v[136:137], v[188:189], v[104:105]
	s_waitcnt vmcnt(9) lgkmcnt(1)
	v_fma_f64 v[148:149], -v[136:137], v[190:191], v[148:149]
	s_waitcnt vmcnt(8)
	v_fma_f64 v[102:103], -v[136:137], v[192:193], v[102:103]
	ds_read2_b64 v[186:189], v207 offset0:40 offset1:41
	ds_read2_b64 v[190:193], v207 offset0:42 offset1:43
	s_waitcnt vmcnt(7) lgkmcnt(2)
	v_fma_f64 v[146:147], -v[136:137], v[194:195], v[146:147]
	s_waitcnt vmcnt(6)
	v_fma_f64 v[100:101], -v[136:137], v[196:197], v[100:101]
	ds_read2_b64 v[194:197], v207 offset0:44 offset1:45
	s_waitcnt vmcnt(5) lgkmcnt(2)
	v_fma_f64 v[144:145], -v[136:137], v[186:187], v[144:145]
	s_waitcnt vmcnt(4)
	v_fma_f64 v[98:99], -v[136:137], v[188:189], v[98:99]
	s_waitcnt vmcnt(3) lgkmcnt(1)
	v_fma_f64 v[142:143], -v[136:137], v[190:191], v[142:143]
	s_waitcnt vmcnt(2)
	v_fma_f64 v[96:97], -v[136:137], v[192:193], v[96:97]
	;; [unrolled: 4-line block ×3, first 2 shown]
.LBB91_21:
	s_or_b64 exec, exec, s[2:3]
	v_cmp_eq_u32_e32 vcc, 4, v208
	s_waitcnt lgkmcnt(0)
	s_barrier
	s_and_saveexec_b64 s[2:3], vcc
	s_cbranch_execz .LBB91_24
; %bb.22:
	ds_write_b64 v206, v[180:181]
	s_waitcnt vmcnt(61)
	ds_write2_b64 v207, v[134:135], v[178:179] offset0:5 offset1:6
	s_waitcnt vmcnt(55)
	ds_write2_b64 v207, v[132:133], v[176:177] offset0:7 offset1:8
	;; [unrolled: 2-line block ×20, first 2 shown]
	s_waitcnt vmcnt(0)
	ds_write_b64 v207, v[184:185] offset:360
	ds_read_b64 v[186:187], v206
	s_waitcnt lgkmcnt(0)
	v_cmp_neq_f64_e32 vcc, 0, v[186:187]
	s_and_b64 exec, exec, vcc
	s_cbranch_execz .LBB91_24
; %bb.23:
	v_div_scale_f64 v[2:3], s[6:7], v[186:187], v[186:187], 1.0
	v_rcp_f64_e32 v[188:189], v[2:3]
	v_div_scale_f64 v[190:191], vcc, 1.0, v[186:187], 1.0
	v_fma_f64 v[192:193], -v[2:3], v[188:189], 1.0
	v_fmac_f64_e32 v[188:189], v[188:189], v[192:193]
	v_fma_f64 v[192:193], -v[2:3], v[188:189], 1.0
	v_fmac_f64_e32 v[188:189], v[188:189], v[192:193]
	v_mul_f64 v[192:193], v[190:191], v[188:189]
	v_fma_f64 v[2:3], -v[2:3], v[192:193], v[190:191]
	v_div_fmas_f64 v[2:3], v[2:3], v[188:189], v[192:193]
	v_div_fixup_f64 v[2:3], v[2:3], v[186:187], 1.0
	ds_write_b64 v206, v[2:3]
.LBB91_24:
	s_or_b64 exec, exec, s[2:3]
	s_waitcnt lgkmcnt(0)
	s_barrier
	ds_read_b64 v[0:1], v206
	v_cmp_lt_u32_e32 vcc, 4, v208
	s_and_saveexec_b64 s[2:3], vcc
	s_cbranch_execz .LBB91_26
; %bb.25:
	ds_read2_b64 v[186:189], v207 offset0:5 offset1:6
	ds_read2_b64 v[190:193], v207 offset0:7 offset1:8
	s_waitcnt lgkmcnt(2)
	v_mul_f64 v[180:181], v[0:1], v[180:181]
	ds_read2_b64 v[194:197], v207 offset0:9 offset1:10
	ds_read_b64 v[2:3], v207 offset:360
	s_waitcnt lgkmcnt(3)
	v_fma_f64 v[134:135], -v[180:181], v[186:187], v[134:135]
	s_waitcnt vmcnt(61)
	v_fma_f64 v[178:179], -v[180:181], v[188:189], v[178:179]
	ds_read2_b64 v[186:189], v207 offset0:11 offset1:12
	s_waitcnt vmcnt(58) lgkmcnt(3)
	v_fma_f64 v[132:133], -v[180:181], v[190:191], v[132:133]
	s_waitcnt vmcnt(55)
	v_fma_f64 v[176:177], -v[180:181], v[192:193], v[176:177]
	ds_read2_b64 v[190:193], v207 offset0:13 offset1:14
	s_waitcnt vmcnt(52) lgkmcnt(3)
	;; [unrolled: 5-line block ×3, first 2 shown]
	v_fma_f64 v[128:129], -v[180:181], v[186:187], v[128:129]
	s_waitcnt vmcnt(45)
	v_fma_f64 v[172:173], -v[180:181], v[188:189], v[172:173]
	s_waitcnt vmcnt(42) lgkmcnt(1)
	v_fma_f64 v[126:127], -v[180:181], v[190:191], v[126:127]
	ds_read2_b64 v[186:189], v207 offset0:17 offset1:18
	s_waitcnt vmcnt(39)
	v_fma_f64 v[170:171], -v[180:181], v[192:193], v[170:171]
	ds_read2_b64 v[190:193], v207 offset0:19 offset1:20
	s_waitcnt vmcnt(36) lgkmcnt(2)
	v_fma_f64 v[124:125], -v[180:181], v[194:195], v[124:125]
	s_waitcnt vmcnt(33)
	v_fma_f64 v[168:169], -v[180:181], v[196:197], v[168:169]
	s_waitcnt vmcnt(30) lgkmcnt(1)
	v_fma_f64 v[122:123], -v[180:181], v[186:187], v[122:123]
	ds_read2_b64 v[194:197], v207 offset0:21 offset1:22
	s_waitcnt vmcnt(27)
	v_fma_f64 v[166:167], -v[180:181], v[188:189], v[166:167]
	ds_read2_b64 v[186:189], v207 offset0:23 offset1:24
	s_waitcnt vmcnt(26) lgkmcnt(2)
	v_fma_f64 v[120:121], -v[180:181], v[190:191], v[120:121]
	s_waitcnt vmcnt(25)
	v_fma_f64 v[164:165], -v[180:181], v[192:193], v[164:165]
	ds_read2_b64 v[190:193], v207 offset0:25 offset1:26
	s_waitcnt vmcnt(24) lgkmcnt(2)
	v_fma_f64 v[118:119], -v[180:181], v[194:195], v[118:119]
	;; [unrolled: 5-line block ×3, first 2 shown]
	s_waitcnt vmcnt(21)
	v_fma_f64 v[160:161], -v[180:181], v[188:189], v[160:161]
	s_waitcnt vmcnt(20) lgkmcnt(1)
	v_fma_f64 v[114:115], -v[180:181], v[190:191], v[114:115]
	ds_read2_b64 v[186:189], v207 offset0:29 offset1:30
	s_waitcnt vmcnt(19)
	v_fma_f64 v[158:159], -v[180:181], v[192:193], v[158:159]
	ds_read2_b64 v[190:193], v207 offset0:31 offset1:32
	s_waitcnt vmcnt(18) lgkmcnt(2)
	v_fma_f64 v[112:113], -v[180:181], v[194:195], v[112:113]
	s_waitcnt vmcnt(17)
	v_fma_f64 v[156:157], -v[180:181], v[196:197], v[156:157]
	s_waitcnt vmcnt(16) lgkmcnt(1)
	v_fma_f64 v[110:111], -v[180:181], v[186:187], v[110:111]
	ds_read2_b64 v[194:197], v207 offset0:33 offset1:34
	s_waitcnt vmcnt(15)
	v_fma_f64 v[154:155], -v[180:181], v[188:189], v[154:155]
	ds_read2_b64 v[186:189], v207 offset0:35 offset1:36
	s_waitcnt vmcnt(14) lgkmcnt(2)
	v_fma_f64 v[108:109], -v[180:181], v[190:191], v[108:109]
	s_waitcnt vmcnt(13)
	v_fma_f64 v[152:153], -v[180:181], v[192:193], v[152:153]
	ds_read2_b64 v[190:193], v207 offset0:37 offset1:38
	s_waitcnt vmcnt(12) lgkmcnt(2)
	v_fma_f64 v[106:107], -v[180:181], v[194:195], v[106:107]
	s_waitcnt vmcnt(11)
	v_fma_f64 v[150:151], -v[180:181], v[196:197], v[150:151]
	ds_read2_b64 v[194:197], v207 offset0:39 offset1:40
	s_waitcnt vmcnt(10) lgkmcnt(2)
	v_fma_f64 v[104:105], -v[180:181], v[186:187], v[104:105]
	s_waitcnt vmcnt(9)
	v_fma_f64 v[148:149], -v[180:181], v[188:189], v[148:149]
	s_waitcnt vmcnt(8) lgkmcnt(1)
	v_fma_f64 v[102:103], -v[180:181], v[190:191], v[102:103]
	s_waitcnt vmcnt(7)
	v_fma_f64 v[146:147], -v[180:181], v[192:193], v[146:147]
	ds_read2_b64 v[186:189], v207 offset0:41 offset1:42
	ds_read2_b64 v[190:193], v207 offset0:43 offset1:44
	s_waitcnt vmcnt(6) lgkmcnt(2)
	v_fma_f64 v[100:101], -v[180:181], v[194:195], v[100:101]
	s_waitcnt vmcnt(5)
	v_fma_f64 v[144:145], -v[180:181], v[196:197], v[144:145]
	s_waitcnt vmcnt(0)
	v_fma_f64 v[184:185], -v[180:181], v[2:3], v[184:185]
	s_waitcnt lgkmcnt(1)
	v_fma_f64 v[98:99], -v[180:181], v[186:187], v[98:99]
	v_fma_f64 v[142:143], -v[180:181], v[188:189], v[142:143]
	s_waitcnt lgkmcnt(0)
	v_fma_f64 v[96:97], -v[180:181], v[190:191], v[96:97]
	v_fma_f64 v[140:141], -v[180:181], v[192:193], v[140:141]
.LBB91_26:
	s_or_b64 exec, exec, s[2:3]
	v_cmp_eq_u32_e32 vcc, 5, v208
	s_waitcnt lgkmcnt(0)
	s_barrier
	s_and_saveexec_b64 s[2:3], vcc
	s_cbranch_execz .LBB91_29
; %bb.27:
	s_waitcnt vmcnt(61)
	v_mov_b32_e32 v2, v178
	v_mov_b32_e32 v3, v179
	s_waitcnt vmcnt(58)
	v_mov_b32_e32 v186, v132
	v_mov_b32_e32 v187, v133
	ds_write_b64 v206, v[134:135]
	ds_write2_b64 v207, v[2:3], v[186:187] offset0:6 offset1:7
	s_waitcnt vmcnt(55)
	v_mov_b32_e32 v2, v176
	v_mov_b32_e32 v3, v177
	s_waitcnt vmcnt(52)
	v_mov_b32_e32 v186, v130
	v_mov_b32_e32 v187, v131
	ds_write2_b64 v207, v[2:3], v[186:187] offset0:8 offset1:9
	s_waitcnt vmcnt(49)
	v_mov_b32_e32 v2, v174
	v_mov_b32_e32 v3, v175
	s_waitcnt vmcnt(46)
	v_mov_b32_e32 v186, v128
	v_mov_b32_e32 v187, v129
	;; [unrolled: 7-line block ×18, first 2 shown]
	ds_write2_b64 v207, v[2:3], v[186:187] offset0:42 offset1:43
	s_waitcnt vmcnt(1)
	v_mov_b32_e32 v2, v140
	v_mov_b32_e32 v3, v141
	s_waitcnt vmcnt(0)
	ds_write2_b64 v207, v[2:3], v[184:185] offset0:44 offset1:45
	ds_read_b64 v[186:187], v206
	s_waitcnt lgkmcnt(0)
	v_cmp_neq_f64_e32 vcc, 0, v[186:187]
	s_and_b64 exec, exec, vcc
	s_cbranch_execz .LBB91_29
; %bb.28:
	v_div_scale_f64 v[2:3], s[6:7], v[186:187], v[186:187], 1.0
	v_rcp_f64_e32 v[188:189], v[2:3]
	v_div_scale_f64 v[190:191], vcc, 1.0, v[186:187], 1.0
	v_fma_f64 v[192:193], -v[2:3], v[188:189], 1.0
	v_fmac_f64_e32 v[188:189], v[188:189], v[192:193]
	v_fma_f64 v[192:193], -v[2:3], v[188:189], 1.0
	v_fmac_f64_e32 v[188:189], v[188:189], v[192:193]
	v_mul_f64 v[192:193], v[190:191], v[188:189]
	v_fma_f64 v[2:3], -v[2:3], v[192:193], v[190:191]
	v_div_fmas_f64 v[2:3], v[2:3], v[188:189], v[192:193]
	v_div_fixup_f64 v[2:3], v[2:3], v[186:187], 1.0
	ds_write_b64 v206, v[2:3]
.LBB91_29:
	s_or_b64 exec, exec, s[2:3]
	s_waitcnt lgkmcnt(0)
	s_barrier
	ds_read_b64 v[4:5], v206
	v_cmp_lt_u32_e32 vcc, 5, v208
	s_and_saveexec_b64 s[2:3], vcc
	s_cbranch_execz .LBB91_31
; %bb.30:
	ds_read2_b64 v[186:189], v207 offset0:6 offset1:7
	ds_read2_b64 v[190:193], v207 offset0:8 offset1:9
	s_waitcnt lgkmcnt(2)
	v_mul_f64 v[134:135], v[4:5], v[134:135]
	ds_read2_b64 v[194:197], v207 offset0:10 offset1:11
	s_waitcnt vmcnt(61) lgkmcnt(2)
	v_fma_f64 v[178:179], -v[134:135], v[186:187], v[178:179]
	s_waitcnt vmcnt(58)
	v_fma_f64 v[132:133], -v[134:135], v[188:189], v[132:133]
	ds_read2_b64 v[186:189], v207 offset0:12 offset1:13
	s_waitcnt vmcnt(55) lgkmcnt(2)
	v_fma_f64 v[176:177], -v[134:135], v[190:191], v[176:177]
	s_waitcnt vmcnt(52)
	v_fma_f64 v[130:131], -v[134:135], v[192:193], v[130:131]
	;; [unrolled: 5-line block ×4, first 2 shown]
	s_waitcnt vmcnt(39) lgkmcnt(1)
	v_fma_f64 v[170:171], -v[134:135], v[190:191], v[170:171]
	ds_read2_b64 v[186:189], v207 offset0:18 offset1:19
	s_waitcnt vmcnt(36)
	v_fma_f64 v[124:125], -v[134:135], v[192:193], v[124:125]
	ds_read2_b64 v[190:193], v207 offset0:20 offset1:21
	s_waitcnt vmcnt(33) lgkmcnt(2)
	v_fma_f64 v[168:169], -v[134:135], v[194:195], v[168:169]
	s_waitcnt vmcnt(30)
	v_fma_f64 v[122:123], -v[134:135], v[196:197], v[122:123]
	s_waitcnt vmcnt(27) lgkmcnt(1)
	v_fma_f64 v[166:167], -v[134:135], v[186:187], v[166:167]
	ds_read2_b64 v[194:197], v207 offset0:22 offset1:23
	s_waitcnt vmcnt(26)
	v_fma_f64 v[120:121], -v[134:135], v[188:189], v[120:121]
	ds_read2_b64 v[186:189], v207 offset0:24 offset1:25
	s_waitcnt vmcnt(25) lgkmcnt(2)
	v_fma_f64 v[164:165], -v[134:135], v[190:191], v[164:165]
	s_waitcnt vmcnt(24)
	v_fma_f64 v[118:119], -v[134:135], v[192:193], v[118:119]
	ds_read2_b64 v[190:193], v207 offset0:26 offset1:27
	s_waitcnt vmcnt(23) lgkmcnt(2)
	v_fma_f64 v[162:163], -v[134:135], v[194:195], v[162:163]
	;; [unrolled: 5-line block ×3, first 2 shown]
	s_waitcnt vmcnt(20)
	v_fma_f64 v[114:115], -v[134:135], v[188:189], v[114:115]
	s_waitcnt vmcnt(19) lgkmcnt(1)
	v_fma_f64 v[158:159], -v[134:135], v[190:191], v[158:159]
	ds_read2_b64 v[186:189], v207 offset0:30 offset1:31
	s_waitcnt vmcnt(18)
	v_fma_f64 v[112:113], -v[134:135], v[192:193], v[112:113]
	ds_read2_b64 v[190:193], v207 offset0:32 offset1:33
	s_waitcnt vmcnt(17) lgkmcnt(2)
	v_fma_f64 v[156:157], -v[134:135], v[194:195], v[156:157]
	s_waitcnt vmcnt(16)
	v_fma_f64 v[110:111], -v[134:135], v[196:197], v[110:111]
	s_waitcnt vmcnt(15) lgkmcnt(1)
	v_fma_f64 v[154:155], -v[134:135], v[186:187], v[154:155]
	ds_read2_b64 v[194:197], v207 offset0:34 offset1:35
	s_waitcnt vmcnt(14)
	v_fma_f64 v[108:109], -v[134:135], v[188:189], v[108:109]
	ds_read2_b64 v[186:189], v207 offset0:36 offset1:37
	s_waitcnt vmcnt(13) lgkmcnt(2)
	v_fma_f64 v[152:153], -v[134:135], v[190:191], v[152:153]
	s_waitcnt vmcnt(12)
	v_fma_f64 v[106:107], -v[134:135], v[192:193], v[106:107]
	ds_read2_b64 v[190:193], v207 offset0:38 offset1:39
	s_waitcnt vmcnt(11) lgkmcnt(2)
	v_fma_f64 v[150:151], -v[134:135], v[194:195], v[150:151]
	s_waitcnt vmcnt(10)
	v_fma_f64 v[104:105], -v[134:135], v[196:197], v[104:105]
	s_waitcnt vmcnt(9) lgkmcnt(1)
	v_fma_f64 v[148:149], -v[134:135], v[186:187], v[148:149]
	s_waitcnt vmcnt(8)
	v_fma_f64 v[102:103], -v[134:135], v[188:189], v[102:103]
	ds_read2_b64 v[186:189], v207 offset0:40 offset1:41
	s_waitcnt vmcnt(7) lgkmcnt(1)
	v_fma_f64 v[146:147], -v[134:135], v[190:191], v[146:147]
	ds_read2_b64 v[194:197], v207 offset0:42 offset1:43
	s_waitcnt vmcnt(6)
	v_fma_f64 v[100:101], -v[134:135], v[192:193], v[100:101]
	ds_read2_b64 v[190:193], v207 offset0:44 offset1:45
	s_waitcnt vmcnt(5) lgkmcnt(2)
	v_fma_f64 v[144:145], -v[134:135], v[186:187], v[144:145]
	s_waitcnt vmcnt(4)
	v_fma_f64 v[98:99], -v[134:135], v[188:189], v[98:99]
	s_waitcnt vmcnt(3) lgkmcnt(1)
	v_fma_f64 v[142:143], -v[134:135], v[194:195], v[142:143]
	s_waitcnt vmcnt(2)
	v_fma_f64 v[96:97], -v[134:135], v[196:197], v[96:97]
	s_waitcnt vmcnt(1) lgkmcnt(0)
	v_fma_f64 v[140:141], -v[134:135], v[190:191], v[140:141]
	s_waitcnt vmcnt(0)
	v_fma_f64 v[184:185], -v[134:135], v[192:193], v[184:185]
.LBB91_31:
	s_or_b64 exec, exec, s[2:3]
	v_cmp_eq_u32_e32 vcc, 6, v208
	s_waitcnt lgkmcnt(0)
	s_barrier
	s_and_saveexec_b64 s[2:3], vcc
	s_cbranch_execz .LBB91_34
; %bb.32:
	s_waitcnt vmcnt(61)
	ds_write_b64 v206, v[178:179]
	s_waitcnt vmcnt(55)
	ds_write2_b64 v207, v[132:133], v[176:177] offset0:7 offset1:8
	s_waitcnt vmcnt(49)
	ds_write2_b64 v207, v[130:131], v[174:175] offset0:9 offset1:10
	;; [unrolled: 2-line block ×19, first 2 shown]
	s_waitcnt vmcnt(0)
	ds_write_b64 v207, v[184:185] offset:360
	ds_read_b64 v[186:187], v206
	s_waitcnt lgkmcnt(0)
	v_cmp_neq_f64_e32 vcc, 0, v[186:187]
	s_and_b64 exec, exec, vcc
	s_cbranch_execz .LBB91_34
; %bb.33:
	v_div_scale_f64 v[2:3], s[6:7], v[186:187], v[186:187], 1.0
	v_rcp_f64_e32 v[188:189], v[2:3]
	v_div_scale_f64 v[190:191], vcc, 1.0, v[186:187], 1.0
	v_fma_f64 v[192:193], -v[2:3], v[188:189], 1.0
	v_fmac_f64_e32 v[188:189], v[188:189], v[192:193]
	v_fma_f64 v[192:193], -v[2:3], v[188:189], 1.0
	v_fmac_f64_e32 v[188:189], v[188:189], v[192:193]
	v_mul_f64 v[192:193], v[190:191], v[188:189]
	v_fma_f64 v[2:3], -v[2:3], v[192:193], v[190:191]
	v_div_fmas_f64 v[2:3], v[2:3], v[188:189], v[192:193]
	v_div_fixup_f64 v[2:3], v[2:3], v[186:187], 1.0
	ds_write_b64 v206, v[2:3]
.LBB91_34:
	s_or_b64 exec, exec, s[2:3]
	s_waitcnt lgkmcnt(0)
	s_barrier
	ds_read_b64 v[6:7], v206
	v_cmp_lt_u32_e32 vcc, 6, v208
	s_and_saveexec_b64 s[2:3], vcc
	s_cbranch_execz .LBB91_36
; %bb.35:
	ds_read2_b64 v[186:189], v207 offset0:7 offset1:8
	ds_read2_b64 v[190:193], v207 offset0:9 offset1:10
	s_waitcnt vmcnt(61) lgkmcnt(2)
	v_mul_f64 v[178:179], v[6:7], v[178:179]
	ds_read2_b64 v[194:197], v207 offset0:11 offset1:12
	ds_read_b64 v[2:3], v207 offset:360
	s_waitcnt vmcnt(58) lgkmcnt(3)
	v_fma_f64 v[132:133], -v[178:179], v[186:187], v[132:133]
	s_waitcnt vmcnt(55)
	v_fma_f64 v[176:177], -v[178:179], v[188:189], v[176:177]
	ds_read2_b64 v[186:189], v207 offset0:13 offset1:14
	s_waitcnt vmcnt(52) lgkmcnt(3)
	v_fma_f64 v[130:131], -v[178:179], v[190:191], v[130:131]
	s_waitcnt vmcnt(49)
	v_fma_f64 v[174:175], -v[178:179], v[192:193], v[174:175]
	s_waitcnt vmcnt(46) lgkmcnt(2)
	v_fma_f64 v[128:129], -v[178:179], v[194:195], v[128:129]
	ds_read2_b64 v[190:193], v207 offset0:15 offset1:16
	s_waitcnt vmcnt(45)
	v_fma_f64 v[172:173], -v[178:179], v[196:197], v[172:173]
	ds_read2_b64 v[194:197], v207 offset0:17 offset1:18
	s_waitcnt vmcnt(42) lgkmcnt(2)
	v_fma_f64 v[126:127], -v[178:179], v[186:187], v[126:127]
	s_waitcnt vmcnt(39)
	v_fma_f64 v[170:171], -v[178:179], v[188:189], v[170:171]
	ds_read2_b64 v[186:189], v207 offset0:19 offset1:20
	s_waitcnt vmcnt(36) lgkmcnt(2)
	v_fma_f64 v[124:125], -v[178:179], v[190:191], v[124:125]
	;; [unrolled: 5-line block ×3, first 2 shown]
	s_waitcnt vmcnt(27)
	v_fma_f64 v[166:167], -v[178:179], v[196:197], v[166:167]
	s_waitcnt vmcnt(26) lgkmcnt(1)
	v_fma_f64 v[120:121], -v[178:179], v[186:187], v[120:121]
	ds_read2_b64 v[194:197], v207 offset0:23 offset1:24
	s_waitcnt vmcnt(25)
	v_fma_f64 v[164:165], -v[178:179], v[188:189], v[164:165]
	ds_read2_b64 v[186:189], v207 offset0:25 offset1:26
	s_waitcnt vmcnt(24) lgkmcnt(2)
	v_fma_f64 v[118:119], -v[178:179], v[190:191], v[118:119]
	s_waitcnt vmcnt(23)
	v_fma_f64 v[162:163], -v[178:179], v[192:193], v[162:163]
	s_waitcnt vmcnt(22) lgkmcnt(1)
	v_fma_f64 v[116:117], -v[178:179], v[194:195], v[116:117]
	ds_read2_b64 v[190:193], v207 offset0:27 offset1:28
	s_waitcnt vmcnt(21)
	v_fma_f64 v[160:161], -v[178:179], v[196:197], v[160:161]
	ds_read2_b64 v[194:197], v207 offset0:29 offset1:30
	s_waitcnt vmcnt(20) lgkmcnt(2)
	v_fma_f64 v[114:115], -v[178:179], v[186:187], v[114:115]
	s_waitcnt vmcnt(19)
	v_fma_f64 v[158:159], -v[178:179], v[188:189], v[158:159]
	ds_read2_b64 v[186:189], v207 offset0:31 offset1:32
	s_waitcnt vmcnt(18) lgkmcnt(2)
	v_fma_f64 v[112:113], -v[178:179], v[190:191], v[112:113]
	;; [unrolled: 5-line block ×3, first 2 shown]
	s_waitcnt vmcnt(15)
	v_fma_f64 v[154:155], -v[178:179], v[196:197], v[154:155]
	s_waitcnt vmcnt(14) lgkmcnt(1)
	v_fma_f64 v[108:109], -v[178:179], v[186:187], v[108:109]
	ds_read2_b64 v[194:197], v207 offset0:35 offset1:36
	s_waitcnt vmcnt(13)
	v_fma_f64 v[152:153], -v[178:179], v[188:189], v[152:153]
	ds_read2_b64 v[186:189], v207 offset0:37 offset1:38
	s_waitcnt vmcnt(12) lgkmcnt(2)
	v_fma_f64 v[106:107], -v[178:179], v[190:191], v[106:107]
	s_waitcnt vmcnt(11)
	v_fma_f64 v[150:151], -v[178:179], v[192:193], v[150:151]
	s_waitcnt vmcnt(10) lgkmcnt(1)
	v_fma_f64 v[104:105], -v[178:179], v[194:195], v[104:105]
	ds_read2_b64 v[190:193], v207 offset0:39 offset1:40
	s_waitcnt vmcnt(9)
	v_fma_f64 v[148:149], -v[178:179], v[196:197], v[148:149]
	s_waitcnt vmcnt(8) lgkmcnt(1)
	v_fma_f64 v[102:103], -v[178:179], v[186:187], v[102:103]
	s_waitcnt vmcnt(7)
	v_fma_f64 v[146:147], -v[178:179], v[188:189], v[146:147]
	ds_read2_b64 v[186:189], v207 offset0:41 offset1:42
	ds_read2_b64 v[194:197], v207 offset0:43 offset1:44
	s_waitcnt vmcnt(6) lgkmcnt(2)
	v_fma_f64 v[100:101], -v[178:179], v[190:191], v[100:101]
	s_waitcnt vmcnt(5)
	v_fma_f64 v[144:145], -v[178:179], v[192:193], v[144:145]
	s_waitcnt vmcnt(0)
	v_fma_f64 v[184:185], -v[178:179], v[2:3], v[184:185]
	s_waitcnt lgkmcnt(1)
	v_fma_f64 v[98:99], -v[178:179], v[186:187], v[98:99]
	v_fma_f64 v[142:143], -v[178:179], v[188:189], v[142:143]
	s_waitcnt lgkmcnt(0)
	v_fma_f64 v[96:97], -v[178:179], v[194:195], v[96:97]
	v_fma_f64 v[140:141], -v[178:179], v[196:197], v[140:141]
.LBB91_36:
	s_or_b64 exec, exec, s[2:3]
	v_cmp_eq_u32_e32 vcc, 7, v208
	s_waitcnt lgkmcnt(0)
	s_barrier
	s_and_saveexec_b64 s[2:3], vcc
	s_cbranch_execz .LBB91_39
; %bb.37:
	s_waitcnt vmcnt(55)
	v_mov_b32_e32 v2, v176
	v_mov_b32_e32 v3, v177
	s_waitcnt vmcnt(52)
	v_mov_b32_e32 v186, v130
	v_mov_b32_e32 v187, v131
	ds_write_b64 v206, v[132:133]
	ds_write2_b64 v207, v[2:3], v[186:187] offset0:8 offset1:9
	s_waitcnt vmcnt(49)
	v_mov_b32_e32 v2, v174
	v_mov_b32_e32 v3, v175
	s_waitcnt vmcnt(46)
	v_mov_b32_e32 v186, v128
	v_mov_b32_e32 v187, v129
	ds_write2_b64 v207, v[2:3], v[186:187] offset0:10 offset1:11
	s_waitcnt vmcnt(45)
	v_mov_b32_e32 v2, v172
	v_mov_b32_e32 v3, v173
	s_waitcnt vmcnt(42)
	v_mov_b32_e32 v186, v126
	v_mov_b32_e32 v187, v127
	;; [unrolled: 7-line block ×17, first 2 shown]
	ds_write2_b64 v207, v[2:3], v[186:187] offset0:42 offset1:43
	s_waitcnt vmcnt(1)
	v_mov_b32_e32 v2, v140
	v_mov_b32_e32 v3, v141
	s_waitcnt vmcnt(0)
	ds_write2_b64 v207, v[2:3], v[184:185] offset0:44 offset1:45
	ds_read_b64 v[186:187], v206
	s_waitcnt lgkmcnt(0)
	v_cmp_neq_f64_e32 vcc, 0, v[186:187]
	s_and_b64 exec, exec, vcc
	s_cbranch_execz .LBB91_39
; %bb.38:
	v_div_scale_f64 v[2:3], s[6:7], v[186:187], v[186:187], 1.0
	v_rcp_f64_e32 v[188:189], v[2:3]
	v_div_scale_f64 v[190:191], vcc, 1.0, v[186:187], 1.0
	v_fma_f64 v[192:193], -v[2:3], v[188:189], 1.0
	v_fmac_f64_e32 v[188:189], v[188:189], v[192:193]
	v_fma_f64 v[192:193], -v[2:3], v[188:189], 1.0
	v_fmac_f64_e32 v[188:189], v[188:189], v[192:193]
	v_mul_f64 v[192:193], v[190:191], v[188:189]
	v_fma_f64 v[2:3], -v[2:3], v[192:193], v[190:191]
	v_div_fmas_f64 v[2:3], v[2:3], v[188:189], v[192:193]
	v_div_fixup_f64 v[2:3], v[2:3], v[186:187], 1.0
	ds_write_b64 v206, v[2:3]
.LBB91_39:
	s_or_b64 exec, exec, s[2:3]
	s_waitcnt lgkmcnt(0)
	s_barrier
	ds_read_b64 v[8:9], v206
	v_cmp_lt_u32_e32 vcc, 7, v208
	s_and_saveexec_b64 s[2:3], vcc
	s_cbranch_execz .LBB91_41
; %bb.40:
	ds_read2_b64 v[186:189], v207 offset0:8 offset1:9
	ds_read2_b64 v[190:193], v207 offset0:10 offset1:11
	s_waitcnt vmcnt(58) lgkmcnt(2)
	v_mul_f64 v[132:133], v[8:9], v[132:133]
	ds_read2_b64 v[194:197], v207 offset0:12 offset1:13
	s_waitcnt vmcnt(55) lgkmcnt(2)
	v_fma_f64 v[176:177], -v[132:133], v[186:187], v[176:177]
	s_waitcnt vmcnt(52)
	v_fma_f64 v[130:131], -v[132:133], v[188:189], v[130:131]
	ds_read2_b64 v[186:189], v207 offset0:14 offset1:15
	s_waitcnt vmcnt(49) lgkmcnt(2)
	v_fma_f64 v[174:175], -v[132:133], v[190:191], v[174:175]
	s_waitcnt vmcnt(46)
	v_fma_f64 v[128:129], -v[132:133], v[192:193], v[128:129]
	s_waitcnt vmcnt(45) lgkmcnt(1)
	v_fma_f64 v[172:173], -v[132:133], v[194:195], v[172:173]
	ds_read2_b64 v[190:193], v207 offset0:16 offset1:17
	s_waitcnt vmcnt(42)
	v_fma_f64 v[126:127], -v[132:133], v[196:197], v[126:127]
	ds_read2_b64 v[194:197], v207 offset0:18 offset1:19
	s_waitcnt vmcnt(39) lgkmcnt(2)
	v_fma_f64 v[170:171], -v[132:133], v[186:187], v[170:171]
	s_waitcnt vmcnt(36)
	v_fma_f64 v[124:125], -v[132:133], v[188:189], v[124:125]
	ds_read2_b64 v[186:189], v207 offset0:20 offset1:21
	s_waitcnt vmcnt(33) lgkmcnt(2)
	v_fma_f64 v[168:169], -v[132:133], v[190:191], v[168:169]
	;; [unrolled: 5-line block ×3, first 2 shown]
	s_waitcnt vmcnt(26)
	v_fma_f64 v[120:121], -v[132:133], v[196:197], v[120:121]
	s_waitcnt vmcnt(25) lgkmcnt(1)
	v_fma_f64 v[164:165], -v[132:133], v[186:187], v[164:165]
	ds_read2_b64 v[194:197], v207 offset0:24 offset1:25
	s_waitcnt vmcnt(24)
	v_fma_f64 v[118:119], -v[132:133], v[188:189], v[118:119]
	ds_read2_b64 v[186:189], v207 offset0:26 offset1:27
	s_waitcnt vmcnt(23) lgkmcnt(2)
	v_fma_f64 v[162:163], -v[132:133], v[190:191], v[162:163]
	s_waitcnt vmcnt(22)
	v_fma_f64 v[116:117], -v[132:133], v[192:193], v[116:117]
	s_waitcnt vmcnt(21) lgkmcnt(1)
	v_fma_f64 v[160:161], -v[132:133], v[194:195], v[160:161]
	ds_read2_b64 v[190:193], v207 offset0:28 offset1:29
	s_waitcnt vmcnt(20)
	v_fma_f64 v[114:115], -v[132:133], v[196:197], v[114:115]
	ds_read2_b64 v[194:197], v207 offset0:30 offset1:31
	s_waitcnt vmcnt(19) lgkmcnt(2)
	v_fma_f64 v[158:159], -v[132:133], v[186:187], v[158:159]
	s_waitcnt vmcnt(18)
	v_fma_f64 v[112:113], -v[132:133], v[188:189], v[112:113]
	ds_read2_b64 v[186:189], v207 offset0:32 offset1:33
	s_waitcnt vmcnt(17) lgkmcnt(2)
	v_fma_f64 v[156:157], -v[132:133], v[190:191], v[156:157]
	;; [unrolled: 5-line block ×3, first 2 shown]
	s_waitcnt vmcnt(14)
	v_fma_f64 v[108:109], -v[132:133], v[196:197], v[108:109]
	s_waitcnt vmcnt(13) lgkmcnt(1)
	v_fma_f64 v[152:153], -v[132:133], v[186:187], v[152:153]
	ds_read2_b64 v[194:197], v207 offset0:36 offset1:37
	s_waitcnt vmcnt(12)
	v_fma_f64 v[106:107], -v[132:133], v[188:189], v[106:107]
	ds_read2_b64 v[186:189], v207 offset0:38 offset1:39
	s_waitcnt vmcnt(11) lgkmcnt(2)
	v_fma_f64 v[150:151], -v[132:133], v[190:191], v[150:151]
	s_waitcnt vmcnt(10)
	v_fma_f64 v[104:105], -v[132:133], v[192:193], v[104:105]
	s_waitcnt vmcnt(9) lgkmcnt(1)
	v_fma_f64 v[148:149], -v[132:133], v[194:195], v[148:149]
	s_waitcnt vmcnt(8)
	v_fma_f64 v[102:103], -v[132:133], v[196:197], v[102:103]
	ds_read2_b64 v[190:193], v207 offset0:40 offset1:41
	ds_read2_b64 v[194:197], v207 offset0:42 offset1:43
	s_waitcnt vmcnt(7) lgkmcnt(2)
	v_fma_f64 v[146:147], -v[132:133], v[186:187], v[146:147]
	s_waitcnt vmcnt(6)
	v_fma_f64 v[100:101], -v[132:133], v[188:189], v[100:101]
	ds_read2_b64 v[186:189], v207 offset0:44 offset1:45
	s_waitcnt vmcnt(5) lgkmcnt(2)
	v_fma_f64 v[144:145], -v[132:133], v[190:191], v[144:145]
	s_waitcnt vmcnt(4)
	v_fma_f64 v[98:99], -v[132:133], v[192:193], v[98:99]
	s_waitcnt vmcnt(3) lgkmcnt(1)
	v_fma_f64 v[142:143], -v[132:133], v[194:195], v[142:143]
	s_waitcnt vmcnt(2)
	v_fma_f64 v[96:97], -v[132:133], v[196:197], v[96:97]
	;; [unrolled: 4-line block ×3, first 2 shown]
.LBB91_41:
	s_or_b64 exec, exec, s[2:3]
	v_cmp_eq_u32_e32 vcc, 8, v208
	s_waitcnt lgkmcnt(0)
	s_barrier
	s_and_saveexec_b64 s[2:3], vcc
	s_cbranch_execz .LBB91_44
; %bb.42:
	s_waitcnt vmcnt(55)
	ds_write_b64 v206, v[176:177]
	s_waitcnt vmcnt(49)
	ds_write2_b64 v207, v[130:131], v[174:175] offset0:9 offset1:10
	s_waitcnt vmcnt(45)
	ds_write2_b64 v207, v[128:129], v[172:173] offset0:11 offset1:12
	;; [unrolled: 2-line block ×18, first 2 shown]
	s_waitcnt vmcnt(0)
	ds_write_b64 v207, v[184:185] offset:360
	ds_read_b64 v[186:187], v206
	s_waitcnt lgkmcnt(0)
	v_cmp_neq_f64_e32 vcc, 0, v[186:187]
	s_and_b64 exec, exec, vcc
	s_cbranch_execz .LBB91_44
; %bb.43:
	v_div_scale_f64 v[2:3], s[6:7], v[186:187], v[186:187], 1.0
	v_rcp_f64_e32 v[188:189], v[2:3]
	v_div_scale_f64 v[190:191], vcc, 1.0, v[186:187], 1.0
	v_fma_f64 v[192:193], -v[2:3], v[188:189], 1.0
	v_fmac_f64_e32 v[188:189], v[188:189], v[192:193]
	v_fma_f64 v[192:193], -v[2:3], v[188:189], 1.0
	v_fmac_f64_e32 v[188:189], v[188:189], v[192:193]
	v_mul_f64 v[192:193], v[190:191], v[188:189]
	v_fma_f64 v[2:3], -v[2:3], v[192:193], v[190:191]
	v_div_fmas_f64 v[2:3], v[2:3], v[188:189], v[192:193]
	v_div_fixup_f64 v[2:3], v[2:3], v[186:187], 1.0
	ds_write_b64 v206, v[2:3]
.LBB91_44:
	s_or_b64 exec, exec, s[2:3]
	s_waitcnt lgkmcnt(0)
	s_barrier
	ds_read_b64 v[10:11], v206
	v_cmp_lt_u32_e32 vcc, 8, v208
	s_and_saveexec_b64 s[2:3], vcc
	s_cbranch_execz .LBB91_46
; %bb.45:
	ds_read2_b64 v[186:189], v207 offset0:9 offset1:10
	ds_read2_b64 v[190:193], v207 offset0:11 offset1:12
	;; [unrolled: 1-line block ×3, first 2 shown]
	s_waitcnt vmcnt(55) lgkmcnt(3)
	v_mul_f64 v[176:177], v[10:11], v[176:177]
	ds_read_b64 v[2:3], v207 offset:360
	s_waitcnt vmcnt(52) lgkmcnt(3)
	v_fma_f64 v[130:131], -v[176:177], v[186:187], v[130:131]
	s_waitcnt vmcnt(49)
	v_fma_f64 v[174:175], -v[176:177], v[188:189], v[174:175]
	ds_read2_b64 v[186:189], v207 offset0:15 offset1:16
	s_waitcnt vmcnt(46) lgkmcnt(3)
	v_fma_f64 v[128:129], -v[176:177], v[190:191], v[128:129]
	s_waitcnt vmcnt(45)
	v_fma_f64 v[172:173], -v[176:177], v[192:193], v[172:173]
	s_waitcnt vmcnt(42) lgkmcnt(2)
	v_fma_f64 v[126:127], -v[176:177], v[194:195], v[126:127]
	ds_read2_b64 v[190:193], v207 offset0:17 offset1:18
	s_waitcnt vmcnt(39)
	v_fma_f64 v[170:171], -v[176:177], v[196:197], v[170:171]
	ds_read2_b64 v[194:197], v207 offset0:19 offset1:20
	s_waitcnt vmcnt(36) lgkmcnt(2)
	v_fma_f64 v[124:125], -v[176:177], v[186:187], v[124:125]
	s_waitcnt vmcnt(33)
	v_fma_f64 v[168:169], -v[176:177], v[188:189], v[168:169]
	s_waitcnt vmcnt(30) lgkmcnt(1)
	v_fma_f64 v[122:123], -v[176:177], v[190:191], v[122:123]
	ds_read2_b64 v[186:189], v207 offset0:21 offset1:22
	s_waitcnt vmcnt(27)
	v_fma_f64 v[166:167], -v[176:177], v[192:193], v[166:167]
	ds_read2_b64 v[190:193], v207 offset0:23 offset1:24
	s_waitcnt vmcnt(26) lgkmcnt(2)
	v_fma_f64 v[120:121], -v[176:177], v[194:195], v[120:121]
	s_waitcnt vmcnt(25)
	v_fma_f64 v[164:165], -v[176:177], v[196:197], v[164:165]
	ds_read2_b64 v[194:197], v207 offset0:25 offset1:26
	s_waitcnt vmcnt(24) lgkmcnt(2)
	v_fma_f64 v[118:119], -v[176:177], v[186:187], v[118:119]
	s_waitcnt vmcnt(23)
	v_fma_f64 v[162:163], -v[176:177], v[188:189], v[162:163]
	ds_read2_b64 v[186:189], v207 offset0:27 offset1:28
	s_waitcnt vmcnt(22) lgkmcnt(2)
	v_fma_f64 v[116:117], -v[176:177], v[190:191], v[116:117]
	s_waitcnt vmcnt(21)
	v_fma_f64 v[160:161], -v[176:177], v[192:193], v[160:161]
	s_waitcnt vmcnt(20) lgkmcnt(1)
	v_fma_f64 v[114:115], -v[176:177], v[194:195], v[114:115]
	ds_read2_b64 v[190:193], v207 offset0:29 offset1:30
	s_waitcnt vmcnt(19)
	v_fma_f64 v[158:159], -v[176:177], v[196:197], v[158:159]
	ds_read2_b64 v[194:197], v207 offset0:31 offset1:32
	s_waitcnt vmcnt(18) lgkmcnt(2)
	v_fma_f64 v[112:113], -v[176:177], v[186:187], v[112:113]
	s_waitcnt vmcnt(17)
	v_fma_f64 v[156:157], -v[176:177], v[188:189], v[156:157]
	s_waitcnt vmcnt(16) lgkmcnt(1)
	v_fma_f64 v[110:111], -v[176:177], v[190:191], v[110:111]
	ds_read2_b64 v[186:189], v207 offset0:33 offset1:34
	s_waitcnt vmcnt(15)
	v_fma_f64 v[154:155], -v[176:177], v[192:193], v[154:155]
	ds_read2_b64 v[190:193], v207 offset0:35 offset1:36
	s_waitcnt vmcnt(14) lgkmcnt(2)
	v_fma_f64 v[108:109], -v[176:177], v[194:195], v[108:109]
	s_waitcnt vmcnt(13)
	v_fma_f64 v[152:153], -v[176:177], v[196:197], v[152:153]
	ds_read2_b64 v[194:197], v207 offset0:37 offset1:38
	s_waitcnt vmcnt(12) lgkmcnt(2)
	v_fma_f64 v[106:107], -v[176:177], v[186:187], v[106:107]
	;; [unrolled: 5-line block ×3, first 2 shown]
	s_waitcnt vmcnt(9)
	v_fma_f64 v[148:149], -v[176:177], v[192:193], v[148:149]
	s_waitcnt vmcnt(8) lgkmcnt(1)
	v_fma_f64 v[102:103], -v[176:177], v[194:195], v[102:103]
	s_waitcnt vmcnt(7)
	v_fma_f64 v[146:147], -v[176:177], v[196:197], v[146:147]
	ds_read2_b64 v[190:193], v207 offset0:41 offset1:42
	ds_read2_b64 v[194:197], v207 offset0:43 offset1:44
	s_waitcnt vmcnt(6) lgkmcnt(2)
	v_fma_f64 v[100:101], -v[176:177], v[186:187], v[100:101]
	s_waitcnt vmcnt(5)
	v_fma_f64 v[144:145], -v[176:177], v[188:189], v[144:145]
	s_waitcnt vmcnt(0)
	v_fma_f64 v[184:185], -v[176:177], v[2:3], v[184:185]
	s_waitcnt lgkmcnt(1)
	v_fma_f64 v[98:99], -v[176:177], v[190:191], v[98:99]
	v_fma_f64 v[142:143], -v[176:177], v[192:193], v[142:143]
	s_waitcnt lgkmcnt(0)
	v_fma_f64 v[96:97], -v[176:177], v[194:195], v[96:97]
	v_fma_f64 v[140:141], -v[176:177], v[196:197], v[140:141]
.LBB91_46:
	s_or_b64 exec, exec, s[2:3]
	v_cmp_eq_u32_e32 vcc, 9, v208
	s_waitcnt lgkmcnt(0)
	s_barrier
	s_and_saveexec_b64 s[2:3], vcc
	s_cbranch_execz .LBB91_49
; %bb.47:
	s_waitcnt vmcnt(49)
	v_mov_b32_e32 v2, v174
	v_mov_b32_e32 v3, v175
	s_waitcnt vmcnt(46)
	v_mov_b32_e32 v186, v128
	v_mov_b32_e32 v187, v129
	ds_write_b64 v206, v[130:131]
	ds_write2_b64 v207, v[2:3], v[186:187] offset0:10 offset1:11
	s_waitcnt vmcnt(45)
	v_mov_b32_e32 v2, v172
	v_mov_b32_e32 v3, v173
	s_waitcnt vmcnt(42)
	v_mov_b32_e32 v186, v126
	v_mov_b32_e32 v187, v127
	ds_write2_b64 v207, v[2:3], v[186:187] offset0:12 offset1:13
	s_waitcnt vmcnt(39)
	v_mov_b32_e32 v2, v170
	v_mov_b32_e32 v3, v171
	s_waitcnt vmcnt(36)
	v_mov_b32_e32 v186, v124
	v_mov_b32_e32 v187, v125
	;; [unrolled: 7-line block ×16, first 2 shown]
	ds_write2_b64 v207, v[2:3], v[186:187] offset0:42 offset1:43
	s_waitcnt vmcnt(1)
	v_mov_b32_e32 v2, v140
	v_mov_b32_e32 v3, v141
	s_waitcnt vmcnt(0)
	ds_write2_b64 v207, v[2:3], v[184:185] offset0:44 offset1:45
	ds_read_b64 v[186:187], v206
	s_waitcnt lgkmcnt(0)
	v_cmp_neq_f64_e32 vcc, 0, v[186:187]
	s_and_b64 exec, exec, vcc
	s_cbranch_execz .LBB91_49
; %bb.48:
	v_div_scale_f64 v[2:3], s[6:7], v[186:187], v[186:187], 1.0
	v_rcp_f64_e32 v[188:189], v[2:3]
	v_div_scale_f64 v[190:191], vcc, 1.0, v[186:187], 1.0
	v_fma_f64 v[192:193], -v[2:3], v[188:189], 1.0
	v_fmac_f64_e32 v[188:189], v[188:189], v[192:193]
	v_fma_f64 v[192:193], -v[2:3], v[188:189], 1.0
	v_fmac_f64_e32 v[188:189], v[188:189], v[192:193]
	v_mul_f64 v[192:193], v[190:191], v[188:189]
	v_fma_f64 v[2:3], -v[2:3], v[192:193], v[190:191]
	v_div_fmas_f64 v[2:3], v[2:3], v[188:189], v[192:193]
	v_div_fixup_f64 v[2:3], v[2:3], v[186:187], 1.0
	ds_write_b64 v206, v[2:3]
.LBB91_49:
	s_or_b64 exec, exec, s[2:3]
	s_waitcnt lgkmcnt(0)
	s_barrier
	ds_read_b64 v[12:13], v206
	v_cmp_lt_u32_e32 vcc, 9, v208
	s_and_saveexec_b64 s[2:3], vcc
	s_cbranch_execz .LBB91_51
; %bb.50:
	ds_read2_b64 v[186:189], v207 offset0:10 offset1:11
	ds_read2_b64 v[190:193], v207 offset0:12 offset1:13
	;; [unrolled: 1-line block ×3, first 2 shown]
	s_waitcnt vmcnt(52) lgkmcnt(3)
	v_mul_f64 v[130:131], v[12:13], v[130:131]
	s_waitcnt vmcnt(49) lgkmcnt(2)
	v_fma_f64 v[174:175], -v[130:131], v[186:187], v[174:175]
	s_waitcnt vmcnt(46)
	v_fma_f64 v[128:129], -v[130:131], v[188:189], v[128:129]
	ds_read2_b64 v[186:189], v207 offset0:16 offset1:17
	s_waitcnt vmcnt(45) lgkmcnt(2)
	v_fma_f64 v[172:173], -v[130:131], v[190:191], v[172:173]
	s_waitcnt vmcnt(42)
	v_fma_f64 v[126:127], -v[130:131], v[192:193], v[126:127]
	s_waitcnt vmcnt(39) lgkmcnt(1)
	v_fma_f64 v[170:171], -v[130:131], v[194:195], v[170:171]
	ds_read2_b64 v[190:193], v207 offset0:18 offset1:19
	s_waitcnt vmcnt(36)
	v_fma_f64 v[124:125], -v[130:131], v[196:197], v[124:125]
	ds_read2_b64 v[194:197], v207 offset0:20 offset1:21
	s_waitcnt vmcnt(33) lgkmcnt(2)
	v_fma_f64 v[168:169], -v[130:131], v[186:187], v[168:169]
	s_waitcnt vmcnt(30)
	v_fma_f64 v[122:123], -v[130:131], v[188:189], v[122:123]
	s_waitcnt vmcnt(27) lgkmcnt(1)
	v_fma_f64 v[166:167], -v[130:131], v[190:191], v[166:167]
	ds_read2_b64 v[186:189], v207 offset0:22 offset1:23
	s_waitcnt vmcnt(26)
	v_fma_f64 v[120:121], -v[130:131], v[192:193], v[120:121]
	ds_read2_b64 v[190:193], v207 offset0:24 offset1:25
	s_waitcnt vmcnt(25) lgkmcnt(2)
	v_fma_f64 v[164:165], -v[130:131], v[194:195], v[164:165]
	s_waitcnt vmcnt(24)
	v_fma_f64 v[118:119], -v[130:131], v[196:197], v[118:119]
	ds_read2_b64 v[194:197], v207 offset0:26 offset1:27
	s_waitcnt vmcnt(23) lgkmcnt(2)
	v_fma_f64 v[162:163], -v[130:131], v[186:187], v[162:163]
	;; [unrolled: 5-line block ×3, first 2 shown]
	s_waitcnt vmcnt(20)
	v_fma_f64 v[114:115], -v[130:131], v[192:193], v[114:115]
	s_waitcnt vmcnt(19) lgkmcnt(1)
	v_fma_f64 v[158:159], -v[130:131], v[194:195], v[158:159]
	ds_read2_b64 v[190:193], v207 offset0:30 offset1:31
	s_waitcnt vmcnt(18)
	v_fma_f64 v[112:113], -v[130:131], v[196:197], v[112:113]
	ds_read2_b64 v[194:197], v207 offset0:32 offset1:33
	s_waitcnt vmcnt(17) lgkmcnt(2)
	v_fma_f64 v[156:157], -v[130:131], v[186:187], v[156:157]
	s_waitcnt vmcnt(16)
	v_fma_f64 v[110:111], -v[130:131], v[188:189], v[110:111]
	s_waitcnt vmcnt(15) lgkmcnt(1)
	v_fma_f64 v[154:155], -v[130:131], v[190:191], v[154:155]
	ds_read2_b64 v[186:189], v207 offset0:34 offset1:35
	s_waitcnt vmcnt(14)
	v_fma_f64 v[108:109], -v[130:131], v[192:193], v[108:109]
	ds_read2_b64 v[190:193], v207 offset0:36 offset1:37
	s_waitcnt vmcnt(13) lgkmcnt(2)
	v_fma_f64 v[152:153], -v[130:131], v[194:195], v[152:153]
	s_waitcnt vmcnt(12)
	v_fma_f64 v[106:107], -v[130:131], v[196:197], v[106:107]
	ds_read2_b64 v[194:197], v207 offset0:38 offset1:39
	s_waitcnt vmcnt(11) lgkmcnt(2)
	v_fma_f64 v[150:151], -v[130:131], v[186:187], v[150:151]
	;; [unrolled: 5-line block ×3, first 2 shown]
	s_waitcnt vmcnt(8)
	v_fma_f64 v[102:103], -v[130:131], v[192:193], v[102:103]
	s_waitcnt vmcnt(7) lgkmcnt(1)
	v_fma_f64 v[146:147], -v[130:131], v[194:195], v[146:147]
	ds_read2_b64 v[190:193], v207 offset0:42 offset1:43
	s_waitcnt vmcnt(6)
	v_fma_f64 v[100:101], -v[130:131], v[196:197], v[100:101]
	ds_read2_b64 v[194:197], v207 offset0:44 offset1:45
	s_waitcnt vmcnt(5) lgkmcnt(2)
	v_fma_f64 v[144:145], -v[130:131], v[186:187], v[144:145]
	s_waitcnt vmcnt(4)
	v_fma_f64 v[98:99], -v[130:131], v[188:189], v[98:99]
	s_waitcnt vmcnt(3) lgkmcnt(1)
	v_fma_f64 v[142:143], -v[130:131], v[190:191], v[142:143]
	s_waitcnt vmcnt(2)
	v_fma_f64 v[96:97], -v[130:131], v[192:193], v[96:97]
	;; [unrolled: 4-line block ×3, first 2 shown]
.LBB91_51:
	s_or_b64 exec, exec, s[2:3]
	v_cmp_eq_u32_e32 vcc, 10, v208
	s_waitcnt lgkmcnt(0)
	s_barrier
	s_and_saveexec_b64 s[2:3], vcc
	s_cbranch_execz .LBB91_54
; %bb.52:
	s_waitcnt vmcnt(49)
	ds_write_b64 v206, v[174:175]
	s_waitcnt vmcnt(45)
	ds_write2_b64 v207, v[128:129], v[172:173] offset0:11 offset1:12
	s_waitcnt vmcnt(39)
	ds_write2_b64 v207, v[126:127], v[170:171] offset0:13 offset1:14
	;; [unrolled: 2-line block ×17, first 2 shown]
	s_waitcnt vmcnt(0)
	ds_write_b64 v207, v[184:185] offset:360
	ds_read_b64 v[186:187], v206
	s_waitcnt lgkmcnt(0)
	v_cmp_neq_f64_e32 vcc, 0, v[186:187]
	s_and_b64 exec, exec, vcc
	s_cbranch_execz .LBB91_54
; %bb.53:
	v_div_scale_f64 v[2:3], s[6:7], v[186:187], v[186:187], 1.0
	v_rcp_f64_e32 v[188:189], v[2:3]
	v_div_scale_f64 v[190:191], vcc, 1.0, v[186:187], 1.0
	v_fma_f64 v[192:193], -v[2:3], v[188:189], 1.0
	v_fmac_f64_e32 v[188:189], v[188:189], v[192:193]
	v_fma_f64 v[192:193], -v[2:3], v[188:189], 1.0
	v_fmac_f64_e32 v[188:189], v[188:189], v[192:193]
	v_mul_f64 v[192:193], v[190:191], v[188:189]
	v_fma_f64 v[2:3], -v[2:3], v[192:193], v[190:191]
	v_div_fmas_f64 v[2:3], v[2:3], v[188:189], v[192:193]
	v_div_fixup_f64 v[2:3], v[2:3], v[186:187], 1.0
	ds_write_b64 v206, v[2:3]
.LBB91_54:
	s_or_b64 exec, exec, s[2:3]
	s_waitcnt lgkmcnt(0)
	s_barrier
	ds_read_b64 v[14:15], v206
	v_cmp_lt_u32_e32 vcc, 10, v208
	s_and_saveexec_b64 s[2:3], vcc
	s_cbranch_execz .LBB91_56
; %bb.55:
	ds_read2_b64 v[186:189], v207 offset0:11 offset1:12
	ds_read2_b64 v[190:193], v207 offset0:13 offset1:14
	s_waitcnt vmcnt(49) lgkmcnt(2)
	v_mul_f64 v[174:175], v[14:15], v[174:175]
	ds_read2_b64 v[194:197], v207 offset0:15 offset1:16
	ds_read_b64 v[2:3], v207 offset:360
	s_waitcnt vmcnt(46) lgkmcnt(3)
	v_fma_f64 v[128:129], -v[174:175], v[186:187], v[128:129]
	s_waitcnt vmcnt(45)
	v_fma_f64 v[172:173], -v[174:175], v[188:189], v[172:173]
	ds_read2_b64 v[186:189], v207 offset0:17 offset1:18
	s_waitcnt vmcnt(42) lgkmcnt(3)
	v_fma_f64 v[126:127], -v[174:175], v[190:191], v[126:127]
	s_waitcnt vmcnt(39)
	v_fma_f64 v[170:171], -v[174:175], v[192:193], v[170:171]
	ds_read2_b64 v[190:193], v207 offset0:19 offset1:20
	;; [unrolled: 5-line block ×3, first 2 shown]
	s_waitcnt vmcnt(30) lgkmcnt(2)
	v_fma_f64 v[122:123], -v[174:175], v[186:187], v[122:123]
	s_waitcnt vmcnt(27)
	v_fma_f64 v[166:167], -v[174:175], v[188:189], v[166:167]
	s_waitcnt vmcnt(26) lgkmcnt(1)
	v_fma_f64 v[120:121], -v[174:175], v[190:191], v[120:121]
	ds_read2_b64 v[186:189], v207 offset0:23 offset1:24
	s_waitcnt vmcnt(25)
	v_fma_f64 v[164:165], -v[174:175], v[192:193], v[164:165]
	ds_read2_b64 v[190:193], v207 offset0:25 offset1:26
	s_waitcnt vmcnt(24) lgkmcnt(2)
	v_fma_f64 v[118:119], -v[174:175], v[194:195], v[118:119]
	s_waitcnt vmcnt(23)
	v_fma_f64 v[162:163], -v[174:175], v[196:197], v[162:163]
	s_waitcnt vmcnt(22) lgkmcnt(1)
	v_fma_f64 v[116:117], -v[174:175], v[186:187], v[116:117]
	ds_read2_b64 v[194:197], v207 offset0:27 offset1:28
	s_waitcnt vmcnt(21)
	v_fma_f64 v[160:161], -v[174:175], v[188:189], v[160:161]
	ds_read2_b64 v[186:189], v207 offset0:29 offset1:30
	s_waitcnt vmcnt(20) lgkmcnt(2)
	v_fma_f64 v[114:115], -v[174:175], v[190:191], v[114:115]
	s_waitcnt vmcnt(19)
	v_fma_f64 v[158:159], -v[174:175], v[192:193], v[158:159]
	ds_read2_b64 v[190:193], v207 offset0:31 offset1:32
	s_waitcnt vmcnt(18) lgkmcnt(2)
	v_fma_f64 v[112:113], -v[174:175], v[194:195], v[112:113]
	s_waitcnt vmcnt(17)
	v_fma_f64 v[156:157], -v[174:175], v[196:197], v[156:157]
	ds_read2_b64 v[194:197], v207 offset0:33 offset1:34
	s_waitcnt vmcnt(16) lgkmcnt(2)
	v_fma_f64 v[110:111], -v[174:175], v[186:187], v[110:111]
	s_waitcnt vmcnt(15)
	v_fma_f64 v[154:155], -v[174:175], v[188:189], v[154:155]
	s_waitcnt vmcnt(14) lgkmcnt(1)
	v_fma_f64 v[108:109], -v[174:175], v[190:191], v[108:109]
	ds_read2_b64 v[186:189], v207 offset0:35 offset1:36
	s_waitcnt vmcnt(13)
	v_fma_f64 v[152:153], -v[174:175], v[192:193], v[152:153]
	ds_read2_b64 v[190:193], v207 offset0:37 offset1:38
	s_waitcnt vmcnt(12) lgkmcnt(2)
	v_fma_f64 v[106:107], -v[174:175], v[194:195], v[106:107]
	s_waitcnt vmcnt(11)
	v_fma_f64 v[150:151], -v[174:175], v[196:197], v[150:151]
	s_waitcnt vmcnt(10) lgkmcnt(1)
	v_fma_f64 v[104:105], -v[174:175], v[186:187], v[104:105]
	ds_read2_b64 v[194:197], v207 offset0:39 offset1:40
	s_waitcnt vmcnt(9)
	v_fma_f64 v[148:149], -v[174:175], v[188:189], v[148:149]
	ds_read2_b64 v[186:189], v207 offset0:41 offset1:42
	s_waitcnt vmcnt(8) lgkmcnt(2)
	v_fma_f64 v[102:103], -v[174:175], v[190:191], v[102:103]
	s_waitcnt vmcnt(7)
	v_fma_f64 v[146:147], -v[174:175], v[192:193], v[146:147]
	ds_read2_b64 v[190:193], v207 offset0:43 offset1:44
	s_waitcnt vmcnt(6) lgkmcnt(2)
	v_fma_f64 v[100:101], -v[174:175], v[194:195], v[100:101]
	s_waitcnt vmcnt(5)
	v_fma_f64 v[144:145], -v[174:175], v[196:197], v[144:145]
	s_waitcnt vmcnt(4) lgkmcnt(1)
	v_fma_f64 v[98:99], -v[174:175], v[186:187], v[98:99]
	s_waitcnt vmcnt(3)
	v_fma_f64 v[142:143], -v[174:175], v[188:189], v[142:143]
	;; [unrolled: 4-line block ×3, first 2 shown]
	s_waitcnt vmcnt(0)
	v_fma_f64 v[184:185], -v[174:175], v[2:3], v[184:185]
.LBB91_56:
	s_or_b64 exec, exec, s[2:3]
	v_cmp_eq_u32_e32 vcc, 11, v208
	s_waitcnt lgkmcnt(0)
	s_barrier
	s_and_saveexec_b64 s[2:3], vcc
	s_cbranch_execz .LBB91_59
; %bb.57:
	s_waitcnt vmcnt(45)
	v_mov_b32_e32 v2, v172
	v_mov_b32_e32 v3, v173
	s_waitcnt vmcnt(42)
	v_mov_b32_e32 v186, v126
	v_mov_b32_e32 v187, v127
	ds_write_b64 v206, v[128:129]
	ds_write2_b64 v207, v[2:3], v[186:187] offset0:12 offset1:13
	s_waitcnt vmcnt(39)
	v_mov_b32_e32 v2, v170
	v_mov_b32_e32 v3, v171
	s_waitcnt vmcnt(36)
	v_mov_b32_e32 v186, v124
	v_mov_b32_e32 v187, v125
	ds_write2_b64 v207, v[2:3], v[186:187] offset0:14 offset1:15
	s_waitcnt vmcnt(33)
	v_mov_b32_e32 v2, v168
	v_mov_b32_e32 v3, v169
	s_waitcnt vmcnt(30)
	v_mov_b32_e32 v186, v122
	v_mov_b32_e32 v187, v123
	;; [unrolled: 7-line block ×15, first 2 shown]
	ds_write2_b64 v207, v[2:3], v[186:187] offset0:42 offset1:43
	s_waitcnt vmcnt(1)
	v_mov_b32_e32 v2, v140
	v_mov_b32_e32 v3, v141
	s_waitcnt vmcnt(0)
	ds_write2_b64 v207, v[2:3], v[184:185] offset0:44 offset1:45
	ds_read_b64 v[186:187], v206
	s_waitcnt lgkmcnt(0)
	v_cmp_neq_f64_e32 vcc, 0, v[186:187]
	s_and_b64 exec, exec, vcc
	s_cbranch_execz .LBB91_59
; %bb.58:
	v_div_scale_f64 v[2:3], s[6:7], v[186:187], v[186:187], 1.0
	v_rcp_f64_e32 v[188:189], v[2:3]
	v_div_scale_f64 v[190:191], vcc, 1.0, v[186:187], 1.0
	v_fma_f64 v[192:193], -v[2:3], v[188:189], 1.0
	v_fmac_f64_e32 v[188:189], v[188:189], v[192:193]
	v_fma_f64 v[192:193], -v[2:3], v[188:189], 1.0
	v_fmac_f64_e32 v[188:189], v[188:189], v[192:193]
	v_mul_f64 v[192:193], v[190:191], v[188:189]
	v_fma_f64 v[2:3], -v[2:3], v[192:193], v[190:191]
	v_div_fmas_f64 v[2:3], v[2:3], v[188:189], v[192:193]
	v_div_fixup_f64 v[2:3], v[2:3], v[186:187], 1.0
	ds_write_b64 v206, v[2:3]
.LBB91_59:
	s_or_b64 exec, exec, s[2:3]
	s_waitcnt lgkmcnt(0)
	s_barrier
	ds_read_b64 v[16:17], v206
	v_cmp_lt_u32_e32 vcc, 11, v208
	s_and_saveexec_b64 s[2:3], vcc
	s_cbranch_execz .LBB91_61
; %bb.60:
	ds_read2_b64 v[186:189], v207 offset0:12 offset1:13
	ds_read2_b64 v[190:193], v207 offset0:14 offset1:15
	s_waitcnt vmcnt(46) lgkmcnt(2)
	v_mul_f64 v[128:129], v[16:17], v[128:129]
	ds_read2_b64 v[194:197], v207 offset0:16 offset1:17
	s_waitcnt vmcnt(45) lgkmcnt(2)
	v_fma_f64 v[172:173], -v[128:129], v[186:187], v[172:173]
	s_waitcnt vmcnt(42)
	v_fma_f64 v[126:127], -v[128:129], v[188:189], v[126:127]
	ds_read2_b64 v[186:189], v207 offset0:18 offset1:19
	s_waitcnt vmcnt(39) lgkmcnt(2)
	v_fma_f64 v[170:171], -v[128:129], v[190:191], v[170:171]
	s_waitcnt vmcnt(36)
	v_fma_f64 v[124:125], -v[128:129], v[192:193], v[124:125]
	;; [unrolled: 5-line block ×4, first 2 shown]
	s_waitcnt vmcnt(25) lgkmcnt(1)
	v_fma_f64 v[164:165], -v[128:129], v[190:191], v[164:165]
	ds_read2_b64 v[186:189], v207 offset0:24 offset1:25
	s_waitcnt vmcnt(24)
	v_fma_f64 v[118:119], -v[128:129], v[192:193], v[118:119]
	ds_read2_b64 v[190:193], v207 offset0:26 offset1:27
	s_waitcnt vmcnt(23) lgkmcnt(2)
	v_fma_f64 v[162:163], -v[128:129], v[194:195], v[162:163]
	s_waitcnt vmcnt(22)
	v_fma_f64 v[116:117], -v[128:129], v[196:197], v[116:117]
	s_waitcnt vmcnt(21) lgkmcnt(1)
	v_fma_f64 v[160:161], -v[128:129], v[186:187], v[160:161]
	ds_read2_b64 v[194:197], v207 offset0:28 offset1:29
	s_waitcnt vmcnt(20)
	v_fma_f64 v[114:115], -v[128:129], v[188:189], v[114:115]
	ds_read2_b64 v[186:189], v207 offset0:30 offset1:31
	s_waitcnt vmcnt(19) lgkmcnt(2)
	v_fma_f64 v[158:159], -v[128:129], v[190:191], v[158:159]
	s_waitcnt vmcnt(18)
	v_fma_f64 v[112:113], -v[128:129], v[192:193], v[112:113]
	ds_read2_b64 v[190:193], v207 offset0:32 offset1:33
	s_waitcnt vmcnt(17) lgkmcnt(2)
	v_fma_f64 v[156:157], -v[128:129], v[194:195], v[156:157]
	;; [unrolled: 5-line block ×3, first 2 shown]
	s_waitcnt vmcnt(14)
	v_fma_f64 v[108:109], -v[128:129], v[188:189], v[108:109]
	s_waitcnt vmcnt(13) lgkmcnt(1)
	v_fma_f64 v[152:153], -v[128:129], v[190:191], v[152:153]
	ds_read2_b64 v[186:189], v207 offset0:36 offset1:37
	s_waitcnt vmcnt(12)
	v_fma_f64 v[106:107], -v[128:129], v[192:193], v[106:107]
	ds_read2_b64 v[190:193], v207 offset0:38 offset1:39
	s_waitcnt vmcnt(11) lgkmcnt(2)
	v_fma_f64 v[150:151], -v[128:129], v[194:195], v[150:151]
	s_waitcnt vmcnt(10)
	v_fma_f64 v[104:105], -v[128:129], v[196:197], v[104:105]
	s_waitcnt vmcnt(9) lgkmcnt(1)
	v_fma_f64 v[148:149], -v[128:129], v[186:187], v[148:149]
	s_waitcnt vmcnt(8)
	v_fma_f64 v[102:103], -v[128:129], v[188:189], v[102:103]
	ds_read2_b64 v[186:189], v207 offset0:40 offset1:41
	ds_read2_b64 v[194:197], v207 offset0:42 offset1:43
	s_waitcnt vmcnt(7) lgkmcnt(2)
	v_fma_f64 v[146:147], -v[128:129], v[190:191], v[146:147]
	s_waitcnt vmcnt(6)
	v_fma_f64 v[100:101], -v[128:129], v[192:193], v[100:101]
	ds_read2_b64 v[190:193], v207 offset0:44 offset1:45
	s_waitcnt vmcnt(5) lgkmcnt(2)
	v_fma_f64 v[144:145], -v[128:129], v[186:187], v[144:145]
	s_waitcnt vmcnt(4)
	v_fma_f64 v[98:99], -v[128:129], v[188:189], v[98:99]
	s_waitcnt vmcnt(3) lgkmcnt(1)
	v_fma_f64 v[142:143], -v[128:129], v[194:195], v[142:143]
	s_waitcnt vmcnt(2)
	v_fma_f64 v[96:97], -v[128:129], v[196:197], v[96:97]
	s_waitcnt vmcnt(1) lgkmcnt(0)
	v_fma_f64 v[140:141], -v[128:129], v[190:191], v[140:141]
	s_waitcnt vmcnt(0)
	v_fma_f64 v[184:185], -v[128:129], v[192:193], v[184:185]
.LBB91_61:
	s_or_b64 exec, exec, s[2:3]
	v_cmp_eq_u32_e32 vcc, 12, v208
	s_waitcnt lgkmcnt(0)
	s_barrier
	s_and_saveexec_b64 s[2:3], vcc
	s_cbranch_execz .LBB91_64
; %bb.62:
	s_waitcnt vmcnt(45)
	ds_write_b64 v206, v[172:173]
	s_waitcnt vmcnt(39)
	ds_write2_b64 v207, v[126:127], v[170:171] offset0:13 offset1:14
	s_waitcnt vmcnt(33)
	ds_write2_b64 v207, v[124:125], v[168:169] offset0:15 offset1:16
	;; [unrolled: 2-line block ×16, first 2 shown]
	s_waitcnt vmcnt(0)
	ds_write_b64 v207, v[184:185] offset:360
	ds_read_b64 v[186:187], v206
	s_waitcnt lgkmcnt(0)
	v_cmp_neq_f64_e32 vcc, 0, v[186:187]
	s_and_b64 exec, exec, vcc
	s_cbranch_execz .LBB91_64
; %bb.63:
	v_div_scale_f64 v[2:3], s[6:7], v[186:187], v[186:187], 1.0
	v_rcp_f64_e32 v[188:189], v[2:3]
	v_div_scale_f64 v[190:191], vcc, 1.0, v[186:187], 1.0
	v_fma_f64 v[192:193], -v[2:3], v[188:189], 1.0
	v_fmac_f64_e32 v[188:189], v[188:189], v[192:193]
	v_fma_f64 v[192:193], -v[2:3], v[188:189], 1.0
	v_fmac_f64_e32 v[188:189], v[188:189], v[192:193]
	v_mul_f64 v[192:193], v[190:191], v[188:189]
	v_fma_f64 v[2:3], -v[2:3], v[192:193], v[190:191]
	v_div_fmas_f64 v[2:3], v[2:3], v[188:189], v[192:193]
	v_div_fixup_f64 v[2:3], v[2:3], v[186:187], 1.0
	ds_write_b64 v206, v[2:3]
.LBB91_64:
	s_or_b64 exec, exec, s[2:3]
	s_waitcnt lgkmcnt(0)
	s_barrier
	ds_read_b64 v[18:19], v206
	v_cmp_lt_u32_e32 vcc, 12, v208
	s_and_saveexec_b64 s[2:3], vcc
	s_cbranch_execz .LBB91_66
; %bb.65:
	ds_read2_b64 v[186:189], v207 offset0:13 offset1:14
	ds_read2_b64 v[190:193], v207 offset0:15 offset1:16
	s_waitcnt vmcnt(45) lgkmcnt(2)
	v_mul_f64 v[172:173], v[18:19], v[172:173]
	ds_read2_b64 v[194:197], v207 offset0:17 offset1:18
	ds_read_b64 v[2:3], v207 offset:360
	s_waitcnt vmcnt(42) lgkmcnt(3)
	v_fma_f64 v[126:127], -v[172:173], v[186:187], v[126:127]
	s_waitcnt vmcnt(39)
	v_fma_f64 v[170:171], -v[172:173], v[188:189], v[170:171]
	ds_read2_b64 v[186:189], v207 offset0:19 offset1:20
	s_waitcnt vmcnt(36) lgkmcnt(3)
	v_fma_f64 v[124:125], -v[172:173], v[190:191], v[124:125]
	s_waitcnt vmcnt(33)
	v_fma_f64 v[168:169], -v[172:173], v[192:193], v[168:169]
	s_waitcnt vmcnt(30) lgkmcnt(2)
	v_fma_f64 v[122:123], -v[172:173], v[194:195], v[122:123]
	ds_read2_b64 v[190:193], v207 offset0:21 offset1:22
	s_waitcnt vmcnt(27)
	v_fma_f64 v[166:167], -v[172:173], v[196:197], v[166:167]
	ds_read2_b64 v[194:197], v207 offset0:23 offset1:24
	s_waitcnt vmcnt(26) lgkmcnt(2)
	v_fma_f64 v[120:121], -v[172:173], v[186:187], v[120:121]
	s_waitcnt vmcnt(25)
	v_fma_f64 v[164:165], -v[172:173], v[188:189], v[164:165]
	ds_read2_b64 v[186:189], v207 offset0:25 offset1:26
	s_waitcnt vmcnt(24) lgkmcnt(2)
	v_fma_f64 v[118:119], -v[172:173], v[190:191], v[118:119]
	;; [unrolled: 5-line block ×3, first 2 shown]
	s_waitcnt vmcnt(21)
	v_fma_f64 v[160:161], -v[172:173], v[196:197], v[160:161]
	s_waitcnt vmcnt(20) lgkmcnt(1)
	v_fma_f64 v[114:115], -v[172:173], v[186:187], v[114:115]
	ds_read2_b64 v[194:197], v207 offset0:29 offset1:30
	s_waitcnt vmcnt(19)
	v_fma_f64 v[158:159], -v[172:173], v[188:189], v[158:159]
	ds_read2_b64 v[186:189], v207 offset0:31 offset1:32
	s_waitcnt vmcnt(18) lgkmcnt(2)
	v_fma_f64 v[112:113], -v[172:173], v[190:191], v[112:113]
	s_waitcnt vmcnt(17)
	v_fma_f64 v[156:157], -v[172:173], v[192:193], v[156:157]
	s_waitcnt vmcnt(16) lgkmcnt(1)
	v_fma_f64 v[110:111], -v[172:173], v[194:195], v[110:111]
	ds_read2_b64 v[190:193], v207 offset0:33 offset1:34
	s_waitcnt vmcnt(15)
	v_fma_f64 v[154:155], -v[172:173], v[196:197], v[154:155]
	ds_read2_b64 v[194:197], v207 offset0:35 offset1:36
	s_waitcnt vmcnt(14) lgkmcnt(2)
	v_fma_f64 v[108:109], -v[172:173], v[186:187], v[108:109]
	s_waitcnt vmcnt(13)
	v_fma_f64 v[152:153], -v[172:173], v[188:189], v[152:153]
	ds_read2_b64 v[186:189], v207 offset0:37 offset1:38
	s_waitcnt vmcnt(12) lgkmcnt(2)
	v_fma_f64 v[106:107], -v[172:173], v[190:191], v[106:107]
	s_waitcnt vmcnt(11)
	v_fma_f64 v[150:151], -v[172:173], v[192:193], v[150:151]
	ds_read2_b64 v[190:193], v207 offset0:39 offset1:40
	s_waitcnt vmcnt(10) lgkmcnt(2)
	v_fma_f64 v[104:105], -v[172:173], v[194:195], v[104:105]
	s_waitcnt vmcnt(9)
	v_fma_f64 v[148:149], -v[172:173], v[196:197], v[148:149]
	s_waitcnt vmcnt(8) lgkmcnt(1)
	v_fma_f64 v[102:103], -v[172:173], v[186:187], v[102:103]
	s_waitcnt vmcnt(7)
	v_fma_f64 v[146:147], -v[172:173], v[188:189], v[146:147]
	ds_read2_b64 v[186:189], v207 offset0:41 offset1:42
	ds_read2_b64 v[194:197], v207 offset0:43 offset1:44
	s_waitcnt vmcnt(6) lgkmcnt(2)
	v_fma_f64 v[100:101], -v[172:173], v[190:191], v[100:101]
	s_waitcnt vmcnt(5)
	v_fma_f64 v[144:145], -v[172:173], v[192:193], v[144:145]
	s_waitcnt vmcnt(0)
	v_fma_f64 v[184:185], -v[172:173], v[2:3], v[184:185]
	s_waitcnt lgkmcnt(1)
	v_fma_f64 v[98:99], -v[172:173], v[186:187], v[98:99]
	v_fma_f64 v[142:143], -v[172:173], v[188:189], v[142:143]
	s_waitcnt lgkmcnt(0)
	v_fma_f64 v[96:97], -v[172:173], v[194:195], v[96:97]
	v_fma_f64 v[140:141], -v[172:173], v[196:197], v[140:141]
.LBB91_66:
	s_or_b64 exec, exec, s[2:3]
	v_cmp_eq_u32_e32 vcc, 13, v208
	s_waitcnt lgkmcnt(0)
	s_barrier
	s_and_saveexec_b64 s[2:3], vcc
	s_cbranch_execz .LBB91_69
; %bb.67:
	s_waitcnt vmcnt(39)
	v_mov_b32_e32 v2, v170
	v_mov_b32_e32 v3, v171
	s_waitcnt vmcnt(36)
	v_mov_b32_e32 v186, v124
	v_mov_b32_e32 v187, v125
	ds_write_b64 v206, v[126:127]
	ds_write2_b64 v207, v[2:3], v[186:187] offset0:14 offset1:15
	s_waitcnt vmcnt(33)
	v_mov_b32_e32 v2, v168
	v_mov_b32_e32 v3, v169
	s_waitcnt vmcnt(30)
	v_mov_b32_e32 v186, v122
	v_mov_b32_e32 v187, v123
	ds_write2_b64 v207, v[2:3], v[186:187] offset0:16 offset1:17
	s_waitcnt vmcnt(27)
	v_mov_b32_e32 v2, v166
	v_mov_b32_e32 v3, v167
	s_waitcnt vmcnt(26)
	v_mov_b32_e32 v186, v120
	v_mov_b32_e32 v187, v121
	;; [unrolled: 7-line block ×14, first 2 shown]
	ds_write2_b64 v207, v[2:3], v[186:187] offset0:42 offset1:43
	s_waitcnt vmcnt(1)
	v_mov_b32_e32 v2, v140
	v_mov_b32_e32 v3, v141
	s_waitcnt vmcnt(0)
	ds_write2_b64 v207, v[2:3], v[184:185] offset0:44 offset1:45
	ds_read_b64 v[186:187], v206
	s_waitcnt lgkmcnt(0)
	v_cmp_neq_f64_e32 vcc, 0, v[186:187]
	s_and_b64 exec, exec, vcc
	s_cbranch_execz .LBB91_69
; %bb.68:
	v_div_scale_f64 v[2:3], s[6:7], v[186:187], v[186:187], 1.0
	v_rcp_f64_e32 v[188:189], v[2:3]
	v_div_scale_f64 v[190:191], vcc, 1.0, v[186:187], 1.0
	v_fma_f64 v[192:193], -v[2:3], v[188:189], 1.0
	v_fmac_f64_e32 v[188:189], v[188:189], v[192:193]
	v_fma_f64 v[192:193], -v[2:3], v[188:189], 1.0
	v_fmac_f64_e32 v[188:189], v[188:189], v[192:193]
	v_mul_f64 v[192:193], v[190:191], v[188:189]
	v_fma_f64 v[2:3], -v[2:3], v[192:193], v[190:191]
	v_div_fmas_f64 v[2:3], v[2:3], v[188:189], v[192:193]
	v_div_fixup_f64 v[2:3], v[2:3], v[186:187], 1.0
	ds_write_b64 v206, v[2:3]
.LBB91_69:
	s_or_b64 exec, exec, s[2:3]
	s_waitcnt lgkmcnt(0)
	s_barrier
	ds_read_b64 v[20:21], v206
	v_cmp_lt_u32_e32 vcc, 13, v208
	s_and_saveexec_b64 s[2:3], vcc
	s_cbranch_execz .LBB91_71
; %bb.70:
	ds_read2_b64 v[186:189], v207 offset0:14 offset1:15
	ds_read2_b64 v[190:193], v207 offset0:16 offset1:17
	s_waitcnt vmcnt(42) lgkmcnt(2)
	v_mul_f64 v[126:127], v[20:21], v[126:127]
	ds_read2_b64 v[194:197], v207 offset0:18 offset1:19
	s_waitcnt vmcnt(39) lgkmcnt(2)
	v_fma_f64 v[170:171], -v[126:127], v[186:187], v[170:171]
	s_waitcnt vmcnt(36)
	v_fma_f64 v[124:125], -v[126:127], v[188:189], v[124:125]
	ds_read2_b64 v[186:189], v207 offset0:20 offset1:21
	s_waitcnt vmcnt(33) lgkmcnt(2)
	v_fma_f64 v[168:169], -v[126:127], v[190:191], v[168:169]
	s_waitcnt vmcnt(30)
	v_fma_f64 v[122:123], -v[126:127], v[192:193], v[122:123]
	s_waitcnt vmcnt(27) lgkmcnt(1)
	v_fma_f64 v[166:167], -v[126:127], v[194:195], v[166:167]
	ds_read2_b64 v[190:193], v207 offset0:22 offset1:23
	s_waitcnt vmcnt(26)
	v_fma_f64 v[120:121], -v[126:127], v[196:197], v[120:121]
	ds_read2_b64 v[194:197], v207 offset0:24 offset1:25
	s_waitcnt vmcnt(25) lgkmcnt(2)
	v_fma_f64 v[164:165], -v[126:127], v[186:187], v[164:165]
	s_waitcnt vmcnt(24)
	v_fma_f64 v[118:119], -v[126:127], v[188:189], v[118:119]
	ds_read2_b64 v[186:189], v207 offset0:26 offset1:27
	s_waitcnt vmcnt(23) lgkmcnt(2)
	v_fma_f64 v[162:163], -v[126:127], v[190:191], v[162:163]
	;; [unrolled: 5-line block ×3, first 2 shown]
	s_waitcnt vmcnt(20)
	v_fma_f64 v[114:115], -v[126:127], v[196:197], v[114:115]
	s_waitcnt vmcnt(19) lgkmcnt(1)
	v_fma_f64 v[158:159], -v[126:127], v[186:187], v[158:159]
	ds_read2_b64 v[194:197], v207 offset0:30 offset1:31
	s_waitcnt vmcnt(18)
	v_fma_f64 v[112:113], -v[126:127], v[188:189], v[112:113]
	ds_read2_b64 v[186:189], v207 offset0:32 offset1:33
	s_waitcnt vmcnt(17) lgkmcnt(2)
	v_fma_f64 v[156:157], -v[126:127], v[190:191], v[156:157]
	s_waitcnt vmcnt(16)
	v_fma_f64 v[110:111], -v[126:127], v[192:193], v[110:111]
	s_waitcnt vmcnt(15) lgkmcnt(1)
	v_fma_f64 v[154:155], -v[126:127], v[194:195], v[154:155]
	ds_read2_b64 v[190:193], v207 offset0:34 offset1:35
	s_waitcnt vmcnt(14)
	v_fma_f64 v[108:109], -v[126:127], v[196:197], v[108:109]
	ds_read2_b64 v[194:197], v207 offset0:36 offset1:37
	s_waitcnt vmcnt(13) lgkmcnt(2)
	v_fma_f64 v[152:153], -v[126:127], v[186:187], v[152:153]
	s_waitcnt vmcnt(12)
	v_fma_f64 v[106:107], -v[126:127], v[188:189], v[106:107]
	ds_read2_b64 v[186:189], v207 offset0:38 offset1:39
	s_waitcnt vmcnt(11) lgkmcnt(2)
	v_fma_f64 v[150:151], -v[126:127], v[190:191], v[150:151]
	;; [unrolled: 5-line block ×3, first 2 shown]
	s_waitcnt vmcnt(8)
	v_fma_f64 v[102:103], -v[126:127], v[196:197], v[102:103]
	s_waitcnt vmcnt(7) lgkmcnt(1)
	v_fma_f64 v[146:147], -v[126:127], v[186:187], v[146:147]
	ds_read2_b64 v[194:197], v207 offset0:42 offset1:43
	s_waitcnt vmcnt(6)
	v_fma_f64 v[100:101], -v[126:127], v[188:189], v[100:101]
	ds_read2_b64 v[186:189], v207 offset0:44 offset1:45
	s_waitcnt vmcnt(5) lgkmcnt(2)
	v_fma_f64 v[144:145], -v[126:127], v[190:191], v[144:145]
	s_waitcnt vmcnt(4)
	v_fma_f64 v[98:99], -v[126:127], v[192:193], v[98:99]
	s_waitcnt vmcnt(3) lgkmcnt(1)
	v_fma_f64 v[142:143], -v[126:127], v[194:195], v[142:143]
	s_waitcnt vmcnt(2)
	v_fma_f64 v[96:97], -v[126:127], v[196:197], v[96:97]
	;; [unrolled: 4-line block ×3, first 2 shown]
.LBB91_71:
	s_or_b64 exec, exec, s[2:3]
	v_cmp_eq_u32_e32 vcc, 14, v208
	s_waitcnt lgkmcnt(0)
	s_barrier
	s_and_saveexec_b64 s[2:3], vcc
	s_cbranch_execz .LBB91_74
; %bb.72:
	s_waitcnt vmcnt(39)
	ds_write_b64 v206, v[170:171]
	s_waitcnt vmcnt(33)
	ds_write2_b64 v207, v[124:125], v[168:169] offset0:15 offset1:16
	s_waitcnt vmcnt(27)
	ds_write2_b64 v207, v[122:123], v[166:167] offset0:17 offset1:18
	;; [unrolled: 2-line block ×15, first 2 shown]
	s_waitcnt vmcnt(0)
	ds_write_b64 v207, v[184:185] offset:360
	ds_read_b64 v[186:187], v206
	s_waitcnt lgkmcnt(0)
	v_cmp_neq_f64_e32 vcc, 0, v[186:187]
	s_and_b64 exec, exec, vcc
	s_cbranch_execz .LBB91_74
; %bb.73:
	v_div_scale_f64 v[188:189], s[6:7], v[186:187], v[186:187], 1.0
	v_rcp_f64_e32 v[190:191], v[188:189]
	v_div_scale_f64 v[192:193], vcc, 1.0, v[186:187], 1.0
	v_fma_f64 v[194:195], -v[188:189], v[190:191], 1.0
	v_fmac_f64_e32 v[190:191], v[190:191], v[194:195]
	v_fma_f64 v[194:195], -v[188:189], v[190:191], 1.0
	v_fmac_f64_e32 v[190:191], v[190:191], v[194:195]
	v_mul_f64 v[194:195], v[192:193], v[190:191]
	v_fma_f64 v[188:189], -v[188:189], v[194:195], v[192:193]
	v_div_fmas_f64 v[188:189], v[188:189], v[190:191], v[194:195]
	v_div_fixup_f64 v[186:187], v[188:189], v[186:187], 1.0
	ds_write_b64 v206, v[186:187]
.LBB91_74:
	s_or_b64 exec, exec, s[2:3]
	s_waitcnt lgkmcnt(0)
	s_barrier
	ds_read_b64 v[24:25], v206
	v_cmp_lt_u32_e32 vcc, 14, v208
	s_and_saveexec_b64 s[2:3], vcc
	s_cbranch_execz .LBB91_76
; %bb.75:
	ds_read2_b64 v[186:189], v207 offset0:15 offset1:16
	ds_read2_b64 v[190:193], v207 offset0:17 offset1:18
	s_waitcnt vmcnt(39) lgkmcnt(2)
	v_mul_f64 v[170:171], v[24:25], v[170:171]
	ds_read2_b64 v[194:197], v207 offset0:19 offset1:20
	s_waitcnt vmcnt(36) lgkmcnt(2)
	v_fma_f64 v[124:125], -v[170:171], v[186:187], v[124:125]
	s_waitcnt vmcnt(33)
	v_fma_f64 v[168:169], -v[170:171], v[188:189], v[168:169]
	ds_read2_b64 v[186:189], v207 offset0:21 offset1:22
	s_waitcnt vmcnt(30) lgkmcnt(2)
	v_fma_f64 v[122:123], -v[170:171], v[190:191], v[122:123]
	s_waitcnt vmcnt(27)
	v_fma_f64 v[166:167], -v[170:171], v[192:193], v[166:167]
	s_waitcnt vmcnt(26) lgkmcnt(1)
	v_fma_f64 v[120:121], -v[170:171], v[194:195], v[120:121]
	ds_read2_b64 v[190:193], v207 offset0:23 offset1:24
	s_waitcnt vmcnt(25)
	v_fma_f64 v[164:165], -v[170:171], v[196:197], v[164:165]
	ds_read2_b64 v[194:197], v207 offset0:25 offset1:26
	s_waitcnt vmcnt(24) lgkmcnt(2)
	v_fma_f64 v[118:119], -v[170:171], v[186:187], v[118:119]
	s_waitcnt vmcnt(23)
	v_fma_f64 v[162:163], -v[170:171], v[188:189], v[162:163]
	ds_read2_b64 v[186:189], v207 offset0:27 offset1:28
	s_waitcnt vmcnt(22) lgkmcnt(2)
	v_fma_f64 v[116:117], -v[170:171], v[190:191], v[116:117]
	;; [unrolled: 5-line block ×3, first 2 shown]
	s_waitcnt vmcnt(19)
	v_fma_f64 v[158:159], -v[170:171], v[196:197], v[158:159]
	s_waitcnt vmcnt(18) lgkmcnt(1)
	v_fma_f64 v[112:113], -v[170:171], v[186:187], v[112:113]
	ds_read2_b64 v[194:197], v207 offset0:31 offset1:32
	s_waitcnt vmcnt(17)
	v_fma_f64 v[156:157], -v[170:171], v[188:189], v[156:157]
	ds_read2_b64 v[186:189], v207 offset0:33 offset1:34
	s_waitcnt vmcnt(16) lgkmcnt(2)
	v_fma_f64 v[110:111], -v[170:171], v[190:191], v[110:111]
	s_waitcnt vmcnt(15)
	v_fma_f64 v[154:155], -v[170:171], v[192:193], v[154:155]
	s_waitcnt vmcnt(14) lgkmcnt(1)
	v_fma_f64 v[108:109], -v[170:171], v[194:195], v[108:109]
	ds_read2_b64 v[190:193], v207 offset0:35 offset1:36
	s_waitcnt vmcnt(13)
	v_fma_f64 v[152:153], -v[170:171], v[196:197], v[152:153]
	ds_read2_b64 v[194:197], v207 offset0:37 offset1:38
	s_waitcnt vmcnt(12) lgkmcnt(2)
	v_fma_f64 v[106:107], -v[170:171], v[186:187], v[106:107]
	s_waitcnt vmcnt(11)
	v_fma_f64 v[150:151], -v[170:171], v[188:189], v[150:151]
	ds_read2_b64 v[186:189], v207 offset0:39 offset1:40
	s_waitcnt vmcnt(10) lgkmcnt(2)
	v_fma_f64 v[104:105], -v[170:171], v[190:191], v[104:105]
	;; [unrolled: 5-line block ×3, first 2 shown]
	s_waitcnt vmcnt(7)
	v_fma_f64 v[146:147], -v[170:171], v[196:197], v[146:147]
	s_waitcnt vmcnt(6) lgkmcnt(1)
	v_fma_f64 v[100:101], -v[170:171], v[186:187], v[100:101]
	ds_read2_b64 v[194:197], v207 offset0:43 offset1:44
	ds_read_b64 v[186:187], v207 offset:360
	s_waitcnt vmcnt(5)
	v_fma_f64 v[144:145], -v[170:171], v[188:189], v[144:145]
	s_waitcnt vmcnt(4) lgkmcnt(2)
	v_fma_f64 v[98:99], -v[170:171], v[190:191], v[98:99]
	s_waitcnt vmcnt(3)
	v_fma_f64 v[142:143], -v[170:171], v[192:193], v[142:143]
	s_waitcnt vmcnt(2) lgkmcnt(1)
	v_fma_f64 v[96:97], -v[170:171], v[194:195], v[96:97]
	;; [unrolled: 4-line block ×3, first 2 shown]
.LBB91_76:
	s_or_b64 exec, exec, s[2:3]
	v_cmp_eq_u32_e32 vcc, 15, v208
	s_waitcnt lgkmcnt(0)
	s_barrier
	s_and_saveexec_b64 s[2:3], vcc
	s_cbranch_execz .LBB91_79
; %bb.77:
	s_waitcnt vmcnt(33)
	v_mov_b32_e32 v186, v168
	v_mov_b32_e32 v187, v169
	s_waitcnt vmcnt(30)
	v_mov_b32_e32 v188, v122
	v_mov_b32_e32 v189, v123
	ds_write_b64 v206, v[124:125]
	ds_write2_b64 v207, v[186:187], v[188:189] offset0:16 offset1:17
	s_waitcnt vmcnt(27)
	v_mov_b32_e32 v186, v166
	v_mov_b32_e32 v187, v167
	s_waitcnt vmcnt(26)
	v_mov_b32_e32 v188, v120
	v_mov_b32_e32 v189, v121
	ds_write2_b64 v207, v[186:187], v[188:189] offset0:18 offset1:19
	s_waitcnt vmcnt(25)
	v_mov_b32_e32 v186, v164
	v_mov_b32_e32 v187, v165
	s_waitcnt vmcnt(24)
	v_mov_b32_e32 v188, v118
	v_mov_b32_e32 v189, v119
	;; [unrolled: 7-line block ×13, first 2 shown]
	ds_write2_b64 v207, v[186:187], v[188:189] offset0:42 offset1:43
	s_waitcnt vmcnt(1)
	v_mov_b32_e32 v186, v140
	v_mov_b32_e32 v187, v141
	s_waitcnt vmcnt(0)
	ds_write2_b64 v207, v[186:187], v[184:185] offset0:44 offset1:45
	ds_read_b64 v[186:187], v206
	s_waitcnt lgkmcnt(0)
	v_cmp_neq_f64_e32 vcc, 0, v[186:187]
	s_and_b64 exec, exec, vcc
	s_cbranch_execz .LBB91_79
; %bb.78:
	v_div_scale_f64 v[188:189], s[6:7], v[186:187], v[186:187], 1.0
	v_rcp_f64_e32 v[190:191], v[188:189]
	v_div_scale_f64 v[192:193], vcc, 1.0, v[186:187], 1.0
	v_fma_f64 v[194:195], -v[188:189], v[190:191], 1.0
	v_fmac_f64_e32 v[190:191], v[190:191], v[194:195]
	v_fma_f64 v[194:195], -v[188:189], v[190:191], 1.0
	v_fmac_f64_e32 v[190:191], v[190:191], v[194:195]
	v_mul_f64 v[194:195], v[192:193], v[190:191]
	v_fma_f64 v[188:189], -v[188:189], v[194:195], v[192:193]
	v_div_fmas_f64 v[188:189], v[188:189], v[190:191], v[194:195]
	v_div_fixup_f64 v[186:187], v[188:189], v[186:187], 1.0
	ds_write_b64 v206, v[186:187]
.LBB91_79:
	s_or_b64 exec, exec, s[2:3]
	s_waitcnt lgkmcnt(0)
	s_barrier
	ds_read_b64 v[26:27], v206
	v_cmp_lt_u32_e32 vcc, 15, v208
	s_and_saveexec_b64 s[2:3], vcc
	s_cbranch_execz .LBB91_81
; %bb.80:
	ds_read2_b64 v[186:189], v207 offset0:16 offset1:17
	ds_read2_b64 v[190:193], v207 offset0:18 offset1:19
	;; [unrolled: 1-line block ×3, first 2 shown]
	s_waitcnt vmcnt(36) lgkmcnt(3)
	v_mul_f64 v[124:125], v[26:27], v[124:125]
	s_waitcnt vmcnt(33) lgkmcnt(2)
	v_fma_f64 v[168:169], -v[124:125], v[186:187], v[168:169]
	s_waitcnt vmcnt(30)
	v_fma_f64 v[122:123], -v[124:125], v[188:189], v[122:123]
	ds_read2_b64 v[186:189], v207 offset0:22 offset1:23
	s_waitcnt vmcnt(27) lgkmcnt(2)
	v_fma_f64 v[166:167], -v[124:125], v[190:191], v[166:167]
	s_waitcnt vmcnt(26)
	v_fma_f64 v[120:121], -v[124:125], v[192:193], v[120:121]
	s_waitcnt vmcnt(25) lgkmcnt(1)
	v_fma_f64 v[164:165], -v[124:125], v[194:195], v[164:165]
	ds_read2_b64 v[190:193], v207 offset0:24 offset1:25
	s_waitcnt vmcnt(24)
	v_fma_f64 v[118:119], -v[124:125], v[196:197], v[118:119]
	ds_read2_b64 v[194:197], v207 offset0:26 offset1:27
	s_waitcnt vmcnt(23) lgkmcnt(2)
	v_fma_f64 v[162:163], -v[124:125], v[186:187], v[162:163]
	s_waitcnt vmcnt(22)
	v_fma_f64 v[116:117], -v[124:125], v[188:189], v[116:117]
	s_waitcnt vmcnt(21) lgkmcnt(1)
	v_fma_f64 v[160:161], -v[124:125], v[190:191], v[160:161]
	ds_read2_b64 v[186:189], v207 offset0:28 offset1:29
	s_waitcnt vmcnt(20)
	v_fma_f64 v[114:115], -v[124:125], v[192:193], v[114:115]
	ds_read2_b64 v[190:193], v207 offset0:30 offset1:31
	s_waitcnt vmcnt(19) lgkmcnt(2)
	v_fma_f64 v[158:159], -v[124:125], v[194:195], v[158:159]
	s_waitcnt vmcnt(18)
	v_fma_f64 v[112:113], -v[124:125], v[196:197], v[112:113]
	ds_read2_b64 v[194:197], v207 offset0:32 offset1:33
	s_waitcnt vmcnt(17) lgkmcnt(2)
	v_fma_f64 v[156:157], -v[124:125], v[186:187], v[156:157]
	;; [unrolled: 5-line block ×3, first 2 shown]
	s_waitcnt vmcnt(14)
	v_fma_f64 v[108:109], -v[124:125], v[192:193], v[108:109]
	s_waitcnt vmcnt(13) lgkmcnt(1)
	v_fma_f64 v[152:153], -v[124:125], v[194:195], v[152:153]
	ds_read2_b64 v[190:193], v207 offset0:36 offset1:37
	s_waitcnt vmcnt(12)
	v_fma_f64 v[106:107], -v[124:125], v[196:197], v[106:107]
	ds_read2_b64 v[194:197], v207 offset0:38 offset1:39
	s_waitcnt vmcnt(11) lgkmcnt(2)
	v_fma_f64 v[150:151], -v[124:125], v[186:187], v[150:151]
	s_waitcnt vmcnt(10)
	v_fma_f64 v[104:105], -v[124:125], v[188:189], v[104:105]
	s_waitcnt vmcnt(9) lgkmcnt(1)
	v_fma_f64 v[148:149], -v[124:125], v[190:191], v[148:149]
	s_waitcnt vmcnt(8)
	v_fma_f64 v[102:103], -v[124:125], v[192:193], v[102:103]
	ds_read2_b64 v[186:189], v207 offset0:40 offset1:41
	ds_read2_b64 v[190:193], v207 offset0:42 offset1:43
	s_waitcnt vmcnt(7) lgkmcnt(2)
	v_fma_f64 v[146:147], -v[124:125], v[194:195], v[146:147]
	s_waitcnt vmcnt(6)
	v_fma_f64 v[100:101], -v[124:125], v[196:197], v[100:101]
	ds_read2_b64 v[194:197], v207 offset0:44 offset1:45
	s_waitcnt vmcnt(5) lgkmcnt(2)
	v_fma_f64 v[144:145], -v[124:125], v[186:187], v[144:145]
	s_waitcnt vmcnt(4)
	v_fma_f64 v[98:99], -v[124:125], v[188:189], v[98:99]
	s_waitcnt vmcnt(3) lgkmcnt(1)
	v_fma_f64 v[142:143], -v[124:125], v[190:191], v[142:143]
	s_waitcnt vmcnt(2)
	v_fma_f64 v[96:97], -v[124:125], v[192:193], v[96:97]
	;; [unrolled: 4-line block ×3, first 2 shown]
.LBB91_81:
	s_or_b64 exec, exec, s[2:3]
	v_cmp_eq_u32_e32 vcc, 16, v208
	s_waitcnt lgkmcnt(0)
	s_barrier
	s_and_saveexec_b64 s[2:3], vcc
	s_cbranch_execz .LBB91_84
; %bb.82:
	s_waitcnt vmcnt(33)
	ds_write_b64 v206, v[168:169]
	s_waitcnt vmcnt(27)
	ds_write2_b64 v207, v[122:123], v[166:167] offset0:17 offset1:18
	s_waitcnt vmcnt(25)
	ds_write2_b64 v207, v[120:121], v[164:165] offset0:19 offset1:20
	;; [unrolled: 2-line block ×14, first 2 shown]
	s_waitcnt vmcnt(0)
	ds_write_b64 v207, v[184:185] offset:360
	ds_read_b64 v[186:187], v206
	s_waitcnt lgkmcnt(0)
	v_cmp_neq_f64_e32 vcc, 0, v[186:187]
	s_and_b64 exec, exec, vcc
	s_cbranch_execz .LBB91_84
; %bb.83:
	v_div_scale_f64 v[188:189], s[6:7], v[186:187], v[186:187], 1.0
	v_rcp_f64_e32 v[190:191], v[188:189]
	v_div_scale_f64 v[192:193], vcc, 1.0, v[186:187], 1.0
	v_fma_f64 v[194:195], -v[188:189], v[190:191], 1.0
	v_fmac_f64_e32 v[190:191], v[190:191], v[194:195]
	v_fma_f64 v[194:195], -v[188:189], v[190:191], 1.0
	v_fmac_f64_e32 v[190:191], v[190:191], v[194:195]
	v_mul_f64 v[194:195], v[192:193], v[190:191]
	v_fma_f64 v[188:189], -v[188:189], v[194:195], v[192:193]
	v_div_fmas_f64 v[188:189], v[188:189], v[190:191], v[194:195]
	v_div_fixup_f64 v[186:187], v[188:189], v[186:187], 1.0
	ds_write_b64 v206, v[186:187]
.LBB91_84:
	s_or_b64 exec, exec, s[2:3]
	s_waitcnt lgkmcnt(0)
	s_barrier
	ds_read_b64 v[28:29], v206
	v_cmp_lt_u32_e32 vcc, 16, v208
	s_and_saveexec_b64 s[2:3], vcc
	s_cbranch_execz .LBB91_86
; %bb.85:
	ds_read2_b64 v[186:189], v207 offset0:17 offset1:18
	ds_read2_b64 v[190:193], v207 offset0:19 offset1:20
	;; [unrolled: 1-line block ×3, first 2 shown]
	s_waitcnt vmcnt(33) lgkmcnt(3)
	v_mul_f64 v[168:169], v[28:29], v[168:169]
	s_waitcnt vmcnt(30) lgkmcnt(2)
	v_fma_f64 v[122:123], -v[168:169], v[186:187], v[122:123]
	s_waitcnt vmcnt(27)
	v_fma_f64 v[166:167], -v[168:169], v[188:189], v[166:167]
	ds_read2_b64 v[186:189], v207 offset0:23 offset1:24
	s_waitcnt vmcnt(26) lgkmcnt(2)
	v_fma_f64 v[120:121], -v[168:169], v[190:191], v[120:121]
	s_waitcnt vmcnt(25)
	v_fma_f64 v[164:165], -v[168:169], v[192:193], v[164:165]
	s_waitcnt vmcnt(24) lgkmcnt(1)
	v_fma_f64 v[118:119], -v[168:169], v[194:195], v[118:119]
	ds_read2_b64 v[190:193], v207 offset0:25 offset1:26
	s_waitcnt vmcnt(23)
	v_fma_f64 v[162:163], -v[168:169], v[196:197], v[162:163]
	ds_read2_b64 v[194:197], v207 offset0:27 offset1:28
	s_waitcnt vmcnt(22) lgkmcnt(2)
	v_fma_f64 v[116:117], -v[168:169], v[186:187], v[116:117]
	s_waitcnt vmcnt(21)
	v_fma_f64 v[160:161], -v[168:169], v[188:189], v[160:161]
	s_waitcnt vmcnt(20) lgkmcnt(1)
	v_fma_f64 v[114:115], -v[168:169], v[190:191], v[114:115]
	ds_read2_b64 v[186:189], v207 offset0:29 offset1:30
	s_waitcnt vmcnt(19)
	v_fma_f64 v[158:159], -v[168:169], v[192:193], v[158:159]
	ds_read2_b64 v[190:193], v207 offset0:31 offset1:32
	s_waitcnt vmcnt(18) lgkmcnt(2)
	v_fma_f64 v[112:113], -v[168:169], v[194:195], v[112:113]
	s_waitcnt vmcnt(17)
	v_fma_f64 v[156:157], -v[168:169], v[196:197], v[156:157]
	ds_read2_b64 v[194:197], v207 offset0:33 offset1:34
	s_waitcnt vmcnt(16) lgkmcnt(2)
	v_fma_f64 v[110:111], -v[168:169], v[186:187], v[110:111]
	;; [unrolled: 5-line block ×3, first 2 shown]
	s_waitcnt vmcnt(13)
	v_fma_f64 v[152:153], -v[168:169], v[192:193], v[152:153]
	s_waitcnt vmcnt(12) lgkmcnt(1)
	v_fma_f64 v[106:107], -v[168:169], v[194:195], v[106:107]
	ds_read2_b64 v[190:193], v207 offset0:37 offset1:38
	s_waitcnt vmcnt(11)
	v_fma_f64 v[150:151], -v[168:169], v[196:197], v[150:151]
	ds_read2_b64 v[194:197], v207 offset0:39 offset1:40
	s_waitcnt vmcnt(10) lgkmcnt(2)
	v_fma_f64 v[104:105], -v[168:169], v[186:187], v[104:105]
	s_waitcnt vmcnt(9)
	v_fma_f64 v[148:149], -v[168:169], v[188:189], v[148:149]
	s_waitcnt vmcnt(8) lgkmcnt(1)
	v_fma_f64 v[102:103], -v[168:169], v[190:191], v[102:103]
	s_waitcnt vmcnt(7)
	v_fma_f64 v[146:147], -v[168:169], v[192:193], v[146:147]
	ds_read2_b64 v[186:189], v207 offset0:41 offset1:42
	ds_read2_b64 v[190:193], v207 offset0:43 offset1:44
	s_waitcnt vmcnt(6) lgkmcnt(2)
	v_fma_f64 v[100:101], -v[168:169], v[194:195], v[100:101]
	ds_read_b64 v[194:195], v207 offset:360
	s_waitcnt vmcnt(5)
	v_fma_f64 v[144:145], -v[168:169], v[196:197], v[144:145]
	s_waitcnt vmcnt(4) lgkmcnt(2)
	v_fma_f64 v[98:99], -v[168:169], v[186:187], v[98:99]
	s_waitcnt vmcnt(3)
	v_fma_f64 v[142:143], -v[168:169], v[188:189], v[142:143]
	s_waitcnt vmcnt(2) lgkmcnt(1)
	v_fma_f64 v[96:97], -v[168:169], v[190:191], v[96:97]
	;; [unrolled: 4-line block ×3, first 2 shown]
.LBB91_86:
	s_or_b64 exec, exec, s[2:3]
	v_cmp_eq_u32_e32 vcc, 17, v208
	s_waitcnt lgkmcnt(0)
	s_barrier
	s_and_saveexec_b64 s[2:3], vcc
	s_cbranch_execz .LBB91_89
; %bb.87:
	s_waitcnt vmcnt(27)
	v_mov_b32_e32 v186, v166
	v_mov_b32_e32 v187, v167
	s_waitcnt vmcnt(26)
	v_mov_b32_e32 v188, v120
	v_mov_b32_e32 v189, v121
	ds_write_b64 v206, v[122:123]
	ds_write2_b64 v207, v[186:187], v[188:189] offset0:18 offset1:19
	s_waitcnt vmcnt(25)
	v_mov_b32_e32 v186, v164
	v_mov_b32_e32 v187, v165
	s_waitcnt vmcnt(24)
	v_mov_b32_e32 v188, v118
	v_mov_b32_e32 v189, v119
	ds_write2_b64 v207, v[186:187], v[188:189] offset0:20 offset1:21
	s_waitcnt vmcnt(23)
	v_mov_b32_e32 v186, v162
	v_mov_b32_e32 v187, v163
	s_waitcnt vmcnt(22)
	v_mov_b32_e32 v188, v116
	v_mov_b32_e32 v189, v117
	;; [unrolled: 7-line block ×12, first 2 shown]
	ds_write2_b64 v207, v[186:187], v[188:189] offset0:42 offset1:43
	s_waitcnt vmcnt(1)
	v_mov_b32_e32 v186, v140
	v_mov_b32_e32 v187, v141
	s_waitcnt vmcnt(0)
	ds_write2_b64 v207, v[186:187], v[184:185] offset0:44 offset1:45
	ds_read_b64 v[186:187], v206
	s_waitcnt lgkmcnt(0)
	v_cmp_neq_f64_e32 vcc, 0, v[186:187]
	s_and_b64 exec, exec, vcc
	s_cbranch_execz .LBB91_89
; %bb.88:
	v_div_scale_f64 v[188:189], s[6:7], v[186:187], v[186:187], 1.0
	v_rcp_f64_e32 v[190:191], v[188:189]
	v_div_scale_f64 v[192:193], vcc, 1.0, v[186:187], 1.0
	v_fma_f64 v[194:195], -v[188:189], v[190:191], 1.0
	v_fmac_f64_e32 v[190:191], v[190:191], v[194:195]
	v_fma_f64 v[194:195], -v[188:189], v[190:191], 1.0
	v_fmac_f64_e32 v[190:191], v[190:191], v[194:195]
	v_mul_f64 v[194:195], v[192:193], v[190:191]
	v_fma_f64 v[188:189], -v[188:189], v[194:195], v[192:193]
	v_div_fmas_f64 v[188:189], v[188:189], v[190:191], v[194:195]
	v_div_fixup_f64 v[186:187], v[188:189], v[186:187], 1.0
	ds_write_b64 v206, v[186:187]
.LBB91_89:
	s_or_b64 exec, exec, s[2:3]
	s_waitcnt lgkmcnt(0)
	s_barrier
	ds_read_b64 v[30:31], v206
	v_cmp_lt_u32_e32 vcc, 17, v208
	s_and_saveexec_b64 s[2:3], vcc
	s_cbranch_execz .LBB91_91
; %bb.90:
	ds_read2_b64 v[186:189], v207 offset0:18 offset1:19
	ds_read2_b64 v[190:193], v207 offset0:20 offset1:21
	s_waitcnt vmcnt(30) lgkmcnt(2)
	v_mul_f64 v[122:123], v[30:31], v[122:123]
	ds_read2_b64 v[194:197], v207 offset0:22 offset1:23
	s_waitcnt vmcnt(27) lgkmcnt(2)
	v_fma_f64 v[166:167], -v[122:123], v[186:187], v[166:167]
	s_waitcnt vmcnt(26)
	v_fma_f64 v[120:121], -v[122:123], v[188:189], v[120:121]
	ds_read2_b64 v[186:189], v207 offset0:24 offset1:25
	s_waitcnt vmcnt(25) lgkmcnt(2)
	v_fma_f64 v[164:165], -v[122:123], v[190:191], v[164:165]
	s_waitcnt vmcnt(24)
	v_fma_f64 v[118:119], -v[122:123], v[192:193], v[118:119]
	;; [unrolled: 5-line block ×4, first 2 shown]
	s_waitcnt vmcnt(19) lgkmcnt(1)
	v_fma_f64 v[158:159], -v[122:123], v[190:191], v[158:159]
	ds_read2_b64 v[186:189], v207 offset0:30 offset1:31
	s_waitcnt vmcnt(18)
	v_fma_f64 v[112:113], -v[122:123], v[192:193], v[112:113]
	ds_read2_b64 v[190:193], v207 offset0:32 offset1:33
	s_waitcnt vmcnt(17) lgkmcnt(2)
	v_fma_f64 v[156:157], -v[122:123], v[194:195], v[156:157]
	s_waitcnt vmcnt(16)
	v_fma_f64 v[110:111], -v[122:123], v[196:197], v[110:111]
	s_waitcnt vmcnt(15) lgkmcnt(1)
	v_fma_f64 v[154:155], -v[122:123], v[186:187], v[154:155]
	ds_read2_b64 v[194:197], v207 offset0:34 offset1:35
	s_waitcnt vmcnt(14)
	v_fma_f64 v[108:109], -v[122:123], v[188:189], v[108:109]
	ds_read2_b64 v[186:189], v207 offset0:36 offset1:37
	s_waitcnt vmcnt(13) lgkmcnt(2)
	v_fma_f64 v[152:153], -v[122:123], v[190:191], v[152:153]
	s_waitcnt vmcnt(12)
	v_fma_f64 v[106:107], -v[122:123], v[192:193], v[106:107]
	ds_read2_b64 v[190:193], v207 offset0:38 offset1:39
	s_waitcnt vmcnt(11) lgkmcnt(2)
	v_fma_f64 v[150:151], -v[122:123], v[194:195], v[150:151]
	s_waitcnt vmcnt(10)
	v_fma_f64 v[104:105], -v[122:123], v[196:197], v[104:105]
	s_waitcnt vmcnt(9) lgkmcnt(1)
	v_fma_f64 v[148:149], -v[122:123], v[186:187], v[148:149]
	s_waitcnt vmcnt(8)
	v_fma_f64 v[102:103], -v[122:123], v[188:189], v[102:103]
	ds_read2_b64 v[186:189], v207 offset0:40 offset1:41
	s_waitcnt vmcnt(7) lgkmcnt(1)
	v_fma_f64 v[146:147], -v[122:123], v[190:191], v[146:147]
	ds_read2_b64 v[194:197], v207 offset0:42 offset1:43
	s_waitcnt vmcnt(6)
	v_fma_f64 v[100:101], -v[122:123], v[192:193], v[100:101]
	ds_read2_b64 v[190:193], v207 offset0:44 offset1:45
	s_waitcnt vmcnt(5) lgkmcnt(2)
	v_fma_f64 v[144:145], -v[122:123], v[186:187], v[144:145]
	s_waitcnt vmcnt(4)
	v_fma_f64 v[98:99], -v[122:123], v[188:189], v[98:99]
	s_waitcnt vmcnt(3) lgkmcnt(1)
	v_fma_f64 v[142:143], -v[122:123], v[194:195], v[142:143]
	s_waitcnt vmcnt(2)
	v_fma_f64 v[96:97], -v[122:123], v[196:197], v[96:97]
	;; [unrolled: 4-line block ×3, first 2 shown]
.LBB91_91:
	s_or_b64 exec, exec, s[2:3]
	v_cmp_eq_u32_e32 vcc, 18, v208
	s_waitcnt lgkmcnt(0)
	s_barrier
	s_and_saveexec_b64 s[2:3], vcc
	s_cbranch_execz .LBB91_94
; %bb.92:
	s_waitcnt vmcnt(27)
	ds_write_b64 v206, v[166:167]
	s_waitcnt vmcnt(25)
	ds_write2_b64 v207, v[120:121], v[164:165] offset0:19 offset1:20
	s_waitcnt vmcnt(23)
	ds_write2_b64 v207, v[118:119], v[162:163] offset0:21 offset1:22
	;; [unrolled: 2-line block ×13, first 2 shown]
	s_waitcnt vmcnt(0)
	ds_write_b64 v207, v[184:185] offset:360
	ds_read_b64 v[186:187], v206
	s_waitcnt lgkmcnt(0)
	v_cmp_neq_f64_e32 vcc, 0, v[186:187]
	s_and_b64 exec, exec, vcc
	s_cbranch_execz .LBB91_94
; %bb.93:
	v_div_scale_f64 v[188:189], s[6:7], v[186:187], v[186:187], 1.0
	v_rcp_f64_e32 v[190:191], v[188:189]
	v_div_scale_f64 v[192:193], vcc, 1.0, v[186:187], 1.0
	v_fma_f64 v[194:195], -v[188:189], v[190:191], 1.0
	v_fmac_f64_e32 v[190:191], v[190:191], v[194:195]
	v_fma_f64 v[194:195], -v[188:189], v[190:191], 1.0
	v_fmac_f64_e32 v[190:191], v[190:191], v[194:195]
	v_mul_f64 v[194:195], v[192:193], v[190:191]
	v_fma_f64 v[188:189], -v[188:189], v[194:195], v[192:193]
	v_div_fmas_f64 v[188:189], v[188:189], v[190:191], v[194:195]
	v_div_fixup_f64 v[186:187], v[188:189], v[186:187], 1.0
	ds_write_b64 v206, v[186:187]
.LBB91_94:
	s_or_b64 exec, exec, s[2:3]
	s_waitcnt lgkmcnt(0)
	s_barrier
	ds_read_b64 v[34:35], v206
	v_cmp_lt_u32_e32 vcc, 18, v208
	s_and_saveexec_b64 s[2:3], vcc
	s_cbranch_execz .LBB91_96
; %bb.95:
	ds_read2_b64 v[186:189], v207 offset0:19 offset1:20
	ds_read2_b64 v[190:193], v207 offset0:21 offset1:22
	s_waitcnt vmcnt(27) lgkmcnt(2)
	v_mul_f64 v[166:167], v[34:35], v[166:167]
	ds_read2_b64 v[194:197], v207 offset0:23 offset1:24
	s_waitcnt vmcnt(26) lgkmcnt(2)
	v_fma_f64 v[120:121], -v[166:167], v[186:187], v[120:121]
	s_waitcnt vmcnt(25)
	v_fma_f64 v[164:165], -v[166:167], v[188:189], v[164:165]
	ds_read2_b64 v[186:189], v207 offset0:25 offset1:26
	s_waitcnt vmcnt(24) lgkmcnt(2)
	v_fma_f64 v[118:119], -v[166:167], v[190:191], v[118:119]
	s_waitcnt vmcnt(23)
	v_fma_f64 v[162:163], -v[166:167], v[192:193], v[162:163]
	;; [unrolled: 5-line block ×4, first 2 shown]
	s_waitcnt vmcnt(18) lgkmcnt(1)
	v_fma_f64 v[112:113], -v[166:167], v[190:191], v[112:113]
	ds_read2_b64 v[186:189], v207 offset0:31 offset1:32
	s_waitcnt vmcnt(17)
	v_fma_f64 v[156:157], -v[166:167], v[192:193], v[156:157]
	ds_read2_b64 v[190:193], v207 offset0:33 offset1:34
	s_waitcnt vmcnt(16) lgkmcnt(2)
	v_fma_f64 v[110:111], -v[166:167], v[194:195], v[110:111]
	s_waitcnt vmcnt(15)
	v_fma_f64 v[154:155], -v[166:167], v[196:197], v[154:155]
	s_waitcnt vmcnt(14) lgkmcnt(1)
	v_fma_f64 v[108:109], -v[166:167], v[186:187], v[108:109]
	ds_read2_b64 v[194:197], v207 offset0:35 offset1:36
	s_waitcnt vmcnt(13)
	v_fma_f64 v[152:153], -v[166:167], v[188:189], v[152:153]
	ds_read2_b64 v[186:189], v207 offset0:37 offset1:38
	s_waitcnt vmcnt(12) lgkmcnt(2)
	v_fma_f64 v[106:107], -v[166:167], v[190:191], v[106:107]
	s_waitcnt vmcnt(11)
	v_fma_f64 v[150:151], -v[166:167], v[192:193], v[150:151]
	ds_read2_b64 v[190:193], v207 offset0:39 offset1:40
	s_waitcnt vmcnt(10) lgkmcnt(2)
	v_fma_f64 v[104:105], -v[166:167], v[194:195], v[104:105]
	s_waitcnt vmcnt(9)
	v_fma_f64 v[148:149], -v[166:167], v[196:197], v[148:149]
	s_waitcnt vmcnt(8) lgkmcnt(1)
	v_fma_f64 v[102:103], -v[166:167], v[186:187], v[102:103]
	s_waitcnt vmcnt(7)
	v_fma_f64 v[146:147], -v[166:167], v[188:189], v[146:147]
	ds_read2_b64 v[186:189], v207 offset0:41 offset1:42
	s_waitcnt vmcnt(6) lgkmcnt(1)
	v_fma_f64 v[100:101], -v[166:167], v[190:191], v[100:101]
	ds_read2_b64 v[194:197], v207 offset0:43 offset1:44
	ds_read_b64 v[190:191], v207 offset:360
	s_waitcnt vmcnt(5)
	v_fma_f64 v[144:145], -v[166:167], v[192:193], v[144:145]
	s_waitcnt vmcnt(4) lgkmcnt(2)
	v_fma_f64 v[98:99], -v[166:167], v[186:187], v[98:99]
	s_waitcnt vmcnt(3)
	v_fma_f64 v[142:143], -v[166:167], v[188:189], v[142:143]
	s_waitcnt vmcnt(2) lgkmcnt(1)
	v_fma_f64 v[96:97], -v[166:167], v[194:195], v[96:97]
	;; [unrolled: 4-line block ×3, first 2 shown]
.LBB91_96:
	s_or_b64 exec, exec, s[2:3]
	v_cmp_eq_u32_e32 vcc, 19, v208
	s_waitcnt lgkmcnt(0)
	s_barrier
	s_and_saveexec_b64 s[2:3], vcc
	s_cbranch_execz .LBB91_99
; %bb.97:
	s_waitcnt vmcnt(25)
	v_mov_b32_e32 v186, v164
	v_mov_b32_e32 v187, v165
	s_waitcnt vmcnt(24)
	v_mov_b32_e32 v188, v118
	v_mov_b32_e32 v189, v119
	ds_write_b64 v206, v[120:121]
	ds_write2_b64 v207, v[186:187], v[188:189] offset0:20 offset1:21
	s_waitcnt vmcnt(23)
	v_mov_b32_e32 v186, v162
	v_mov_b32_e32 v187, v163
	s_waitcnt vmcnt(22)
	v_mov_b32_e32 v188, v116
	v_mov_b32_e32 v189, v117
	ds_write2_b64 v207, v[186:187], v[188:189] offset0:22 offset1:23
	s_waitcnt vmcnt(21)
	v_mov_b32_e32 v186, v160
	v_mov_b32_e32 v187, v161
	s_waitcnt vmcnt(20)
	v_mov_b32_e32 v188, v114
	v_mov_b32_e32 v189, v115
	;; [unrolled: 7-line block ×11, first 2 shown]
	ds_write2_b64 v207, v[186:187], v[188:189] offset0:42 offset1:43
	s_waitcnt vmcnt(1)
	v_mov_b32_e32 v186, v140
	v_mov_b32_e32 v187, v141
	s_waitcnt vmcnt(0)
	ds_write2_b64 v207, v[186:187], v[184:185] offset0:44 offset1:45
	ds_read_b64 v[186:187], v206
	s_waitcnt lgkmcnt(0)
	v_cmp_neq_f64_e32 vcc, 0, v[186:187]
	s_and_b64 exec, exec, vcc
	s_cbranch_execz .LBB91_99
; %bb.98:
	v_div_scale_f64 v[188:189], s[6:7], v[186:187], v[186:187], 1.0
	v_rcp_f64_e32 v[190:191], v[188:189]
	v_div_scale_f64 v[192:193], vcc, 1.0, v[186:187], 1.0
	v_fma_f64 v[194:195], -v[188:189], v[190:191], 1.0
	v_fmac_f64_e32 v[190:191], v[190:191], v[194:195]
	v_fma_f64 v[194:195], -v[188:189], v[190:191], 1.0
	v_fmac_f64_e32 v[190:191], v[190:191], v[194:195]
	v_mul_f64 v[194:195], v[192:193], v[190:191]
	v_fma_f64 v[188:189], -v[188:189], v[194:195], v[192:193]
	v_div_fmas_f64 v[188:189], v[188:189], v[190:191], v[194:195]
	v_div_fixup_f64 v[186:187], v[188:189], v[186:187], 1.0
	ds_write_b64 v206, v[186:187]
.LBB91_99:
	s_or_b64 exec, exec, s[2:3]
	s_waitcnt lgkmcnt(0)
	s_barrier
	ds_read_b64 v[224:225], v206
	v_cmp_lt_u32_e32 vcc, 19, v208
	s_and_saveexec_b64 s[2:3], vcc
	s_cbranch_execz .LBB91_101
; %bb.100:
	ds_read2_b64 v[186:189], v207 offset0:20 offset1:21
	ds_read2_b64 v[190:193], v207 offset0:22 offset1:23
	s_waitcnt vmcnt(26) lgkmcnt(2)
	v_mul_f64 v[120:121], v[224:225], v[120:121]
	ds_read2_b64 v[194:197], v207 offset0:24 offset1:25
	s_waitcnt vmcnt(25) lgkmcnt(2)
	v_fma_f64 v[164:165], -v[120:121], v[186:187], v[164:165]
	s_waitcnt vmcnt(24)
	v_fma_f64 v[118:119], -v[120:121], v[188:189], v[118:119]
	ds_read2_b64 v[186:189], v207 offset0:26 offset1:27
	s_waitcnt vmcnt(23) lgkmcnt(2)
	v_fma_f64 v[162:163], -v[120:121], v[190:191], v[162:163]
	s_waitcnt vmcnt(22)
	v_fma_f64 v[116:117], -v[120:121], v[192:193], v[116:117]
	s_waitcnt vmcnt(21) lgkmcnt(1)
	v_fma_f64 v[160:161], -v[120:121], v[194:195], v[160:161]
	ds_read2_b64 v[190:193], v207 offset0:28 offset1:29
	s_waitcnt vmcnt(20)
	v_fma_f64 v[114:115], -v[120:121], v[196:197], v[114:115]
	ds_read2_b64 v[194:197], v207 offset0:30 offset1:31
	s_waitcnt vmcnt(19) lgkmcnt(2)
	v_fma_f64 v[158:159], -v[120:121], v[186:187], v[158:159]
	s_waitcnt vmcnt(18)
	v_fma_f64 v[112:113], -v[120:121], v[188:189], v[112:113]
	ds_read2_b64 v[186:189], v207 offset0:32 offset1:33
	s_waitcnt vmcnt(17) lgkmcnt(2)
	v_fma_f64 v[156:157], -v[120:121], v[190:191], v[156:157]
	;; [unrolled: 5-line block ×3, first 2 shown]
	s_waitcnt vmcnt(14)
	v_fma_f64 v[108:109], -v[120:121], v[196:197], v[108:109]
	s_waitcnt vmcnt(13) lgkmcnt(1)
	v_fma_f64 v[152:153], -v[120:121], v[186:187], v[152:153]
	ds_read2_b64 v[194:197], v207 offset0:36 offset1:37
	s_waitcnt vmcnt(12)
	v_fma_f64 v[106:107], -v[120:121], v[188:189], v[106:107]
	ds_read2_b64 v[186:189], v207 offset0:38 offset1:39
	s_waitcnt vmcnt(11) lgkmcnt(2)
	v_fma_f64 v[150:151], -v[120:121], v[190:191], v[150:151]
	s_waitcnt vmcnt(10)
	v_fma_f64 v[104:105], -v[120:121], v[192:193], v[104:105]
	s_waitcnt vmcnt(9) lgkmcnt(1)
	v_fma_f64 v[148:149], -v[120:121], v[194:195], v[148:149]
	s_waitcnt vmcnt(8)
	v_fma_f64 v[102:103], -v[120:121], v[196:197], v[102:103]
	ds_read2_b64 v[190:193], v207 offset0:40 offset1:41
	ds_read2_b64 v[194:197], v207 offset0:42 offset1:43
	s_waitcnt vmcnt(7) lgkmcnt(2)
	v_fma_f64 v[146:147], -v[120:121], v[186:187], v[146:147]
	s_waitcnt vmcnt(6)
	v_fma_f64 v[100:101], -v[120:121], v[188:189], v[100:101]
	ds_read2_b64 v[186:189], v207 offset0:44 offset1:45
	s_waitcnt vmcnt(5) lgkmcnt(2)
	v_fma_f64 v[144:145], -v[120:121], v[190:191], v[144:145]
	s_waitcnt vmcnt(4)
	v_fma_f64 v[98:99], -v[120:121], v[192:193], v[98:99]
	s_waitcnt vmcnt(3) lgkmcnt(1)
	v_fma_f64 v[142:143], -v[120:121], v[194:195], v[142:143]
	s_waitcnt vmcnt(2)
	v_fma_f64 v[96:97], -v[120:121], v[196:197], v[96:97]
	s_waitcnt vmcnt(1) lgkmcnt(0)
	v_fma_f64 v[140:141], -v[120:121], v[186:187], v[140:141]
	s_waitcnt vmcnt(0)
	v_fma_f64 v[184:185], -v[120:121], v[188:189], v[184:185]
.LBB91_101:
	s_or_b64 exec, exec, s[2:3]
	v_cmp_eq_u32_e32 vcc, 20, v208
	s_waitcnt lgkmcnt(0)
	s_barrier
	s_and_saveexec_b64 s[2:3], vcc
	s_cbranch_execz .LBB91_104
; %bb.102:
	s_waitcnt vmcnt(25)
	ds_write_b64 v206, v[164:165]
	s_waitcnt vmcnt(23)
	ds_write2_b64 v207, v[118:119], v[162:163] offset0:21 offset1:22
	s_waitcnt vmcnt(21)
	ds_write2_b64 v207, v[116:117], v[160:161] offset0:23 offset1:24
	;; [unrolled: 2-line block ×12, first 2 shown]
	s_waitcnt vmcnt(0)
	ds_write_b64 v207, v[184:185] offset:360
	ds_read_b64 v[186:187], v206
	s_waitcnt lgkmcnt(0)
	v_cmp_neq_f64_e32 vcc, 0, v[186:187]
	s_and_b64 exec, exec, vcc
	s_cbranch_execz .LBB91_104
; %bb.103:
	v_div_scale_f64 v[188:189], s[6:7], v[186:187], v[186:187], 1.0
	v_rcp_f64_e32 v[190:191], v[188:189]
	v_div_scale_f64 v[192:193], vcc, 1.0, v[186:187], 1.0
	v_fma_f64 v[194:195], -v[188:189], v[190:191], 1.0
	v_fmac_f64_e32 v[190:191], v[190:191], v[194:195]
	v_fma_f64 v[194:195], -v[188:189], v[190:191], 1.0
	v_fmac_f64_e32 v[190:191], v[190:191], v[194:195]
	v_mul_f64 v[194:195], v[192:193], v[190:191]
	v_fma_f64 v[188:189], -v[188:189], v[194:195], v[192:193]
	v_div_fmas_f64 v[188:189], v[188:189], v[190:191], v[194:195]
	v_div_fixup_f64 v[186:187], v[188:189], v[186:187], 1.0
	ds_write_b64 v206, v[186:187]
.LBB91_104:
	s_or_b64 exec, exec, s[2:3]
	s_waitcnt lgkmcnt(0)
	s_barrier
	ds_read_b64 v[226:227], v206
	v_cmp_lt_u32_e32 vcc, 20, v208
	s_and_saveexec_b64 s[2:3], vcc
	s_cbranch_execz .LBB91_106
; %bb.105:
	ds_read2_b64 v[186:189], v207 offset0:21 offset1:22
	ds_read2_b64 v[190:193], v207 offset0:23 offset1:24
	s_waitcnt vmcnt(25) lgkmcnt(2)
	v_mul_f64 v[164:165], v[226:227], v[164:165]
	ds_read2_b64 v[194:197], v207 offset0:25 offset1:26
	s_waitcnt vmcnt(24) lgkmcnt(2)
	v_fma_f64 v[118:119], -v[164:165], v[186:187], v[118:119]
	s_waitcnt vmcnt(23)
	v_fma_f64 v[162:163], -v[164:165], v[188:189], v[162:163]
	ds_read2_b64 v[186:189], v207 offset0:27 offset1:28
	s_waitcnt vmcnt(22) lgkmcnt(2)
	v_fma_f64 v[116:117], -v[164:165], v[190:191], v[116:117]
	s_waitcnt vmcnt(21)
	v_fma_f64 v[160:161], -v[164:165], v[192:193], v[160:161]
	s_waitcnt vmcnt(20) lgkmcnt(1)
	v_fma_f64 v[114:115], -v[164:165], v[194:195], v[114:115]
	ds_read2_b64 v[190:193], v207 offset0:29 offset1:30
	s_waitcnt vmcnt(19)
	v_fma_f64 v[158:159], -v[164:165], v[196:197], v[158:159]
	ds_read2_b64 v[194:197], v207 offset0:31 offset1:32
	s_waitcnt vmcnt(18) lgkmcnt(2)
	v_fma_f64 v[112:113], -v[164:165], v[186:187], v[112:113]
	s_waitcnt vmcnt(17)
	v_fma_f64 v[156:157], -v[164:165], v[188:189], v[156:157]
	ds_read2_b64 v[186:189], v207 offset0:33 offset1:34
	s_waitcnt vmcnt(16) lgkmcnt(2)
	v_fma_f64 v[110:111], -v[164:165], v[190:191], v[110:111]
	s_waitcnt vmcnt(15)
	v_fma_f64 v[154:155], -v[164:165], v[192:193], v[154:155]
	ds_read2_b64 v[190:193], v207 offset0:35 offset1:36
	s_waitcnt vmcnt(14) lgkmcnt(2)
	v_fma_f64 v[108:109], -v[164:165], v[194:195], v[108:109]
	s_waitcnt vmcnt(13)
	v_fma_f64 v[152:153], -v[164:165], v[196:197], v[152:153]
	s_waitcnt vmcnt(12) lgkmcnt(1)
	v_fma_f64 v[106:107], -v[164:165], v[186:187], v[106:107]
	ds_read2_b64 v[194:197], v207 offset0:37 offset1:38
	s_waitcnt vmcnt(11)
	v_fma_f64 v[150:151], -v[164:165], v[188:189], v[150:151]
	ds_read2_b64 v[186:189], v207 offset0:39 offset1:40
	s_waitcnt vmcnt(10) lgkmcnt(2)
	v_fma_f64 v[104:105], -v[164:165], v[190:191], v[104:105]
	s_waitcnt vmcnt(9)
	v_fma_f64 v[148:149], -v[164:165], v[192:193], v[148:149]
	s_waitcnt vmcnt(8) lgkmcnt(1)
	v_fma_f64 v[102:103], -v[164:165], v[194:195], v[102:103]
	s_waitcnt vmcnt(7)
	v_fma_f64 v[146:147], -v[164:165], v[196:197], v[146:147]
	ds_read2_b64 v[190:193], v207 offset0:41 offset1:42
	ds_read2_b64 v[194:197], v207 offset0:43 offset1:44
	s_waitcnt vmcnt(6) lgkmcnt(2)
	v_fma_f64 v[100:101], -v[164:165], v[186:187], v[100:101]
	ds_read_b64 v[186:187], v207 offset:360
	s_waitcnt vmcnt(5)
	v_fma_f64 v[144:145], -v[164:165], v[188:189], v[144:145]
	s_waitcnt vmcnt(4) lgkmcnt(2)
	v_fma_f64 v[98:99], -v[164:165], v[190:191], v[98:99]
	s_waitcnt vmcnt(3)
	v_fma_f64 v[142:143], -v[164:165], v[192:193], v[142:143]
	s_waitcnt vmcnt(2) lgkmcnt(1)
	v_fma_f64 v[96:97], -v[164:165], v[194:195], v[96:97]
	;; [unrolled: 4-line block ×3, first 2 shown]
.LBB91_106:
	s_or_b64 exec, exec, s[2:3]
	v_cmp_eq_u32_e32 vcc, 21, v208
	s_waitcnt lgkmcnt(0)
	s_barrier
	s_and_saveexec_b64 s[2:3], vcc
	s_cbranch_execz .LBB91_109
; %bb.107:
	s_waitcnt vmcnt(23)
	v_mov_b32_e32 v186, v162
	v_mov_b32_e32 v187, v163
	s_waitcnt vmcnt(22)
	v_mov_b32_e32 v188, v116
	v_mov_b32_e32 v189, v117
	ds_write_b64 v206, v[118:119]
	ds_write2_b64 v207, v[186:187], v[188:189] offset0:22 offset1:23
	s_waitcnt vmcnt(21)
	v_mov_b32_e32 v186, v160
	v_mov_b32_e32 v187, v161
	s_waitcnt vmcnt(20)
	v_mov_b32_e32 v188, v114
	v_mov_b32_e32 v189, v115
	ds_write2_b64 v207, v[186:187], v[188:189] offset0:24 offset1:25
	s_waitcnt vmcnt(19)
	v_mov_b32_e32 v186, v158
	v_mov_b32_e32 v187, v159
	s_waitcnt vmcnt(18)
	v_mov_b32_e32 v188, v112
	v_mov_b32_e32 v189, v113
	ds_write2_b64 v207, v[186:187], v[188:189] offset0:26 offset1:27
	s_waitcnt vmcnt(17)
	v_mov_b32_e32 v186, v156
	v_mov_b32_e32 v187, v157
	s_waitcnt vmcnt(16)
	v_mov_b32_e32 v188, v110
	v_mov_b32_e32 v189, v111
	ds_write2_b64 v207, v[186:187], v[188:189] offset0:28 offset1:29
	s_waitcnt vmcnt(15)
	v_mov_b32_e32 v186, v154
	v_mov_b32_e32 v187, v155
	s_waitcnt vmcnt(14)
	v_mov_b32_e32 v188, v108
	v_mov_b32_e32 v189, v109
	ds_write2_b64 v207, v[186:187], v[188:189] offset0:30 offset1:31
	s_waitcnt vmcnt(13)
	v_mov_b32_e32 v186, v152
	v_mov_b32_e32 v187, v153
	s_waitcnt vmcnt(12)
	v_mov_b32_e32 v188, v106
	v_mov_b32_e32 v189, v107
	ds_write2_b64 v207, v[186:187], v[188:189] offset0:32 offset1:33
	s_waitcnt vmcnt(11)
	v_mov_b32_e32 v186, v150
	v_mov_b32_e32 v187, v151
	s_waitcnt vmcnt(10)
	v_mov_b32_e32 v188, v104
	v_mov_b32_e32 v189, v105
	ds_write2_b64 v207, v[186:187], v[188:189] offset0:34 offset1:35
	s_waitcnt vmcnt(9)
	v_mov_b32_e32 v186, v148
	v_mov_b32_e32 v187, v149
	s_waitcnt vmcnt(8)
	v_mov_b32_e32 v188, v102
	v_mov_b32_e32 v189, v103
	ds_write2_b64 v207, v[186:187], v[188:189] offset0:36 offset1:37
	s_waitcnt vmcnt(7)
	v_mov_b32_e32 v186, v146
	v_mov_b32_e32 v187, v147
	s_waitcnt vmcnt(6)
	v_mov_b32_e32 v188, v100
	v_mov_b32_e32 v189, v101
	ds_write2_b64 v207, v[186:187], v[188:189] offset0:38 offset1:39
	s_waitcnt vmcnt(5)
	v_mov_b32_e32 v186, v144
	v_mov_b32_e32 v187, v145
	s_waitcnt vmcnt(4)
	v_mov_b32_e32 v188, v98
	v_mov_b32_e32 v189, v99
	ds_write2_b64 v207, v[186:187], v[188:189] offset0:40 offset1:41
	s_waitcnt vmcnt(3)
	v_mov_b32_e32 v186, v142
	v_mov_b32_e32 v187, v143
	s_waitcnt vmcnt(2)
	v_mov_b32_e32 v188, v96
	v_mov_b32_e32 v189, v97
	ds_write2_b64 v207, v[186:187], v[188:189] offset0:42 offset1:43
	s_waitcnt vmcnt(1)
	v_mov_b32_e32 v186, v140
	v_mov_b32_e32 v187, v141
	s_waitcnt vmcnt(0)
	ds_write2_b64 v207, v[186:187], v[184:185] offset0:44 offset1:45
	ds_read_b64 v[186:187], v206
	s_waitcnt lgkmcnt(0)
	v_cmp_neq_f64_e32 vcc, 0, v[186:187]
	s_and_b64 exec, exec, vcc
	s_cbranch_execz .LBB91_109
; %bb.108:
	v_div_scale_f64 v[188:189], s[6:7], v[186:187], v[186:187], 1.0
	v_rcp_f64_e32 v[190:191], v[188:189]
	v_div_scale_f64 v[192:193], vcc, 1.0, v[186:187], 1.0
	v_fma_f64 v[194:195], -v[188:189], v[190:191], 1.0
	v_fmac_f64_e32 v[190:191], v[190:191], v[194:195]
	v_fma_f64 v[194:195], -v[188:189], v[190:191], 1.0
	v_fmac_f64_e32 v[190:191], v[190:191], v[194:195]
	v_mul_f64 v[194:195], v[192:193], v[190:191]
	v_fma_f64 v[188:189], -v[188:189], v[194:195], v[192:193]
	v_div_fmas_f64 v[188:189], v[188:189], v[190:191], v[194:195]
	v_div_fixup_f64 v[186:187], v[188:189], v[186:187], 1.0
	ds_write_b64 v206, v[186:187]
.LBB91_109:
	s_or_b64 exec, exec, s[2:3]
	s_waitcnt lgkmcnt(0)
	s_barrier
	ds_read_b64 v[228:229], v206
	v_cmp_lt_u32_e32 vcc, 21, v208
	s_and_saveexec_b64 s[2:3], vcc
	s_cbranch_execz .LBB91_111
; %bb.110:
	ds_read2_b64 v[186:189], v207 offset0:22 offset1:23
	ds_read2_b64 v[190:193], v207 offset0:24 offset1:25
	;; [unrolled: 1-line block ×3, first 2 shown]
	s_waitcnt vmcnt(24) lgkmcnt(3)
	v_mul_f64 v[118:119], v[228:229], v[118:119]
	s_waitcnt vmcnt(23) lgkmcnt(2)
	v_fma_f64 v[162:163], -v[118:119], v[186:187], v[162:163]
	s_waitcnt vmcnt(22)
	v_fma_f64 v[116:117], -v[118:119], v[188:189], v[116:117]
	ds_read2_b64 v[186:189], v207 offset0:28 offset1:29
	s_waitcnt vmcnt(21) lgkmcnt(2)
	v_fma_f64 v[160:161], -v[118:119], v[190:191], v[160:161]
	s_waitcnt vmcnt(20)
	v_fma_f64 v[114:115], -v[118:119], v[192:193], v[114:115]
	s_waitcnt vmcnt(19) lgkmcnt(1)
	v_fma_f64 v[158:159], -v[118:119], v[194:195], v[158:159]
	ds_read2_b64 v[190:193], v207 offset0:30 offset1:31
	s_waitcnt vmcnt(18)
	v_fma_f64 v[112:113], -v[118:119], v[196:197], v[112:113]
	ds_read2_b64 v[194:197], v207 offset0:32 offset1:33
	s_waitcnt vmcnt(17) lgkmcnt(2)
	v_fma_f64 v[156:157], -v[118:119], v[186:187], v[156:157]
	s_waitcnt vmcnt(16)
	v_fma_f64 v[110:111], -v[118:119], v[188:189], v[110:111]
	s_waitcnt vmcnt(15) lgkmcnt(1)
	v_fma_f64 v[154:155], -v[118:119], v[190:191], v[154:155]
	ds_read2_b64 v[186:189], v207 offset0:34 offset1:35
	s_waitcnt vmcnt(14)
	v_fma_f64 v[108:109], -v[118:119], v[192:193], v[108:109]
	ds_read2_b64 v[190:193], v207 offset0:36 offset1:37
	s_waitcnt vmcnt(13) lgkmcnt(2)
	v_fma_f64 v[152:153], -v[118:119], v[194:195], v[152:153]
	s_waitcnt vmcnt(12)
	v_fma_f64 v[106:107], -v[118:119], v[196:197], v[106:107]
	ds_read2_b64 v[194:197], v207 offset0:38 offset1:39
	s_waitcnt vmcnt(11) lgkmcnt(2)
	v_fma_f64 v[150:151], -v[118:119], v[186:187], v[150:151]
	;; [unrolled: 5-line block ×3, first 2 shown]
	s_waitcnt vmcnt(8)
	v_fma_f64 v[102:103], -v[118:119], v[192:193], v[102:103]
	s_waitcnt vmcnt(7) lgkmcnt(1)
	v_fma_f64 v[146:147], -v[118:119], v[194:195], v[146:147]
	ds_read2_b64 v[190:193], v207 offset0:42 offset1:43
	s_waitcnt vmcnt(6)
	v_fma_f64 v[100:101], -v[118:119], v[196:197], v[100:101]
	ds_read2_b64 v[194:197], v207 offset0:44 offset1:45
	s_waitcnt vmcnt(5) lgkmcnt(2)
	v_fma_f64 v[144:145], -v[118:119], v[186:187], v[144:145]
	s_waitcnt vmcnt(4)
	v_fma_f64 v[98:99], -v[118:119], v[188:189], v[98:99]
	s_waitcnt vmcnt(3) lgkmcnt(1)
	v_fma_f64 v[142:143], -v[118:119], v[190:191], v[142:143]
	s_waitcnt vmcnt(2)
	v_fma_f64 v[96:97], -v[118:119], v[192:193], v[96:97]
	;; [unrolled: 4-line block ×3, first 2 shown]
.LBB91_111:
	s_or_b64 exec, exec, s[2:3]
	v_cmp_eq_u32_e32 vcc, 22, v208
	s_waitcnt lgkmcnt(0)
	s_barrier
	s_and_saveexec_b64 s[2:3], vcc
	s_cbranch_execz .LBB91_114
; %bb.112:
	s_waitcnt vmcnt(23)
	ds_write_b64 v206, v[162:163]
	s_waitcnt vmcnt(21)
	ds_write2_b64 v207, v[116:117], v[160:161] offset0:23 offset1:24
	s_waitcnt vmcnt(19)
	ds_write2_b64 v207, v[114:115], v[158:159] offset0:25 offset1:26
	;; [unrolled: 2-line block ×11, first 2 shown]
	s_waitcnt vmcnt(0)
	ds_write_b64 v207, v[184:185] offset:360
	ds_read_b64 v[186:187], v206
	s_waitcnt lgkmcnt(0)
	v_cmp_neq_f64_e32 vcc, 0, v[186:187]
	s_and_b64 exec, exec, vcc
	s_cbranch_execz .LBB91_114
; %bb.113:
	v_div_scale_f64 v[188:189], s[6:7], v[186:187], v[186:187], 1.0
	v_rcp_f64_e32 v[190:191], v[188:189]
	v_div_scale_f64 v[192:193], vcc, 1.0, v[186:187], 1.0
	v_fma_f64 v[194:195], -v[188:189], v[190:191], 1.0
	v_fmac_f64_e32 v[190:191], v[190:191], v[194:195]
	v_fma_f64 v[194:195], -v[188:189], v[190:191], 1.0
	v_fmac_f64_e32 v[190:191], v[190:191], v[194:195]
	v_mul_f64 v[194:195], v[192:193], v[190:191]
	v_fma_f64 v[188:189], -v[188:189], v[194:195], v[192:193]
	v_div_fmas_f64 v[188:189], v[188:189], v[190:191], v[194:195]
	v_div_fixup_f64 v[186:187], v[188:189], v[186:187], 1.0
	ds_write_b64 v206, v[186:187]
.LBB91_114:
	s_or_b64 exec, exec, s[2:3]
	s_waitcnt lgkmcnt(0)
	s_barrier
	ds_read_b64 v[230:231], v206
	v_cmp_lt_u32_e32 vcc, 22, v208
	s_and_saveexec_b64 s[2:3], vcc
	s_cbranch_execz .LBB91_116
; %bb.115:
	ds_read2_b64 v[186:189], v207 offset0:23 offset1:24
	ds_read2_b64 v[190:193], v207 offset0:25 offset1:26
	;; [unrolled: 1-line block ×3, first 2 shown]
	s_waitcnt vmcnt(23) lgkmcnt(3)
	v_mul_f64 v[162:163], v[230:231], v[162:163]
	s_waitcnt vmcnt(22) lgkmcnt(2)
	v_fma_f64 v[116:117], -v[162:163], v[186:187], v[116:117]
	s_waitcnt vmcnt(21)
	v_fma_f64 v[160:161], -v[162:163], v[188:189], v[160:161]
	ds_read2_b64 v[186:189], v207 offset0:29 offset1:30
	s_waitcnt vmcnt(20) lgkmcnt(2)
	v_fma_f64 v[114:115], -v[162:163], v[190:191], v[114:115]
	s_waitcnt vmcnt(19)
	v_fma_f64 v[158:159], -v[162:163], v[192:193], v[158:159]
	s_waitcnt vmcnt(18) lgkmcnt(1)
	v_fma_f64 v[112:113], -v[162:163], v[194:195], v[112:113]
	ds_read2_b64 v[190:193], v207 offset0:31 offset1:32
	s_waitcnt vmcnt(17)
	v_fma_f64 v[156:157], -v[162:163], v[196:197], v[156:157]
	ds_read2_b64 v[194:197], v207 offset0:33 offset1:34
	s_waitcnt vmcnt(16) lgkmcnt(2)
	v_fma_f64 v[110:111], -v[162:163], v[186:187], v[110:111]
	s_waitcnt vmcnt(15)
	v_fma_f64 v[154:155], -v[162:163], v[188:189], v[154:155]
	s_waitcnt vmcnt(14) lgkmcnt(1)
	v_fma_f64 v[108:109], -v[162:163], v[190:191], v[108:109]
	ds_read2_b64 v[186:189], v207 offset0:35 offset1:36
	s_waitcnt vmcnt(13)
	v_fma_f64 v[152:153], -v[162:163], v[192:193], v[152:153]
	ds_read2_b64 v[190:193], v207 offset0:37 offset1:38
	s_waitcnt vmcnt(12) lgkmcnt(2)
	v_fma_f64 v[106:107], -v[162:163], v[194:195], v[106:107]
	s_waitcnt vmcnt(11)
	v_fma_f64 v[150:151], -v[162:163], v[196:197], v[150:151]
	ds_read2_b64 v[194:197], v207 offset0:39 offset1:40
	s_waitcnt vmcnt(10) lgkmcnt(2)
	v_fma_f64 v[104:105], -v[162:163], v[186:187], v[104:105]
	;; [unrolled: 5-line block ×3, first 2 shown]
	s_waitcnt vmcnt(7)
	v_fma_f64 v[146:147], -v[162:163], v[192:193], v[146:147]
	s_waitcnt vmcnt(6) lgkmcnt(1)
	v_fma_f64 v[100:101], -v[162:163], v[194:195], v[100:101]
	ds_read2_b64 v[190:193], v207 offset0:43 offset1:44
	ds_read_b64 v[194:195], v207 offset:360
	s_waitcnt vmcnt(5)
	v_fma_f64 v[144:145], -v[162:163], v[196:197], v[144:145]
	s_waitcnt vmcnt(4) lgkmcnt(2)
	v_fma_f64 v[98:99], -v[162:163], v[186:187], v[98:99]
	s_waitcnt vmcnt(3)
	v_fma_f64 v[142:143], -v[162:163], v[188:189], v[142:143]
	s_waitcnt vmcnt(2) lgkmcnt(1)
	v_fma_f64 v[96:97], -v[162:163], v[190:191], v[96:97]
	;; [unrolled: 4-line block ×3, first 2 shown]
.LBB91_116:
	s_or_b64 exec, exec, s[2:3]
	v_cmp_eq_u32_e32 vcc, 23, v208
	s_waitcnt lgkmcnt(0)
	s_barrier
	s_and_saveexec_b64 s[2:3], vcc
	s_cbranch_execz .LBB91_119
; %bb.117:
	s_waitcnt vmcnt(21)
	v_mov_b32_e32 v186, v160
	v_mov_b32_e32 v187, v161
	s_waitcnt vmcnt(20)
	v_mov_b32_e32 v188, v114
	v_mov_b32_e32 v189, v115
	ds_write_b64 v206, v[116:117]
	ds_write2_b64 v207, v[186:187], v[188:189] offset0:24 offset1:25
	s_waitcnt vmcnt(19)
	v_mov_b32_e32 v186, v158
	v_mov_b32_e32 v187, v159
	s_waitcnt vmcnt(18)
	v_mov_b32_e32 v188, v112
	v_mov_b32_e32 v189, v113
	ds_write2_b64 v207, v[186:187], v[188:189] offset0:26 offset1:27
	s_waitcnt vmcnt(17)
	v_mov_b32_e32 v186, v156
	v_mov_b32_e32 v187, v157
	s_waitcnt vmcnt(16)
	v_mov_b32_e32 v188, v110
	v_mov_b32_e32 v189, v111
	;; [unrolled: 7-line block ×9, first 2 shown]
	ds_write2_b64 v207, v[186:187], v[188:189] offset0:42 offset1:43
	s_waitcnt vmcnt(1)
	v_mov_b32_e32 v186, v140
	v_mov_b32_e32 v187, v141
	s_waitcnt vmcnt(0)
	ds_write2_b64 v207, v[186:187], v[184:185] offset0:44 offset1:45
	ds_read_b64 v[186:187], v206
	s_waitcnt lgkmcnt(0)
	v_cmp_neq_f64_e32 vcc, 0, v[186:187]
	s_and_b64 exec, exec, vcc
	s_cbranch_execz .LBB91_119
; %bb.118:
	v_div_scale_f64 v[188:189], s[6:7], v[186:187], v[186:187], 1.0
	v_rcp_f64_e32 v[190:191], v[188:189]
	v_div_scale_f64 v[192:193], vcc, 1.0, v[186:187], 1.0
	v_fma_f64 v[194:195], -v[188:189], v[190:191], 1.0
	v_fmac_f64_e32 v[190:191], v[190:191], v[194:195]
	v_fma_f64 v[194:195], -v[188:189], v[190:191], 1.0
	v_fmac_f64_e32 v[190:191], v[190:191], v[194:195]
	v_mul_f64 v[194:195], v[192:193], v[190:191]
	v_fma_f64 v[188:189], -v[188:189], v[194:195], v[192:193]
	v_div_fmas_f64 v[188:189], v[188:189], v[190:191], v[194:195]
	v_div_fixup_f64 v[186:187], v[188:189], v[186:187], 1.0
	ds_write_b64 v206, v[186:187]
.LBB91_119:
	s_or_b64 exec, exec, s[2:3]
	s_waitcnt lgkmcnt(0)
	s_barrier
	ds_read_b64 v[232:233], v206
	v_cmp_lt_u32_e32 vcc, 23, v208
	s_and_saveexec_b64 s[2:3], vcc
	s_cbranch_execz .LBB91_121
; %bb.120:
	ds_read2_b64 v[186:189], v207 offset0:24 offset1:25
	ds_read2_b64 v[190:193], v207 offset0:26 offset1:27
	s_waitcnt vmcnt(22) lgkmcnt(2)
	v_mul_f64 v[116:117], v[232:233], v[116:117]
	ds_read2_b64 v[194:197], v207 offset0:28 offset1:29
	s_waitcnt vmcnt(21) lgkmcnt(2)
	v_fma_f64 v[160:161], -v[116:117], v[186:187], v[160:161]
	s_waitcnt vmcnt(20)
	v_fma_f64 v[114:115], -v[116:117], v[188:189], v[114:115]
	ds_read2_b64 v[186:189], v207 offset0:30 offset1:31
	s_waitcnt vmcnt(19) lgkmcnt(2)
	v_fma_f64 v[158:159], -v[116:117], v[190:191], v[158:159]
	s_waitcnt vmcnt(18)
	v_fma_f64 v[112:113], -v[116:117], v[192:193], v[112:113]
	;; [unrolled: 5-line block ×4, first 2 shown]
	s_waitcnt vmcnt(13) lgkmcnt(1)
	v_fma_f64 v[152:153], -v[116:117], v[190:191], v[152:153]
	ds_read2_b64 v[186:189], v207 offset0:36 offset1:37
	s_waitcnt vmcnt(12)
	v_fma_f64 v[106:107], -v[116:117], v[192:193], v[106:107]
	ds_read2_b64 v[190:193], v207 offset0:38 offset1:39
	s_waitcnt vmcnt(11) lgkmcnt(2)
	v_fma_f64 v[150:151], -v[116:117], v[194:195], v[150:151]
	s_waitcnt vmcnt(10)
	v_fma_f64 v[104:105], -v[116:117], v[196:197], v[104:105]
	s_waitcnt vmcnt(9) lgkmcnt(1)
	v_fma_f64 v[148:149], -v[116:117], v[186:187], v[148:149]
	s_waitcnt vmcnt(8)
	v_fma_f64 v[102:103], -v[116:117], v[188:189], v[102:103]
	ds_read2_b64 v[186:189], v207 offset0:40 offset1:41
	ds_read2_b64 v[194:197], v207 offset0:42 offset1:43
	s_waitcnt vmcnt(7) lgkmcnt(2)
	v_fma_f64 v[146:147], -v[116:117], v[190:191], v[146:147]
	s_waitcnt vmcnt(6)
	v_fma_f64 v[100:101], -v[116:117], v[192:193], v[100:101]
	ds_read2_b64 v[190:193], v207 offset0:44 offset1:45
	s_waitcnt vmcnt(5) lgkmcnt(2)
	v_fma_f64 v[144:145], -v[116:117], v[186:187], v[144:145]
	s_waitcnt vmcnt(4)
	v_fma_f64 v[98:99], -v[116:117], v[188:189], v[98:99]
	s_waitcnt vmcnt(3) lgkmcnt(1)
	v_fma_f64 v[142:143], -v[116:117], v[194:195], v[142:143]
	s_waitcnt vmcnt(2)
	v_fma_f64 v[96:97], -v[116:117], v[196:197], v[96:97]
	;; [unrolled: 4-line block ×3, first 2 shown]
.LBB91_121:
	s_or_b64 exec, exec, s[2:3]
	v_cmp_eq_u32_e32 vcc, 24, v208
	s_waitcnt lgkmcnt(0)
	s_barrier
	s_and_saveexec_b64 s[2:3], vcc
	s_cbranch_execz .LBB91_124
; %bb.122:
	s_waitcnt vmcnt(21)
	ds_write_b64 v206, v[160:161]
	s_waitcnt vmcnt(19)
	ds_write2_b64 v207, v[114:115], v[158:159] offset0:25 offset1:26
	s_waitcnt vmcnt(17)
	ds_write2_b64 v207, v[112:113], v[156:157] offset0:27 offset1:28
	;; [unrolled: 2-line block ×10, first 2 shown]
	s_waitcnt vmcnt(0)
	ds_write_b64 v207, v[184:185] offset:360
	ds_read_b64 v[186:187], v206
	s_waitcnt lgkmcnt(0)
	v_cmp_neq_f64_e32 vcc, 0, v[186:187]
	s_and_b64 exec, exec, vcc
	s_cbranch_execz .LBB91_124
; %bb.123:
	v_div_scale_f64 v[188:189], s[6:7], v[186:187], v[186:187], 1.0
	v_rcp_f64_e32 v[190:191], v[188:189]
	v_div_scale_f64 v[192:193], vcc, 1.0, v[186:187], 1.0
	v_fma_f64 v[194:195], -v[188:189], v[190:191], 1.0
	v_fmac_f64_e32 v[190:191], v[190:191], v[194:195]
	v_fma_f64 v[194:195], -v[188:189], v[190:191], 1.0
	v_fmac_f64_e32 v[190:191], v[190:191], v[194:195]
	v_mul_f64 v[194:195], v[192:193], v[190:191]
	v_fma_f64 v[188:189], -v[188:189], v[194:195], v[192:193]
	v_div_fmas_f64 v[188:189], v[188:189], v[190:191], v[194:195]
	v_div_fixup_f64 v[186:187], v[188:189], v[186:187], 1.0
	ds_write_b64 v206, v[186:187]
.LBB91_124:
	s_or_b64 exec, exec, s[2:3]
	s_waitcnt lgkmcnt(0)
	s_barrier
	ds_read_b64 v[234:235], v206
	v_cmp_lt_u32_e32 vcc, 24, v208
	s_and_saveexec_b64 s[2:3], vcc
	s_cbranch_execz .LBB91_126
; %bb.125:
	ds_read2_b64 v[186:189], v207 offset0:25 offset1:26
	ds_read2_b64 v[190:193], v207 offset0:27 offset1:28
	s_waitcnt vmcnt(21) lgkmcnt(2)
	v_mul_f64 v[160:161], v[234:235], v[160:161]
	ds_read2_b64 v[194:197], v207 offset0:29 offset1:30
	s_waitcnt vmcnt(20) lgkmcnt(2)
	v_fma_f64 v[114:115], -v[160:161], v[186:187], v[114:115]
	s_waitcnt vmcnt(19)
	v_fma_f64 v[158:159], -v[160:161], v[188:189], v[158:159]
	ds_read2_b64 v[186:189], v207 offset0:31 offset1:32
	s_waitcnt vmcnt(18) lgkmcnt(2)
	v_fma_f64 v[112:113], -v[160:161], v[190:191], v[112:113]
	s_waitcnt vmcnt(17)
	v_fma_f64 v[156:157], -v[160:161], v[192:193], v[156:157]
	;; [unrolled: 5-line block ×4, first 2 shown]
	s_waitcnt vmcnt(12) lgkmcnt(1)
	v_fma_f64 v[106:107], -v[160:161], v[190:191], v[106:107]
	ds_read2_b64 v[186:189], v207 offset0:37 offset1:38
	s_waitcnt vmcnt(11)
	v_fma_f64 v[150:151], -v[160:161], v[192:193], v[150:151]
	ds_read2_b64 v[190:193], v207 offset0:39 offset1:40
	s_waitcnt vmcnt(10) lgkmcnt(2)
	v_fma_f64 v[104:105], -v[160:161], v[194:195], v[104:105]
	s_waitcnt vmcnt(9)
	v_fma_f64 v[148:149], -v[160:161], v[196:197], v[148:149]
	s_waitcnt vmcnt(8) lgkmcnt(1)
	v_fma_f64 v[102:103], -v[160:161], v[186:187], v[102:103]
	s_waitcnt vmcnt(7)
	v_fma_f64 v[146:147], -v[160:161], v[188:189], v[146:147]
	ds_read2_b64 v[186:189], v207 offset0:41 offset1:42
	ds_read2_b64 v[194:197], v207 offset0:43 offset1:44
	s_waitcnt vmcnt(6) lgkmcnt(2)
	v_fma_f64 v[100:101], -v[160:161], v[190:191], v[100:101]
	ds_read_b64 v[190:191], v207 offset:360
	s_waitcnt vmcnt(5)
	v_fma_f64 v[144:145], -v[160:161], v[192:193], v[144:145]
	s_waitcnt vmcnt(4) lgkmcnt(2)
	v_fma_f64 v[98:99], -v[160:161], v[186:187], v[98:99]
	s_waitcnt vmcnt(3)
	v_fma_f64 v[142:143], -v[160:161], v[188:189], v[142:143]
	s_waitcnt vmcnt(2) lgkmcnt(1)
	v_fma_f64 v[96:97], -v[160:161], v[194:195], v[96:97]
	;; [unrolled: 4-line block ×3, first 2 shown]
.LBB91_126:
	s_or_b64 exec, exec, s[2:3]
	v_cmp_eq_u32_e32 vcc, 25, v208
	s_waitcnt lgkmcnt(0)
	s_barrier
	s_and_saveexec_b64 s[2:3], vcc
	s_cbranch_execz .LBB91_129
; %bb.127:
	s_waitcnt vmcnt(19)
	v_mov_b32_e32 v186, v158
	v_mov_b32_e32 v187, v159
	s_waitcnt vmcnt(18)
	v_mov_b32_e32 v188, v112
	v_mov_b32_e32 v189, v113
	ds_write_b64 v206, v[114:115]
	ds_write2_b64 v207, v[186:187], v[188:189] offset0:26 offset1:27
	s_waitcnt vmcnt(17)
	v_mov_b32_e32 v186, v156
	v_mov_b32_e32 v187, v157
	s_waitcnt vmcnt(16)
	v_mov_b32_e32 v188, v110
	v_mov_b32_e32 v189, v111
	ds_write2_b64 v207, v[186:187], v[188:189] offset0:28 offset1:29
	s_waitcnt vmcnt(15)
	v_mov_b32_e32 v186, v154
	v_mov_b32_e32 v187, v155
	s_waitcnt vmcnt(14)
	v_mov_b32_e32 v188, v108
	v_mov_b32_e32 v189, v109
	;; [unrolled: 7-line block ×8, first 2 shown]
	ds_write2_b64 v207, v[186:187], v[188:189] offset0:42 offset1:43
	s_waitcnt vmcnt(1)
	v_mov_b32_e32 v186, v140
	v_mov_b32_e32 v187, v141
	s_waitcnt vmcnt(0)
	ds_write2_b64 v207, v[186:187], v[184:185] offset0:44 offset1:45
	ds_read_b64 v[186:187], v206
	s_waitcnt lgkmcnt(0)
	v_cmp_neq_f64_e32 vcc, 0, v[186:187]
	s_and_b64 exec, exec, vcc
	s_cbranch_execz .LBB91_129
; %bb.128:
	v_div_scale_f64 v[188:189], s[6:7], v[186:187], v[186:187], 1.0
	v_rcp_f64_e32 v[190:191], v[188:189]
	v_div_scale_f64 v[192:193], vcc, 1.0, v[186:187], 1.0
	v_fma_f64 v[194:195], -v[188:189], v[190:191], 1.0
	v_fmac_f64_e32 v[190:191], v[190:191], v[194:195]
	v_fma_f64 v[194:195], -v[188:189], v[190:191], 1.0
	v_fmac_f64_e32 v[190:191], v[190:191], v[194:195]
	v_mul_f64 v[194:195], v[192:193], v[190:191]
	v_fma_f64 v[188:189], -v[188:189], v[194:195], v[192:193]
	v_div_fmas_f64 v[188:189], v[188:189], v[190:191], v[194:195]
	v_div_fixup_f64 v[186:187], v[188:189], v[186:187], 1.0
	ds_write_b64 v206, v[186:187]
.LBB91_129:
	s_or_b64 exec, exec, s[2:3]
	s_waitcnt lgkmcnt(0)
	s_barrier
	ds_read_b64 v[236:237], v206
	v_cmp_lt_u32_e32 vcc, 25, v208
	s_and_saveexec_b64 s[2:3], vcc
	s_cbranch_execz .LBB91_131
; %bb.130:
	ds_read2_b64 v[186:189], v207 offset0:26 offset1:27
	ds_read2_b64 v[190:193], v207 offset0:28 offset1:29
	s_waitcnt vmcnt(20) lgkmcnt(2)
	v_mul_f64 v[114:115], v[236:237], v[114:115]
	ds_read2_b64 v[194:197], v207 offset0:30 offset1:31
	s_waitcnt vmcnt(19) lgkmcnt(2)
	v_fma_f64 v[158:159], -v[114:115], v[186:187], v[158:159]
	s_waitcnt vmcnt(18)
	v_fma_f64 v[112:113], -v[114:115], v[188:189], v[112:113]
	ds_read2_b64 v[186:189], v207 offset0:32 offset1:33
	s_waitcnt vmcnt(17) lgkmcnt(2)
	v_fma_f64 v[156:157], -v[114:115], v[190:191], v[156:157]
	s_waitcnt vmcnt(16)
	v_fma_f64 v[110:111], -v[114:115], v[192:193], v[110:111]
	s_waitcnt vmcnt(15) lgkmcnt(1)
	v_fma_f64 v[154:155], -v[114:115], v[194:195], v[154:155]
	ds_read2_b64 v[190:193], v207 offset0:34 offset1:35
	s_waitcnt vmcnt(14)
	v_fma_f64 v[108:109], -v[114:115], v[196:197], v[108:109]
	ds_read2_b64 v[194:197], v207 offset0:36 offset1:37
	s_waitcnt vmcnt(13) lgkmcnt(2)
	v_fma_f64 v[152:153], -v[114:115], v[186:187], v[152:153]
	s_waitcnt vmcnt(12)
	v_fma_f64 v[106:107], -v[114:115], v[188:189], v[106:107]
	ds_read2_b64 v[186:189], v207 offset0:38 offset1:39
	s_waitcnt vmcnt(11) lgkmcnt(2)
	v_fma_f64 v[150:151], -v[114:115], v[190:191], v[150:151]
	s_waitcnt vmcnt(10)
	v_fma_f64 v[104:105], -v[114:115], v[192:193], v[104:105]
	ds_read2_b64 v[190:193], v207 offset0:40 offset1:41
	s_waitcnt vmcnt(9) lgkmcnt(2)
	v_fma_f64 v[148:149], -v[114:115], v[194:195], v[148:149]
	s_waitcnt vmcnt(8)
	v_fma_f64 v[102:103], -v[114:115], v[196:197], v[102:103]
	s_waitcnt vmcnt(7) lgkmcnt(1)
	v_fma_f64 v[146:147], -v[114:115], v[186:187], v[146:147]
	ds_read2_b64 v[194:197], v207 offset0:42 offset1:43
	s_waitcnt vmcnt(6)
	v_fma_f64 v[100:101], -v[114:115], v[188:189], v[100:101]
	ds_read2_b64 v[186:189], v207 offset0:44 offset1:45
	s_waitcnt vmcnt(5) lgkmcnt(2)
	v_fma_f64 v[144:145], -v[114:115], v[190:191], v[144:145]
	s_waitcnt vmcnt(4)
	v_fma_f64 v[98:99], -v[114:115], v[192:193], v[98:99]
	s_waitcnt vmcnt(3) lgkmcnt(1)
	v_fma_f64 v[142:143], -v[114:115], v[194:195], v[142:143]
	s_waitcnt vmcnt(2)
	v_fma_f64 v[96:97], -v[114:115], v[196:197], v[96:97]
	;; [unrolled: 4-line block ×3, first 2 shown]
.LBB91_131:
	s_or_b64 exec, exec, s[2:3]
	v_cmp_eq_u32_e32 vcc, 26, v208
	s_waitcnt lgkmcnt(0)
	s_barrier
	s_and_saveexec_b64 s[2:3], vcc
	s_cbranch_execz .LBB91_134
; %bb.132:
	s_waitcnt vmcnt(19)
	ds_write_b64 v206, v[158:159]
	s_waitcnt vmcnt(17)
	ds_write2_b64 v207, v[112:113], v[156:157] offset0:27 offset1:28
	s_waitcnt vmcnt(15)
	ds_write2_b64 v207, v[110:111], v[154:155] offset0:29 offset1:30
	;; [unrolled: 2-line block ×9, first 2 shown]
	s_waitcnt vmcnt(0)
	ds_write_b64 v207, v[184:185] offset:360
	ds_read_b64 v[186:187], v206
	s_waitcnt lgkmcnt(0)
	v_cmp_neq_f64_e32 vcc, 0, v[186:187]
	s_and_b64 exec, exec, vcc
	s_cbranch_execz .LBB91_134
; %bb.133:
	v_div_scale_f64 v[188:189], s[6:7], v[186:187], v[186:187], 1.0
	v_rcp_f64_e32 v[190:191], v[188:189]
	v_div_scale_f64 v[192:193], vcc, 1.0, v[186:187], 1.0
	v_fma_f64 v[194:195], -v[188:189], v[190:191], 1.0
	v_fmac_f64_e32 v[190:191], v[190:191], v[194:195]
	v_fma_f64 v[194:195], -v[188:189], v[190:191], 1.0
	v_fmac_f64_e32 v[190:191], v[190:191], v[194:195]
	v_mul_f64 v[194:195], v[192:193], v[190:191]
	v_fma_f64 v[188:189], -v[188:189], v[194:195], v[192:193]
	v_div_fmas_f64 v[188:189], v[188:189], v[190:191], v[194:195]
	v_div_fixup_f64 v[186:187], v[188:189], v[186:187], 1.0
	ds_write_b64 v206, v[186:187]
.LBB91_134:
	s_or_b64 exec, exec, s[2:3]
	s_waitcnt lgkmcnt(0)
	s_barrier
	ds_read_b64 v[238:239], v206
	v_cmp_lt_u32_e32 vcc, 26, v208
	s_and_saveexec_b64 s[2:3], vcc
	s_cbranch_execz .LBB91_136
; %bb.135:
	ds_read2_b64 v[186:189], v207 offset0:27 offset1:28
	ds_read2_b64 v[190:193], v207 offset0:29 offset1:30
	s_waitcnt vmcnt(19) lgkmcnt(2)
	v_mul_f64 v[158:159], v[238:239], v[158:159]
	ds_read2_b64 v[194:197], v207 offset0:31 offset1:32
	s_waitcnt vmcnt(18) lgkmcnt(2)
	v_fma_f64 v[112:113], -v[158:159], v[186:187], v[112:113]
	s_waitcnt vmcnt(17)
	v_fma_f64 v[156:157], -v[158:159], v[188:189], v[156:157]
	ds_read2_b64 v[186:189], v207 offset0:33 offset1:34
	s_waitcnt vmcnt(16) lgkmcnt(2)
	v_fma_f64 v[110:111], -v[158:159], v[190:191], v[110:111]
	s_waitcnt vmcnt(15)
	v_fma_f64 v[154:155], -v[158:159], v[192:193], v[154:155]
	s_waitcnt vmcnt(14) lgkmcnt(1)
	v_fma_f64 v[108:109], -v[158:159], v[194:195], v[108:109]
	ds_read2_b64 v[190:193], v207 offset0:35 offset1:36
	s_waitcnt vmcnt(13)
	v_fma_f64 v[152:153], -v[158:159], v[196:197], v[152:153]
	ds_read2_b64 v[194:197], v207 offset0:37 offset1:38
	s_waitcnt vmcnt(12) lgkmcnt(2)
	v_fma_f64 v[106:107], -v[158:159], v[186:187], v[106:107]
	s_waitcnt vmcnt(11)
	v_fma_f64 v[150:151], -v[158:159], v[188:189], v[150:151]
	ds_read2_b64 v[186:189], v207 offset0:39 offset1:40
	s_waitcnt vmcnt(10) lgkmcnt(2)
	v_fma_f64 v[104:105], -v[158:159], v[190:191], v[104:105]
	;; [unrolled: 5-line block ×3, first 2 shown]
	s_waitcnt vmcnt(7)
	v_fma_f64 v[146:147], -v[158:159], v[196:197], v[146:147]
	s_waitcnt vmcnt(6) lgkmcnt(1)
	v_fma_f64 v[100:101], -v[158:159], v[186:187], v[100:101]
	ds_read2_b64 v[194:197], v207 offset0:43 offset1:44
	ds_read_b64 v[186:187], v207 offset:360
	s_waitcnt vmcnt(5)
	v_fma_f64 v[144:145], -v[158:159], v[188:189], v[144:145]
	s_waitcnt vmcnt(4) lgkmcnt(2)
	v_fma_f64 v[98:99], -v[158:159], v[190:191], v[98:99]
	s_waitcnt vmcnt(3)
	v_fma_f64 v[142:143], -v[158:159], v[192:193], v[142:143]
	s_waitcnt vmcnt(2) lgkmcnt(1)
	v_fma_f64 v[96:97], -v[158:159], v[194:195], v[96:97]
	;; [unrolled: 4-line block ×3, first 2 shown]
.LBB91_136:
	s_or_b64 exec, exec, s[2:3]
	v_cmp_eq_u32_e32 vcc, 27, v208
	s_waitcnt lgkmcnt(0)
	s_barrier
	s_and_saveexec_b64 s[2:3], vcc
	s_cbranch_execz .LBB91_139
; %bb.137:
	s_waitcnt vmcnt(17)
	v_mov_b32_e32 v186, v156
	v_mov_b32_e32 v187, v157
	s_waitcnt vmcnt(16)
	v_mov_b32_e32 v188, v110
	v_mov_b32_e32 v189, v111
	ds_write_b64 v206, v[112:113]
	ds_write2_b64 v207, v[186:187], v[188:189] offset0:28 offset1:29
	s_waitcnt vmcnt(15)
	v_mov_b32_e32 v186, v154
	v_mov_b32_e32 v187, v155
	s_waitcnt vmcnt(14)
	v_mov_b32_e32 v188, v108
	v_mov_b32_e32 v189, v109
	ds_write2_b64 v207, v[186:187], v[188:189] offset0:30 offset1:31
	s_waitcnt vmcnt(13)
	v_mov_b32_e32 v186, v152
	v_mov_b32_e32 v187, v153
	s_waitcnt vmcnt(12)
	v_mov_b32_e32 v188, v106
	v_mov_b32_e32 v189, v107
	;; [unrolled: 7-line block ×7, first 2 shown]
	ds_write2_b64 v207, v[186:187], v[188:189] offset0:42 offset1:43
	s_waitcnt vmcnt(1)
	v_mov_b32_e32 v186, v140
	v_mov_b32_e32 v187, v141
	s_waitcnt vmcnt(0)
	ds_write2_b64 v207, v[186:187], v[184:185] offset0:44 offset1:45
	ds_read_b64 v[186:187], v206
	s_waitcnt lgkmcnt(0)
	v_cmp_neq_f64_e32 vcc, 0, v[186:187]
	s_and_b64 exec, exec, vcc
	s_cbranch_execz .LBB91_139
; %bb.138:
	v_div_scale_f64 v[188:189], s[6:7], v[186:187], v[186:187], 1.0
	v_rcp_f64_e32 v[190:191], v[188:189]
	v_div_scale_f64 v[192:193], vcc, 1.0, v[186:187], 1.0
	v_fma_f64 v[194:195], -v[188:189], v[190:191], 1.0
	v_fmac_f64_e32 v[190:191], v[190:191], v[194:195]
	v_fma_f64 v[194:195], -v[188:189], v[190:191], 1.0
	v_fmac_f64_e32 v[190:191], v[190:191], v[194:195]
	v_mul_f64 v[194:195], v[192:193], v[190:191]
	v_fma_f64 v[188:189], -v[188:189], v[194:195], v[192:193]
	v_div_fmas_f64 v[188:189], v[188:189], v[190:191], v[194:195]
	v_div_fixup_f64 v[186:187], v[188:189], v[186:187], 1.0
	ds_write_b64 v206, v[186:187]
.LBB91_139:
	s_or_b64 exec, exec, s[2:3]
	s_waitcnt lgkmcnt(0)
	s_barrier
	ds_read_b64 v[240:241], v206
	v_cmp_lt_u32_e32 vcc, 27, v208
	s_and_saveexec_b64 s[2:3], vcc
	s_cbranch_execz .LBB91_141
; %bb.140:
	ds_read2_b64 v[186:189], v207 offset0:28 offset1:29
	s_waitcnt vmcnt(18) lgkmcnt(1)
	v_mul_f64 v[112:113], v[240:241], v[112:113]
	s_waitcnt vmcnt(17) lgkmcnt(0)
	v_fma_f64 v[156:157], -v[112:113], v[186:187], v[156:157]
	s_waitcnt vmcnt(16)
	v_fma_f64 v[110:111], -v[112:113], v[188:189], v[110:111]
	ds_read2_b64 v[186:189], v207 offset0:30 offset1:31
	s_waitcnt vmcnt(15) lgkmcnt(0)
	v_fma_f64 v[154:155], -v[112:113], v[186:187], v[154:155]
	s_waitcnt vmcnt(14)
	v_fma_f64 v[108:109], -v[112:113], v[188:189], v[108:109]
	ds_read2_b64 v[186:189], v207 offset0:32 offset1:33
	;; [unrolled: 5-line block ×8, first 2 shown]
	s_waitcnt vmcnt(1) lgkmcnt(0)
	v_fma_f64 v[140:141], -v[112:113], v[186:187], v[140:141]
	s_waitcnt vmcnt(0)
	v_fma_f64 v[184:185], -v[112:113], v[188:189], v[184:185]
.LBB91_141:
	s_or_b64 exec, exec, s[2:3]
	v_cmp_eq_u32_e32 vcc, 28, v208
	s_waitcnt lgkmcnt(0)
	s_barrier
	s_and_saveexec_b64 s[2:3], vcc
	s_cbranch_execz .LBB91_144
; %bb.142:
	s_waitcnt vmcnt(17)
	ds_write_b64 v206, v[156:157]
	s_waitcnt vmcnt(15)
	ds_write2_b64 v207, v[110:111], v[154:155] offset0:29 offset1:30
	s_waitcnt vmcnt(13)
	ds_write2_b64 v207, v[108:109], v[152:153] offset0:31 offset1:32
	;; [unrolled: 2-line block ×8, first 2 shown]
	s_waitcnt vmcnt(0)
	ds_write_b64 v207, v[184:185] offset:360
	ds_read_b64 v[186:187], v206
	s_waitcnt lgkmcnt(0)
	v_cmp_neq_f64_e32 vcc, 0, v[186:187]
	s_and_b64 exec, exec, vcc
	s_cbranch_execz .LBB91_144
; %bb.143:
	v_div_scale_f64 v[188:189], s[6:7], v[186:187], v[186:187], 1.0
	v_rcp_f64_e32 v[190:191], v[188:189]
	v_div_scale_f64 v[192:193], vcc, 1.0, v[186:187], 1.0
	v_fma_f64 v[194:195], -v[188:189], v[190:191], 1.0
	v_fmac_f64_e32 v[190:191], v[190:191], v[194:195]
	v_fma_f64 v[194:195], -v[188:189], v[190:191], 1.0
	v_fmac_f64_e32 v[190:191], v[190:191], v[194:195]
	v_mul_f64 v[194:195], v[192:193], v[190:191]
	v_fma_f64 v[188:189], -v[188:189], v[194:195], v[192:193]
	v_div_fmas_f64 v[188:189], v[188:189], v[190:191], v[194:195]
	v_div_fixup_f64 v[186:187], v[188:189], v[186:187], 1.0
	ds_write_b64 v206, v[186:187]
.LBB91_144:
	s_or_b64 exec, exec, s[2:3]
	s_waitcnt lgkmcnt(0)
	s_barrier
	ds_read_b64 v[242:243], v206
	v_cmp_lt_u32_e32 vcc, 28, v208
	s_and_saveexec_b64 s[2:3], vcc
	s_cbranch_execz .LBB91_146
; %bb.145:
	ds_read2_b64 v[186:189], v207 offset0:29 offset1:30
	s_waitcnt vmcnt(17) lgkmcnt(1)
	v_mul_f64 v[156:157], v[242:243], v[156:157]
	s_waitcnt vmcnt(16) lgkmcnt(0)
	v_fma_f64 v[110:111], -v[156:157], v[186:187], v[110:111]
	s_waitcnt vmcnt(15)
	v_fma_f64 v[154:155], -v[156:157], v[188:189], v[154:155]
	ds_read2_b64 v[186:189], v207 offset0:31 offset1:32
	s_waitcnt vmcnt(14) lgkmcnt(0)
	v_fma_f64 v[108:109], -v[156:157], v[186:187], v[108:109]
	s_waitcnt vmcnt(13)
	v_fma_f64 v[152:153], -v[156:157], v[188:189], v[152:153]
	ds_read2_b64 v[186:189], v207 offset0:33 offset1:34
	;; [unrolled: 5-line block ×7, first 2 shown]
	s_waitcnt vmcnt(2) lgkmcnt(0)
	v_fma_f64 v[96:97], -v[156:157], v[186:187], v[96:97]
	ds_read_b64 v[186:187], v207 offset:360
	s_waitcnt vmcnt(1)
	v_fma_f64 v[140:141], -v[156:157], v[188:189], v[140:141]
	s_waitcnt vmcnt(0) lgkmcnt(0)
	v_fma_f64 v[184:185], -v[156:157], v[186:187], v[184:185]
.LBB91_146:
	s_or_b64 exec, exec, s[2:3]
	v_cmp_eq_u32_e32 vcc, 29, v208
	s_waitcnt lgkmcnt(0)
	s_barrier
	s_and_saveexec_b64 s[2:3], vcc
	s_cbranch_execz .LBB91_149
; %bb.147:
	s_waitcnt vmcnt(15)
	v_mov_b32_e32 v186, v154
	v_mov_b32_e32 v187, v155
	s_waitcnt vmcnt(14)
	v_mov_b32_e32 v188, v108
	v_mov_b32_e32 v189, v109
	ds_write_b64 v206, v[110:111]
	ds_write2_b64 v207, v[186:187], v[188:189] offset0:30 offset1:31
	s_waitcnt vmcnt(13)
	v_mov_b32_e32 v186, v152
	v_mov_b32_e32 v187, v153
	s_waitcnt vmcnt(12)
	v_mov_b32_e32 v188, v106
	v_mov_b32_e32 v189, v107
	ds_write2_b64 v207, v[186:187], v[188:189] offset0:32 offset1:33
	s_waitcnt vmcnt(11)
	v_mov_b32_e32 v186, v150
	v_mov_b32_e32 v187, v151
	s_waitcnt vmcnt(10)
	v_mov_b32_e32 v188, v104
	v_mov_b32_e32 v189, v105
	;; [unrolled: 7-line block ×6, first 2 shown]
	ds_write2_b64 v207, v[186:187], v[188:189] offset0:42 offset1:43
	s_waitcnt vmcnt(1)
	v_mov_b32_e32 v186, v140
	v_mov_b32_e32 v187, v141
	s_waitcnt vmcnt(0)
	ds_write2_b64 v207, v[186:187], v[184:185] offset0:44 offset1:45
	ds_read_b64 v[186:187], v206
	s_waitcnt lgkmcnt(0)
	v_cmp_neq_f64_e32 vcc, 0, v[186:187]
	s_and_b64 exec, exec, vcc
	s_cbranch_execz .LBB91_149
; %bb.148:
	v_div_scale_f64 v[188:189], s[6:7], v[186:187], v[186:187], 1.0
	v_rcp_f64_e32 v[190:191], v[188:189]
	v_div_scale_f64 v[192:193], vcc, 1.0, v[186:187], 1.0
	v_fma_f64 v[194:195], -v[188:189], v[190:191], 1.0
	v_fmac_f64_e32 v[190:191], v[190:191], v[194:195]
	v_fma_f64 v[194:195], -v[188:189], v[190:191], 1.0
	v_fmac_f64_e32 v[190:191], v[190:191], v[194:195]
	v_mul_f64 v[194:195], v[192:193], v[190:191]
	v_fma_f64 v[188:189], -v[188:189], v[194:195], v[192:193]
	v_div_fmas_f64 v[188:189], v[188:189], v[190:191], v[194:195]
	v_div_fixup_f64 v[186:187], v[188:189], v[186:187], 1.0
	ds_write_b64 v206, v[186:187]
.LBB91_149:
	s_or_b64 exec, exec, s[2:3]
	s_waitcnt lgkmcnt(0)
	s_barrier
	ds_read_b64 v[244:245], v206
	v_cmp_lt_u32_e32 vcc, 29, v208
	s_and_saveexec_b64 s[2:3], vcc
	s_cbranch_execz .LBB91_151
; %bb.150:
	ds_read2_b64 v[186:189], v207 offset0:30 offset1:31
	s_waitcnt vmcnt(16) lgkmcnt(1)
	v_mul_f64 v[110:111], v[244:245], v[110:111]
	s_waitcnt vmcnt(15) lgkmcnt(0)
	v_fma_f64 v[154:155], -v[110:111], v[186:187], v[154:155]
	s_waitcnt vmcnt(14)
	v_fma_f64 v[108:109], -v[110:111], v[188:189], v[108:109]
	ds_read2_b64 v[186:189], v207 offset0:32 offset1:33
	s_waitcnt vmcnt(13) lgkmcnt(0)
	v_fma_f64 v[152:153], -v[110:111], v[186:187], v[152:153]
	s_waitcnt vmcnt(12)
	v_fma_f64 v[106:107], -v[110:111], v[188:189], v[106:107]
	ds_read2_b64 v[186:189], v207 offset0:34 offset1:35
	;; [unrolled: 5-line block ×7, first 2 shown]
	s_waitcnt vmcnt(1) lgkmcnt(0)
	v_fma_f64 v[140:141], -v[110:111], v[186:187], v[140:141]
	s_waitcnt vmcnt(0)
	v_fma_f64 v[184:185], -v[110:111], v[188:189], v[184:185]
.LBB91_151:
	s_or_b64 exec, exec, s[2:3]
	v_cmp_eq_u32_e32 vcc, 30, v208
	s_waitcnt lgkmcnt(0)
	s_barrier
	s_and_saveexec_b64 s[2:3], vcc
	s_cbranch_execz .LBB91_154
; %bb.152:
	s_waitcnt vmcnt(15)
	ds_write_b64 v206, v[154:155]
	s_waitcnt vmcnt(13)
	ds_write2_b64 v207, v[108:109], v[152:153] offset0:31 offset1:32
	s_waitcnt vmcnt(11)
	ds_write2_b64 v207, v[106:107], v[150:151] offset0:33 offset1:34
	;; [unrolled: 2-line block ×7, first 2 shown]
	s_waitcnt vmcnt(0)
	ds_write_b64 v207, v[184:185] offset:360
	ds_read_b64 v[186:187], v206
	s_waitcnt lgkmcnt(0)
	v_cmp_neq_f64_e32 vcc, 0, v[186:187]
	s_and_b64 exec, exec, vcc
	s_cbranch_execz .LBB91_154
; %bb.153:
	v_div_scale_f64 v[188:189], s[6:7], v[186:187], v[186:187], 1.0
	v_rcp_f64_e32 v[190:191], v[188:189]
	v_div_scale_f64 v[192:193], vcc, 1.0, v[186:187], 1.0
	v_fma_f64 v[194:195], -v[188:189], v[190:191], 1.0
	v_fmac_f64_e32 v[190:191], v[190:191], v[194:195]
	v_fma_f64 v[194:195], -v[188:189], v[190:191], 1.0
	v_fmac_f64_e32 v[190:191], v[190:191], v[194:195]
	v_mul_f64 v[194:195], v[192:193], v[190:191]
	v_fma_f64 v[188:189], -v[188:189], v[194:195], v[192:193]
	v_div_fmas_f64 v[188:189], v[188:189], v[190:191], v[194:195]
	v_div_fixup_f64 v[186:187], v[188:189], v[186:187], 1.0
	ds_write_b64 v206, v[186:187]
.LBB91_154:
	s_or_b64 exec, exec, s[2:3]
	s_waitcnt lgkmcnt(0)
	s_barrier
	ds_read_b64 v[246:247], v206
	v_cmp_lt_u32_e32 vcc, 30, v208
	s_and_saveexec_b64 s[2:3], vcc
	s_cbranch_execz .LBB91_156
; %bb.155:
	ds_read2_b64 v[186:189], v207 offset0:31 offset1:32
	s_waitcnt vmcnt(15) lgkmcnt(1)
	v_mul_f64 v[154:155], v[246:247], v[154:155]
	s_waitcnt vmcnt(14) lgkmcnt(0)
	v_fma_f64 v[108:109], -v[154:155], v[186:187], v[108:109]
	s_waitcnt vmcnt(13)
	v_fma_f64 v[152:153], -v[154:155], v[188:189], v[152:153]
	ds_read2_b64 v[186:189], v207 offset0:33 offset1:34
	s_waitcnt vmcnt(12) lgkmcnt(0)
	v_fma_f64 v[106:107], -v[154:155], v[186:187], v[106:107]
	s_waitcnt vmcnt(11)
	v_fma_f64 v[150:151], -v[154:155], v[188:189], v[150:151]
	ds_read2_b64 v[186:189], v207 offset0:35 offset1:36
	;; [unrolled: 5-line block ×6, first 2 shown]
	s_waitcnt vmcnt(2) lgkmcnt(0)
	v_fma_f64 v[96:97], -v[154:155], v[186:187], v[96:97]
	ds_read_b64 v[186:187], v207 offset:360
	s_waitcnt vmcnt(1)
	v_fma_f64 v[140:141], -v[154:155], v[188:189], v[140:141]
	s_waitcnt vmcnt(0) lgkmcnt(0)
	v_fma_f64 v[184:185], -v[154:155], v[186:187], v[184:185]
.LBB91_156:
	s_or_b64 exec, exec, s[2:3]
	v_cmp_eq_u32_e32 vcc, 31, v208
	s_waitcnt lgkmcnt(0)
	s_barrier
	s_and_saveexec_b64 s[2:3], vcc
	s_cbranch_execz .LBB91_159
; %bb.157:
	s_waitcnt vmcnt(13)
	v_mov_b32_e32 v186, v152
	v_mov_b32_e32 v187, v153
	s_waitcnt vmcnt(12)
	v_mov_b32_e32 v188, v106
	v_mov_b32_e32 v189, v107
	ds_write_b64 v206, v[108:109]
	ds_write2_b64 v207, v[186:187], v[188:189] offset0:32 offset1:33
	s_waitcnt vmcnt(11)
	v_mov_b32_e32 v186, v150
	v_mov_b32_e32 v187, v151
	s_waitcnt vmcnt(10)
	v_mov_b32_e32 v188, v104
	v_mov_b32_e32 v189, v105
	ds_write2_b64 v207, v[186:187], v[188:189] offset0:34 offset1:35
	s_waitcnt vmcnt(9)
	v_mov_b32_e32 v186, v148
	v_mov_b32_e32 v187, v149
	s_waitcnt vmcnt(8)
	v_mov_b32_e32 v188, v102
	v_mov_b32_e32 v189, v103
	;; [unrolled: 7-line block ×5, first 2 shown]
	ds_write2_b64 v207, v[186:187], v[188:189] offset0:42 offset1:43
	s_waitcnt vmcnt(1)
	v_mov_b32_e32 v186, v140
	v_mov_b32_e32 v187, v141
	s_waitcnt vmcnt(0)
	ds_write2_b64 v207, v[186:187], v[184:185] offset0:44 offset1:45
	ds_read_b64 v[186:187], v206
	s_waitcnt lgkmcnt(0)
	v_cmp_neq_f64_e32 vcc, 0, v[186:187]
	s_and_b64 exec, exec, vcc
	s_cbranch_execz .LBB91_159
; %bb.158:
	v_div_scale_f64 v[188:189], s[6:7], v[186:187], v[186:187], 1.0
	v_rcp_f64_e32 v[190:191], v[188:189]
	v_div_scale_f64 v[192:193], vcc, 1.0, v[186:187], 1.0
	v_fma_f64 v[194:195], -v[188:189], v[190:191], 1.0
	v_fmac_f64_e32 v[190:191], v[190:191], v[194:195]
	v_fma_f64 v[194:195], -v[188:189], v[190:191], 1.0
	v_fmac_f64_e32 v[190:191], v[190:191], v[194:195]
	v_mul_f64 v[194:195], v[192:193], v[190:191]
	v_fma_f64 v[188:189], -v[188:189], v[194:195], v[192:193]
	v_div_fmas_f64 v[188:189], v[188:189], v[190:191], v[194:195]
	v_div_fixup_f64 v[186:187], v[188:189], v[186:187], 1.0
	ds_write_b64 v206, v[186:187]
.LBB91_159:
	s_or_b64 exec, exec, s[2:3]
	s_waitcnt lgkmcnt(0)
	s_barrier
	ds_read_b64 v[248:249], v206
	v_cmp_lt_u32_e32 vcc, 31, v208
	s_and_saveexec_b64 s[2:3], vcc
	s_cbranch_execz .LBB91_161
; %bb.160:
	ds_read2_b64 v[186:189], v207 offset0:32 offset1:33
	s_waitcnt vmcnt(14) lgkmcnt(1)
	v_mul_f64 v[108:109], v[248:249], v[108:109]
	s_waitcnt vmcnt(13) lgkmcnt(0)
	v_fma_f64 v[152:153], -v[108:109], v[186:187], v[152:153]
	s_waitcnt vmcnt(12)
	v_fma_f64 v[106:107], -v[108:109], v[188:189], v[106:107]
	ds_read2_b64 v[186:189], v207 offset0:34 offset1:35
	s_waitcnt vmcnt(11) lgkmcnt(0)
	v_fma_f64 v[150:151], -v[108:109], v[186:187], v[150:151]
	s_waitcnt vmcnt(10)
	v_fma_f64 v[104:105], -v[108:109], v[188:189], v[104:105]
	ds_read2_b64 v[186:189], v207 offset0:36 offset1:37
	;; [unrolled: 5-line block ×6, first 2 shown]
	s_waitcnt vmcnt(1) lgkmcnt(0)
	v_fma_f64 v[140:141], -v[108:109], v[186:187], v[140:141]
	s_waitcnt vmcnt(0)
	v_fma_f64 v[184:185], -v[108:109], v[188:189], v[184:185]
.LBB91_161:
	s_or_b64 exec, exec, s[2:3]
	v_cmp_eq_u32_e32 vcc, 32, v208
	s_waitcnt lgkmcnt(0)
	s_barrier
	s_and_saveexec_b64 s[2:3], vcc
	s_cbranch_execz .LBB91_164
; %bb.162:
	s_waitcnt vmcnt(13)
	ds_write_b64 v206, v[152:153]
	s_waitcnt vmcnt(11)
	ds_write2_b64 v207, v[106:107], v[150:151] offset0:33 offset1:34
	s_waitcnt vmcnt(9)
	ds_write2_b64 v207, v[104:105], v[148:149] offset0:35 offset1:36
	;; [unrolled: 2-line block ×6, first 2 shown]
	s_waitcnt vmcnt(0)
	ds_write_b64 v207, v[184:185] offset:360
	ds_read_b64 v[186:187], v206
	s_waitcnt lgkmcnt(0)
	v_cmp_neq_f64_e32 vcc, 0, v[186:187]
	s_and_b64 exec, exec, vcc
	s_cbranch_execz .LBB91_164
; %bb.163:
	v_div_scale_f64 v[188:189], s[6:7], v[186:187], v[186:187], 1.0
	v_rcp_f64_e32 v[190:191], v[188:189]
	v_div_scale_f64 v[192:193], vcc, 1.0, v[186:187], 1.0
	v_fma_f64 v[194:195], -v[188:189], v[190:191], 1.0
	v_fmac_f64_e32 v[190:191], v[190:191], v[194:195]
	v_fma_f64 v[194:195], -v[188:189], v[190:191], 1.0
	v_fmac_f64_e32 v[190:191], v[190:191], v[194:195]
	v_mul_f64 v[194:195], v[192:193], v[190:191]
	v_fma_f64 v[188:189], -v[188:189], v[194:195], v[192:193]
	v_div_fmas_f64 v[188:189], v[188:189], v[190:191], v[194:195]
	v_div_fixup_f64 v[186:187], v[188:189], v[186:187], 1.0
	ds_write_b64 v206, v[186:187]
.LBB91_164:
	s_or_b64 exec, exec, s[2:3]
	s_waitcnt lgkmcnt(0)
	s_barrier
	ds_read_b64 v[250:251], v206
	v_cmp_lt_u32_e32 vcc, 32, v208
	s_and_saveexec_b64 s[2:3], vcc
	s_cbranch_execz .LBB91_166
; %bb.165:
	ds_read2_b64 v[186:189], v207 offset0:33 offset1:34
	s_waitcnt vmcnt(13) lgkmcnt(1)
	v_mul_f64 v[152:153], v[250:251], v[152:153]
	s_waitcnt vmcnt(12) lgkmcnt(0)
	v_fma_f64 v[106:107], -v[152:153], v[186:187], v[106:107]
	s_waitcnt vmcnt(11)
	v_fma_f64 v[150:151], -v[152:153], v[188:189], v[150:151]
	ds_read2_b64 v[186:189], v207 offset0:35 offset1:36
	s_waitcnt vmcnt(10) lgkmcnt(0)
	v_fma_f64 v[104:105], -v[152:153], v[186:187], v[104:105]
	s_waitcnt vmcnt(9)
	v_fma_f64 v[148:149], -v[152:153], v[188:189], v[148:149]
	ds_read2_b64 v[186:189], v207 offset0:37 offset1:38
	;; [unrolled: 5-line block ×5, first 2 shown]
	s_waitcnt vmcnt(2) lgkmcnt(0)
	v_fma_f64 v[96:97], -v[152:153], v[186:187], v[96:97]
	ds_read_b64 v[186:187], v207 offset:360
	s_waitcnt vmcnt(1)
	v_fma_f64 v[140:141], -v[152:153], v[188:189], v[140:141]
	s_waitcnt vmcnt(0) lgkmcnt(0)
	v_fma_f64 v[184:185], -v[152:153], v[186:187], v[184:185]
.LBB91_166:
	s_or_b64 exec, exec, s[2:3]
	v_cmp_eq_u32_e32 vcc, 33, v208
	s_waitcnt lgkmcnt(0)
	s_barrier
	s_and_saveexec_b64 s[2:3], vcc
	s_cbranch_execz .LBB91_169
; %bb.167:
	s_waitcnt vmcnt(11)
	v_mov_b32_e32 v186, v150
	v_mov_b32_e32 v187, v151
	s_waitcnt vmcnt(10)
	v_mov_b32_e32 v188, v104
	v_mov_b32_e32 v189, v105
	ds_write_b64 v206, v[106:107]
	ds_write2_b64 v207, v[186:187], v[188:189] offset0:34 offset1:35
	s_waitcnt vmcnt(9)
	v_mov_b32_e32 v186, v148
	v_mov_b32_e32 v187, v149
	s_waitcnt vmcnt(8)
	v_mov_b32_e32 v188, v102
	v_mov_b32_e32 v189, v103
	ds_write2_b64 v207, v[186:187], v[188:189] offset0:36 offset1:37
	s_waitcnt vmcnt(7)
	v_mov_b32_e32 v186, v146
	v_mov_b32_e32 v187, v147
	s_waitcnt vmcnt(6)
	v_mov_b32_e32 v188, v100
	v_mov_b32_e32 v189, v101
	ds_write2_b64 v207, v[186:187], v[188:189] offset0:38 offset1:39
	s_waitcnt vmcnt(5)
	v_mov_b32_e32 v186, v144
	v_mov_b32_e32 v187, v145
	s_waitcnt vmcnt(4)
	v_mov_b32_e32 v188, v98
	v_mov_b32_e32 v189, v99
	ds_write2_b64 v207, v[186:187], v[188:189] offset0:40 offset1:41
	s_waitcnt vmcnt(3)
	v_mov_b32_e32 v186, v142
	v_mov_b32_e32 v187, v143
	s_waitcnt vmcnt(2)
	v_mov_b32_e32 v188, v96
	v_mov_b32_e32 v189, v97
	ds_write2_b64 v207, v[186:187], v[188:189] offset0:42 offset1:43
	s_waitcnt vmcnt(1)
	v_mov_b32_e32 v186, v140
	v_mov_b32_e32 v187, v141
	s_waitcnt vmcnt(0)
	ds_write2_b64 v207, v[186:187], v[184:185] offset0:44 offset1:45
	ds_read_b64 v[186:187], v206
	s_waitcnt lgkmcnt(0)
	v_cmp_neq_f64_e32 vcc, 0, v[186:187]
	s_and_b64 exec, exec, vcc
	s_cbranch_execz .LBB91_169
; %bb.168:
	v_div_scale_f64 v[188:189], s[6:7], v[186:187], v[186:187], 1.0
	v_rcp_f64_e32 v[190:191], v[188:189]
	v_div_scale_f64 v[192:193], vcc, 1.0, v[186:187], 1.0
	v_fma_f64 v[194:195], -v[188:189], v[190:191], 1.0
	v_fmac_f64_e32 v[190:191], v[190:191], v[194:195]
	v_fma_f64 v[194:195], -v[188:189], v[190:191], 1.0
	v_fmac_f64_e32 v[190:191], v[190:191], v[194:195]
	v_mul_f64 v[194:195], v[192:193], v[190:191]
	v_fma_f64 v[188:189], -v[188:189], v[194:195], v[192:193]
	v_div_fmas_f64 v[188:189], v[188:189], v[190:191], v[194:195]
	v_div_fixup_f64 v[186:187], v[188:189], v[186:187], 1.0
	ds_write_b64 v206, v[186:187]
.LBB91_169:
	s_or_b64 exec, exec, s[2:3]
	s_waitcnt lgkmcnt(0)
	s_barrier
	ds_read_b64 v[252:253], v206
	v_cmp_lt_u32_e32 vcc, 33, v208
	s_and_saveexec_b64 s[2:3], vcc
	s_cbranch_execz .LBB91_171
; %bb.170:
	ds_read2_b64 v[186:189], v207 offset0:34 offset1:35
	s_waitcnt vmcnt(12) lgkmcnt(1)
	v_mul_f64 v[106:107], v[252:253], v[106:107]
	s_waitcnt vmcnt(11) lgkmcnt(0)
	v_fma_f64 v[150:151], -v[106:107], v[186:187], v[150:151]
	s_waitcnt vmcnt(10)
	v_fma_f64 v[104:105], -v[106:107], v[188:189], v[104:105]
	ds_read2_b64 v[186:189], v207 offset0:36 offset1:37
	s_waitcnt vmcnt(9) lgkmcnt(0)
	v_fma_f64 v[148:149], -v[106:107], v[186:187], v[148:149]
	s_waitcnt vmcnt(8)
	v_fma_f64 v[102:103], -v[106:107], v[188:189], v[102:103]
	ds_read2_b64 v[186:189], v207 offset0:38 offset1:39
	;; [unrolled: 5-line block ×5, first 2 shown]
	s_waitcnt vmcnt(1) lgkmcnt(0)
	v_fma_f64 v[140:141], -v[106:107], v[186:187], v[140:141]
	s_waitcnt vmcnt(0)
	v_fma_f64 v[184:185], -v[106:107], v[188:189], v[184:185]
.LBB91_171:
	s_or_b64 exec, exec, s[2:3]
	v_cmp_eq_u32_e32 vcc, 34, v208
	s_waitcnt lgkmcnt(0)
	s_barrier
	s_and_saveexec_b64 s[2:3], vcc
	s_cbranch_execz .LBB91_174
; %bb.172:
	s_waitcnt vmcnt(11)
	ds_write_b64 v206, v[150:151]
	s_waitcnt vmcnt(9)
	ds_write2_b64 v207, v[104:105], v[148:149] offset0:35 offset1:36
	s_waitcnt vmcnt(7)
	ds_write2_b64 v207, v[102:103], v[146:147] offset0:37 offset1:38
	;; [unrolled: 2-line block ×5, first 2 shown]
	s_waitcnt vmcnt(0)
	ds_write_b64 v207, v[184:185] offset:360
	ds_read_b64 v[186:187], v206
	s_waitcnt lgkmcnt(0)
	v_cmp_neq_f64_e32 vcc, 0, v[186:187]
	s_and_b64 exec, exec, vcc
	s_cbranch_execz .LBB91_174
; %bb.173:
	v_div_scale_f64 v[188:189], s[6:7], v[186:187], v[186:187], 1.0
	v_rcp_f64_e32 v[190:191], v[188:189]
	v_div_scale_f64 v[192:193], vcc, 1.0, v[186:187], 1.0
	v_fma_f64 v[194:195], -v[188:189], v[190:191], 1.0
	v_fmac_f64_e32 v[190:191], v[190:191], v[194:195]
	v_fma_f64 v[194:195], -v[188:189], v[190:191], 1.0
	v_fmac_f64_e32 v[190:191], v[190:191], v[194:195]
	v_mul_f64 v[194:195], v[192:193], v[190:191]
	v_fma_f64 v[188:189], -v[188:189], v[194:195], v[192:193]
	v_div_fmas_f64 v[188:189], v[188:189], v[190:191], v[194:195]
	v_div_fixup_f64 v[186:187], v[188:189], v[186:187], 1.0
	ds_write_b64 v206, v[186:187]
.LBB91_174:
	s_or_b64 exec, exec, s[2:3]
	s_waitcnt lgkmcnt(0)
	s_barrier
	ds_read_b64 v[254:255], v206
	v_cmp_lt_u32_e32 vcc, 34, v208
	s_and_saveexec_b64 s[2:3], vcc
	s_cbranch_execz .LBB91_176
; %bb.175:
	ds_read2_b64 v[186:189], v207 offset0:35 offset1:36
	s_waitcnt vmcnt(11) lgkmcnt(1)
	v_mul_f64 v[150:151], v[254:255], v[150:151]
	s_waitcnt vmcnt(10) lgkmcnt(0)
	v_fma_f64 v[104:105], -v[150:151], v[186:187], v[104:105]
	s_waitcnt vmcnt(9)
	v_fma_f64 v[148:149], -v[150:151], v[188:189], v[148:149]
	ds_read2_b64 v[186:189], v207 offset0:37 offset1:38
	s_waitcnt vmcnt(8) lgkmcnt(0)
	v_fma_f64 v[102:103], -v[150:151], v[186:187], v[102:103]
	s_waitcnt vmcnt(7)
	v_fma_f64 v[146:147], -v[150:151], v[188:189], v[146:147]
	ds_read2_b64 v[186:189], v207 offset0:39 offset1:40
	;; [unrolled: 5-line block ×4, first 2 shown]
	s_waitcnt vmcnt(2) lgkmcnt(0)
	v_fma_f64 v[96:97], -v[150:151], v[186:187], v[96:97]
	ds_read_b64 v[186:187], v207 offset:360
	s_waitcnt vmcnt(1)
	v_fma_f64 v[140:141], -v[150:151], v[188:189], v[140:141]
	s_waitcnt vmcnt(0) lgkmcnt(0)
	v_fma_f64 v[184:185], -v[150:151], v[186:187], v[184:185]
.LBB91_176:
	s_or_b64 exec, exec, s[2:3]
	v_cmp_eq_u32_e32 vcc, 35, v208
	s_waitcnt lgkmcnt(0)
	s_barrier
	s_and_saveexec_b64 s[2:3], vcc
	s_cbranch_execz .LBB91_179
; %bb.177:
	s_waitcnt vmcnt(9)
	v_mov_b32_e32 v186, v148
	v_mov_b32_e32 v187, v149
	s_waitcnt vmcnt(8)
	v_mov_b32_e32 v188, v102
	v_mov_b32_e32 v189, v103
	ds_write_b64 v206, v[104:105]
	ds_write2_b64 v207, v[186:187], v[188:189] offset0:36 offset1:37
	s_waitcnt vmcnt(7)
	v_mov_b32_e32 v186, v146
	v_mov_b32_e32 v187, v147
	s_waitcnt vmcnt(6)
	v_mov_b32_e32 v188, v100
	v_mov_b32_e32 v189, v101
	ds_write2_b64 v207, v[186:187], v[188:189] offset0:38 offset1:39
	s_waitcnt vmcnt(5)
	v_mov_b32_e32 v186, v144
	v_mov_b32_e32 v187, v145
	s_waitcnt vmcnt(4)
	v_mov_b32_e32 v188, v98
	v_mov_b32_e32 v189, v99
	;; [unrolled: 7-line block ×3, first 2 shown]
	ds_write2_b64 v207, v[186:187], v[188:189] offset0:42 offset1:43
	s_waitcnt vmcnt(1)
	v_mov_b32_e32 v186, v140
	v_mov_b32_e32 v187, v141
	s_waitcnt vmcnt(0)
	ds_write2_b64 v207, v[186:187], v[184:185] offset0:44 offset1:45
	ds_read_b64 v[186:187], v206
	s_waitcnt lgkmcnt(0)
	v_cmp_neq_f64_e32 vcc, 0, v[186:187]
	s_and_b64 exec, exec, vcc
	s_cbranch_execz .LBB91_179
; %bb.178:
	v_div_scale_f64 v[188:189], s[6:7], v[186:187], v[186:187], 1.0
	v_rcp_f64_e32 v[190:191], v[188:189]
	v_div_scale_f64 v[192:193], vcc, 1.0, v[186:187], 1.0
	v_fma_f64 v[194:195], -v[188:189], v[190:191], 1.0
	v_fmac_f64_e32 v[190:191], v[190:191], v[194:195]
	v_fma_f64 v[194:195], -v[188:189], v[190:191], 1.0
	v_fmac_f64_e32 v[190:191], v[190:191], v[194:195]
	v_mul_f64 v[194:195], v[192:193], v[190:191]
	v_fma_f64 v[188:189], -v[188:189], v[194:195], v[192:193]
	v_div_fmas_f64 v[188:189], v[188:189], v[190:191], v[194:195]
	v_div_fixup_f64 v[186:187], v[188:189], v[186:187], 1.0
	ds_write_b64 v206, v[186:187]
.LBB91_179:
	s_or_b64 exec, exec, s[2:3]
	s_waitcnt lgkmcnt(0)
	s_barrier
	ds_read_b64 v[186:187], v206
	v_cmp_lt_u32_e32 vcc, 35, v208
	s_and_saveexec_b64 s[2:3], vcc
	s_cbranch_execz .LBB91_181
; %bb.180:
	ds_read2_b64 v[188:191], v207 offset0:36 offset1:37
	s_waitcnt vmcnt(10) lgkmcnt(1)
	v_mul_f64 v[104:105], v[186:187], v[104:105]
	s_waitcnt vmcnt(9) lgkmcnt(0)
	v_fma_f64 v[148:149], -v[104:105], v[188:189], v[148:149]
	s_waitcnt vmcnt(8)
	v_fma_f64 v[102:103], -v[104:105], v[190:191], v[102:103]
	ds_read2_b64 v[188:191], v207 offset0:38 offset1:39
	s_waitcnt vmcnt(7) lgkmcnt(0)
	v_fma_f64 v[146:147], -v[104:105], v[188:189], v[146:147]
	s_waitcnt vmcnt(6)
	v_fma_f64 v[100:101], -v[104:105], v[190:191], v[100:101]
	ds_read2_b64 v[188:191], v207 offset0:40 offset1:41
	;; [unrolled: 5-line block ×4, first 2 shown]
	s_waitcnt vmcnt(1) lgkmcnt(0)
	v_fma_f64 v[140:141], -v[104:105], v[188:189], v[140:141]
	s_waitcnt vmcnt(0)
	v_fma_f64 v[184:185], -v[104:105], v[190:191], v[184:185]
.LBB91_181:
	s_or_b64 exec, exec, s[2:3]
	v_cmp_eq_u32_e32 vcc, 36, v208
	s_waitcnt lgkmcnt(0)
	s_barrier
	s_and_saveexec_b64 s[2:3], vcc
	s_cbranch_execz .LBB91_184
; %bb.182:
	s_waitcnt vmcnt(9)
	ds_write_b64 v206, v[148:149]
	s_waitcnt vmcnt(7)
	ds_write2_b64 v207, v[102:103], v[146:147] offset0:37 offset1:38
	s_waitcnt vmcnt(5)
	ds_write2_b64 v207, v[100:101], v[144:145] offset0:39 offset1:40
	;; [unrolled: 2-line block ×4, first 2 shown]
	s_waitcnt vmcnt(0)
	ds_write_b64 v207, v[184:185] offset:360
	ds_read_b64 v[188:189], v206
	s_waitcnt lgkmcnt(0)
	v_cmp_neq_f64_e32 vcc, 0, v[188:189]
	s_and_b64 exec, exec, vcc
	s_cbranch_execz .LBB91_184
; %bb.183:
	v_div_scale_f64 v[190:191], s[6:7], v[188:189], v[188:189], 1.0
	v_rcp_f64_e32 v[192:193], v[190:191]
	v_div_scale_f64 v[194:195], vcc, 1.0, v[188:189], 1.0
	v_fma_f64 v[196:197], -v[190:191], v[192:193], 1.0
	v_fmac_f64_e32 v[192:193], v[192:193], v[196:197]
	v_fma_f64 v[196:197], -v[190:191], v[192:193], 1.0
	v_fmac_f64_e32 v[192:193], v[192:193], v[196:197]
	v_mul_f64 v[196:197], v[194:195], v[192:193]
	v_fma_f64 v[190:191], -v[190:191], v[196:197], v[194:195]
	v_div_fmas_f64 v[190:191], v[190:191], v[192:193], v[196:197]
	v_div_fixup_f64 v[188:189], v[190:191], v[188:189], 1.0
	ds_write_b64 v206, v[188:189]
.LBB91_184:
	s_or_b64 exec, exec, s[2:3]
	s_waitcnt lgkmcnt(0)
	s_barrier
	ds_read_b64 v[188:189], v206
	v_cmp_lt_u32_e32 vcc, 36, v208
	s_and_saveexec_b64 s[2:3], vcc
	s_cbranch_execz .LBB91_186
; %bb.185:
	ds_read2_b64 v[190:193], v207 offset0:37 offset1:38
	s_waitcnt vmcnt(9) lgkmcnt(1)
	v_mul_f64 v[148:149], v[188:189], v[148:149]
	s_waitcnt vmcnt(8) lgkmcnt(0)
	v_fma_f64 v[102:103], -v[148:149], v[190:191], v[102:103]
	s_waitcnt vmcnt(7)
	v_fma_f64 v[146:147], -v[148:149], v[192:193], v[146:147]
	ds_read2_b64 v[190:193], v207 offset0:39 offset1:40
	s_waitcnt vmcnt(6) lgkmcnt(0)
	v_fma_f64 v[100:101], -v[148:149], v[190:191], v[100:101]
	s_waitcnt vmcnt(5)
	v_fma_f64 v[144:145], -v[148:149], v[192:193], v[144:145]
	ds_read2_b64 v[190:193], v207 offset0:41 offset1:42
	;; [unrolled: 5-line block ×3, first 2 shown]
	s_waitcnt vmcnt(2) lgkmcnt(0)
	v_fma_f64 v[96:97], -v[148:149], v[190:191], v[96:97]
	ds_read_b64 v[190:191], v207 offset:360
	s_waitcnt vmcnt(1)
	v_fma_f64 v[140:141], -v[148:149], v[192:193], v[140:141]
	s_waitcnt vmcnt(0) lgkmcnt(0)
	v_fma_f64 v[184:185], -v[148:149], v[190:191], v[184:185]
.LBB91_186:
	s_or_b64 exec, exec, s[2:3]
	v_cmp_eq_u32_e32 vcc, 37, v208
	s_waitcnt lgkmcnt(0)
	s_barrier
	s_and_saveexec_b64 s[2:3], vcc
	s_cbranch_execz .LBB91_189
; %bb.187:
	s_waitcnt vmcnt(7)
	v_mov_b32_e32 v190, v146
	v_mov_b32_e32 v191, v147
	s_waitcnt vmcnt(6)
	v_mov_b32_e32 v192, v100
	v_mov_b32_e32 v193, v101
	ds_write_b64 v206, v[102:103]
	ds_write2_b64 v207, v[190:191], v[192:193] offset0:38 offset1:39
	s_waitcnt vmcnt(5)
	v_mov_b32_e32 v190, v144
	v_mov_b32_e32 v191, v145
	s_waitcnt vmcnt(4)
	v_mov_b32_e32 v192, v98
	v_mov_b32_e32 v193, v99
	ds_write2_b64 v207, v[190:191], v[192:193] offset0:40 offset1:41
	s_waitcnt vmcnt(3)
	v_mov_b32_e32 v190, v142
	v_mov_b32_e32 v191, v143
	s_waitcnt vmcnt(2)
	v_mov_b32_e32 v192, v96
	v_mov_b32_e32 v193, v97
	ds_write2_b64 v207, v[190:191], v[192:193] offset0:42 offset1:43
	s_waitcnt vmcnt(1)
	v_mov_b32_e32 v190, v140
	v_mov_b32_e32 v191, v141
	s_waitcnt vmcnt(0)
	ds_write2_b64 v207, v[190:191], v[184:185] offset0:44 offset1:45
	ds_read_b64 v[190:191], v206
	s_waitcnt lgkmcnt(0)
	v_cmp_neq_f64_e32 vcc, 0, v[190:191]
	s_and_b64 exec, exec, vcc
	s_cbranch_execz .LBB91_189
; %bb.188:
	v_div_scale_f64 v[192:193], s[6:7], v[190:191], v[190:191], 1.0
	v_rcp_f64_e32 v[194:195], v[192:193]
	v_div_scale_f64 v[196:197], vcc, 1.0, v[190:191], 1.0
	v_fma_f64 v[198:199], -v[192:193], v[194:195], 1.0
	v_fmac_f64_e32 v[194:195], v[194:195], v[198:199]
	v_fma_f64 v[198:199], -v[192:193], v[194:195], 1.0
	v_fmac_f64_e32 v[194:195], v[194:195], v[198:199]
	v_mul_f64 v[198:199], v[196:197], v[194:195]
	v_fma_f64 v[192:193], -v[192:193], v[198:199], v[196:197]
	v_div_fmas_f64 v[192:193], v[192:193], v[194:195], v[198:199]
	v_div_fixup_f64 v[190:191], v[192:193], v[190:191], 1.0
	ds_write_b64 v206, v[190:191]
.LBB91_189:
	s_or_b64 exec, exec, s[2:3]
	s_waitcnt lgkmcnt(0)
	s_barrier
	ds_read_b64 v[190:191], v206
	v_cmp_lt_u32_e32 vcc, 37, v208
	s_and_saveexec_b64 s[2:3], vcc
	s_cbranch_execz .LBB91_191
; %bb.190:
	ds_read2_b64 v[192:195], v207 offset0:38 offset1:39
	s_waitcnt vmcnt(8) lgkmcnt(1)
	v_mul_f64 v[102:103], v[190:191], v[102:103]
	s_waitcnt vmcnt(7) lgkmcnt(0)
	v_fma_f64 v[146:147], -v[102:103], v[192:193], v[146:147]
	s_waitcnt vmcnt(6)
	v_fma_f64 v[100:101], -v[102:103], v[194:195], v[100:101]
	ds_read2_b64 v[192:195], v207 offset0:40 offset1:41
	s_waitcnt vmcnt(5) lgkmcnt(0)
	v_fma_f64 v[144:145], -v[102:103], v[192:193], v[144:145]
	s_waitcnt vmcnt(4)
	v_fma_f64 v[98:99], -v[102:103], v[194:195], v[98:99]
	ds_read2_b64 v[192:195], v207 offset0:42 offset1:43
	;; [unrolled: 5-line block ×3, first 2 shown]
	s_waitcnt vmcnt(1) lgkmcnt(0)
	v_fma_f64 v[140:141], -v[102:103], v[192:193], v[140:141]
	s_waitcnt vmcnt(0)
	v_fma_f64 v[184:185], -v[102:103], v[194:195], v[184:185]
.LBB91_191:
	s_or_b64 exec, exec, s[2:3]
	v_cmp_eq_u32_e32 vcc, 38, v208
	s_waitcnt lgkmcnt(0)
	s_barrier
	s_and_saveexec_b64 s[2:3], vcc
	s_cbranch_execz .LBB91_194
; %bb.192:
	s_waitcnt vmcnt(7)
	ds_write_b64 v206, v[146:147]
	s_waitcnt vmcnt(5)
	ds_write2_b64 v207, v[100:101], v[144:145] offset0:39 offset1:40
	s_waitcnt vmcnt(3)
	ds_write2_b64 v207, v[98:99], v[142:143] offset0:41 offset1:42
	;; [unrolled: 2-line block ×3, first 2 shown]
	s_waitcnt vmcnt(0)
	ds_write_b64 v207, v[184:185] offset:360
	ds_read_b64 v[192:193], v206
	s_waitcnt lgkmcnt(0)
	v_cmp_neq_f64_e32 vcc, 0, v[192:193]
	s_and_b64 exec, exec, vcc
	s_cbranch_execz .LBB91_194
; %bb.193:
	v_div_scale_f64 v[194:195], s[6:7], v[192:193], v[192:193], 1.0
	v_rcp_f64_e32 v[196:197], v[194:195]
	v_div_scale_f64 v[198:199], vcc, 1.0, v[192:193], 1.0
	v_fma_f64 v[200:201], -v[194:195], v[196:197], 1.0
	v_fmac_f64_e32 v[196:197], v[196:197], v[200:201]
	v_fma_f64 v[200:201], -v[194:195], v[196:197], 1.0
	v_fmac_f64_e32 v[196:197], v[196:197], v[200:201]
	v_mul_f64 v[200:201], v[198:199], v[196:197]
	v_fma_f64 v[194:195], -v[194:195], v[200:201], v[198:199]
	v_div_fmas_f64 v[194:195], v[194:195], v[196:197], v[200:201]
	v_div_fixup_f64 v[192:193], v[194:195], v[192:193], 1.0
	ds_write_b64 v206, v[192:193]
.LBB91_194:
	s_or_b64 exec, exec, s[2:3]
	s_waitcnt lgkmcnt(0)
	s_barrier
	ds_read_b64 v[192:193], v206
	v_cmp_lt_u32_e32 vcc, 38, v208
	s_and_saveexec_b64 s[2:3], vcc
	s_cbranch_execz .LBB91_196
; %bb.195:
	ds_read2_b64 v[194:197], v207 offset0:39 offset1:40
	s_waitcnt vmcnt(7) lgkmcnt(1)
	v_mul_f64 v[146:147], v[192:193], v[146:147]
	s_waitcnt vmcnt(6) lgkmcnt(0)
	v_fma_f64 v[100:101], -v[146:147], v[194:195], v[100:101]
	s_waitcnt vmcnt(5)
	v_fma_f64 v[144:145], -v[146:147], v[196:197], v[144:145]
	ds_read2_b64 v[194:197], v207 offset0:41 offset1:42
	s_waitcnt vmcnt(4) lgkmcnt(0)
	v_fma_f64 v[98:99], -v[146:147], v[194:195], v[98:99]
	s_waitcnt vmcnt(3)
	v_fma_f64 v[142:143], -v[146:147], v[196:197], v[142:143]
	ds_read2_b64 v[194:197], v207 offset0:43 offset1:44
	s_waitcnt vmcnt(2) lgkmcnt(0)
	v_fma_f64 v[96:97], -v[146:147], v[194:195], v[96:97]
	ds_read_b64 v[194:195], v207 offset:360
	s_waitcnt vmcnt(1)
	v_fma_f64 v[140:141], -v[146:147], v[196:197], v[140:141]
	s_waitcnt vmcnt(0) lgkmcnt(0)
	v_fma_f64 v[184:185], -v[146:147], v[194:195], v[184:185]
.LBB91_196:
	s_or_b64 exec, exec, s[2:3]
	v_cmp_eq_u32_e32 vcc, 39, v208
	s_waitcnt lgkmcnt(0)
	s_barrier
	s_and_saveexec_b64 s[2:3], vcc
	s_cbranch_execz .LBB91_199
; %bb.197:
	s_waitcnt vmcnt(5)
	v_mov_b32_e32 v194, v144
	v_mov_b32_e32 v195, v145
	s_waitcnt vmcnt(4)
	v_mov_b32_e32 v196, v98
	v_mov_b32_e32 v197, v99
	ds_write_b64 v206, v[100:101]
	ds_write2_b64 v207, v[194:195], v[196:197] offset0:40 offset1:41
	s_waitcnt vmcnt(3)
	v_mov_b32_e32 v194, v142
	v_mov_b32_e32 v195, v143
	s_waitcnt vmcnt(2)
	v_mov_b32_e32 v196, v96
	v_mov_b32_e32 v197, v97
	ds_write2_b64 v207, v[194:195], v[196:197] offset0:42 offset1:43
	s_waitcnt vmcnt(1)
	v_mov_b32_e32 v194, v140
	v_mov_b32_e32 v195, v141
	s_waitcnt vmcnt(0)
	ds_write2_b64 v207, v[194:195], v[184:185] offset0:44 offset1:45
	ds_read_b64 v[194:195], v206
	s_waitcnt lgkmcnt(0)
	v_cmp_neq_f64_e32 vcc, 0, v[194:195]
	s_and_b64 exec, exec, vcc
	s_cbranch_execz .LBB91_199
; %bb.198:
	v_div_scale_f64 v[196:197], s[6:7], v[194:195], v[194:195], 1.0
	v_rcp_f64_e32 v[198:199], v[196:197]
	v_div_scale_f64 v[200:201], vcc, 1.0, v[194:195], 1.0
	v_fma_f64 v[202:203], -v[196:197], v[198:199], 1.0
	v_fmac_f64_e32 v[198:199], v[198:199], v[202:203]
	v_fma_f64 v[202:203], -v[196:197], v[198:199], 1.0
	v_fmac_f64_e32 v[198:199], v[198:199], v[202:203]
	v_mul_f64 v[202:203], v[200:201], v[198:199]
	v_fma_f64 v[196:197], -v[196:197], v[202:203], v[200:201]
	v_div_fmas_f64 v[196:197], v[196:197], v[198:199], v[202:203]
	v_div_fixup_f64 v[194:195], v[196:197], v[194:195], 1.0
	ds_write_b64 v206, v[194:195]
.LBB91_199:
	s_or_b64 exec, exec, s[2:3]
	s_waitcnt lgkmcnt(0)
	s_barrier
	ds_read_b64 v[194:195], v206
	v_cmp_lt_u32_e32 vcc, 39, v208
	s_and_saveexec_b64 s[2:3], vcc
	s_cbranch_execz .LBB91_201
; %bb.200:
	ds_read2_b64 v[196:199], v207 offset0:40 offset1:41
	s_waitcnt vmcnt(6) lgkmcnt(1)
	v_mul_f64 v[100:101], v[194:195], v[100:101]
	s_waitcnt vmcnt(5) lgkmcnt(0)
	v_fma_f64 v[144:145], -v[100:101], v[196:197], v[144:145]
	s_waitcnt vmcnt(4)
	v_fma_f64 v[98:99], -v[100:101], v[198:199], v[98:99]
	ds_read2_b64 v[196:199], v207 offset0:42 offset1:43
	s_waitcnt vmcnt(3) lgkmcnt(0)
	v_fma_f64 v[142:143], -v[100:101], v[196:197], v[142:143]
	s_waitcnt vmcnt(2)
	v_fma_f64 v[96:97], -v[100:101], v[198:199], v[96:97]
	ds_read2_b64 v[196:199], v207 offset0:44 offset1:45
	s_waitcnt vmcnt(1) lgkmcnt(0)
	v_fma_f64 v[140:141], -v[100:101], v[196:197], v[140:141]
	s_waitcnt vmcnt(0)
	v_fma_f64 v[184:185], -v[100:101], v[198:199], v[184:185]
.LBB91_201:
	s_or_b64 exec, exec, s[2:3]
	v_cmp_eq_u32_e32 vcc, 40, v208
	s_waitcnt lgkmcnt(0)
	s_barrier
	s_and_saveexec_b64 s[2:3], vcc
	s_cbranch_execz .LBB91_204
; %bb.202:
	s_waitcnt vmcnt(5)
	ds_write_b64 v206, v[144:145]
	s_waitcnt vmcnt(3)
	ds_write2_b64 v207, v[98:99], v[142:143] offset0:41 offset1:42
	s_waitcnt vmcnt(1)
	ds_write2_b64 v207, v[96:97], v[140:141] offset0:43 offset1:44
	s_waitcnt vmcnt(0)
	ds_write_b64 v207, v[184:185] offset:360
	ds_read_b64 v[196:197], v206
	s_waitcnt lgkmcnt(0)
	v_cmp_neq_f64_e32 vcc, 0, v[196:197]
	s_and_b64 exec, exec, vcc
	s_cbranch_execz .LBB91_204
; %bb.203:
	v_div_scale_f64 v[198:199], s[6:7], v[196:197], v[196:197], 1.0
	v_rcp_f64_e32 v[200:201], v[198:199]
	v_div_scale_f64 v[202:203], vcc, 1.0, v[196:197], 1.0
	v_fma_f64 v[204:205], -v[198:199], v[200:201], 1.0
	v_fmac_f64_e32 v[200:201], v[200:201], v[204:205]
	v_fma_f64 v[204:205], -v[198:199], v[200:201], 1.0
	v_fmac_f64_e32 v[200:201], v[200:201], v[204:205]
	v_mul_f64 v[204:205], v[202:203], v[200:201]
	v_fma_f64 v[198:199], -v[198:199], v[204:205], v[202:203]
	v_div_fmas_f64 v[198:199], v[198:199], v[200:201], v[204:205]
	v_div_fixup_f64 v[196:197], v[198:199], v[196:197], 1.0
	ds_write_b64 v206, v[196:197]
.LBB91_204:
	s_or_b64 exec, exec, s[2:3]
	s_waitcnt lgkmcnt(0)
	s_barrier
	ds_read_b64 v[196:197], v206
	v_cmp_lt_u32_e32 vcc, 40, v208
	s_and_saveexec_b64 s[2:3], vcc
	s_cbranch_execz .LBB91_206
; %bb.205:
	ds_read2_b64 v[198:201], v207 offset0:41 offset1:42
	s_waitcnt vmcnt(5) lgkmcnt(1)
	v_mul_f64 v[144:145], v[196:197], v[144:145]
	s_waitcnt vmcnt(4) lgkmcnt(0)
	v_fma_f64 v[98:99], -v[144:145], v[198:199], v[98:99]
	s_waitcnt vmcnt(3)
	v_fma_f64 v[142:143], -v[144:145], v[200:201], v[142:143]
	ds_read2_b64 v[198:201], v207 offset0:43 offset1:44
	s_waitcnt vmcnt(2) lgkmcnt(0)
	v_fma_f64 v[96:97], -v[144:145], v[198:199], v[96:97]
	ds_read_b64 v[198:199], v207 offset:360
	s_waitcnt vmcnt(1)
	v_fma_f64 v[140:141], -v[144:145], v[200:201], v[140:141]
	s_waitcnt vmcnt(0) lgkmcnt(0)
	v_fma_f64 v[184:185], -v[144:145], v[198:199], v[184:185]
.LBB91_206:
	s_or_b64 exec, exec, s[2:3]
	v_cmp_eq_u32_e32 vcc, 41, v208
	s_waitcnt lgkmcnt(0)
	s_barrier
	s_and_saveexec_b64 s[2:3], vcc
	s_cbranch_execz .LBB91_209
; %bb.207:
	s_waitcnt vmcnt(3)
	v_mov_b32_e32 v198, v142
	v_mov_b32_e32 v199, v143
	s_waitcnt vmcnt(2)
	v_mov_b32_e32 v200, v96
	v_mov_b32_e32 v201, v97
	ds_write_b64 v206, v[98:99]
	ds_write2_b64 v207, v[198:199], v[200:201] offset0:42 offset1:43
	s_waitcnt vmcnt(1)
	v_mov_b32_e32 v198, v140
	v_mov_b32_e32 v199, v141
	s_waitcnt vmcnt(0)
	ds_write2_b64 v207, v[198:199], v[184:185] offset0:44 offset1:45
	ds_read_b64 v[198:199], v206
	s_waitcnt lgkmcnt(0)
	v_cmp_neq_f64_e32 vcc, 0, v[198:199]
	s_and_b64 exec, exec, vcc
	s_cbranch_execz .LBB91_209
; %bb.208:
	v_div_scale_f64 v[200:201], s[6:7], v[198:199], v[198:199], 1.0
	v_rcp_f64_e32 v[202:203], v[200:201]
	v_div_scale_f64 v[204:205], vcc, 1.0, v[198:199], 1.0
	v_fma_f64 v[210:211], -v[200:201], v[202:203], 1.0
	v_fmac_f64_e32 v[202:203], v[202:203], v[210:211]
	v_fma_f64 v[210:211], -v[200:201], v[202:203], 1.0
	v_fmac_f64_e32 v[202:203], v[202:203], v[210:211]
	v_mul_f64 v[210:211], v[204:205], v[202:203]
	v_fma_f64 v[200:201], -v[200:201], v[210:211], v[204:205]
	v_div_fmas_f64 v[200:201], v[200:201], v[202:203], v[210:211]
	v_div_fixup_f64 v[198:199], v[200:201], v[198:199], 1.0
	ds_write_b64 v206, v[198:199]
.LBB91_209:
	s_or_b64 exec, exec, s[2:3]
	s_waitcnt lgkmcnt(0)
	s_barrier
	ds_read_b64 v[198:199], v206
	v_cmp_lt_u32_e32 vcc, 41, v208
	s_and_saveexec_b64 s[2:3], vcc
	s_cbranch_execz .LBB91_211
; %bb.210:
	ds_read2_b64 v[200:203], v207 offset0:42 offset1:43
	s_waitcnt vmcnt(4) lgkmcnt(1)
	v_mul_f64 v[98:99], v[198:199], v[98:99]
	s_waitcnt vmcnt(3) lgkmcnt(0)
	v_fma_f64 v[142:143], -v[98:99], v[200:201], v[142:143]
	s_waitcnt vmcnt(2)
	v_fma_f64 v[96:97], -v[98:99], v[202:203], v[96:97]
	ds_read2_b64 v[200:203], v207 offset0:44 offset1:45
	s_waitcnt vmcnt(1) lgkmcnt(0)
	v_fma_f64 v[140:141], -v[98:99], v[200:201], v[140:141]
	s_waitcnt vmcnt(0)
	v_fma_f64 v[184:185], -v[98:99], v[202:203], v[184:185]
.LBB91_211:
	s_or_b64 exec, exec, s[2:3]
	v_cmp_eq_u32_e32 vcc, 42, v208
	s_waitcnt lgkmcnt(0)
	s_barrier
	s_and_saveexec_b64 s[2:3], vcc
	s_cbranch_execz .LBB91_214
; %bb.212:
	s_waitcnt vmcnt(3)
	ds_write_b64 v206, v[142:143]
	s_waitcnt vmcnt(1)
	ds_write2_b64 v207, v[96:97], v[140:141] offset0:43 offset1:44
	s_waitcnt vmcnt(0)
	ds_write_b64 v207, v[184:185] offset:360
	ds_read_b64 v[200:201], v206
	s_waitcnt lgkmcnt(0)
	v_cmp_neq_f64_e32 vcc, 0, v[200:201]
	s_and_b64 exec, exec, vcc
	s_cbranch_execz .LBB91_214
; %bb.213:
	v_div_scale_f64 v[202:203], s[6:7], v[200:201], v[200:201], 1.0
	v_rcp_f64_e32 v[204:205], v[202:203]
	v_div_scale_f64 v[210:211], vcc, 1.0, v[200:201], 1.0
	v_fma_f64 v[212:213], -v[202:203], v[204:205], 1.0
	v_fmac_f64_e32 v[204:205], v[204:205], v[212:213]
	v_fma_f64 v[212:213], -v[202:203], v[204:205], 1.0
	v_fmac_f64_e32 v[204:205], v[204:205], v[212:213]
	v_mul_f64 v[212:213], v[210:211], v[204:205]
	v_fma_f64 v[202:203], -v[202:203], v[212:213], v[210:211]
	v_div_fmas_f64 v[202:203], v[202:203], v[204:205], v[212:213]
	v_div_fixup_f64 v[200:201], v[202:203], v[200:201], 1.0
	ds_write_b64 v206, v[200:201]
.LBB91_214:
	s_or_b64 exec, exec, s[2:3]
	s_waitcnt lgkmcnt(0)
	s_barrier
	ds_read_b64 v[200:201], v206
	v_cmp_lt_u32_e32 vcc, 42, v208
	s_and_saveexec_b64 s[2:3], vcc
	s_cbranch_execz .LBB91_216
; %bb.215:
	ds_read2_b64 v[202:205], v207 offset0:43 offset1:44
	s_waitcnt vmcnt(3) lgkmcnt(1)
	v_mul_f64 v[142:143], v[200:201], v[142:143]
	s_waitcnt vmcnt(2) lgkmcnt(0)
	v_fma_f64 v[96:97], -v[142:143], v[202:203], v[96:97]
	ds_read_b64 v[202:203], v207 offset:360
	s_waitcnt vmcnt(1)
	v_fma_f64 v[140:141], -v[142:143], v[204:205], v[140:141]
	s_waitcnt vmcnt(0) lgkmcnt(0)
	v_fma_f64 v[184:185], -v[142:143], v[202:203], v[184:185]
.LBB91_216:
	s_or_b64 exec, exec, s[2:3]
	v_cmp_eq_u32_e32 vcc, 43, v208
	s_waitcnt lgkmcnt(0)
	s_barrier
	s_and_saveexec_b64 s[2:3], vcc
	s_cbranch_execz .LBB91_219
; %bb.217:
	s_waitcnt vmcnt(1)
	v_mov_b32_e32 v202, v140
	v_mov_b32_e32 v203, v141
	ds_write_b64 v206, v[96:97]
	s_waitcnt vmcnt(0)
	ds_write2_b64 v207, v[202:203], v[184:185] offset0:44 offset1:45
	ds_read_b64 v[202:203], v206
	s_waitcnt lgkmcnt(0)
	v_cmp_neq_f64_e32 vcc, 0, v[202:203]
	s_and_b64 exec, exec, vcc
	s_cbranch_execz .LBB91_219
; %bb.218:
	v_div_scale_f64 v[204:205], s[6:7], v[202:203], v[202:203], 1.0
	v_rcp_f64_e32 v[210:211], v[204:205]
	v_div_scale_f64 v[212:213], vcc, 1.0, v[202:203], 1.0
	v_fma_f64 v[2:3], -v[204:205], v[210:211], 1.0
	v_fmac_f64_e32 v[210:211], v[210:211], v[2:3]
	v_fma_f64 v[2:3], -v[204:205], v[210:211], 1.0
	v_fmac_f64_e32 v[210:211], v[210:211], v[2:3]
	v_mul_f64 v[2:3], v[212:213], v[210:211]
	v_fma_f64 v[204:205], -v[204:205], v[2:3], v[212:213]
	v_div_fmas_f64 v[2:3], v[204:205], v[210:211], v[2:3]
	v_div_fixup_f64 v[2:3], v[2:3], v[202:203], 1.0
	ds_write_b64 v206, v[2:3]
.LBB91_219:
	s_or_b64 exec, exec, s[2:3]
	s_waitcnt lgkmcnt(0)
	s_barrier
	ds_read_b64 v[202:203], v206
	v_cmp_lt_u32_e32 vcc, 43, v208
	s_and_saveexec_b64 s[2:3], vcc
	s_cbranch_execz .LBB91_221
; %bb.220:
	ds_read2_b64 v[210:213], v207 offset0:44 offset1:45
	s_waitcnt vmcnt(2) lgkmcnt(1)
	v_mul_f64 v[96:97], v[202:203], v[96:97]
	s_waitcnt vmcnt(1) lgkmcnt(0)
	v_fma_f64 v[140:141], -v[96:97], v[210:211], v[140:141]
	s_waitcnt vmcnt(0)
	v_fma_f64 v[184:185], -v[96:97], v[212:213], v[184:185]
.LBB91_221:
	s_or_b64 exec, exec, s[2:3]
	v_cmp_eq_u32_e32 vcc, 44, v208
	s_waitcnt lgkmcnt(0)
	s_barrier
	s_and_saveexec_b64 s[2:3], vcc
	s_cbranch_execz .LBB91_224
; %bb.222:
	s_waitcnt vmcnt(1)
	ds_write_b64 v206, v[140:141]
	s_waitcnt vmcnt(0)
	ds_write_b64 v207, v[184:185] offset:360
	ds_read_b64 v[204:205], v206
	s_waitcnt lgkmcnt(0)
	v_cmp_neq_f64_e32 vcc, 0, v[204:205]
	s_and_b64 exec, exec, vcc
	s_cbranch_execz .LBB91_224
; %bb.223:
	v_div_scale_f64 v[2:3], s[6:7], v[204:205], v[204:205], 1.0
	v_rcp_f64_e32 v[210:211], v[2:3]
	v_pk_mov_b32 v[32:33], v[30:31], v[30:31] op_sel:[0,1]
	v_pk_mov_b32 v[30:31], v[28:29], v[28:29] op_sel:[0,1]
	;; [unrolled: 1-line block ×19, first 2 shown]
	v_fma_f64 v[214:215], -v[2:3], v[210:211], 1.0
	v_fmac_f64_e32 v[210:211], v[210:211], v[214:215]
	v_fma_f64 v[214:215], -v[2:3], v[210:211], 1.0
	v_div_scale_f64 v[212:213], vcc, 1.0, v[204:205], 1.0
	v_fmac_f64_e32 v[210:211], v[210:211], v[214:215]
	v_mul_f64 v[214:215], v[212:213], v[210:211]
	v_fma_f64 v[2:3], -v[2:3], v[214:215], v[212:213]
	s_nop 0
	v_div_fmas_f64 v[2:3], v[2:3], v[210:211], v[214:215]
	v_pk_mov_b32 v[214:215], v[218:219], v[218:219] op_sel:[0,1]
	v_pk_mov_b32 v[218:219], v[220:221], v[220:221] op_sel:[0,1]
	;; [unrolled: 1-line block ×19, first 2 shown]
	v_div_fixup_f64 v[2:3], v[2:3], v[204:205], 1.0
	ds_write_b64 v206, v[2:3]
.LBB91_224:
	s_or_b64 exec, exec, s[2:3]
	s_waitcnt lgkmcnt(0)
	s_barrier
	ds_read_b64 v[204:205], v206
	v_cmp_lt_u32_e32 vcc, 44, v208
	s_and_saveexec_b64 s[2:3], vcc
	s_cbranch_execz .LBB91_226
; %bb.225:
	ds_read_b64 v[2:3], v207 offset:360
	s_waitcnt vmcnt(1) lgkmcnt(1)
	v_mul_f64 v[140:141], v[204:205], v[140:141]
	s_waitcnt vmcnt(0) lgkmcnt(0)
	v_fma_f64 v[184:185], -v[140:141], v[2:3], v[184:185]
.LBB91_226:
	s_or_b64 exec, exec, s[2:3]
	v_cmp_eq_u32_e32 vcc, 45, v208
	s_waitcnt lgkmcnt(0)
	s_barrier
	s_and_saveexec_b64 s[2:3], vcc
	s_cbranch_execz .LBB91_229
; %bb.227:
	s_waitcnt vmcnt(0)
	v_cmp_neq_f64_e32 vcc, 0, v[184:185]
	ds_write_b64 v206, v[184:185]
	s_and_b64 exec, exec, vcc
	s_cbranch_execz .LBB91_229
; %bb.228:
	v_div_scale_f64 v[2:3], s[6:7], v[184:185], v[184:185], 1.0
	v_rcp_f64_e32 v[210:211], v[2:3]
	v_pk_mov_b32 v[32:33], v[30:31], v[30:31] op_sel:[0,1]
	v_pk_mov_b32 v[30:31], v[28:29], v[28:29] op_sel:[0,1]
	;; [unrolled: 1-line block ×20, first 2 shown]
	v_fma_f64 v[214:215], -v[2:3], v[210:211], 1.0
	v_fmac_f64_e32 v[210:211], v[210:211], v[214:215]
	v_fma_f64 v[214:215], -v[2:3], v[210:211], 1.0
	v_div_scale_f64 v[212:213], vcc, 1.0, v[184:185], 1.0
	v_fmac_f64_e32 v[210:211], v[210:211], v[214:215]
	v_mul_f64 v[214:215], v[212:213], v[210:211]
	v_fma_f64 v[2:3], -v[2:3], v[214:215], v[212:213]
	s_nop 0
	v_div_fmas_f64 v[2:3], v[2:3], v[210:211], v[214:215]
	v_pk_mov_b32 v[214:215], v[216:217], v[216:217] op_sel:[0,1]
	v_pk_mov_b32 v[216:217], v[218:219], v[218:219] op_sel:[0,1]
	;; [unrolled: 1-line block ×20, first 2 shown]
	v_div_fixup_f64 v[2:3], v[2:3], v[184:185], 1.0
	ds_write_b64 v206, v[2:3]
.LBB91_229:
	s_or_b64 exec, exec, s[2:3]
	s_waitcnt lgkmcnt(0)
	s_barrier
	ds_read_b64 v[206:207], v206
	s_waitcnt lgkmcnt(0)
	s_barrier
	s_and_saveexec_b64 s[2:3], s[0:1]
	s_cbranch_execz .LBB91_232
; %bb.230:
	v_cmp_eq_f64_e32 vcc, 0, v[216:217]
	v_cmp_neq_f64_e64 s[0:1], 0, v[218:219]
	v_cndmask_b32_e64 v2, 0, 1, vcc
	s_or_b64 vcc, s[0:1], vcc
	v_cndmask_b32_e32 v2, 2, v2, vcc
	v_cmp_eq_f64_e32 vcc, 0, v[220:221]
	v_cmp_eq_u32_e64 s[0:1], 0, v2
	s_and_b64 s[0:1], vcc, s[0:1]
	v_cndmask_b32_e64 v2, v2, 3, s[0:1]
	v_cmp_eq_f64_e32 vcc, 0, v[222:223]
	v_cmp_eq_u32_e64 s[0:1], 0, v2
	s_and_b64 s[0:1], vcc, s[0:1]
	v_cndmask_b32_e64 v2, v2, 4, s[0:1]
	;; [unrolled: 4-line block ×22, first 2 shown]
	v_cmp_eq_f64_e32 vcc, 0, v[234:235]
	v_cmp_eq_u32_e64 s[0:1], 0, v2
	s_and_b64 s[0:1], vcc, s[0:1]
	s_load_dwordx2 s[4:5], s[4:5], 0x28
	v_cndmask_b32_e64 v2, v2, 25, s[0:1]
	v_cmp_eq_f64_e32 vcc, 0, v[236:237]
	v_cmp_eq_u32_e64 s[0:1], 0, v2
	s_and_b64 s[0:1], vcc, s[0:1]
	v_cndmask_b32_e64 v209, v2, 26, s[0:1]
	v_lshlrev_b64 v[2:3], 2, v[214:215]
	s_waitcnt lgkmcnt(0)
	v_mov_b32_e32 v210, s5
	v_add_co_u32_e64 v2, s[0:1], s4, v2
	v_addc_co_u32_e64 v3, s[0:1], v210, v3, s[0:1]
	global_load_dword v210, v[2:3], off
	v_cmp_eq_f64_e32 vcc, 0, v[238:239]
	v_cmp_eq_u32_e64 s[0:1], 0, v209
	s_and_b64 s[0:1], vcc, s[0:1]
	v_cndmask_b32_e64 v209, v209, 27, s[0:1]
	v_cmp_eq_f64_e32 vcc, 0, v[240:241]
	v_cmp_eq_u32_e64 s[0:1], 0, v209
	s_and_b64 s[0:1], vcc, s[0:1]
	v_cndmask_b32_e64 v209, v209, 28, s[0:1]
	;; [unrolled: 4-line block ×20, first 2 shown]
	s_waitcnt vmcnt(0)
	v_cmp_eq_u32_e32 vcc, 0, v210
	v_cmp_ne_u32_e64 s[0:1], 0, v186
	s_and_b64 s[0:1], vcc, s[0:1]
	s_and_b64 exec, exec, s[0:1]
	s_cbranch_execz .LBB91_232
; %bb.231:
	v_add_u32_e32 v186, s9, v186
	global_store_dword v[2:3], v186, off
.LBB91_232:
	s_or_b64 exec, exec, s[2:3]
	global_store_dwordx2 v[90:91], v[94:95], off
	global_store_dwordx2 v[92:93], v[138:139], off
	buffer_load_dword v0, off, s[16:19], 0  ; 4-byte Folded Reload
	buffer_load_dword v1, off, s[16:19], 0 offset:4 ; 4-byte Folded Reload
	s_waitcnt vmcnt(4)
	v_mul_f64 v[2:3], v[206:207], v[184:185]
	v_cmp_lt_u32_e32 vcc, 45, v208
	v_cndmask_b32_e32 v3, v185, v3, vcc
	v_cndmask_b32_e32 v2, v184, v2, vcc
	s_waitcnt vmcnt(0)
	global_store_dwordx2 v[0:1], v[182:183], off
	buffer_load_dword v0, off, s[16:19], 0 offset:8 ; 4-byte Folded Reload
	s_nop 0
	buffer_load_dword v1, off, s[16:19], 0 offset:12 ; 4-byte Folded Reload
	s_waitcnt vmcnt(0)
	global_store_dwordx2 v[0:1], v[136:137], off
	buffer_load_dword v0, off, s[16:19], 0 offset:16 ; 4-byte Folded Reload
	s_nop 0
	buffer_load_dword v1, off, s[16:19], 0 offset:20 ; 4-byte Folded Reload
	;; [unrolled: 5-line block ×9, first 2 shown]
	s_waitcnt vmcnt(0)
	global_store_dwordx2 v[0:1], v[128:129], off
	global_store_dwordx2 v[22:23], v[172:173], off
	buffer_load_dword v0, off, s[16:19], 0 offset:80 ; 4-byte Folded Reload
	s_nop 0
	buffer_load_dword v1, off, s[16:19], 0 offset:84 ; 4-byte Folded Reload
	s_waitcnt vmcnt(0)
	global_store_dwordx2 v[0:1], v[126:127], off
	buffer_load_dword v0, off, s[16:19], 0 offset:88 ; 4-byte Folded Reload
	s_nop 0
	buffer_load_dword v1, off, s[16:19], 0 offset:92 ; 4-byte Folded Reload
	s_waitcnt vmcnt(0)
	;; [unrolled: 5-line block ×6, first 2 shown]
	global_store_dwordx2 v[0:1], v[166:167], off
	global_store_dwordx2 v[36:37], v[120:121], off
	;; [unrolled: 1-line block ×28, first 2 shown]
.LBB91_233:
	s_endpgm
	.section	.rodata,"a",@progbits
	.p2align	6, 0x0
	.amdhsa_kernel _ZN9rocsolver6v33100L23getf2_npvt_small_kernelILi46EdiiPKPdEEvT1_T3_lS5_lPT2_S5_S5_
		.amdhsa_group_segment_fixed_size 0
		.amdhsa_private_segment_fixed_size 132
		.amdhsa_kernarg_size 312
		.amdhsa_user_sgpr_count 6
		.amdhsa_user_sgpr_private_segment_buffer 1
		.amdhsa_user_sgpr_dispatch_ptr 0
		.amdhsa_user_sgpr_queue_ptr 0
		.amdhsa_user_sgpr_kernarg_segment_ptr 1
		.amdhsa_user_sgpr_dispatch_id 0
		.amdhsa_user_sgpr_flat_scratch_init 0
		.amdhsa_user_sgpr_kernarg_preload_length 0
		.amdhsa_user_sgpr_kernarg_preload_offset 0
		.amdhsa_user_sgpr_private_segment_size 0
		.amdhsa_uses_dynamic_stack 0
		.amdhsa_system_sgpr_private_segment_wavefront_offset 1
		.amdhsa_system_sgpr_workgroup_id_x 1
		.amdhsa_system_sgpr_workgroup_id_y 1
		.amdhsa_system_sgpr_workgroup_id_z 0
		.amdhsa_system_sgpr_workgroup_info 0
		.amdhsa_system_vgpr_workitem_id 1
		.amdhsa_next_free_vgpr 256
		.amdhsa_next_free_sgpr 20
		.amdhsa_accum_offset 256
		.amdhsa_reserve_vcc 1
		.amdhsa_reserve_flat_scratch 0
		.amdhsa_float_round_mode_32 0
		.amdhsa_float_round_mode_16_64 0
		.amdhsa_float_denorm_mode_32 3
		.amdhsa_float_denorm_mode_16_64 3
		.amdhsa_dx10_clamp 1
		.amdhsa_ieee_mode 1
		.amdhsa_fp16_overflow 0
		.amdhsa_tg_split 0
		.amdhsa_exception_fp_ieee_invalid_op 0
		.amdhsa_exception_fp_denorm_src 0
		.amdhsa_exception_fp_ieee_div_zero 0
		.amdhsa_exception_fp_ieee_overflow 0
		.amdhsa_exception_fp_ieee_underflow 0
		.amdhsa_exception_fp_ieee_inexact 0
		.amdhsa_exception_int_div_zero 0
	.end_amdhsa_kernel
	.section	.text._ZN9rocsolver6v33100L23getf2_npvt_small_kernelILi46EdiiPKPdEEvT1_T3_lS5_lPT2_S5_S5_,"axG",@progbits,_ZN9rocsolver6v33100L23getf2_npvt_small_kernelILi46EdiiPKPdEEvT1_T3_lS5_lPT2_S5_S5_,comdat
.Lfunc_end91:
	.size	_ZN9rocsolver6v33100L23getf2_npvt_small_kernelILi46EdiiPKPdEEvT1_T3_lS5_lPT2_S5_S5_, .Lfunc_end91-_ZN9rocsolver6v33100L23getf2_npvt_small_kernelILi46EdiiPKPdEEvT1_T3_lS5_lPT2_S5_S5_
                                        ; -- End function
	.section	.AMDGPU.csdata,"",@progbits
; Kernel info:
; codeLenInByte = 40916
; NumSgprs: 24
; NumVgprs: 256
; NumAgprs: 0
; TotalNumVgprs: 256
; ScratchSize: 132
; MemoryBound: 0
; FloatMode: 240
; IeeeMode: 1
; LDSByteSize: 0 bytes/workgroup (compile time only)
; SGPRBlocks: 2
; VGPRBlocks: 31
; NumSGPRsForWavesPerEU: 24
; NumVGPRsForWavesPerEU: 256
; AccumOffset: 256
; Occupancy: 2
; WaveLimiterHint : 1
; COMPUTE_PGM_RSRC2:SCRATCH_EN: 1
; COMPUTE_PGM_RSRC2:USER_SGPR: 6
; COMPUTE_PGM_RSRC2:TRAP_HANDLER: 0
; COMPUTE_PGM_RSRC2:TGID_X_EN: 1
; COMPUTE_PGM_RSRC2:TGID_Y_EN: 1
; COMPUTE_PGM_RSRC2:TGID_Z_EN: 0
; COMPUTE_PGM_RSRC2:TIDIG_COMP_CNT: 1
; COMPUTE_PGM_RSRC3_GFX90A:ACCUM_OFFSET: 63
; COMPUTE_PGM_RSRC3_GFX90A:TG_SPLIT: 0
	.section	.text._ZN9rocsolver6v33100L18getf2_small_kernelILi47EdiiPKPdEEvT1_T3_lS5_lPS5_llPT2_S5_S5_S7_l,"axG",@progbits,_ZN9rocsolver6v33100L18getf2_small_kernelILi47EdiiPKPdEEvT1_T3_lS5_lPS5_llPT2_S5_S5_S7_l,comdat
	.globl	_ZN9rocsolver6v33100L18getf2_small_kernelILi47EdiiPKPdEEvT1_T3_lS5_lPS5_llPT2_S5_S5_S7_l ; -- Begin function _ZN9rocsolver6v33100L18getf2_small_kernelILi47EdiiPKPdEEvT1_T3_lS5_lPS5_llPT2_S5_S5_S7_l
	.p2align	8
	.type	_ZN9rocsolver6v33100L18getf2_small_kernelILi47EdiiPKPdEEvT1_T3_lS5_lPS5_llPT2_S5_S5_S7_l,@function
_ZN9rocsolver6v33100L18getf2_small_kernelILi47EdiiPKPdEEvT1_T3_lS5_lPS5_llPT2_S5_S5_S7_l: ; @_ZN9rocsolver6v33100L18getf2_small_kernelILi47EdiiPKPdEEvT1_T3_lS5_lPS5_llPT2_S5_S5_S7_l
; %bb.0:
	s_load_dword s0, s[4:5], 0x6c
	s_load_dwordx2 s[12:13], s[4:5], 0x48
	v_bfe_u32 v98, v0, 10, 10
	s_waitcnt lgkmcnt(0)
	s_lshr_b32 s0, s0, 16
	s_mul_i32 s7, s7, s0
	v_add_u32_e32 v2, s7, v98
	v_cmp_gt_i32_e32 vcc, s12, v2
	s_and_saveexec_b64 s[0:1], vcc
	s_cbranch_execz .LBB92_796
; %bb.1:
	s_load_dwordx4 s[0:3], s[4:5], 0x8
	s_load_dwordx4 s[8:11], s[4:5], 0x50
	v_ashrrev_i32_e32 v3, 31, v2
	v_lshlrev_b64 v[4:5], 3, v[2:3]
	s_waitcnt lgkmcnt(0)
	v_mov_b32_e32 v1, s1
	v_add_co_u32_e32 v4, vcc, s0, v4
	v_addc_co_u32_e32 v5, vcc, v1, v5, vcc
	global_load_dwordx2 v[6:7], v[4:5], off
	s_cmp_eq_u64 s[8:9], 0
	s_cselect_b64 s[6:7], -1, 0
	s_and_b64 vcc, exec, s[6:7]
	v_pk_mov_b32 v[4:5], 0, 0
	s_cbranch_vccnz .LBB92_3
; %bb.2:
	v_mul_lo_u32 v1, v3, s10
	v_mul_lo_u32 v8, v2, s11
	v_mad_u64_u32 v[4:5], s[0:1], v2, s10, 0
	v_add3_u32 v5, v5, v8, v1
	v_lshlrev_b64 v[4:5], 2, v[4:5]
	v_mov_b32_e32 v1, s9
	v_add_co_u32_e32 v4, vcc, s8, v4
	v_addc_co_u32_e32 v5, vcc, v1, v5, vcc
.LBB92_3:
	s_load_dword s8, s[4:5], 0x18
	s_load_dword s18, s[4:5], 0x0
	s_lshl_b64 s[0:1], s[2:3], 3
	v_and_b32_e32 v106, 0x3ff, v0
	v_mov_b32_e32 v1, s1
	s_waitcnt lgkmcnt(0)
	s_add_i32 s12, s8, s8
	s_waitcnt vmcnt(0)
	v_add_co_u32_e32 v104, vcc, s0, v6
	v_add_u32_e32 v6, s12, v106
	v_addc_co_u32_e32 v105, vcc, v7, v1, vcc
	v_ashrrev_i32_e32 v7, 31, v6
	v_lshlrev_b64 v[0:1], 3, v[6:7]
	v_add_u32_e32 v6, s8, v6
	v_add_co_u32_e32 v0, vcc, v104, v0
	v_ashrrev_i32_e32 v7, 31, v6
	v_addc_co_u32_e32 v1, vcc, v105, v1, vcc
	v_lshlrev_b64 v[8:9], 3, v[6:7]
	v_add_u32_e32 v6, s8, v6
	v_add_co_u32_e32 v8, vcc, v104, v8
	v_ashrrev_i32_e32 v7, 31, v6
	v_addc_co_u32_e32 v9, vcc, v105, v9, vcc
	;; [unrolled: 5-line block ×44, first 2 shown]
	v_lshlrev_b64 v[6:7], 3, v[6:7]
	v_add_co_u32_e32 v148, vcc, v104, v6
	v_addc_co_u32_e32 v149, vcc, v105, v7, vcc
	v_lshlrev_b32_e32 v99, 3, v106
	v_add_co_u32_e32 v6, vcc, v104, v99
	s_ashr_i32 s9, s8, 31
	v_addc_co_u32_e32 v7, vcc, 0, v105, vcc
	s_lshl_b64 s[10:11], s[8:9], 3
	v_mov_b32_e32 v47, s11
	v_add_co_u32_e32 v46, vcc, s10, v6
	v_addc_co_u32_e32 v47, vcc, v7, v47, vcc
	s_max_i32 s0, s18, 47
	global_load_dwordx2 v[92:93], v[6:7], off
	global_load_dwordx2 v[94:95], v[46:47], off
	;; [unrolled: 1-line block ×12, first 2 shown]
                                        ; kill: killed $vgpr46 killed $vgpr47
                                        ; kill: killed $vgpr10 killed $vgpr11
                                        ; kill: killed $vgpr14 killed $vgpr15
                                        ; kill: killed $vgpr18 killed $vgpr19
                                        ; kill: killed $vgpr22 killed $vgpr23
                                        ; kill: killed $vgpr8 killed $vgpr9
                                        ; kill: killed $vgpr12 killed $vgpr13
                                        ; kill: killed $vgpr16 killed $vgpr17
                                        ; kill: killed $vgpr20 killed $vgpr21
                                        ; kill: killed $vgpr24 killed $vgpr25
                                        ; kill: killed $vgpr6 killed $vgpr7
                                        ; kill: killed $vgpr0 killed $vgpr1
	global_load_dwordx2 v[72:73], v[26:27], off
	global_load_dwordx2 v[68:69], v[28:29], off
	;; [unrolled: 1-line block ×12, first 2 shown]
                                        ; kill: killed $vgpr44 killed $vgpr45
                                        ; kill: killed $vgpr96 killed $vgpr97
                                        ; kill: killed $vgpr26 killed $vgpr27
                                        ; kill: killed $vgpr30 killed $vgpr31
                                        ; kill: killed $vgpr34 killed $vgpr35
                                        ; kill: killed $vgpr38 killed $vgpr39
                                        ; kill: killed $vgpr42 killed $vgpr43
                                        ; kill: killed $vgpr48 killed $vgpr49
                                        ; kill: killed $vgpr28 killed $vgpr29
                                        ; kill: killed $vgpr32 killed $vgpr33
                                        ; kill: killed $vgpr36 killed $vgpr37
                                        ; kill: killed $vgpr40 killed $vgpr41
	s_nop 0
	global_load_dwordx2 v[48:49], v[100:101], off
	global_load_dwordx2 v[44:45], v[102:103], off
	;; [unrolled: 1-line block ×12, first 2 shown]
                                        ; kill: killed $vgpr102 killed $vgpr103
                                        ; kill: killed $vgpr110 killed $vgpr111
                                        ; kill: killed $vgpr114 killed $vgpr115
                                        ; kill: killed $vgpr118 killed $vgpr119
                                        ; kill: killed $vgpr122 killed $vgpr123
                                        ; kill: killed $vgpr126 killed $vgpr127
                                        ; kill: killed $vgpr100 killed $vgpr101
                                        ; kill: killed $vgpr108 killed $vgpr109
                                        ; kill: killed $vgpr112 killed $vgpr113
                                        ; kill: killed $vgpr116 killed $vgpr117
                                        ; kill: killed $vgpr120 killed $vgpr121
                                        ; kill: killed $vgpr124 killed $vgpr125
	global_load_dwordx2 v[24:25], v[128:129], off
	global_load_dwordx2 v[20:21], v[130:131], off
	;; [unrolled: 1-line block ×11, first 2 shown]
	v_mul_lo_u32 v100, s0, v98
	v_lshl_add_u32 v102, v100, 3, 0
	v_add_u32_e32 v98, v102, v99
	s_waitcnt vmcnt(46)
	ds_write_b64 v98, v[92:93]
	s_waitcnt lgkmcnt(0)
	s_barrier
	ds_read_b64 v[98:99], v102
	s_cmp_lt_i32 s18, 2
	v_lshlrev_b32_e32 v107, 3, v100
	v_mov_b32_e32 v100, 0
	s_cbranch_scc1 .LBB92_6
; %bb.4:
	v_add3_u32 v101, v107, 0, 8
	s_mov_b32 s0, 1
	v_mov_b32_e32 v100, 0
.LBB92_5:                               ; =>This Inner Loop Header: Depth=1
	ds_read_b64 v[108:109], v101
	v_mov_b32_e32 v103, s0
	s_add_i32 s0, s0, 1
	v_add_u32_e32 v101, 8, v101
	s_cmp_eq_u32 s18, s0
	s_waitcnt lgkmcnt(0)
	v_cmp_lt_f64_e64 vcc, |v[98:99]|, |v[108:109]|
	v_cndmask_b32_e32 v99, v99, v109, vcc
	v_cndmask_b32_e32 v98, v98, v108, vcc
	;; [unrolled: 1-line block ×3, first 2 shown]
	s_cbranch_scc0 .LBB92_5
.LBB92_6:
	v_cmp_ne_u32_e32 vcc, v106, v100
                                        ; implicit-def: $vgpr103
	s_and_saveexec_b64 s[0:1], vcc
	s_xor_b64 s[0:1], exec, s[0:1]
	s_cbranch_execz .LBB92_12
; %bb.7:
	v_cmp_eq_u32_e32 vcc, 0, v106
	s_and_saveexec_b64 s[2:3], vcc
	s_cbranch_execz .LBB92_11
; %bb.8:
	v_cmp_ne_u32_e32 vcc, 0, v100
	s_xor_b64 s[14:15], s[6:7], -1
	s_and_b64 s[16:17], s[14:15], vcc
	s_and_saveexec_b64 s[14:15], s[16:17]
	s_cbranch_execz .LBB92_10
; %bb.9:
	v_ashrrev_i32_e32 v101, 31, v100
	v_lshlrev_b64 v[108:109], 2, v[100:101]
	v_add_co_u32_e32 v108, vcc, v4, v108
	v_addc_co_u32_e32 v109, vcc, v5, v109, vcc
	flat_load_dword v101, v[108:109]
	flat_load_dword v103, v[4:5]
	s_waitcnt vmcnt(0) lgkmcnt(0)
	flat_store_dword v[4:5], v101
	flat_store_dword v[108:109], v103
.LBB92_10:
	s_or_b64 exec, exec, s[14:15]
	v_mov_b32_e32 v106, v100
.LBB92_11:
	s_or_b64 exec, exec, s[2:3]
	v_mov_b32_e32 v103, v106
                                        ; implicit-def: $vgpr106
.LBB92_12:
	s_or_saveexec_b64 s[0:1], s[0:1]
	v_mov_b32_e32 v101, v103
	s_xor_b64 exec, exec, s[0:1]
	s_cbranch_execz .LBB92_14
; %bb.13:
	v_mov_b32_e32 v103, 0
	v_mov_b32_e32 v101, v106
	s_waitcnt vmcnt(0)
	ds_write2_b64 v102, v[94:95], v[90:91] offset0:1 offset1:2
	ds_write2_b64 v102, v[88:89], v[86:87] offset0:3 offset1:4
	;; [unrolled: 1-line block ×23, first 2 shown]
.LBB92_14:
	s_or_b64 exec, exec, s[0:1]
	s_waitcnt lgkmcnt(0)
	v_cmp_eq_f64_e64 s[0:1], 0, v[98:99]
	v_cmp_lt_i32_e32 vcc, 0, v103
	s_barrier
	s_and_saveexec_b64 s[2:3], vcc
	s_cbranch_execz .LBB92_16
; %bb.15:
	v_div_scale_f64 v[108:109], s[14:15], v[98:99], v[98:99], 1.0
	v_rcp_f64_e32 v[110:111], v[108:109]
	v_div_scale_f64 v[112:113], vcc, 1.0, v[98:99], 1.0
	ds_read2_b64 v[116:119], v102 offset0:5 offset1:6
	v_fma_f64 v[114:115], -v[108:109], v[110:111], 1.0
	v_fmac_f64_e32 v[110:111], v[110:111], v[114:115]
	v_fma_f64 v[114:115], -v[108:109], v[110:111], 1.0
	v_fmac_f64_e32 v[110:111], v[110:111], v[114:115]
	v_mul_f64 v[114:115], v[112:113], v[110:111]
	v_fma_f64 v[108:109], -v[108:109], v[114:115], v[112:113]
	v_div_fmas_f64 v[108:109], v[108:109], v[110:111], v[114:115]
	v_div_fixup_f64 v[112:113], v[108:109], v[98:99], 1.0
	ds_read2_b64 v[108:111], v102 offset0:1 offset1:2
	v_cndmask_b32_e64 v99, v113, v99, s[0:1]
	v_cndmask_b32_e64 v98, v112, v98, s[0:1]
	ds_read2_b64 v[112:115], v102 offset0:3 offset1:4
	v_mul_f64 v[92:93], v[98:99], v[92:93]
	s_waitcnt vmcnt(0) lgkmcnt(0)
	v_fma_f64 v[94:95], -v[92:93], v[108:109], v[94:95]
	v_fma_f64 v[90:91], -v[92:93], v[110:111], v[90:91]
	ds_read2_b64 v[108:111], v102 offset0:7 offset1:8
	v_fma_f64 v[88:89], -v[92:93], v[112:113], v[88:89]
	v_fma_f64 v[86:87], -v[92:93], v[114:115], v[86:87]
	ds_read2_b64 v[112:115], v102 offset0:9 offset1:10
	;; [unrolled: 3-line block ×3, first 2 shown]
	s_waitcnt lgkmcnt(2)
	v_fma_f64 v[80:81], -v[92:93], v[108:109], v[80:81]
	v_fma_f64 v[78:79], -v[92:93], v[110:111], v[78:79]
	s_waitcnt lgkmcnt(1)
	v_fma_f64 v[76:77], -v[92:93], v[112:113], v[76:77]
	ds_read2_b64 v[108:111], v102 offset0:13 offset1:14
	v_fma_f64 v[74:75], -v[92:93], v[114:115], v[74:75]
	ds_read2_b64 v[112:115], v102 offset0:15 offset1:16
	s_waitcnt lgkmcnt(2)
	v_fma_f64 v[70:71], -v[92:93], v[116:117], v[70:71]
	v_fma_f64 v[72:73], -v[92:93], v[118:119], v[72:73]
	s_waitcnt lgkmcnt(1)
	v_fma_f64 v[68:69], -v[92:93], v[108:109], v[68:69]
	ds_read2_b64 v[116:119], v102 offset0:17 offset1:18
	v_fma_f64 v[66:67], -v[92:93], v[110:111], v[66:67]
	ds_read2_b64 v[108:111], v102 offset0:19 offset1:20
	s_waitcnt lgkmcnt(2)
	v_fma_f64 v[64:65], -v[92:93], v[112:113], v[64:65]
	v_fma_f64 v[62:63], -v[92:93], v[114:115], v[62:63]
	ds_read2_b64 v[112:115], v102 offset0:21 offset1:22
	s_waitcnt lgkmcnt(2)
	v_fma_f64 v[60:61], -v[92:93], v[116:117], v[60:61]
	;; [unrolled: 4-line block ×3, first 2 shown]
	v_fma_f64 v[54:55], -v[92:93], v[110:111], v[54:55]
	s_waitcnt lgkmcnt(1)
	v_fma_f64 v[52:53], -v[92:93], v[112:113], v[52:53]
	ds_read2_b64 v[108:111], v102 offset0:25 offset1:26
	v_fma_f64 v[50:51], -v[92:93], v[114:115], v[50:51]
	ds_read2_b64 v[112:115], v102 offset0:27 offset1:28
	s_waitcnt lgkmcnt(2)
	v_fma_f64 v[46:47], -v[92:93], v[116:117], v[46:47]
	v_fma_f64 v[48:49], -v[92:93], v[118:119], v[48:49]
	s_waitcnt lgkmcnt(1)
	v_fma_f64 v[44:45], -v[92:93], v[108:109], v[44:45]
	ds_read2_b64 v[116:119], v102 offset0:29 offset1:30
	v_fma_f64 v[42:43], -v[92:93], v[110:111], v[42:43]
	ds_read2_b64 v[108:111], v102 offset0:31 offset1:32
	s_waitcnt lgkmcnt(2)
	v_fma_f64 v[40:41], -v[92:93], v[112:113], v[40:41]
	v_fma_f64 v[38:39], -v[92:93], v[114:115], v[38:39]
	ds_read2_b64 v[112:115], v102 offset0:33 offset1:34
	s_waitcnt lgkmcnt(2)
	v_fma_f64 v[36:37], -v[92:93], v[116:117], v[36:37]
	;; [unrolled: 4-line block ×3, first 2 shown]
	v_fma_f64 v[30:31], -v[92:93], v[110:111], v[30:31]
	s_waitcnt lgkmcnt(1)
	v_fma_f64 v[28:29], -v[92:93], v[112:113], v[28:29]
	ds_read2_b64 v[108:111], v102 offset0:37 offset1:38
	v_fma_f64 v[26:27], -v[92:93], v[114:115], v[26:27]
	ds_read2_b64 v[112:115], v102 offset0:39 offset1:40
	s_waitcnt lgkmcnt(2)
	v_fma_f64 v[22:23], -v[92:93], v[116:117], v[22:23]
	v_fma_f64 v[24:25], -v[92:93], v[118:119], v[24:25]
	s_waitcnt lgkmcnt(1)
	v_fma_f64 v[20:21], -v[92:93], v[108:109], v[20:21]
	v_fma_f64 v[18:19], -v[92:93], v[110:111], v[18:19]
	ds_read2_b64 v[108:111], v102 offset0:41 offset1:42
	ds_read2_b64 v[116:119], v102 offset0:43 offset1:44
	s_waitcnt lgkmcnt(2)
	v_fma_f64 v[16:17], -v[92:93], v[112:113], v[16:17]
	v_fma_f64 v[14:15], -v[92:93], v[114:115], v[14:15]
	ds_read2_b64 v[112:115], v102 offset0:45 offset1:46
	s_waitcnt lgkmcnt(2)
	v_fma_f64 v[12:13], -v[92:93], v[108:109], v[12:13]
	v_fma_f64 v[10:11], -v[92:93], v[110:111], v[10:11]
	s_waitcnt lgkmcnt(1)
	v_fma_f64 v[8:9], -v[92:93], v[116:117], v[8:9]
	v_fma_f64 v[6:7], -v[92:93], v[118:119], v[6:7]
	;; [unrolled: 3-line block ×3, first 2 shown]
.LBB92_16:
	s_or_b64 exec, exec, s[2:3]
	v_lshl_add_u32 v98, v103, 3, v102
	s_barrier
	s_waitcnt vmcnt(0)
	ds_write_b64 v98, v[94:95]
	s_waitcnt lgkmcnt(0)
	s_barrier
	ds_read_b64 v[98:99], v102 offset:8
	s_cmp_lt_i32 s18, 3
	v_mov_b32_e32 v100, 1
	s_cbranch_scc1 .LBB92_19
; %bb.17:
	v_add3_u32 v106, v107, 0, 16
	s_mov_b32 s2, 2
	v_mov_b32_e32 v100, 1
.LBB92_18:                              ; =>This Inner Loop Header: Depth=1
	ds_read_b64 v[108:109], v106
	v_mov_b32_e32 v110, s2
	s_add_i32 s2, s2, 1
	v_add_u32_e32 v106, 8, v106
	s_cmp_lg_u32 s18, s2
	s_waitcnt lgkmcnt(0)
	v_cmp_lt_f64_e64 vcc, |v[98:99]|, |v[108:109]|
	v_cndmask_b32_e32 v99, v99, v109, vcc
	v_cndmask_b32_e32 v98, v98, v108, vcc
	v_cndmask_b32_e32 v100, v100, v110, vcc
	s_cbranch_scc1 .LBB92_18
.LBB92_19:
	v_cmp_ne_u32_e32 vcc, v103, v100
	s_and_saveexec_b64 s[2:3], vcc
	s_xor_b64 s[2:3], exec, s[2:3]
	s_cbranch_execz .LBB92_25
; %bb.20:
	v_cmp_eq_u32_e32 vcc, 1, v103
	s_and_saveexec_b64 s[14:15], vcc
	s_cbranch_execz .LBB92_24
; %bb.21:
	v_cmp_ne_u32_e32 vcc, 1, v100
	s_xor_b64 s[16:17], s[6:7], -1
	s_and_b64 s[20:21], s[16:17], vcc
	s_and_saveexec_b64 s[16:17], s[20:21]
	s_cbranch_execz .LBB92_23
; %bb.22:
	v_ashrrev_i32_e32 v101, 31, v100
	v_lshlrev_b64 v[108:109], 2, v[100:101]
	v_add_co_u32_e32 v108, vcc, v4, v108
	v_addc_co_u32_e32 v109, vcc, v5, v109, vcc
	flat_load_dword v101, v[108:109]
	flat_load_dword v103, v[4:5] offset:4
	s_waitcnt vmcnt(0) lgkmcnt(0)
	flat_store_dword v[4:5], v101 offset:4
	flat_store_dword v[108:109], v103
.LBB92_23:
	s_or_b64 exec, exec, s[16:17]
	v_mov_b32_e32 v101, v100
	v_mov_b32_e32 v103, v100
.LBB92_24:
	s_or_b64 exec, exec, s[14:15]
.LBB92_25:
	s_andn2_saveexec_b64 s[2:3], s[2:3]
	s_cbranch_execz .LBB92_27
; %bb.26:
	v_mov_b32_e32 v108, v90
	v_mov_b32_e32 v109, v91
	v_mov_b32_e32 v110, v88
	v_mov_b32_e32 v111, v89
	ds_write2_b64 v102, v[108:109], v[110:111] offset0:2 offset1:3
	v_mov_b32_e32 v108, v86
	v_mov_b32_e32 v109, v87
	v_mov_b32_e32 v110, v84
	v_mov_b32_e32 v111, v85
	ds_write2_b64 v102, v[108:109], v[110:111] offset0:4 offset1:5
	;; [unrolled: 5-line block ×21, first 2 shown]
	v_mov_b32_e32 v108, v6
	v_mov_b32_e32 v109, v7
	;; [unrolled: 1-line block ×5, first 2 shown]
	ds_write2_b64 v102, v[108:109], v[110:111] offset0:44 offset1:45
	ds_write_b64 v102, v[96:97] offset:368
.LBB92_27:
	s_or_b64 exec, exec, s[2:3]
	s_waitcnt lgkmcnt(0)
	v_cmp_neq_f64_e64 s[2:3], 0, v[98:99]
	v_cmp_lt_i32_e32 vcc, 1, v103
	s_barrier
	s_and_saveexec_b64 s[14:15], vcc
	s_cbranch_execz .LBB92_29
; %bb.28:
	v_div_scale_f64 v[108:109], s[16:17], v[98:99], v[98:99], 1.0
	v_rcp_f64_e32 v[110:111], v[108:109]
	v_div_scale_f64 v[112:113], vcc, 1.0, v[98:99], 1.0
	ds_read2_b64 v[116:119], v102 offset0:6 offset1:7
	v_fma_f64 v[114:115], -v[108:109], v[110:111], 1.0
	v_fmac_f64_e32 v[110:111], v[110:111], v[114:115]
	v_fma_f64 v[114:115], -v[108:109], v[110:111], 1.0
	v_fmac_f64_e32 v[110:111], v[110:111], v[114:115]
	v_mul_f64 v[114:115], v[112:113], v[110:111]
	v_fma_f64 v[108:109], -v[108:109], v[114:115], v[112:113]
	v_div_fmas_f64 v[108:109], v[108:109], v[110:111], v[114:115]
	v_div_fixup_f64 v[112:113], v[108:109], v[98:99], 1.0
	ds_read2_b64 v[108:111], v102 offset0:2 offset1:3
	v_cndmask_b32_e64 v99, v99, v113, s[2:3]
	v_cndmask_b32_e64 v98, v98, v112, s[2:3]
	ds_read2_b64 v[112:115], v102 offset0:4 offset1:5
	v_mul_f64 v[94:95], v[98:99], v[94:95]
	s_waitcnt lgkmcnt(0)
	v_fma_f64 v[90:91], -v[94:95], v[108:109], v[90:91]
	v_fma_f64 v[88:89], -v[94:95], v[110:111], v[88:89]
	ds_read2_b64 v[108:111], v102 offset0:8 offset1:9
	v_fma_f64 v[86:87], -v[94:95], v[112:113], v[86:87]
	v_fma_f64 v[84:85], -v[94:95], v[114:115], v[84:85]
	;; [unrolled: 1-line block ×3, first 2 shown]
	ds_read2_b64 v[112:115], v102 offset0:10 offset1:11
	v_fma_f64 v[80:81], -v[94:95], v[118:119], v[80:81]
	ds_read2_b64 v[116:119], v102 offset0:12 offset1:13
	s_waitcnt lgkmcnt(0)
	v_fma_f64 v[78:79], -v[94:95], v[108:109], v[78:79]
	v_fma_f64 v[76:77], -v[94:95], v[110:111], v[76:77]
	ds_read2_b64 v[108:111], v102 offset0:14 offset1:15
	v_fma_f64 v[74:75], -v[94:95], v[112:113], v[74:75]
	v_fma_f64 v[70:71], -v[94:95], v[114:115], v[70:71]
	ds_read2_b64 v[112:115], v102 offset0:16 offset1:17
	v_fma_f64 v[72:73], -v[94:95], v[116:117], v[72:73]
	v_fma_f64 v[68:69], -v[94:95], v[118:119], v[68:69]
	s_waitcnt lgkmcnt(0)
	v_fma_f64 v[66:67], -v[94:95], v[108:109], v[66:67]
	ds_read2_b64 v[116:119], v102 offset0:18 offset1:19
	v_fma_f64 v[64:65], -v[94:95], v[110:111], v[64:65]
	ds_read2_b64 v[108:111], v102 offset0:20 offset1:21
	v_fma_f64 v[62:63], -v[94:95], v[112:113], v[62:63]
	v_fma_f64 v[60:61], -v[94:95], v[114:115], v[60:61]
	s_waitcnt lgkmcnt(0)
	v_fma_f64 v[58:59], -v[94:95], v[116:117], v[58:59]
	ds_read2_b64 v[112:115], v102 offset0:22 offset1:23
	v_fma_f64 v[56:57], -v[94:95], v[118:119], v[56:57]
	ds_read2_b64 v[116:119], v102 offset0:24 offset1:25
	v_fma_f64 v[54:55], -v[94:95], v[108:109], v[54:55]
	v_fma_f64 v[52:53], -v[94:95], v[110:111], v[52:53]
	ds_read2_b64 v[108:111], v102 offset0:26 offset1:27
	s_waitcnt lgkmcnt(0)
	v_fma_f64 v[50:51], -v[94:95], v[112:113], v[50:51]
	v_fma_f64 v[46:47], -v[94:95], v[114:115], v[46:47]
	ds_read2_b64 v[112:115], v102 offset0:28 offset1:29
	v_fma_f64 v[48:49], -v[94:95], v[116:117], v[48:49]
	v_fma_f64 v[44:45], -v[94:95], v[118:119], v[44:45]
	;; [unrolled: 1-line block ×3, first 2 shown]
	ds_read2_b64 v[116:119], v102 offset0:30 offset1:31
	v_fma_f64 v[40:41], -v[94:95], v[110:111], v[40:41]
	ds_read2_b64 v[108:111], v102 offset0:32 offset1:33
	s_waitcnt lgkmcnt(0)
	v_fma_f64 v[38:39], -v[94:95], v[112:113], v[38:39]
	v_fma_f64 v[36:37], -v[94:95], v[114:115], v[36:37]
	;; [unrolled: 1-line block ×3, first 2 shown]
	ds_read2_b64 v[112:115], v102 offset0:34 offset1:35
	v_fma_f64 v[32:33], -v[94:95], v[118:119], v[32:33]
	ds_read2_b64 v[116:119], v102 offset0:36 offset1:37
	v_fma_f64 v[30:31], -v[94:95], v[108:109], v[30:31]
	v_fma_f64 v[28:29], -v[94:95], v[110:111], v[28:29]
	ds_read2_b64 v[108:111], v102 offset0:38 offset1:39
	s_waitcnt lgkmcnt(0)
	v_fma_f64 v[26:27], -v[94:95], v[112:113], v[26:27]
	v_fma_f64 v[22:23], -v[94:95], v[114:115], v[22:23]
	ds_read2_b64 v[112:115], v102 offset0:40 offset1:41
	v_fma_f64 v[24:25], -v[94:95], v[116:117], v[24:25]
	v_fma_f64 v[20:21], -v[94:95], v[118:119], v[20:21]
	;; [unrolled: 1-line block ×4, first 2 shown]
	ds_read2_b64 v[108:111], v102 offset0:42 offset1:43
	ds_read2_b64 v[116:119], v102 offset0:44 offset1:45
	ds_read_b64 v[98:99], v102 offset:368
	s_waitcnt lgkmcnt(0)
	v_fma_f64 v[14:15], -v[94:95], v[112:113], v[14:15]
	v_fma_f64 v[12:13], -v[94:95], v[114:115], v[12:13]
	;; [unrolled: 1-line block ×7, first 2 shown]
.LBB92_29:
	s_or_b64 exec, exec, s[14:15]
	v_lshl_add_u32 v98, v103, 3, v102
	s_barrier
	ds_write_b64 v98, v[90:91]
	s_waitcnt lgkmcnt(0)
	s_barrier
	ds_read_b64 v[98:99], v102 offset:16
	s_mov_b32 s9, 3
	s_cmp_lt_i32 s18, 4
	v_mov_b32_e32 v100, 2
	s_cbranch_scc1 .LBB92_32
; %bb.30:
	v_add3_u32 v106, v107, 0, 24
	v_mov_b32_e32 v100, 2
.LBB92_31:                              ; =>This Inner Loop Header: Depth=1
	ds_read_b64 v[108:109], v106
	v_mov_b32_e32 v110, s9
	s_add_i32 s9, s9, 1
	v_add_u32_e32 v106, 8, v106
	s_cmp_lg_u32 s18, s9
	s_waitcnt lgkmcnt(0)
	v_cmp_lt_f64_e64 vcc, |v[98:99]|, |v[108:109]|
	v_cndmask_b32_e32 v99, v99, v109, vcc
	v_cndmask_b32_e32 v98, v98, v108, vcc
	;; [unrolled: 1-line block ×3, first 2 shown]
	s_cbranch_scc1 .LBB92_31
.LBB92_32:
	v_cndmask_b32_e64 v106, 2, 1, s[0:1]
	v_cndmask_b32_e64 v108, 0, 1, s[0:1]
	;; [unrolled: 1-line block ×3, first 2 shown]
	s_waitcnt lgkmcnt(0)
	v_cmp_eq_f64_e32 vcc, 0, v[98:99]
	s_and_saveexec_b64 s[0:1], vcc
	s_xor_b64 s[0:1], exec, s[0:1]
; %bb.33:
	v_cmp_ne_u32_e32 vcc, 0, v106
	v_cndmask_b32_e32 v106, 3, v106, vcc
; %bb.34:
	s_andn2_saveexec_b64 s[0:1], s[0:1]
; %bb.35:
	v_div_scale_f64 v[108:109], s[2:3], v[98:99], v[98:99], 1.0
	v_rcp_f64_e32 v[110:111], v[108:109]
	v_div_scale_f64 v[112:113], vcc, 1.0, v[98:99], 1.0
	v_fma_f64 v[114:115], -v[108:109], v[110:111], 1.0
	v_fmac_f64_e32 v[110:111], v[110:111], v[114:115]
	v_fma_f64 v[114:115], -v[108:109], v[110:111], 1.0
	v_fmac_f64_e32 v[110:111], v[110:111], v[114:115]
	v_mul_f64 v[114:115], v[112:113], v[110:111]
	v_fma_f64 v[108:109], -v[108:109], v[114:115], v[112:113]
	v_div_fmas_f64 v[108:109], v[108:109], v[110:111], v[114:115]
	v_div_fixup_f64 v[98:99], v[108:109], v[98:99], 1.0
; %bb.36:
	s_or_b64 exec, exec, s[0:1]
	v_cmp_ne_u32_e32 vcc, v103, v100
	s_and_saveexec_b64 s[0:1], vcc
	s_xor_b64 s[0:1], exec, s[0:1]
	s_cbranch_execz .LBB92_42
; %bb.37:
	v_cmp_eq_u32_e32 vcc, 2, v103
	s_and_saveexec_b64 s[2:3], vcc
	s_cbranch_execz .LBB92_41
; %bb.38:
	v_cmp_ne_u32_e32 vcc, 2, v100
	s_xor_b64 s[14:15], s[6:7], -1
	s_and_b64 s[16:17], s[14:15], vcc
	s_and_saveexec_b64 s[14:15], s[16:17]
	s_cbranch_execz .LBB92_40
; %bb.39:
	v_ashrrev_i32_e32 v101, 31, v100
	v_lshlrev_b64 v[108:109], 2, v[100:101]
	v_add_co_u32_e32 v108, vcc, v4, v108
	v_addc_co_u32_e32 v109, vcc, v5, v109, vcc
	flat_load_dword v101, v[108:109]
	flat_load_dword v103, v[4:5] offset:8
	s_waitcnt vmcnt(0) lgkmcnt(0)
	flat_store_dword v[4:5], v101 offset:8
	flat_store_dword v[108:109], v103
.LBB92_40:
	s_or_b64 exec, exec, s[14:15]
	v_mov_b32_e32 v101, v100
	v_mov_b32_e32 v103, v100
.LBB92_41:
	s_or_b64 exec, exec, s[2:3]
.LBB92_42:
	s_andn2_saveexec_b64 s[0:1], s[0:1]
	s_cbranch_execz .LBB92_44
; %bb.43:
	v_mov_b32_e32 v103, 2
	ds_write2_b64 v102, v[88:89], v[86:87] offset0:3 offset1:4
	ds_write2_b64 v102, v[84:85], v[82:83] offset0:5 offset1:6
	;; [unrolled: 1-line block ×22, first 2 shown]
.LBB92_44:
	s_or_b64 exec, exec, s[0:1]
	v_cmp_lt_i32_e32 vcc, 2, v103
	s_waitcnt lgkmcnt(0)
	s_barrier
	s_and_saveexec_b64 s[0:1], vcc
	s_cbranch_execz .LBB92_46
; %bb.45:
	ds_read2_b64 v[108:111], v102 offset0:3 offset1:4
	ds_read2_b64 v[112:115], v102 offset0:5 offset1:6
	v_mul_f64 v[90:91], v[98:99], v[90:91]
	ds_read2_b64 v[116:119], v102 offset0:7 offset1:8
	s_waitcnt lgkmcnt(0)
	v_fma_f64 v[88:89], -v[90:91], v[108:109], v[88:89]
	v_fma_f64 v[86:87], -v[90:91], v[110:111], v[86:87]
	ds_read2_b64 v[108:111], v102 offset0:9 offset1:10
	v_fma_f64 v[84:85], -v[90:91], v[112:113], v[84:85]
	v_fma_f64 v[82:83], -v[90:91], v[114:115], v[82:83]
	;; [unrolled: 1-line block ×3, first 2 shown]
	ds_read2_b64 v[112:115], v102 offset0:11 offset1:12
	v_fma_f64 v[78:79], -v[90:91], v[118:119], v[78:79]
	ds_read2_b64 v[116:119], v102 offset0:13 offset1:14
	s_waitcnt lgkmcnt(0)
	v_fma_f64 v[76:77], -v[90:91], v[108:109], v[76:77]
	v_fma_f64 v[74:75], -v[90:91], v[110:111], v[74:75]
	ds_read2_b64 v[108:111], v102 offset0:15 offset1:16
	v_fma_f64 v[70:71], -v[90:91], v[112:113], v[70:71]
	v_fma_f64 v[72:73], -v[90:91], v[114:115], v[72:73]
	ds_read2_b64 v[112:115], v102 offset0:17 offset1:18
	v_fma_f64 v[68:69], -v[90:91], v[116:117], v[68:69]
	v_fma_f64 v[66:67], -v[90:91], v[118:119], v[66:67]
	s_waitcnt lgkmcnt(0)
	v_fma_f64 v[64:65], -v[90:91], v[108:109], v[64:65]
	ds_read2_b64 v[116:119], v102 offset0:19 offset1:20
	v_fma_f64 v[62:63], -v[90:91], v[110:111], v[62:63]
	ds_read2_b64 v[108:111], v102 offset0:21 offset1:22
	v_fma_f64 v[60:61], -v[90:91], v[112:113], v[60:61]
	v_fma_f64 v[58:59], -v[90:91], v[114:115], v[58:59]
	s_waitcnt lgkmcnt(0)
	v_fma_f64 v[56:57], -v[90:91], v[116:117], v[56:57]
	ds_read2_b64 v[112:115], v102 offset0:23 offset1:24
	v_fma_f64 v[54:55], -v[90:91], v[118:119], v[54:55]
	ds_read2_b64 v[116:119], v102 offset0:25 offset1:26
	v_fma_f64 v[52:53], -v[90:91], v[108:109], v[52:53]
	v_fma_f64 v[50:51], -v[90:91], v[110:111], v[50:51]
	ds_read2_b64 v[108:111], v102 offset0:27 offset1:28
	s_waitcnt lgkmcnt(0)
	v_fma_f64 v[46:47], -v[90:91], v[112:113], v[46:47]
	v_fma_f64 v[48:49], -v[90:91], v[114:115], v[48:49]
	ds_read2_b64 v[112:115], v102 offset0:29 offset1:30
	v_fma_f64 v[44:45], -v[90:91], v[116:117], v[44:45]
	v_fma_f64 v[42:43], -v[90:91], v[118:119], v[42:43]
	;; [unrolled: 1-line block ×3, first 2 shown]
	ds_read2_b64 v[116:119], v102 offset0:31 offset1:32
	v_fma_f64 v[38:39], -v[90:91], v[110:111], v[38:39]
	ds_read2_b64 v[108:111], v102 offset0:33 offset1:34
	s_waitcnt lgkmcnt(0)
	v_fma_f64 v[36:37], -v[90:91], v[112:113], v[36:37]
	v_fma_f64 v[34:35], -v[90:91], v[114:115], v[34:35]
	;; [unrolled: 1-line block ×3, first 2 shown]
	ds_read2_b64 v[112:115], v102 offset0:35 offset1:36
	v_fma_f64 v[30:31], -v[90:91], v[118:119], v[30:31]
	ds_read2_b64 v[116:119], v102 offset0:37 offset1:38
	v_fma_f64 v[28:29], -v[90:91], v[108:109], v[28:29]
	v_fma_f64 v[26:27], -v[90:91], v[110:111], v[26:27]
	ds_read2_b64 v[108:111], v102 offset0:39 offset1:40
	s_waitcnt lgkmcnt(0)
	v_fma_f64 v[22:23], -v[90:91], v[112:113], v[22:23]
	v_fma_f64 v[24:25], -v[90:91], v[114:115], v[24:25]
	ds_read2_b64 v[112:115], v102 offset0:41 offset1:42
	v_fma_f64 v[20:21], -v[90:91], v[116:117], v[20:21]
	v_fma_f64 v[18:19], -v[90:91], v[118:119], v[18:19]
	;; [unrolled: 1-line block ×3, first 2 shown]
	ds_read2_b64 v[116:119], v102 offset0:43 offset1:44
	v_fma_f64 v[14:15], -v[90:91], v[110:111], v[14:15]
	ds_read2_b64 v[108:111], v102 offset0:45 offset1:46
	s_waitcnt lgkmcnt(0)
	v_fma_f64 v[12:13], -v[90:91], v[112:113], v[12:13]
	v_fma_f64 v[10:11], -v[90:91], v[114:115], v[10:11]
	;; [unrolled: 1-line block ×6, first 2 shown]
.LBB92_46:
	s_or_b64 exec, exec, s[0:1]
	v_lshl_add_u32 v98, v103, 3, v102
	s_barrier
	ds_write_b64 v98, v[88:89]
	s_waitcnt lgkmcnt(0)
	s_barrier
	ds_read_b64 v[98:99], v102 offset:24
	s_cmp_lt_i32 s18, 5
	v_mov_b32_e32 v100, 3
	s_cbranch_scc1 .LBB92_49
; %bb.47:
	v_add3_u32 v108, v107, 0, 32
	s_mov_b32 s0, 4
	v_mov_b32_e32 v100, 3
.LBB92_48:                              ; =>This Inner Loop Header: Depth=1
	ds_read_b64 v[110:111], v108
	v_mov_b32_e32 v109, s0
	s_add_i32 s0, s0, 1
	v_add_u32_e32 v108, 8, v108
	s_cmp_lg_u32 s18, s0
	s_waitcnt lgkmcnt(0)
	v_cmp_lt_f64_e64 vcc, |v[98:99]|, |v[110:111]|
	v_cndmask_b32_e32 v99, v99, v111, vcc
	v_cndmask_b32_e32 v98, v98, v110, vcc
	;; [unrolled: 1-line block ×3, first 2 shown]
	s_cbranch_scc1 .LBB92_48
.LBB92_49:
	s_waitcnt lgkmcnt(0)
	v_cmp_eq_f64_e32 vcc, 0, v[98:99]
	s_and_saveexec_b64 s[0:1], vcc
	s_xor_b64 s[0:1], exec, s[0:1]
; %bb.50:
	v_cmp_ne_u32_e32 vcc, 0, v106
	v_cndmask_b32_e32 v106, 4, v106, vcc
; %bb.51:
	s_andn2_saveexec_b64 s[0:1], s[0:1]
; %bb.52:
	v_div_scale_f64 v[108:109], s[2:3], v[98:99], v[98:99], 1.0
	v_rcp_f64_e32 v[110:111], v[108:109]
	v_div_scale_f64 v[112:113], vcc, 1.0, v[98:99], 1.0
	v_fma_f64 v[114:115], -v[108:109], v[110:111], 1.0
	v_fmac_f64_e32 v[110:111], v[110:111], v[114:115]
	v_fma_f64 v[114:115], -v[108:109], v[110:111], 1.0
	v_fmac_f64_e32 v[110:111], v[110:111], v[114:115]
	v_mul_f64 v[114:115], v[112:113], v[110:111]
	v_fma_f64 v[108:109], -v[108:109], v[114:115], v[112:113]
	v_div_fmas_f64 v[108:109], v[108:109], v[110:111], v[114:115]
	v_div_fixup_f64 v[98:99], v[108:109], v[98:99], 1.0
; %bb.53:
	s_or_b64 exec, exec, s[0:1]
	v_cmp_ne_u32_e32 vcc, v103, v100
	s_and_saveexec_b64 s[0:1], vcc
	s_xor_b64 s[0:1], exec, s[0:1]
	s_cbranch_execz .LBB92_59
; %bb.54:
	v_cmp_eq_u32_e32 vcc, 3, v103
	s_and_saveexec_b64 s[2:3], vcc
	s_cbranch_execz .LBB92_58
; %bb.55:
	v_cmp_ne_u32_e32 vcc, 3, v100
	s_xor_b64 s[14:15], s[6:7], -1
	s_and_b64 s[16:17], s[14:15], vcc
	s_and_saveexec_b64 s[14:15], s[16:17]
	s_cbranch_execz .LBB92_57
; %bb.56:
	v_ashrrev_i32_e32 v101, 31, v100
	v_lshlrev_b64 v[108:109], 2, v[100:101]
	v_add_co_u32_e32 v108, vcc, v4, v108
	v_addc_co_u32_e32 v109, vcc, v5, v109, vcc
	flat_load_dword v101, v[108:109]
	flat_load_dword v103, v[4:5] offset:12
	s_waitcnt vmcnt(0) lgkmcnt(0)
	flat_store_dword v[4:5], v101 offset:12
	flat_store_dword v[108:109], v103
.LBB92_57:
	s_or_b64 exec, exec, s[14:15]
	v_mov_b32_e32 v101, v100
	v_mov_b32_e32 v103, v100
.LBB92_58:
	s_or_b64 exec, exec, s[2:3]
.LBB92_59:
	s_andn2_saveexec_b64 s[0:1], s[0:1]
	s_cbranch_execz .LBB92_61
; %bb.60:
	v_mov_b32_e32 v108, v86
	v_mov_b32_e32 v109, v87
	v_mov_b32_e32 v110, v84
	v_mov_b32_e32 v111, v85
	ds_write2_b64 v102, v[108:109], v[110:111] offset0:4 offset1:5
	v_mov_b32_e32 v108, v82
	v_mov_b32_e32 v109, v83
	v_mov_b32_e32 v110, v80
	v_mov_b32_e32 v111, v81
	ds_write2_b64 v102, v[108:109], v[110:111] offset0:6 offset1:7
	;; [unrolled: 5-line block ×20, first 2 shown]
	v_mov_b32_e32 v108, v6
	v_mov_b32_e32 v109, v7
	;; [unrolled: 1-line block ×5, first 2 shown]
	ds_write2_b64 v102, v[108:109], v[110:111] offset0:44 offset1:45
	ds_write_b64 v102, v[96:97] offset:368
.LBB92_61:
	s_or_b64 exec, exec, s[0:1]
	v_cmp_lt_i32_e32 vcc, 3, v103
	s_waitcnt lgkmcnt(0)
	s_barrier
	s_and_saveexec_b64 s[0:1], vcc
	s_cbranch_execz .LBB92_63
; %bb.62:
	ds_read2_b64 v[108:111], v102 offset0:4 offset1:5
	ds_read2_b64 v[112:115], v102 offset0:6 offset1:7
	;; [unrolled: 1-line block ×3, first 2 shown]
	v_mul_f64 v[88:89], v[98:99], v[88:89]
	ds_read_b64 v[98:99], v102 offset:368
	s_waitcnt lgkmcnt(0)
	v_fma_f64 v[86:87], -v[88:89], v[108:109], v[86:87]
	v_fma_f64 v[84:85], -v[88:89], v[110:111], v[84:85]
	ds_read2_b64 v[108:111], v102 offset0:10 offset1:11
	v_fma_f64 v[82:83], -v[88:89], v[112:113], v[82:83]
	v_fma_f64 v[80:81], -v[88:89], v[114:115], v[80:81]
	v_fma_f64 v[78:79], -v[88:89], v[116:117], v[78:79]
	ds_read2_b64 v[112:115], v102 offset0:12 offset1:13
	v_fma_f64 v[76:77], -v[88:89], v[118:119], v[76:77]
	ds_read2_b64 v[116:119], v102 offset0:14 offset1:15
	s_waitcnt lgkmcnt(0)
	v_fma_f64 v[74:75], -v[88:89], v[108:109], v[74:75]
	v_fma_f64 v[70:71], -v[88:89], v[110:111], v[70:71]
	v_fma_f64 v[72:73], -v[88:89], v[112:113], v[72:73]
	ds_read2_b64 v[108:111], v102 offset0:16 offset1:17
	v_fma_f64 v[68:69], -v[88:89], v[114:115], v[68:69]
	ds_read2_b64 v[112:115], v102 offset0:18 offset1:19
	v_fma_f64 v[66:67], -v[88:89], v[116:117], v[66:67]
	v_fma_f64 v[64:65], -v[88:89], v[118:119], v[64:65]
	ds_read2_b64 v[116:119], v102 offset0:20 offset1:21
	s_waitcnt lgkmcnt(0)
	v_fma_f64 v[62:63], -v[88:89], v[108:109], v[62:63]
	v_fma_f64 v[60:61], -v[88:89], v[110:111], v[60:61]
	ds_read2_b64 v[108:111], v102 offset0:22 offset1:23
	v_fma_f64 v[58:59], -v[88:89], v[112:113], v[58:59]
	v_fma_f64 v[56:57], -v[88:89], v[114:115], v[56:57]
	v_fma_f64 v[54:55], -v[88:89], v[116:117], v[54:55]
	ds_read2_b64 v[112:115], v102 offset0:24 offset1:25
	v_fma_f64 v[52:53], -v[88:89], v[118:119], v[52:53]
	ds_read2_b64 v[116:119], v102 offset0:26 offset1:27
	s_waitcnt lgkmcnt(0)
	v_fma_f64 v[50:51], -v[88:89], v[108:109], v[50:51]
	v_fma_f64 v[46:47], -v[88:89], v[110:111], v[46:47]
	v_fma_f64 v[48:49], -v[88:89], v[112:113], v[48:49]
	ds_read2_b64 v[108:111], v102 offset0:28 offset1:29
	v_fma_f64 v[44:45], -v[88:89], v[114:115], v[44:45]
	ds_read2_b64 v[112:115], v102 offset0:30 offset1:31
	v_fma_f64 v[42:43], -v[88:89], v[116:117], v[42:43]
	v_fma_f64 v[40:41], -v[88:89], v[118:119], v[40:41]
	ds_read2_b64 v[116:119], v102 offset0:32 offset1:33
	;; [unrolled: 20-line block ×3, first 2 shown]
	s_waitcnt lgkmcnt(0)
	v_fma_f64 v[14:15], -v[88:89], v[108:109], v[14:15]
	v_fma_f64 v[12:13], -v[88:89], v[110:111], v[12:13]
	;; [unrolled: 1-line block ×7, first 2 shown]
.LBB92_63:
	s_or_b64 exec, exec, s[0:1]
	v_lshl_add_u32 v98, v103, 3, v102
	s_barrier
	ds_write_b64 v98, v[86:87]
	s_waitcnt lgkmcnt(0)
	s_barrier
	ds_read_b64 v[98:99], v102 offset:32
	s_cmp_lt_i32 s18, 6
	v_mov_b32_e32 v100, 4
	s_cbranch_scc1 .LBB92_66
; %bb.64:
	v_add3_u32 v108, v107, 0, 40
	s_mov_b32 s0, 5
	v_mov_b32_e32 v100, 4
.LBB92_65:                              ; =>This Inner Loop Header: Depth=1
	ds_read_b64 v[110:111], v108
	v_mov_b32_e32 v109, s0
	s_add_i32 s0, s0, 1
	v_add_u32_e32 v108, 8, v108
	s_cmp_lg_u32 s18, s0
	s_waitcnt lgkmcnt(0)
	v_cmp_lt_f64_e64 vcc, |v[98:99]|, |v[110:111]|
	v_cndmask_b32_e32 v99, v99, v111, vcc
	v_cndmask_b32_e32 v98, v98, v110, vcc
	;; [unrolled: 1-line block ×3, first 2 shown]
	s_cbranch_scc1 .LBB92_65
.LBB92_66:
	s_waitcnt lgkmcnt(0)
	v_cmp_eq_f64_e32 vcc, 0, v[98:99]
	s_and_saveexec_b64 s[0:1], vcc
	s_xor_b64 s[0:1], exec, s[0:1]
; %bb.67:
	v_cmp_ne_u32_e32 vcc, 0, v106
	v_cndmask_b32_e32 v106, 5, v106, vcc
; %bb.68:
	s_andn2_saveexec_b64 s[0:1], s[0:1]
; %bb.69:
	v_div_scale_f64 v[108:109], s[2:3], v[98:99], v[98:99], 1.0
	v_rcp_f64_e32 v[110:111], v[108:109]
	v_div_scale_f64 v[112:113], vcc, 1.0, v[98:99], 1.0
	v_fma_f64 v[114:115], -v[108:109], v[110:111], 1.0
	v_fmac_f64_e32 v[110:111], v[110:111], v[114:115]
	v_fma_f64 v[114:115], -v[108:109], v[110:111], 1.0
	v_fmac_f64_e32 v[110:111], v[110:111], v[114:115]
	v_mul_f64 v[114:115], v[112:113], v[110:111]
	v_fma_f64 v[108:109], -v[108:109], v[114:115], v[112:113]
	v_div_fmas_f64 v[108:109], v[108:109], v[110:111], v[114:115]
	v_div_fixup_f64 v[98:99], v[108:109], v[98:99], 1.0
; %bb.70:
	s_or_b64 exec, exec, s[0:1]
	v_cmp_ne_u32_e32 vcc, v103, v100
	s_and_saveexec_b64 s[0:1], vcc
	s_xor_b64 s[0:1], exec, s[0:1]
	s_cbranch_execz .LBB92_76
; %bb.71:
	v_cmp_eq_u32_e32 vcc, 4, v103
	s_and_saveexec_b64 s[2:3], vcc
	s_cbranch_execz .LBB92_75
; %bb.72:
	v_cmp_ne_u32_e32 vcc, 4, v100
	s_xor_b64 s[14:15], s[6:7], -1
	s_and_b64 s[16:17], s[14:15], vcc
	s_and_saveexec_b64 s[14:15], s[16:17]
	s_cbranch_execz .LBB92_74
; %bb.73:
	v_ashrrev_i32_e32 v101, 31, v100
	v_lshlrev_b64 v[108:109], 2, v[100:101]
	v_add_co_u32_e32 v108, vcc, v4, v108
	v_addc_co_u32_e32 v109, vcc, v5, v109, vcc
	flat_load_dword v101, v[108:109]
	flat_load_dword v103, v[4:5] offset:16
	s_waitcnt vmcnt(0) lgkmcnt(0)
	flat_store_dword v[4:5], v101 offset:16
	flat_store_dword v[108:109], v103
.LBB92_74:
	s_or_b64 exec, exec, s[14:15]
	v_mov_b32_e32 v101, v100
	v_mov_b32_e32 v103, v100
.LBB92_75:
	s_or_b64 exec, exec, s[2:3]
.LBB92_76:
	s_andn2_saveexec_b64 s[0:1], s[0:1]
	s_cbranch_execz .LBB92_78
; %bb.77:
	v_mov_b32_e32 v103, 4
	ds_write2_b64 v102, v[84:85], v[82:83] offset0:5 offset1:6
	ds_write2_b64 v102, v[80:81], v[78:79] offset0:7 offset1:8
	ds_write2_b64 v102, v[76:77], v[74:75] offset0:9 offset1:10
	ds_write2_b64 v102, v[70:71], v[72:73] offset0:11 offset1:12
	ds_write2_b64 v102, v[68:69], v[66:67] offset0:13 offset1:14
	ds_write2_b64 v102, v[64:65], v[62:63] offset0:15 offset1:16
	ds_write2_b64 v102, v[60:61], v[58:59] offset0:17 offset1:18
	ds_write2_b64 v102, v[56:57], v[54:55] offset0:19 offset1:20
	ds_write2_b64 v102, v[52:53], v[50:51] offset0:21 offset1:22
	ds_write2_b64 v102, v[46:47], v[48:49] offset0:23 offset1:24
	ds_write2_b64 v102, v[44:45], v[42:43] offset0:25 offset1:26
	ds_write2_b64 v102, v[40:41], v[38:39] offset0:27 offset1:28
	ds_write2_b64 v102, v[36:37], v[34:35] offset0:29 offset1:30
	ds_write2_b64 v102, v[32:33], v[30:31] offset0:31 offset1:32
	ds_write2_b64 v102, v[28:29], v[26:27] offset0:33 offset1:34
	ds_write2_b64 v102, v[22:23], v[24:25] offset0:35 offset1:36
	ds_write2_b64 v102, v[20:21], v[18:19] offset0:37 offset1:38
	ds_write2_b64 v102, v[16:17], v[14:15] offset0:39 offset1:40
	ds_write2_b64 v102, v[12:13], v[10:11] offset0:41 offset1:42
	ds_write2_b64 v102, v[8:9], v[6:7] offset0:43 offset1:44
	ds_write2_b64 v102, v[0:1], v[96:97] offset0:45 offset1:46
.LBB92_78:
	s_or_b64 exec, exec, s[0:1]
	v_cmp_lt_i32_e32 vcc, 4, v103
	s_waitcnt lgkmcnt(0)
	s_barrier
	s_and_saveexec_b64 s[0:1], vcc
	s_cbranch_execz .LBB92_80
; %bb.79:
	ds_read2_b64 v[108:111], v102 offset0:5 offset1:6
	ds_read2_b64 v[112:115], v102 offset0:7 offset1:8
	;; [unrolled: 1-line block ×3, first 2 shown]
	v_mul_f64 v[86:87], v[98:99], v[86:87]
	s_waitcnt lgkmcnt(0)
	v_fma_f64 v[84:85], -v[86:87], v[108:109], v[84:85]
	v_fma_f64 v[82:83], -v[86:87], v[110:111], v[82:83]
	ds_read2_b64 v[108:111], v102 offset0:11 offset1:12
	v_fma_f64 v[80:81], -v[86:87], v[112:113], v[80:81]
	v_fma_f64 v[78:79], -v[86:87], v[114:115], v[78:79]
	;; [unrolled: 1-line block ×3, first 2 shown]
	ds_read2_b64 v[112:115], v102 offset0:13 offset1:14
	v_fma_f64 v[74:75], -v[86:87], v[118:119], v[74:75]
	ds_read2_b64 v[116:119], v102 offset0:15 offset1:16
	s_waitcnt lgkmcnt(0)
	v_fma_f64 v[70:71], -v[86:87], v[108:109], v[70:71]
	v_fma_f64 v[72:73], -v[86:87], v[110:111], v[72:73]
	;; [unrolled: 1-line block ×3, first 2 shown]
	ds_read2_b64 v[108:111], v102 offset0:17 offset1:18
	v_fma_f64 v[66:67], -v[86:87], v[114:115], v[66:67]
	ds_read2_b64 v[112:115], v102 offset0:19 offset1:20
	v_fma_f64 v[64:65], -v[86:87], v[116:117], v[64:65]
	v_fma_f64 v[62:63], -v[86:87], v[118:119], v[62:63]
	ds_read2_b64 v[116:119], v102 offset0:21 offset1:22
	s_waitcnt lgkmcnt(0)
	v_fma_f64 v[60:61], -v[86:87], v[108:109], v[60:61]
	v_fma_f64 v[58:59], -v[86:87], v[110:111], v[58:59]
	ds_read2_b64 v[108:111], v102 offset0:23 offset1:24
	v_fma_f64 v[56:57], -v[86:87], v[112:113], v[56:57]
	v_fma_f64 v[54:55], -v[86:87], v[114:115], v[54:55]
	;; [unrolled: 1-line block ×3, first 2 shown]
	ds_read2_b64 v[112:115], v102 offset0:25 offset1:26
	v_fma_f64 v[50:51], -v[86:87], v[118:119], v[50:51]
	ds_read2_b64 v[116:119], v102 offset0:27 offset1:28
	s_waitcnt lgkmcnt(0)
	v_fma_f64 v[46:47], -v[86:87], v[108:109], v[46:47]
	v_fma_f64 v[48:49], -v[86:87], v[110:111], v[48:49]
	;; [unrolled: 1-line block ×3, first 2 shown]
	ds_read2_b64 v[108:111], v102 offset0:29 offset1:30
	v_fma_f64 v[42:43], -v[86:87], v[114:115], v[42:43]
	ds_read2_b64 v[112:115], v102 offset0:31 offset1:32
	v_fma_f64 v[40:41], -v[86:87], v[116:117], v[40:41]
	v_fma_f64 v[38:39], -v[86:87], v[118:119], v[38:39]
	ds_read2_b64 v[116:119], v102 offset0:33 offset1:34
	s_waitcnt lgkmcnt(0)
	v_fma_f64 v[36:37], -v[86:87], v[108:109], v[36:37]
	v_fma_f64 v[34:35], -v[86:87], v[110:111], v[34:35]
	ds_read2_b64 v[108:111], v102 offset0:35 offset1:36
	v_fma_f64 v[32:33], -v[86:87], v[112:113], v[32:33]
	v_fma_f64 v[30:31], -v[86:87], v[114:115], v[30:31]
	;; [unrolled: 1-line block ×3, first 2 shown]
	ds_read2_b64 v[112:115], v102 offset0:37 offset1:38
	v_fma_f64 v[26:27], -v[86:87], v[118:119], v[26:27]
	ds_read2_b64 v[116:119], v102 offset0:39 offset1:40
	s_waitcnt lgkmcnt(0)
	v_fma_f64 v[22:23], -v[86:87], v[108:109], v[22:23]
	v_fma_f64 v[24:25], -v[86:87], v[110:111], v[24:25]
	;; [unrolled: 1-line block ×4, first 2 shown]
	ds_read2_b64 v[108:111], v102 offset0:41 offset1:42
	ds_read2_b64 v[112:115], v102 offset0:43 offset1:44
	v_fma_f64 v[16:17], -v[86:87], v[116:117], v[16:17]
	v_fma_f64 v[14:15], -v[86:87], v[118:119], v[14:15]
	ds_read2_b64 v[116:119], v102 offset0:45 offset1:46
	s_waitcnt lgkmcnt(0)
	v_fma_f64 v[12:13], -v[86:87], v[108:109], v[12:13]
	v_fma_f64 v[10:11], -v[86:87], v[110:111], v[10:11]
	;; [unrolled: 1-line block ×6, first 2 shown]
.LBB92_80:
	s_or_b64 exec, exec, s[0:1]
	v_lshl_add_u32 v98, v103, 3, v102
	s_barrier
	ds_write_b64 v98, v[84:85]
	s_waitcnt lgkmcnt(0)
	s_barrier
	ds_read_b64 v[98:99], v102 offset:40
	s_cmp_lt_i32 s18, 7
	v_mov_b32_e32 v100, 5
	s_cbranch_scc1 .LBB92_83
; %bb.81:
	v_add3_u32 v108, v107, 0, 48
	s_mov_b32 s0, 6
	v_mov_b32_e32 v100, 5
.LBB92_82:                              ; =>This Inner Loop Header: Depth=1
	ds_read_b64 v[110:111], v108
	v_mov_b32_e32 v109, s0
	s_add_i32 s0, s0, 1
	v_add_u32_e32 v108, 8, v108
	s_cmp_lg_u32 s18, s0
	s_waitcnt lgkmcnt(0)
	v_cmp_lt_f64_e64 vcc, |v[98:99]|, |v[110:111]|
	v_cndmask_b32_e32 v99, v99, v111, vcc
	v_cndmask_b32_e32 v98, v98, v110, vcc
	;; [unrolled: 1-line block ×3, first 2 shown]
	s_cbranch_scc1 .LBB92_82
.LBB92_83:
	s_waitcnt lgkmcnt(0)
	v_cmp_eq_f64_e32 vcc, 0, v[98:99]
	s_and_saveexec_b64 s[0:1], vcc
	s_xor_b64 s[0:1], exec, s[0:1]
; %bb.84:
	v_cmp_ne_u32_e32 vcc, 0, v106
	v_cndmask_b32_e32 v106, 6, v106, vcc
; %bb.85:
	s_andn2_saveexec_b64 s[0:1], s[0:1]
; %bb.86:
	v_div_scale_f64 v[108:109], s[2:3], v[98:99], v[98:99], 1.0
	v_rcp_f64_e32 v[110:111], v[108:109]
	v_div_scale_f64 v[112:113], vcc, 1.0, v[98:99], 1.0
	v_fma_f64 v[114:115], -v[108:109], v[110:111], 1.0
	v_fmac_f64_e32 v[110:111], v[110:111], v[114:115]
	v_fma_f64 v[114:115], -v[108:109], v[110:111], 1.0
	v_fmac_f64_e32 v[110:111], v[110:111], v[114:115]
	v_mul_f64 v[114:115], v[112:113], v[110:111]
	v_fma_f64 v[108:109], -v[108:109], v[114:115], v[112:113]
	v_div_fmas_f64 v[108:109], v[108:109], v[110:111], v[114:115]
	v_div_fixup_f64 v[98:99], v[108:109], v[98:99], 1.0
; %bb.87:
	s_or_b64 exec, exec, s[0:1]
	v_cmp_ne_u32_e32 vcc, v103, v100
	s_and_saveexec_b64 s[0:1], vcc
	s_xor_b64 s[0:1], exec, s[0:1]
	s_cbranch_execz .LBB92_93
; %bb.88:
	v_cmp_eq_u32_e32 vcc, 5, v103
	s_and_saveexec_b64 s[2:3], vcc
	s_cbranch_execz .LBB92_92
; %bb.89:
	v_cmp_ne_u32_e32 vcc, 5, v100
	s_xor_b64 s[14:15], s[6:7], -1
	s_and_b64 s[16:17], s[14:15], vcc
	s_and_saveexec_b64 s[14:15], s[16:17]
	s_cbranch_execz .LBB92_91
; %bb.90:
	v_ashrrev_i32_e32 v101, 31, v100
	v_lshlrev_b64 v[108:109], 2, v[100:101]
	v_add_co_u32_e32 v108, vcc, v4, v108
	v_addc_co_u32_e32 v109, vcc, v5, v109, vcc
	flat_load_dword v101, v[108:109]
	flat_load_dword v103, v[4:5] offset:20
	s_waitcnt vmcnt(0) lgkmcnt(0)
	flat_store_dword v[4:5], v101 offset:20
	flat_store_dword v[108:109], v103
.LBB92_91:
	s_or_b64 exec, exec, s[14:15]
	v_mov_b32_e32 v101, v100
	v_mov_b32_e32 v103, v100
.LBB92_92:
	s_or_b64 exec, exec, s[2:3]
.LBB92_93:
	s_andn2_saveexec_b64 s[0:1], s[0:1]
	s_cbranch_execz .LBB92_95
; %bb.94:
	v_mov_b32_e32 v108, v82
	v_mov_b32_e32 v109, v83
	v_mov_b32_e32 v110, v80
	v_mov_b32_e32 v111, v81
	ds_write2_b64 v102, v[108:109], v[110:111] offset0:6 offset1:7
	v_mov_b32_e32 v108, v78
	v_mov_b32_e32 v109, v79
	v_mov_b32_e32 v110, v76
	v_mov_b32_e32 v111, v77
	ds_write2_b64 v102, v[108:109], v[110:111] offset0:8 offset1:9
	;; [unrolled: 5-line block ×19, first 2 shown]
	v_mov_b32_e32 v108, v6
	v_mov_b32_e32 v109, v7
	v_mov_b32_e32 v110, v0
	v_mov_b32_e32 v111, v1
	v_mov_b32_e32 v103, 5
	ds_write2_b64 v102, v[108:109], v[110:111] offset0:44 offset1:45
	ds_write_b64 v102, v[96:97] offset:368
.LBB92_95:
	s_or_b64 exec, exec, s[0:1]
	v_cmp_lt_i32_e32 vcc, 5, v103
	s_waitcnt lgkmcnt(0)
	s_barrier
	s_and_saveexec_b64 s[0:1], vcc
	s_cbranch_execz .LBB92_97
; %bb.96:
	ds_read2_b64 v[108:111], v102 offset0:6 offset1:7
	ds_read2_b64 v[112:115], v102 offset0:8 offset1:9
	v_mul_f64 v[84:85], v[98:99], v[84:85]
	ds_read2_b64 v[116:119], v102 offset0:10 offset1:11
	ds_read_b64 v[98:99], v102 offset:368
	s_waitcnt lgkmcnt(0)
	v_fma_f64 v[82:83], -v[84:85], v[108:109], v[82:83]
	v_fma_f64 v[80:81], -v[84:85], v[110:111], v[80:81]
	ds_read2_b64 v[108:111], v102 offset0:12 offset1:13
	v_fma_f64 v[78:79], -v[84:85], v[112:113], v[78:79]
	v_fma_f64 v[76:77], -v[84:85], v[114:115], v[76:77]
	ds_read2_b64 v[112:115], v102 offset0:14 offset1:15
	;; [unrolled: 3-line block ×3, first 2 shown]
	s_waitcnt lgkmcnt(0)
	v_fma_f64 v[72:73], -v[84:85], v[108:109], v[72:73]
	v_fma_f64 v[68:69], -v[84:85], v[110:111], v[68:69]
	;; [unrolled: 1-line block ×3, first 2 shown]
	ds_read2_b64 v[108:111], v102 offset0:18 offset1:19
	v_fma_f64 v[64:65], -v[84:85], v[114:115], v[64:65]
	ds_read2_b64 v[112:115], v102 offset0:20 offset1:21
	v_fma_f64 v[62:63], -v[84:85], v[116:117], v[62:63]
	v_fma_f64 v[60:61], -v[84:85], v[118:119], v[60:61]
	s_waitcnt lgkmcnt(0)
	v_fma_f64 v[58:59], -v[84:85], v[108:109], v[58:59]
	ds_read2_b64 v[116:119], v102 offset0:22 offset1:23
	v_fma_f64 v[56:57], -v[84:85], v[110:111], v[56:57]
	ds_read2_b64 v[108:111], v102 offset0:24 offset1:25
	v_fma_f64 v[54:55], -v[84:85], v[112:113], v[54:55]
	v_fma_f64 v[52:53], -v[84:85], v[114:115], v[52:53]
	ds_read2_b64 v[112:115], v102 offset0:26 offset1:27
	s_waitcnt lgkmcnt(0)
	v_fma_f64 v[50:51], -v[84:85], v[116:117], v[50:51]
	v_fma_f64 v[46:47], -v[84:85], v[118:119], v[46:47]
	ds_read2_b64 v[116:119], v102 offset0:28 offset1:29
	v_fma_f64 v[48:49], -v[84:85], v[108:109], v[48:49]
	v_fma_f64 v[44:45], -v[84:85], v[110:111], v[44:45]
	;; [unrolled: 1-line block ×3, first 2 shown]
	ds_read2_b64 v[108:111], v102 offset0:30 offset1:31
	v_fma_f64 v[40:41], -v[84:85], v[114:115], v[40:41]
	ds_read2_b64 v[112:115], v102 offset0:32 offset1:33
	s_waitcnt lgkmcnt(0)
	v_fma_f64 v[38:39], -v[84:85], v[116:117], v[38:39]
	v_fma_f64 v[36:37], -v[84:85], v[118:119], v[36:37]
	;; [unrolled: 1-line block ×3, first 2 shown]
	ds_read2_b64 v[116:119], v102 offset0:34 offset1:35
	v_fma_f64 v[32:33], -v[84:85], v[110:111], v[32:33]
	ds_read2_b64 v[108:111], v102 offset0:36 offset1:37
	v_fma_f64 v[30:31], -v[84:85], v[112:113], v[30:31]
	v_fma_f64 v[28:29], -v[84:85], v[114:115], v[28:29]
	ds_read2_b64 v[112:115], v102 offset0:38 offset1:39
	s_waitcnt lgkmcnt(0)
	v_fma_f64 v[26:27], -v[84:85], v[116:117], v[26:27]
	v_fma_f64 v[22:23], -v[84:85], v[118:119], v[22:23]
	ds_read2_b64 v[116:119], v102 offset0:40 offset1:41
	v_fma_f64 v[24:25], -v[84:85], v[108:109], v[24:25]
	v_fma_f64 v[20:21], -v[84:85], v[110:111], v[20:21]
	;; [unrolled: 1-line block ×4, first 2 shown]
	ds_read2_b64 v[108:111], v102 offset0:42 offset1:43
	ds_read2_b64 v[112:115], v102 offset0:44 offset1:45
	s_waitcnt lgkmcnt(0)
	v_fma_f64 v[14:15], -v[84:85], v[116:117], v[14:15]
	v_fma_f64 v[12:13], -v[84:85], v[118:119], v[12:13]
	;; [unrolled: 1-line block ×7, first 2 shown]
.LBB92_97:
	s_or_b64 exec, exec, s[0:1]
	v_lshl_add_u32 v98, v103, 3, v102
	s_barrier
	ds_write_b64 v98, v[82:83]
	s_waitcnt lgkmcnt(0)
	s_barrier
	ds_read_b64 v[98:99], v102 offset:48
	s_cmp_lt_i32 s18, 8
	v_mov_b32_e32 v100, 6
	s_cbranch_scc1 .LBB92_100
; %bb.98:
	v_add3_u32 v108, v107, 0, 56
	s_mov_b32 s0, 7
	v_mov_b32_e32 v100, 6
.LBB92_99:                              ; =>This Inner Loop Header: Depth=1
	ds_read_b64 v[110:111], v108
	v_mov_b32_e32 v109, s0
	s_add_i32 s0, s0, 1
	v_add_u32_e32 v108, 8, v108
	s_cmp_lg_u32 s18, s0
	s_waitcnt lgkmcnt(0)
	v_cmp_lt_f64_e64 vcc, |v[98:99]|, |v[110:111]|
	v_cndmask_b32_e32 v99, v99, v111, vcc
	v_cndmask_b32_e32 v98, v98, v110, vcc
	;; [unrolled: 1-line block ×3, first 2 shown]
	s_cbranch_scc1 .LBB92_99
.LBB92_100:
	s_waitcnt lgkmcnt(0)
	v_cmp_eq_f64_e32 vcc, 0, v[98:99]
	s_and_saveexec_b64 s[0:1], vcc
	s_xor_b64 s[0:1], exec, s[0:1]
; %bb.101:
	v_cmp_ne_u32_e32 vcc, 0, v106
	v_cndmask_b32_e32 v106, 7, v106, vcc
; %bb.102:
	s_andn2_saveexec_b64 s[0:1], s[0:1]
; %bb.103:
	v_div_scale_f64 v[108:109], s[2:3], v[98:99], v[98:99], 1.0
	v_rcp_f64_e32 v[110:111], v[108:109]
	v_div_scale_f64 v[112:113], vcc, 1.0, v[98:99], 1.0
	v_fma_f64 v[114:115], -v[108:109], v[110:111], 1.0
	v_fmac_f64_e32 v[110:111], v[110:111], v[114:115]
	v_fma_f64 v[114:115], -v[108:109], v[110:111], 1.0
	v_fmac_f64_e32 v[110:111], v[110:111], v[114:115]
	v_mul_f64 v[114:115], v[112:113], v[110:111]
	v_fma_f64 v[108:109], -v[108:109], v[114:115], v[112:113]
	v_div_fmas_f64 v[108:109], v[108:109], v[110:111], v[114:115]
	v_div_fixup_f64 v[98:99], v[108:109], v[98:99], 1.0
; %bb.104:
	s_or_b64 exec, exec, s[0:1]
	v_cmp_ne_u32_e32 vcc, v103, v100
	s_and_saveexec_b64 s[0:1], vcc
	s_xor_b64 s[0:1], exec, s[0:1]
	s_cbranch_execz .LBB92_110
; %bb.105:
	v_cmp_eq_u32_e32 vcc, 6, v103
	s_and_saveexec_b64 s[2:3], vcc
	s_cbranch_execz .LBB92_109
; %bb.106:
	v_cmp_ne_u32_e32 vcc, 6, v100
	s_xor_b64 s[14:15], s[6:7], -1
	s_and_b64 s[16:17], s[14:15], vcc
	s_and_saveexec_b64 s[14:15], s[16:17]
	s_cbranch_execz .LBB92_108
; %bb.107:
	v_ashrrev_i32_e32 v101, 31, v100
	v_lshlrev_b64 v[108:109], 2, v[100:101]
	v_add_co_u32_e32 v108, vcc, v4, v108
	v_addc_co_u32_e32 v109, vcc, v5, v109, vcc
	flat_load_dword v101, v[108:109]
	flat_load_dword v103, v[4:5] offset:24
	s_waitcnt vmcnt(0) lgkmcnt(0)
	flat_store_dword v[4:5], v101 offset:24
	flat_store_dword v[108:109], v103
.LBB92_108:
	s_or_b64 exec, exec, s[14:15]
	v_mov_b32_e32 v101, v100
	v_mov_b32_e32 v103, v100
.LBB92_109:
	s_or_b64 exec, exec, s[2:3]
.LBB92_110:
	s_andn2_saveexec_b64 s[0:1], s[0:1]
	s_cbranch_execz .LBB92_112
; %bb.111:
	v_mov_b32_e32 v103, 6
	ds_write2_b64 v102, v[80:81], v[78:79] offset0:7 offset1:8
	ds_write2_b64 v102, v[76:77], v[74:75] offset0:9 offset1:10
	ds_write2_b64 v102, v[70:71], v[72:73] offset0:11 offset1:12
	ds_write2_b64 v102, v[68:69], v[66:67] offset0:13 offset1:14
	ds_write2_b64 v102, v[64:65], v[62:63] offset0:15 offset1:16
	ds_write2_b64 v102, v[60:61], v[58:59] offset0:17 offset1:18
	ds_write2_b64 v102, v[56:57], v[54:55] offset0:19 offset1:20
	ds_write2_b64 v102, v[52:53], v[50:51] offset0:21 offset1:22
	ds_write2_b64 v102, v[46:47], v[48:49] offset0:23 offset1:24
	ds_write2_b64 v102, v[44:45], v[42:43] offset0:25 offset1:26
	ds_write2_b64 v102, v[40:41], v[38:39] offset0:27 offset1:28
	ds_write2_b64 v102, v[36:37], v[34:35] offset0:29 offset1:30
	ds_write2_b64 v102, v[32:33], v[30:31] offset0:31 offset1:32
	ds_write2_b64 v102, v[28:29], v[26:27] offset0:33 offset1:34
	ds_write2_b64 v102, v[22:23], v[24:25] offset0:35 offset1:36
	ds_write2_b64 v102, v[20:21], v[18:19] offset0:37 offset1:38
	ds_write2_b64 v102, v[16:17], v[14:15] offset0:39 offset1:40
	ds_write2_b64 v102, v[12:13], v[10:11] offset0:41 offset1:42
	ds_write2_b64 v102, v[8:9], v[6:7] offset0:43 offset1:44
	ds_write2_b64 v102, v[0:1], v[96:97] offset0:45 offset1:46
.LBB92_112:
	s_or_b64 exec, exec, s[0:1]
	v_cmp_lt_i32_e32 vcc, 6, v103
	s_waitcnt lgkmcnt(0)
	s_barrier
	s_and_saveexec_b64 s[0:1], vcc
	s_cbranch_execz .LBB92_114
; %bb.113:
	ds_read2_b64 v[108:111], v102 offset0:7 offset1:8
	ds_read2_b64 v[112:115], v102 offset0:9 offset1:10
	v_mul_f64 v[82:83], v[98:99], v[82:83]
	ds_read2_b64 v[116:119], v102 offset0:11 offset1:12
	s_waitcnt lgkmcnt(0)
	v_fma_f64 v[80:81], -v[82:83], v[108:109], v[80:81]
	v_fma_f64 v[78:79], -v[82:83], v[110:111], v[78:79]
	ds_read2_b64 v[108:111], v102 offset0:13 offset1:14
	v_fma_f64 v[76:77], -v[82:83], v[112:113], v[76:77]
	v_fma_f64 v[74:75], -v[82:83], v[114:115], v[74:75]
	ds_read2_b64 v[112:115], v102 offset0:15 offset1:16
	;; [unrolled: 3-line block ×3, first 2 shown]
	s_waitcnt lgkmcnt(0)
	v_fma_f64 v[68:69], -v[82:83], v[108:109], v[68:69]
	v_fma_f64 v[66:67], -v[82:83], v[110:111], v[66:67]
	;; [unrolled: 1-line block ×3, first 2 shown]
	ds_read2_b64 v[108:111], v102 offset0:19 offset1:20
	v_fma_f64 v[62:63], -v[82:83], v[114:115], v[62:63]
	ds_read2_b64 v[112:115], v102 offset0:21 offset1:22
	v_fma_f64 v[60:61], -v[82:83], v[116:117], v[60:61]
	v_fma_f64 v[58:59], -v[82:83], v[118:119], v[58:59]
	s_waitcnt lgkmcnt(0)
	v_fma_f64 v[56:57], -v[82:83], v[108:109], v[56:57]
	ds_read2_b64 v[116:119], v102 offset0:23 offset1:24
	v_fma_f64 v[54:55], -v[82:83], v[110:111], v[54:55]
	ds_read2_b64 v[108:111], v102 offset0:25 offset1:26
	v_fma_f64 v[52:53], -v[82:83], v[112:113], v[52:53]
	v_fma_f64 v[50:51], -v[82:83], v[114:115], v[50:51]
	ds_read2_b64 v[112:115], v102 offset0:27 offset1:28
	s_waitcnt lgkmcnt(0)
	v_fma_f64 v[46:47], -v[82:83], v[116:117], v[46:47]
	v_fma_f64 v[48:49], -v[82:83], v[118:119], v[48:49]
	ds_read2_b64 v[116:119], v102 offset0:29 offset1:30
	v_fma_f64 v[44:45], -v[82:83], v[108:109], v[44:45]
	v_fma_f64 v[42:43], -v[82:83], v[110:111], v[42:43]
	;; [unrolled: 1-line block ×3, first 2 shown]
	ds_read2_b64 v[108:111], v102 offset0:31 offset1:32
	v_fma_f64 v[38:39], -v[82:83], v[114:115], v[38:39]
	ds_read2_b64 v[112:115], v102 offset0:33 offset1:34
	s_waitcnt lgkmcnt(0)
	v_fma_f64 v[36:37], -v[82:83], v[116:117], v[36:37]
	v_fma_f64 v[34:35], -v[82:83], v[118:119], v[34:35]
	;; [unrolled: 1-line block ×3, first 2 shown]
	ds_read2_b64 v[116:119], v102 offset0:35 offset1:36
	v_fma_f64 v[30:31], -v[82:83], v[110:111], v[30:31]
	ds_read2_b64 v[108:111], v102 offset0:37 offset1:38
	v_fma_f64 v[28:29], -v[82:83], v[112:113], v[28:29]
	v_fma_f64 v[26:27], -v[82:83], v[114:115], v[26:27]
	ds_read2_b64 v[112:115], v102 offset0:39 offset1:40
	s_waitcnt lgkmcnt(0)
	v_fma_f64 v[22:23], -v[82:83], v[116:117], v[22:23]
	v_fma_f64 v[24:25], -v[82:83], v[118:119], v[24:25]
	;; [unrolled: 1-line block ×4, first 2 shown]
	ds_read2_b64 v[108:111], v102 offset0:41 offset1:42
	v_fma_f64 v[16:17], -v[82:83], v[112:113], v[16:17]
	ds_read2_b64 v[116:119], v102 offset0:43 offset1:44
	v_fma_f64 v[14:15], -v[82:83], v[114:115], v[14:15]
	ds_read2_b64 v[112:115], v102 offset0:45 offset1:46
	s_waitcnt lgkmcnt(0)
	v_fma_f64 v[12:13], -v[82:83], v[108:109], v[12:13]
	v_fma_f64 v[10:11], -v[82:83], v[110:111], v[10:11]
	;; [unrolled: 1-line block ×6, first 2 shown]
.LBB92_114:
	s_or_b64 exec, exec, s[0:1]
	v_lshl_add_u32 v98, v103, 3, v102
	s_barrier
	ds_write_b64 v98, v[80:81]
	s_waitcnt lgkmcnt(0)
	s_barrier
	ds_read_b64 v[98:99], v102 offset:56
	s_cmp_lt_i32 s18, 9
	v_mov_b32_e32 v100, 7
	s_cbranch_scc1 .LBB92_117
; %bb.115:
	v_add3_u32 v107, v107, 0, 64
	s_mov_b32 s0, 8
	v_mov_b32_e32 v100, 7
.LBB92_116:                             ; =>This Inner Loop Header: Depth=1
	ds_read_b64 v[108:109], v107
	v_mov_b32_e32 v110, s0
	s_add_i32 s0, s0, 1
	v_add_u32_e32 v107, 8, v107
	s_cmp_lg_u32 s18, s0
	s_waitcnt lgkmcnt(0)
	v_cmp_lt_f64_e64 vcc, |v[98:99]|, |v[108:109]|
	v_cndmask_b32_e32 v99, v99, v109, vcc
	v_cndmask_b32_e32 v98, v98, v108, vcc
	;; [unrolled: 1-line block ×3, first 2 shown]
	s_cbranch_scc1 .LBB92_116
.LBB92_117:
	s_waitcnt lgkmcnt(0)
	v_cmp_eq_f64_e32 vcc, 0, v[98:99]
	s_and_saveexec_b64 s[0:1], vcc
	s_xor_b64 s[0:1], exec, s[0:1]
; %bb.118:
	v_cmp_ne_u32_e32 vcc, 0, v106
	v_cndmask_b32_e32 v106, 8, v106, vcc
; %bb.119:
	s_andn2_saveexec_b64 s[0:1], s[0:1]
; %bb.120:
	v_div_scale_f64 v[108:109], s[2:3], v[98:99], v[98:99], 1.0
	v_rcp_f64_e32 v[110:111], v[108:109]
	v_div_scale_f64 v[112:113], vcc, 1.0, v[98:99], 1.0
	v_fma_f64 v[114:115], -v[108:109], v[110:111], 1.0
	v_fmac_f64_e32 v[110:111], v[110:111], v[114:115]
	v_fma_f64 v[114:115], -v[108:109], v[110:111], 1.0
	v_fmac_f64_e32 v[110:111], v[110:111], v[114:115]
	v_mul_f64 v[114:115], v[112:113], v[110:111]
	v_fma_f64 v[108:109], -v[108:109], v[114:115], v[112:113]
	v_div_fmas_f64 v[108:109], v[108:109], v[110:111], v[114:115]
	v_div_fixup_f64 v[98:99], v[108:109], v[98:99], 1.0
; %bb.121:
	s_or_b64 exec, exec, s[0:1]
	v_cmp_ne_u32_e32 vcc, v103, v100
	s_and_saveexec_b64 s[0:1], vcc
	s_xor_b64 s[0:1], exec, s[0:1]
	s_cbranch_execz .LBB92_127
; %bb.122:
	v_cmp_eq_u32_e32 vcc, 7, v103
	s_and_saveexec_b64 s[2:3], vcc
	s_cbranch_execz .LBB92_126
; %bb.123:
	v_cmp_ne_u32_e32 vcc, 7, v100
	s_xor_b64 s[14:15], s[6:7], -1
	s_and_b64 s[16:17], s[14:15], vcc
	s_and_saveexec_b64 s[14:15], s[16:17]
	s_cbranch_execz .LBB92_125
; %bb.124:
	v_ashrrev_i32_e32 v101, 31, v100
	v_lshlrev_b64 v[108:109], 2, v[100:101]
	v_add_co_u32_e32 v108, vcc, v4, v108
	v_addc_co_u32_e32 v109, vcc, v5, v109, vcc
	flat_load_dword v101, v[108:109]
	flat_load_dword v103, v[4:5] offset:28
	s_waitcnt vmcnt(0) lgkmcnt(0)
	flat_store_dword v[4:5], v101 offset:28
	flat_store_dword v[108:109], v103
.LBB92_125:
	s_or_b64 exec, exec, s[14:15]
	v_mov_b32_e32 v101, v100
	v_mov_b32_e32 v103, v100
.LBB92_126:
	s_or_b64 exec, exec, s[2:3]
.LBB92_127:
	s_andn2_saveexec_b64 s[0:1], s[0:1]
	s_cbranch_execz .LBB92_129
; %bb.128:
	v_mov_b32_e32 v108, v78
	v_mov_b32_e32 v109, v79
	v_mov_b32_e32 v110, v76
	v_mov_b32_e32 v111, v77
	ds_write2_b64 v102, v[108:109], v[110:111] offset0:8 offset1:9
	v_mov_b32_e32 v108, v74
	v_mov_b32_e32 v109, v75
	v_mov_b32_e32 v110, v70
	v_mov_b32_e32 v111, v71
	ds_write2_b64 v102, v[108:109], v[110:111] offset0:10 offset1:11
	;; [unrolled: 5-line block ×18, first 2 shown]
	v_mov_b32_e32 v108, v6
	v_mov_b32_e32 v109, v7
	;; [unrolled: 1-line block ×5, first 2 shown]
	ds_write2_b64 v102, v[108:109], v[110:111] offset0:44 offset1:45
	ds_write_b64 v102, v[96:97] offset:368
.LBB92_129:
	s_or_b64 exec, exec, s[0:1]
	v_cmp_lt_i32_e32 vcc, 7, v103
	s_waitcnt lgkmcnt(0)
	s_barrier
	s_and_saveexec_b64 s[0:1], vcc
	s_cbranch_execz .LBB92_131
; %bb.130:
	ds_read2_b64 v[108:111], v102 offset0:8 offset1:9
	ds_read2_b64 v[112:115], v102 offset0:10 offset1:11
	v_mul_f64 v[80:81], v[98:99], v[80:81]
	ds_read2_b64 v[116:119], v102 offset0:12 offset1:13
	ds_read_b64 v[98:99], v102 offset:368
	s_waitcnt lgkmcnt(0)
	v_fma_f64 v[78:79], -v[80:81], v[108:109], v[78:79]
	v_fma_f64 v[76:77], -v[80:81], v[110:111], v[76:77]
	ds_read2_b64 v[108:111], v102 offset0:14 offset1:15
	v_fma_f64 v[74:75], -v[80:81], v[112:113], v[74:75]
	v_fma_f64 v[70:71], -v[80:81], v[114:115], v[70:71]
	;; [unrolled: 1-line block ×3, first 2 shown]
	ds_read2_b64 v[112:115], v102 offset0:16 offset1:17
	v_fma_f64 v[68:69], -v[80:81], v[118:119], v[68:69]
	ds_read2_b64 v[116:119], v102 offset0:18 offset1:19
	s_waitcnt lgkmcnt(0)
	v_fma_f64 v[66:67], -v[80:81], v[108:109], v[66:67]
	v_fma_f64 v[64:65], -v[80:81], v[110:111], v[64:65]
	ds_read2_b64 v[108:111], v102 offset0:20 offset1:21
	v_fma_f64 v[62:63], -v[80:81], v[112:113], v[62:63]
	v_fma_f64 v[60:61], -v[80:81], v[114:115], v[60:61]
	ds_read2_b64 v[112:115], v102 offset0:22 offset1:23
	v_fma_f64 v[58:59], -v[80:81], v[116:117], v[58:59]
	v_fma_f64 v[56:57], -v[80:81], v[118:119], v[56:57]
	s_waitcnt lgkmcnt(0)
	v_fma_f64 v[54:55], -v[80:81], v[108:109], v[54:55]
	ds_read2_b64 v[116:119], v102 offset0:24 offset1:25
	v_fma_f64 v[52:53], -v[80:81], v[110:111], v[52:53]
	ds_read2_b64 v[108:111], v102 offset0:26 offset1:27
	v_fma_f64 v[50:51], -v[80:81], v[112:113], v[50:51]
	v_fma_f64 v[46:47], -v[80:81], v[114:115], v[46:47]
	s_waitcnt lgkmcnt(0)
	v_fma_f64 v[48:49], -v[80:81], v[116:117], v[48:49]
	ds_read2_b64 v[112:115], v102 offset0:28 offset1:29
	v_fma_f64 v[44:45], -v[80:81], v[118:119], v[44:45]
	ds_read2_b64 v[116:119], v102 offset0:30 offset1:31
	v_fma_f64 v[42:43], -v[80:81], v[108:109], v[42:43]
	v_fma_f64 v[40:41], -v[80:81], v[110:111], v[40:41]
	ds_read2_b64 v[108:111], v102 offset0:32 offset1:33
	s_waitcnt lgkmcnt(0)
	v_fma_f64 v[38:39], -v[80:81], v[112:113], v[38:39]
	v_fma_f64 v[36:37], -v[80:81], v[114:115], v[36:37]
	ds_read2_b64 v[112:115], v102 offset0:34 offset1:35
	v_fma_f64 v[34:35], -v[80:81], v[116:117], v[34:35]
	v_fma_f64 v[32:33], -v[80:81], v[118:119], v[32:33]
	;; [unrolled: 1-line block ×3, first 2 shown]
	ds_read2_b64 v[116:119], v102 offset0:36 offset1:37
	v_fma_f64 v[28:29], -v[80:81], v[110:111], v[28:29]
	ds_read2_b64 v[108:111], v102 offset0:38 offset1:39
	s_waitcnt lgkmcnt(0)
	v_fma_f64 v[26:27], -v[80:81], v[112:113], v[26:27]
	v_fma_f64 v[22:23], -v[80:81], v[114:115], v[22:23]
	;; [unrolled: 1-line block ×3, first 2 shown]
	ds_read2_b64 v[112:115], v102 offset0:40 offset1:41
	v_fma_f64 v[20:21], -v[80:81], v[118:119], v[20:21]
	v_fma_f64 v[18:19], -v[80:81], v[108:109], v[18:19]
	;; [unrolled: 1-line block ×3, first 2 shown]
	ds_read2_b64 v[108:111], v102 offset0:42 offset1:43
	ds_read2_b64 v[116:119], v102 offset0:44 offset1:45
	s_waitcnt lgkmcnt(0)
	v_fma_f64 v[14:15], -v[80:81], v[112:113], v[14:15]
	v_fma_f64 v[12:13], -v[80:81], v[114:115], v[12:13]
	;; [unrolled: 1-line block ×7, first 2 shown]
.LBB92_131:
	s_or_b64 exec, exec, s[0:1]
	v_lshl_add_u32 v98, v103, 3, v102
	s_barrier
	ds_write_b64 v98, v[78:79]
	s_waitcnt lgkmcnt(0)
	s_barrier
	ds_read_b64 v[98:99], v102 offset:64
	s_cmp_lt_i32 s18, 10
	v_mov_b32_e32 v100, 8
	s_cbranch_scc1 .LBB92_134
; %bb.132:
	v_add_u32_e32 v107, 0x48, v102
	s_mov_b32 s0, 9
	v_mov_b32_e32 v100, 8
.LBB92_133:                             ; =>This Inner Loop Header: Depth=1
	ds_read_b64 v[108:109], v107
	v_mov_b32_e32 v110, s0
	s_add_i32 s0, s0, 1
	v_add_u32_e32 v107, 8, v107
	s_cmp_lg_u32 s18, s0
	s_waitcnt lgkmcnt(0)
	v_cmp_lt_f64_e64 vcc, |v[98:99]|, |v[108:109]|
	v_cndmask_b32_e32 v99, v99, v109, vcc
	v_cndmask_b32_e32 v98, v98, v108, vcc
	;; [unrolled: 1-line block ×3, first 2 shown]
	s_cbranch_scc1 .LBB92_133
.LBB92_134:
	s_waitcnt lgkmcnt(0)
	v_cmp_eq_f64_e32 vcc, 0, v[98:99]
	s_and_saveexec_b64 s[0:1], vcc
	s_xor_b64 s[0:1], exec, s[0:1]
; %bb.135:
	v_cmp_ne_u32_e32 vcc, 0, v106
	v_cndmask_b32_e32 v106, 9, v106, vcc
; %bb.136:
	s_andn2_saveexec_b64 s[0:1], s[0:1]
; %bb.137:
	v_div_scale_f64 v[108:109], s[2:3], v[98:99], v[98:99], 1.0
	v_rcp_f64_e32 v[110:111], v[108:109]
	v_div_scale_f64 v[112:113], vcc, 1.0, v[98:99], 1.0
	v_fma_f64 v[114:115], -v[108:109], v[110:111], 1.0
	v_fmac_f64_e32 v[110:111], v[110:111], v[114:115]
	v_fma_f64 v[114:115], -v[108:109], v[110:111], 1.0
	v_fmac_f64_e32 v[110:111], v[110:111], v[114:115]
	v_mul_f64 v[114:115], v[112:113], v[110:111]
	v_fma_f64 v[108:109], -v[108:109], v[114:115], v[112:113]
	v_div_fmas_f64 v[108:109], v[108:109], v[110:111], v[114:115]
	v_div_fixup_f64 v[98:99], v[108:109], v[98:99], 1.0
; %bb.138:
	s_or_b64 exec, exec, s[0:1]
	v_cmp_ne_u32_e32 vcc, v103, v100
	s_and_saveexec_b64 s[0:1], vcc
	s_xor_b64 s[0:1], exec, s[0:1]
	s_cbranch_execz .LBB92_144
; %bb.139:
	v_cmp_eq_u32_e32 vcc, 8, v103
	s_and_saveexec_b64 s[2:3], vcc
	s_cbranch_execz .LBB92_143
; %bb.140:
	v_cmp_ne_u32_e32 vcc, 8, v100
	s_xor_b64 s[14:15], s[6:7], -1
	s_and_b64 s[16:17], s[14:15], vcc
	s_and_saveexec_b64 s[14:15], s[16:17]
	s_cbranch_execz .LBB92_142
; %bb.141:
	v_ashrrev_i32_e32 v101, 31, v100
	v_lshlrev_b64 v[108:109], 2, v[100:101]
	v_add_co_u32_e32 v108, vcc, v4, v108
	v_addc_co_u32_e32 v109, vcc, v5, v109, vcc
	flat_load_dword v101, v[108:109]
	flat_load_dword v103, v[4:5] offset:32
	s_waitcnt vmcnt(0) lgkmcnt(0)
	flat_store_dword v[4:5], v101 offset:32
	flat_store_dword v[108:109], v103
.LBB92_142:
	s_or_b64 exec, exec, s[14:15]
	v_mov_b32_e32 v101, v100
	v_mov_b32_e32 v103, v100
.LBB92_143:
	s_or_b64 exec, exec, s[2:3]
.LBB92_144:
	s_andn2_saveexec_b64 s[0:1], s[0:1]
	s_cbranch_execz .LBB92_146
; %bb.145:
	v_mov_b32_e32 v103, 8
	ds_write2_b64 v102, v[76:77], v[74:75] offset0:9 offset1:10
	ds_write2_b64 v102, v[70:71], v[72:73] offset0:11 offset1:12
	;; [unrolled: 1-line block ×19, first 2 shown]
.LBB92_146:
	s_or_b64 exec, exec, s[0:1]
	v_cmp_lt_i32_e32 vcc, 8, v103
	s_waitcnt lgkmcnt(0)
	s_barrier
	s_and_saveexec_b64 s[0:1], vcc
	s_cbranch_execz .LBB92_148
; %bb.147:
	ds_read2_b64 v[108:111], v102 offset0:9 offset1:10
	ds_read2_b64 v[112:115], v102 offset0:11 offset1:12
	v_mul_f64 v[78:79], v[98:99], v[78:79]
	ds_read2_b64 v[116:119], v102 offset0:13 offset1:14
	s_waitcnt lgkmcnt(0)
	v_fma_f64 v[76:77], -v[78:79], v[108:109], v[76:77]
	v_fma_f64 v[74:75], -v[78:79], v[110:111], v[74:75]
	ds_read2_b64 v[108:111], v102 offset0:15 offset1:16
	v_fma_f64 v[70:71], -v[78:79], v[112:113], v[70:71]
	v_fma_f64 v[72:73], -v[78:79], v[114:115], v[72:73]
	;; [unrolled: 1-line block ×3, first 2 shown]
	ds_read2_b64 v[112:115], v102 offset0:17 offset1:18
	v_fma_f64 v[66:67], -v[78:79], v[118:119], v[66:67]
	ds_read2_b64 v[116:119], v102 offset0:19 offset1:20
	s_waitcnt lgkmcnt(0)
	v_fma_f64 v[64:65], -v[78:79], v[108:109], v[64:65]
	v_fma_f64 v[62:63], -v[78:79], v[110:111], v[62:63]
	ds_read2_b64 v[108:111], v102 offset0:21 offset1:22
	v_fma_f64 v[60:61], -v[78:79], v[112:113], v[60:61]
	v_fma_f64 v[58:59], -v[78:79], v[114:115], v[58:59]
	ds_read2_b64 v[112:115], v102 offset0:23 offset1:24
	v_fma_f64 v[56:57], -v[78:79], v[116:117], v[56:57]
	v_fma_f64 v[54:55], -v[78:79], v[118:119], v[54:55]
	s_waitcnt lgkmcnt(0)
	v_fma_f64 v[52:53], -v[78:79], v[108:109], v[52:53]
	ds_read2_b64 v[116:119], v102 offset0:25 offset1:26
	v_fma_f64 v[50:51], -v[78:79], v[110:111], v[50:51]
	ds_read2_b64 v[108:111], v102 offset0:27 offset1:28
	v_fma_f64 v[46:47], -v[78:79], v[112:113], v[46:47]
	v_fma_f64 v[48:49], -v[78:79], v[114:115], v[48:49]
	s_waitcnt lgkmcnt(0)
	v_fma_f64 v[44:45], -v[78:79], v[116:117], v[44:45]
	ds_read2_b64 v[112:115], v102 offset0:29 offset1:30
	v_fma_f64 v[42:43], -v[78:79], v[118:119], v[42:43]
	ds_read2_b64 v[116:119], v102 offset0:31 offset1:32
	v_fma_f64 v[40:41], -v[78:79], v[108:109], v[40:41]
	v_fma_f64 v[38:39], -v[78:79], v[110:111], v[38:39]
	ds_read2_b64 v[108:111], v102 offset0:33 offset1:34
	s_waitcnt lgkmcnt(0)
	v_fma_f64 v[36:37], -v[78:79], v[112:113], v[36:37]
	v_fma_f64 v[34:35], -v[78:79], v[114:115], v[34:35]
	ds_read2_b64 v[112:115], v102 offset0:35 offset1:36
	v_fma_f64 v[32:33], -v[78:79], v[116:117], v[32:33]
	v_fma_f64 v[30:31], -v[78:79], v[118:119], v[30:31]
	;; [unrolled: 1-line block ×3, first 2 shown]
	ds_read2_b64 v[116:119], v102 offset0:37 offset1:38
	v_fma_f64 v[26:27], -v[78:79], v[110:111], v[26:27]
	ds_read2_b64 v[108:111], v102 offset0:39 offset1:40
	s_waitcnt lgkmcnt(0)
	v_fma_f64 v[22:23], -v[78:79], v[112:113], v[22:23]
	v_fma_f64 v[24:25], -v[78:79], v[114:115], v[24:25]
	;; [unrolled: 1-line block ×4, first 2 shown]
	ds_read2_b64 v[112:115], v102 offset0:41 offset1:42
	ds_read2_b64 v[116:119], v102 offset0:43 offset1:44
	v_fma_f64 v[16:17], -v[78:79], v[108:109], v[16:17]
	v_fma_f64 v[14:15], -v[78:79], v[110:111], v[14:15]
	ds_read2_b64 v[108:111], v102 offset0:45 offset1:46
	s_waitcnt lgkmcnt(0)
	v_fma_f64 v[12:13], -v[78:79], v[112:113], v[12:13]
	v_fma_f64 v[10:11], -v[78:79], v[114:115], v[10:11]
	;; [unrolled: 1-line block ×6, first 2 shown]
.LBB92_148:
	s_or_b64 exec, exec, s[0:1]
	v_lshl_add_u32 v98, v103, 3, v102
	s_barrier
	ds_write_b64 v98, v[76:77]
	s_waitcnt lgkmcnt(0)
	s_barrier
	ds_read_b64 v[98:99], v102 offset:72
	s_cmp_lt_i32 s18, 11
	v_mov_b32_e32 v100, 9
	s_cbranch_scc1 .LBB92_151
; %bb.149:
	v_add_u32_e32 v107, 0x50, v102
	s_mov_b32 s0, 10
	v_mov_b32_e32 v100, 9
.LBB92_150:                             ; =>This Inner Loop Header: Depth=1
	ds_read_b64 v[108:109], v107
	v_mov_b32_e32 v110, s0
	s_add_i32 s0, s0, 1
	v_add_u32_e32 v107, 8, v107
	s_cmp_lg_u32 s18, s0
	s_waitcnt lgkmcnt(0)
	v_cmp_lt_f64_e64 vcc, |v[98:99]|, |v[108:109]|
	v_cndmask_b32_e32 v99, v99, v109, vcc
	v_cndmask_b32_e32 v98, v98, v108, vcc
	;; [unrolled: 1-line block ×3, first 2 shown]
	s_cbranch_scc1 .LBB92_150
.LBB92_151:
	s_waitcnt lgkmcnt(0)
	v_cmp_eq_f64_e32 vcc, 0, v[98:99]
	s_and_saveexec_b64 s[0:1], vcc
	s_xor_b64 s[0:1], exec, s[0:1]
; %bb.152:
	v_cmp_ne_u32_e32 vcc, 0, v106
	v_cndmask_b32_e32 v106, 10, v106, vcc
; %bb.153:
	s_andn2_saveexec_b64 s[0:1], s[0:1]
; %bb.154:
	v_div_scale_f64 v[108:109], s[2:3], v[98:99], v[98:99], 1.0
	v_rcp_f64_e32 v[110:111], v[108:109]
	v_div_scale_f64 v[112:113], vcc, 1.0, v[98:99], 1.0
	v_fma_f64 v[114:115], -v[108:109], v[110:111], 1.0
	v_fmac_f64_e32 v[110:111], v[110:111], v[114:115]
	v_fma_f64 v[114:115], -v[108:109], v[110:111], 1.0
	v_fmac_f64_e32 v[110:111], v[110:111], v[114:115]
	v_mul_f64 v[114:115], v[112:113], v[110:111]
	v_fma_f64 v[108:109], -v[108:109], v[114:115], v[112:113]
	v_div_fmas_f64 v[108:109], v[108:109], v[110:111], v[114:115]
	v_div_fixup_f64 v[98:99], v[108:109], v[98:99], 1.0
; %bb.155:
	s_or_b64 exec, exec, s[0:1]
	v_cmp_ne_u32_e32 vcc, v103, v100
	s_and_saveexec_b64 s[0:1], vcc
	s_xor_b64 s[0:1], exec, s[0:1]
	s_cbranch_execz .LBB92_161
; %bb.156:
	v_cmp_eq_u32_e32 vcc, 9, v103
	s_and_saveexec_b64 s[2:3], vcc
	s_cbranch_execz .LBB92_160
; %bb.157:
	v_cmp_ne_u32_e32 vcc, 9, v100
	s_xor_b64 s[14:15], s[6:7], -1
	s_and_b64 s[16:17], s[14:15], vcc
	s_and_saveexec_b64 s[14:15], s[16:17]
	s_cbranch_execz .LBB92_159
; %bb.158:
	v_ashrrev_i32_e32 v101, 31, v100
	v_lshlrev_b64 v[108:109], 2, v[100:101]
	v_add_co_u32_e32 v108, vcc, v4, v108
	v_addc_co_u32_e32 v109, vcc, v5, v109, vcc
	flat_load_dword v101, v[108:109]
	flat_load_dword v103, v[4:5] offset:36
	s_waitcnt vmcnt(0) lgkmcnt(0)
	flat_store_dword v[4:5], v101 offset:36
	flat_store_dword v[108:109], v103
.LBB92_159:
	s_or_b64 exec, exec, s[14:15]
	v_mov_b32_e32 v101, v100
	v_mov_b32_e32 v103, v100
.LBB92_160:
	s_or_b64 exec, exec, s[2:3]
.LBB92_161:
	s_andn2_saveexec_b64 s[0:1], s[0:1]
	s_cbranch_execz .LBB92_163
; %bb.162:
	v_mov_b32_e32 v108, v74
	v_mov_b32_e32 v109, v75
	v_mov_b32_e32 v110, v70
	v_mov_b32_e32 v111, v71
	ds_write2_b64 v102, v[108:109], v[110:111] offset0:10 offset1:11
	v_mov_b32_e32 v108, v72
	v_mov_b32_e32 v109, v73
	v_mov_b32_e32 v110, v68
	v_mov_b32_e32 v111, v69
	ds_write2_b64 v102, v[108:109], v[110:111] offset0:12 offset1:13
	v_mov_b32_e32 v108, v66
	v_mov_b32_e32 v109, v67
	v_mov_b32_e32 v110, v64
	v_mov_b32_e32 v111, v65
	ds_write2_b64 v102, v[108:109], v[110:111] offset0:14 offset1:15
	v_mov_b32_e32 v108, v62
	v_mov_b32_e32 v109, v63
	v_mov_b32_e32 v110, v60
	v_mov_b32_e32 v111, v61
	ds_write2_b64 v102, v[108:109], v[110:111] offset0:16 offset1:17
	v_mov_b32_e32 v108, v58
	v_mov_b32_e32 v109, v59
	v_mov_b32_e32 v110, v56
	v_mov_b32_e32 v111, v57
	ds_write2_b64 v102, v[108:109], v[110:111] offset0:18 offset1:19
	v_mov_b32_e32 v108, v54
	v_mov_b32_e32 v109, v55
	v_mov_b32_e32 v110, v52
	v_mov_b32_e32 v111, v53
	ds_write2_b64 v102, v[108:109], v[110:111] offset0:20 offset1:21
	v_mov_b32_e32 v108, v50
	v_mov_b32_e32 v109, v51
	v_mov_b32_e32 v110, v46
	v_mov_b32_e32 v111, v47
	ds_write2_b64 v102, v[108:109], v[110:111] offset0:22 offset1:23
	v_mov_b32_e32 v108, v48
	v_mov_b32_e32 v109, v49
	v_mov_b32_e32 v110, v44
	v_mov_b32_e32 v111, v45
	ds_write2_b64 v102, v[108:109], v[110:111] offset0:24 offset1:25
	v_mov_b32_e32 v108, v42
	v_mov_b32_e32 v109, v43
	v_mov_b32_e32 v110, v40
	v_mov_b32_e32 v111, v41
	ds_write2_b64 v102, v[108:109], v[110:111] offset0:26 offset1:27
	v_mov_b32_e32 v108, v38
	v_mov_b32_e32 v109, v39
	v_mov_b32_e32 v110, v36
	v_mov_b32_e32 v111, v37
	ds_write2_b64 v102, v[108:109], v[110:111] offset0:28 offset1:29
	v_mov_b32_e32 v108, v34
	v_mov_b32_e32 v109, v35
	v_mov_b32_e32 v110, v32
	v_mov_b32_e32 v111, v33
	ds_write2_b64 v102, v[108:109], v[110:111] offset0:30 offset1:31
	v_mov_b32_e32 v108, v30
	v_mov_b32_e32 v109, v31
	v_mov_b32_e32 v110, v28
	v_mov_b32_e32 v111, v29
	ds_write2_b64 v102, v[108:109], v[110:111] offset0:32 offset1:33
	v_mov_b32_e32 v108, v26
	v_mov_b32_e32 v109, v27
	v_mov_b32_e32 v110, v22
	v_mov_b32_e32 v111, v23
	ds_write2_b64 v102, v[108:109], v[110:111] offset0:34 offset1:35
	v_mov_b32_e32 v108, v24
	v_mov_b32_e32 v109, v25
	v_mov_b32_e32 v110, v20
	v_mov_b32_e32 v111, v21
	ds_write2_b64 v102, v[108:109], v[110:111] offset0:36 offset1:37
	v_mov_b32_e32 v108, v18
	v_mov_b32_e32 v109, v19
	v_mov_b32_e32 v110, v16
	v_mov_b32_e32 v111, v17
	ds_write2_b64 v102, v[108:109], v[110:111] offset0:38 offset1:39
	v_mov_b32_e32 v108, v14
	v_mov_b32_e32 v109, v15
	v_mov_b32_e32 v110, v12
	v_mov_b32_e32 v111, v13
	ds_write2_b64 v102, v[108:109], v[110:111] offset0:40 offset1:41
	v_mov_b32_e32 v108, v10
	v_mov_b32_e32 v109, v11
	v_mov_b32_e32 v110, v8
	v_mov_b32_e32 v111, v9
	ds_write2_b64 v102, v[108:109], v[110:111] offset0:42 offset1:43
	v_mov_b32_e32 v108, v6
	v_mov_b32_e32 v109, v7
	v_mov_b32_e32 v110, v0
	v_mov_b32_e32 v111, v1
	v_mov_b32_e32 v103, 9
	ds_write2_b64 v102, v[108:109], v[110:111] offset0:44 offset1:45
	ds_write_b64 v102, v[96:97] offset:368
.LBB92_163:
	s_or_b64 exec, exec, s[0:1]
	v_cmp_lt_i32_e32 vcc, 9, v103
	s_waitcnt lgkmcnt(0)
	s_barrier
	s_and_saveexec_b64 s[0:1], vcc
	s_cbranch_execz .LBB92_165
; %bb.164:
	ds_read2_b64 v[108:111], v102 offset0:10 offset1:11
	ds_read2_b64 v[112:115], v102 offset0:12 offset1:13
	;; [unrolled: 1-line block ×3, first 2 shown]
	v_mul_f64 v[76:77], v[98:99], v[76:77]
	ds_read_b64 v[98:99], v102 offset:368
	s_waitcnt lgkmcnt(0)
	v_fma_f64 v[74:75], -v[76:77], v[108:109], v[74:75]
	v_fma_f64 v[70:71], -v[76:77], v[110:111], v[70:71]
	ds_read2_b64 v[108:111], v102 offset0:16 offset1:17
	v_fma_f64 v[72:73], -v[76:77], v[112:113], v[72:73]
	v_fma_f64 v[68:69], -v[76:77], v[114:115], v[68:69]
	;; [unrolled: 1-line block ×3, first 2 shown]
	ds_read2_b64 v[112:115], v102 offset0:18 offset1:19
	v_fma_f64 v[64:65], -v[76:77], v[118:119], v[64:65]
	ds_read2_b64 v[116:119], v102 offset0:20 offset1:21
	s_waitcnt lgkmcnt(0)
	v_fma_f64 v[62:63], -v[76:77], v[108:109], v[62:63]
	v_fma_f64 v[60:61], -v[76:77], v[110:111], v[60:61]
	;; [unrolled: 1-line block ×3, first 2 shown]
	ds_read2_b64 v[108:111], v102 offset0:22 offset1:23
	v_fma_f64 v[56:57], -v[76:77], v[114:115], v[56:57]
	ds_read2_b64 v[112:115], v102 offset0:24 offset1:25
	v_fma_f64 v[54:55], -v[76:77], v[116:117], v[54:55]
	v_fma_f64 v[52:53], -v[76:77], v[118:119], v[52:53]
	ds_read2_b64 v[116:119], v102 offset0:26 offset1:27
	s_waitcnt lgkmcnt(0)
	v_fma_f64 v[50:51], -v[76:77], v[108:109], v[50:51]
	v_fma_f64 v[46:47], -v[76:77], v[110:111], v[46:47]
	ds_read2_b64 v[108:111], v102 offset0:28 offset1:29
	v_fma_f64 v[48:49], -v[76:77], v[112:113], v[48:49]
	v_fma_f64 v[44:45], -v[76:77], v[114:115], v[44:45]
	;; [unrolled: 1-line block ×3, first 2 shown]
	ds_read2_b64 v[112:115], v102 offset0:30 offset1:31
	v_fma_f64 v[40:41], -v[76:77], v[118:119], v[40:41]
	ds_read2_b64 v[116:119], v102 offset0:32 offset1:33
	s_waitcnt lgkmcnt(0)
	v_fma_f64 v[38:39], -v[76:77], v[108:109], v[38:39]
	v_fma_f64 v[36:37], -v[76:77], v[110:111], v[36:37]
	;; [unrolled: 1-line block ×3, first 2 shown]
	ds_read2_b64 v[108:111], v102 offset0:34 offset1:35
	v_fma_f64 v[32:33], -v[76:77], v[114:115], v[32:33]
	ds_read2_b64 v[112:115], v102 offset0:36 offset1:37
	v_fma_f64 v[30:31], -v[76:77], v[116:117], v[30:31]
	v_fma_f64 v[28:29], -v[76:77], v[118:119], v[28:29]
	ds_read2_b64 v[116:119], v102 offset0:38 offset1:39
	s_waitcnt lgkmcnt(0)
	v_fma_f64 v[26:27], -v[76:77], v[108:109], v[26:27]
	v_fma_f64 v[22:23], -v[76:77], v[110:111], v[22:23]
	ds_read2_b64 v[108:111], v102 offset0:40 offset1:41
	v_fma_f64 v[24:25], -v[76:77], v[112:113], v[24:25]
	v_fma_f64 v[20:21], -v[76:77], v[114:115], v[20:21]
	;; [unrolled: 1-line block ×4, first 2 shown]
	ds_read2_b64 v[112:115], v102 offset0:42 offset1:43
	ds_read2_b64 v[116:119], v102 offset0:44 offset1:45
	s_waitcnt lgkmcnt(0)
	v_fma_f64 v[14:15], -v[76:77], v[108:109], v[14:15]
	v_fma_f64 v[12:13], -v[76:77], v[110:111], v[12:13]
	;; [unrolled: 1-line block ×7, first 2 shown]
.LBB92_165:
	s_or_b64 exec, exec, s[0:1]
	v_lshl_add_u32 v98, v103, 3, v102
	s_barrier
	ds_write_b64 v98, v[74:75]
	s_waitcnt lgkmcnt(0)
	s_barrier
	ds_read_b64 v[98:99], v102 offset:80
	s_cmp_lt_i32 s18, 12
	v_mov_b32_e32 v100, 10
	s_cbranch_scc1 .LBB92_168
; %bb.166:
	v_add_u32_e32 v107, 0x58, v102
	s_mov_b32 s0, 11
	v_mov_b32_e32 v100, 10
.LBB92_167:                             ; =>This Inner Loop Header: Depth=1
	ds_read_b64 v[108:109], v107
	v_mov_b32_e32 v110, s0
	s_add_i32 s0, s0, 1
	v_add_u32_e32 v107, 8, v107
	s_cmp_lg_u32 s18, s0
	s_waitcnt lgkmcnt(0)
	v_cmp_lt_f64_e64 vcc, |v[98:99]|, |v[108:109]|
	v_cndmask_b32_e32 v99, v99, v109, vcc
	v_cndmask_b32_e32 v98, v98, v108, vcc
	;; [unrolled: 1-line block ×3, first 2 shown]
	s_cbranch_scc1 .LBB92_167
.LBB92_168:
	s_waitcnt lgkmcnt(0)
	v_cmp_eq_f64_e32 vcc, 0, v[98:99]
	s_and_saveexec_b64 s[0:1], vcc
	s_xor_b64 s[0:1], exec, s[0:1]
; %bb.169:
	v_cmp_ne_u32_e32 vcc, 0, v106
	v_cndmask_b32_e32 v106, 11, v106, vcc
; %bb.170:
	s_andn2_saveexec_b64 s[0:1], s[0:1]
; %bb.171:
	v_div_scale_f64 v[108:109], s[2:3], v[98:99], v[98:99], 1.0
	v_rcp_f64_e32 v[110:111], v[108:109]
	v_div_scale_f64 v[112:113], vcc, 1.0, v[98:99], 1.0
	v_fma_f64 v[114:115], -v[108:109], v[110:111], 1.0
	v_fmac_f64_e32 v[110:111], v[110:111], v[114:115]
	v_fma_f64 v[114:115], -v[108:109], v[110:111], 1.0
	v_fmac_f64_e32 v[110:111], v[110:111], v[114:115]
	v_mul_f64 v[114:115], v[112:113], v[110:111]
	v_fma_f64 v[108:109], -v[108:109], v[114:115], v[112:113]
	v_div_fmas_f64 v[108:109], v[108:109], v[110:111], v[114:115]
	v_div_fixup_f64 v[98:99], v[108:109], v[98:99], 1.0
; %bb.172:
	s_or_b64 exec, exec, s[0:1]
	v_cmp_ne_u32_e32 vcc, v103, v100
	s_and_saveexec_b64 s[0:1], vcc
	s_xor_b64 s[0:1], exec, s[0:1]
	s_cbranch_execz .LBB92_178
; %bb.173:
	v_cmp_eq_u32_e32 vcc, 10, v103
	s_and_saveexec_b64 s[2:3], vcc
	s_cbranch_execz .LBB92_177
; %bb.174:
	v_cmp_ne_u32_e32 vcc, 10, v100
	s_xor_b64 s[14:15], s[6:7], -1
	s_and_b64 s[16:17], s[14:15], vcc
	s_and_saveexec_b64 s[14:15], s[16:17]
	s_cbranch_execz .LBB92_176
; %bb.175:
	v_ashrrev_i32_e32 v101, 31, v100
	v_lshlrev_b64 v[108:109], 2, v[100:101]
	v_add_co_u32_e32 v108, vcc, v4, v108
	v_addc_co_u32_e32 v109, vcc, v5, v109, vcc
	flat_load_dword v101, v[108:109]
	flat_load_dword v103, v[4:5] offset:40
	s_waitcnt vmcnt(0) lgkmcnt(0)
	flat_store_dword v[4:5], v101 offset:40
	flat_store_dword v[108:109], v103
.LBB92_176:
	s_or_b64 exec, exec, s[14:15]
	v_mov_b32_e32 v101, v100
	v_mov_b32_e32 v103, v100
.LBB92_177:
	s_or_b64 exec, exec, s[2:3]
.LBB92_178:
	s_andn2_saveexec_b64 s[0:1], s[0:1]
	s_cbranch_execz .LBB92_180
; %bb.179:
	v_mov_b32_e32 v103, 10
	ds_write2_b64 v102, v[70:71], v[72:73] offset0:11 offset1:12
	ds_write2_b64 v102, v[68:69], v[66:67] offset0:13 offset1:14
	;; [unrolled: 1-line block ×18, first 2 shown]
.LBB92_180:
	s_or_b64 exec, exec, s[0:1]
	v_cmp_lt_i32_e32 vcc, 10, v103
	s_waitcnt lgkmcnt(0)
	s_barrier
	s_and_saveexec_b64 s[0:1], vcc
	s_cbranch_execz .LBB92_182
; %bb.181:
	ds_read2_b64 v[108:111], v102 offset0:11 offset1:12
	ds_read2_b64 v[112:115], v102 offset0:13 offset1:14
	;; [unrolled: 1-line block ×3, first 2 shown]
	v_mul_f64 v[74:75], v[98:99], v[74:75]
	s_waitcnt lgkmcnt(0)
	v_fma_f64 v[70:71], -v[74:75], v[108:109], v[70:71]
	v_fma_f64 v[72:73], -v[74:75], v[110:111], v[72:73]
	ds_read2_b64 v[108:111], v102 offset0:17 offset1:18
	v_fma_f64 v[68:69], -v[74:75], v[112:113], v[68:69]
	v_fma_f64 v[66:67], -v[74:75], v[114:115], v[66:67]
	;; [unrolled: 1-line block ×3, first 2 shown]
	ds_read2_b64 v[112:115], v102 offset0:19 offset1:20
	v_fma_f64 v[62:63], -v[74:75], v[118:119], v[62:63]
	ds_read2_b64 v[116:119], v102 offset0:21 offset1:22
	s_waitcnt lgkmcnt(0)
	v_fma_f64 v[60:61], -v[74:75], v[108:109], v[60:61]
	v_fma_f64 v[58:59], -v[74:75], v[110:111], v[58:59]
	;; [unrolled: 1-line block ×3, first 2 shown]
	ds_read2_b64 v[108:111], v102 offset0:23 offset1:24
	v_fma_f64 v[54:55], -v[74:75], v[114:115], v[54:55]
	ds_read2_b64 v[112:115], v102 offset0:25 offset1:26
	v_fma_f64 v[52:53], -v[74:75], v[116:117], v[52:53]
	v_fma_f64 v[50:51], -v[74:75], v[118:119], v[50:51]
	ds_read2_b64 v[116:119], v102 offset0:27 offset1:28
	s_waitcnt lgkmcnt(0)
	v_fma_f64 v[46:47], -v[74:75], v[108:109], v[46:47]
	v_fma_f64 v[48:49], -v[74:75], v[110:111], v[48:49]
	ds_read2_b64 v[108:111], v102 offset0:29 offset1:30
	v_fma_f64 v[44:45], -v[74:75], v[112:113], v[44:45]
	v_fma_f64 v[42:43], -v[74:75], v[114:115], v[42:43]
	;; [unrolled: 1-line block ×3, first 2 shown]
	ds_read2_b64 v[112:115], v102 offset0:31 offset1:32
	v_fma_f64 v[38:39], -v[74:75], v[118:119], v[38:39]
	ds_read2_b64 v[116:119], v102 offset0:33 offset1:34
	s_waitcnt lgkmcnt(0)
	v_fma_f64 v[36:37], -v[74:75], v[108:109], v[36:37]
	v_fma_f64 v[34:35], -v[74:75], v[110:111], v[34:35]
	;; [unrolled: 1-line block ×3, first 2 shown]
	ds_read2_b64 v[108:111], v102 offset0:35 offset1:36
	v_fma_f64 v[30:31], -v[74:75], v[114:115], v[30:31]
	ds_read2_b64 v[112:115], v102 offset0:37 offset1:38
	v_fma_f64 v[28:29], -v[74:75], v[116:117], v[28:29]
	v_fma_f64 v[26:27], -v[74:75], v[118:119], v[26:27]
	ds_read2_b64 v[116:119], v102 offset0:39 offset1:40
	s_waitcnt lgkmcnt(0)
	v_fma_f64 v[22:23], -v[74:75], v[108:109], v[22:23]
	v_fma_f64 v[24:25], -v[74:75], v[110:111], v[24:25]
	ds_read2_b64 v[108:111], v102 offset0:41 offset1:42
	v_fma_f64 v[20:21], -v[74:75], v[112:113], v[20:21]
	v_fma_f64 v[18:19], -v[74:75], v[114:115], v[18:19]
	v_fma_f64 v[16:17], -v[74:75], v[116:117], v[16:17]
	ds_read2_b64 v[112:115], v102 offset0:43 offset1:44
	v_fma_f64 v[14:15], -v[74:75], v[118:119], v[14:15]
	ds_read2_b64 v[116:119], v102 offset0:45 offset1:46
	s_waitcnt lgkmcnt(0)
	v_fma_f64 v[12:13], -v[74:75], v[108:109], v[12:13]
	v_fma_f64 v[10:11], -v[74:75], v[110:111], v[10:11]
	;; [unrolled: 1-line block ×6, first 2 shown]
.LBB92_182:
	s_or_b64 exec, exec, s[0:1]
	v_lshl_add_u32 v98, v103, 3, v102
	s_barrier
	ds_write_b64 v98, v[70:71]
	s_waitcnt lgkmcnt(0)
	s_barrier
	ds_read_b64 v[98:99], v102 offset:88
	s_cmp_lt_i32 s18, 13
	v_mov_b32_e32 v100, 11
	s_cbranch_scc1 .LBB92_185
; %bb.183:
	v_add_u32_e32 v107, 0x60, v102
	s_mov_b32 s0, 12
	v_mov_b32_e32 v100, 11
.LBB92_184:                             ; =>This Inner Loop Header: Depth=1
	ds_read_b64 v[108:109], v107
	v_mov_b32_e32 v110, s0
	s_add_i32 s0, s0, 1
	v_add_u32_e32 v107, 8, v107
	s_cmp_lg_u32 s18, s0
	s_waitcnt lgkmcnt(0)
	v_cmp_lt_f64_e64 vcc, |v[98:99]|, |v[108:109]|
	v_cndmask_b32_e32 v99, v99, v109, vcc
	v_cndmask_b32_e32 v98, v98, v108, vcc
	;; [unrolled: 1-line block ×3, first 2 shown]
	s_cbranch_scc1 .LBB92_184
.LBB92_185:
	s_waitcnt lgkmcnt(0)
	v_cmp_eq_f64_e32 vcc, 0, v[98:99]
	s_and_saveexec_b64 s[0:1], vcc
	s_xor_b64 s[0:1], exec, s[0:1]
; %bb.186:
	v_cmp_ne_u32_e32 vcc, 0, v106
	v_cndmask_b32_e32 v106, 12, v106, vcc
; %bb.187:
	s_andn2_saveexec_b64 s[0:1], s[0:1]
; %bb.188:
	v_div_scale_f64 v[108:109], s[2:3], v[98:99], v[98:99], 1.0
	v_rcp_f64_e32 v[110:111], v[108:109]
	v_div_scale_f64 v[112:113], vcc, 1.0, v[98:99], 1.0
	v_fma_f64 v[114:115], -v[108:109], v[110:111], 1.0
	v_fmac_f64_e32 v[110:111], v[110:111], v[114:115]
	v_fma_f64 v[114:115], -v[108:109], v[110:111], 1.0
	v_fmac_f64_e32 v[110:111], v[110:111], v[114:115]
	v_mul_f64 v[114:115], v[112:113], v[110:111]
	v_fma_f64 v[108:109], -v[108:109], v[114:115], v[112:113]
	v_div_fmas_f64 v[108:109], v[108:109], v[110:111], v[114:115]
	v_div_fixup_f64 v[98:99], v[108:109], v[98:99], 1.0
; %bb.189:
	s_or_b64 exec, exec, s[0:1]
	v_cmp_ne_u32_e32 vcc, v103, v100
	s_and_saveexec_b64 s[0:1], vcc
	s_xor_b64 s[0:1], exec, s[0:1]
	s_cbranch_execz .LBB92_195
; %bb.190:
	v_cmp_eq_u32_e32 vcc, 11, v103
	s_and_saveexec_b64 s[2:3], vcc
	s_cbranch_execz .LBB92_194
; %bb.191:
	v_cmp_ne_u32_e32 vcc, 11, v100
	s_xor_b64 s[14:15], s[6:7], -1
	s_and_b64 s[16:17], s[14:15], vcc
	s_and_saveexec_b64 s[14:15], s[16:17]
	s_cbranch_execz .LBB92_193
; %bb.192:
	v_ashrrev_i32_e32 v101, 31, v100
	v_lshlrev_b64 v[108:109], 2, v[100:101]
	v_add_co_u32_e32 v108, vcc, v4, v108
	v_addc_co_u32_e32 v109, vcc, v5, v109, vcc
	flat_load_dword v101, v[108:109]
	flat_load_dword v103, v[4:5] offset:44
	s_waitcnt vmcnt(0) lgkmcnt(0)
	flat_store_dword v[4:5], v101 offset:44
	flat_store_dword v[108:109], v103
.LBB92_193:
	s_or_b64 exec, exec, s[14:15]
	v_mov_b32_e32 v101, v100
	v_mov_b32_e32 v103, v100
.LBB92_194:
	s_or_b64 exec, exec, s[2:3]
.LBB92_195:
	s_andn2_saveexec_b64 s[0:1], s[0:1]
	s_cbranch_execz .LBB92_197
; %bb.196:
	v_mov_b32_e32 v108, v72
	v_mov_b32_e32 v109, v73
	v_mov_b32_e32 v110, v68
	v_mov_b32_e32 v111, v69
	ds_write2_b64 v102, v[108:109], v[110:111] offset0:12 offset1:13
	v_mov_b32_e32 v108, v66
	v_mov_b32_e32 v109, v67
	v_mov_b32_e32 v110, v64
	v_mov_b32_e32 v111, v65
	ds_write2_b64 v102, v[108:109], v[110:111] offset0:14 offset1:15
	;; [unrolled: 5-line block ×16, first 2 shown]
	v_mov_b32_e32 v108, v6
	v_mov_b32_e32 v109, v7
	;; [unrolled: 1-line block ×5, first 2 shown]
	ds_write2_b64 v102, v[108:109], v[110:111] offset0:44 offset1:45
	ds_write_b64 v102, v[96:97] offset:368
.LBB92_197:
	s_or_b64 exec, exec, s[0:1]
	v_cmp_lt_i32_e32 vcc, 11, v103
	s_waitcnt lgkmcnt(0)
	s_barrier
	s_and_saveexec_b64 s[0:1], vcc
	s_cbranch_execz .LBB92_199
; %bb.198:
	ds_read2_b64 v[108:111], v102 offset0:12 offset1:13
	ds_read2_b64 v[112:115], v102 offset0:14 offset1:15
	v_mul_f64 v[70:71], v[98:99], v[70:71]
	ds_read2_b64 v[116:119], v102 offset0:16 offset1:17
	ds_read_b64 v[98:99], v102 offset:368
	s_waitcnt lgkmcnt(0)
	v_fma_f64 v[72:73], -v[70:71], v[108:109], v[72:73]
	v_fma_f64 v[68:69], -v[70:71], v[110:111], v[68:69]
	ds_read2_b64 v[108:111], v102 offset0:18 offset1:19
	v_fma_f64 v[66:67], -v[70:71], v[112:113], v[66:67]
	v_fma_f64 v[64:65], -v[70:71], v[114:115], v[64:65]
	ds_read2_b64 v[112:115], v102 offset0:20 offset1:21
	;; [unrolled: 3-line block ×3, first 2 shown]
	s_waitcnt lgkmcnt(0)
	v_fma_f64 v[58:59], -v[70:71], v[108:109], v[58:59]
	v_fma_f64 v[56:57], -v[70:71], v[110:111], v[56:57]
	v_fma_f64 v[54:55], -v[70:71], v[112:113], v[54:55]
	ds_read2_b64 v[108:111], v102 offset0:24 offset1:25
	v_fma_f64 v[52:53], -v[70:71], v[114:115], v[52:53]
	ds_read2_b64 v[112:115], v102 offset0:26 offset1:27
	v_fma_f64 v[50:51], -v[70:71], v[116:117], v[50:51]
	v_fma_f64 v[46:47], -v[70:71], v[118:119], v[46:47]
	s_waitcnt lgkmcnt(0)
	v_fma_f64 v[48:49], -v[70:71], v[108:109], v[48:49]
	ds_read2_b64 v[116:119], v102 offset0:28 offset1:29
	v_fma_f64 v[44:45], -v[70:71], v[110:111], v[44:45]
	ds_read2_b64 v[108:111], v102 offset0:30 offset1:31
	v_fma_f64 v[42:43], -v[70:71], v[112:113], v[42:43]
	v_fma_f64 v[40:41], -v[70:71], v[114:115], v[40:41]
	ds_read2_b64 v[112:115], v102 offset0:32 offset1:33
	s_waitcnt lgkmcnt(0)
	v_fma_f64 v[38:39], -v[70:71], v[116:117], v[38:39]
	v_fma_f64 v[36:37], -v[70:71], v[118:119], v[36:37]
	ds_read2_b64 v[116:119], v102 offset0:34 offset1:35
	v_fma_f64 v[34:35], -v[70:71], v[108:109], v[34:35]
	v_fma_f64 v[32:33], -v[70:71], v[110:111], v[32:33]
	v_fma_f64 v[30:31], -v[70:71], v[112:113], v[30:31]
	ds_read2_b64 v[108:111], v102 offset0:36 offset1:37
	v_fma_f64 v[28:29], -v[70:71], v[114:115], v[28:29]
	ds_read2_b64 v[112:115], v102 offset0:38 offset1:39
	s_waitcnt lgkmcnt(0)
	v_fma_f64 v[26:27], -v[70:71], v[116:117], v[26:27]
	v_fma_f64 v[22:23], -v[70:71], v[118:119], v[22:23]
	;; [unrolled: 1-line block ×3, first 2 shown]
	ds_read2_b64 v[116:119], v102 offset0:40 offset1:41
	v_fma_f64 v[20:21], -v[70:71], v[110:111], v[20:21]
	ds_read2_b64 v[108:111], v102 offset0:42 offset1:43
	v_fma_f64 v[18:19], -v[70:71], v[112:113], v[18:19]
	v_fma_f64 v[16:17], -v[70:71], v[114:115], v[16:17]
	ds_read2_b64 v[112:115], v102 offset0:44 offset1:45
	s_waitcnt lgkmcnt(0)
	v_fma_f64 v[14:15], -v[70:71], v[116:117], v[14:15]
	v_fma_f64 v[12:13], -v[70:71], v[118:119], v[12:13]
	;; [unrolled: 1-line block ×7, first 2 shown]
.LBB92_199:
	s_or_b64 exec, exec, s[0:1]
	v_lshl_add_u32 v98, v103, 3, v102
	s_barrier
	ds_write_b64 v98, v[72:73]
	s_waitcnt lgkmcnt(0)
	s_barrier
	ds_read_b64 v[98:99], v102 offset:96
	s_cmp_lt_i32 s18, 14
	v_mov_b32_e32 v100, 12
	s_cbranch_scc1 .LBB92_202
; %bb.200:
	v_add_u32_e32 v107, 0x68, v102
	s_mov_b32 s0, 13
	v_mov_b32_e32 v100, 12
.LBB92_201:                             ; =>This Inner Loop Header: Depth=1
	ds_read_b64 v[108:109], v107
	v_mov_b32_e32 v110, s0
	s_add_i32 s0, s0, 1
	v_add_u32_e32 v107, 8, v107
	s_cmp_lg_u32 s18, s0
	s_waitcnt lgkmcnt(0)
	v_cmp_lt_f64_e64 vcc, |v[98:99]|, |v[108:109]|
	v_cndmask_b32_e32 v99, v99, v109, vcc
	v_cndmask_b32_e32 v98, v98, v108, vcc
	v_cndmask_b32_e32 v100, v100, v110, vcc
	s_cbranch_scc1 .LBB92_201
.LBB92_202:
	s_waitcnt lgkmcnt(0)
	v_cmp_eq_f64_e32 vcc, 0, v[98:99]
	s_and_saveexec_b64 s[0:1], vcc
	s_xor_b64 s[0:1], exec, s[0:1]
; %bb.203:
	v_cmp_ne_u32_e32 vcc, 0, v106
	v_cndmask_b32_e32 v106, 13, v106, vcc
; %bb.204:
	s_andn2_saveexec_b64 s[0:1], s[0:1]
; %bb.205:
	v_div_scale_f64 v[108:109], s[2:3], v[98:99], v[98:99], 1.0
	v_rcp_f64_e32 v[110:111], v[108:109]
	v_div_scale_f64 v[112:113], vcc, 1.0, v[98:99], 1.0
	v_fma_f64 v[114:115], -v[108:109], v[110:111], 1.0
	v_fmac_f64_e32 v[110:111], v[110:111], v[114:115]
	v_fma_f64 v[114:115], -v[108:109], v[110:111], 1.0
	v_fmac_f64_e32 v[110:111], v[110:111], v[114:115]
	v_mul_f64 v[114:115], v[112:113], v[110:111]
	v_fma_f64 v[108:109], -v[108:109], v[114:115], v[112:113]
	v_div_fmas_f64 v[108:109], v[108:109], v[110:111], v[114:115]
	v_div_fixup_f64 v[98:99], v[108:109], v[98:99], 1.0
; %bb.206:
	s_or_b64 exec, exec, s[0:1]
	v_cmp_ne_u32_e32 vcc, v103, v100
	s_and_saveexec_b64 s[0:1], vcc
	s_xor_b64 s[0:1], exec, s[0:1]
	s_cbranch_execz .LBB92_212
; %bb.207:
	v_cmp_eq_u32_e32 vcc, 12, v103
	s_and_saveexec_b64 s[2:3], vcc
	s_cbranch_execz .LBB92_211
; %bb.208:
	v_cmp_ne_u32_e32 vcc, 12, v100
	s_xor_b64 s[14:15], s[6:7], -1
	s_and_b64 s[16:17], s[14:15], vcc
	s_and_saveexec_b64 s[14:15], s[16:17]
	s_cbranch_execz .LBB92_210
; %bb.209:
	v_ashrrev_i32_e32 v101, 31, v100
	v_lshlrev_b64 v[108:109], 2, v[100:101]
	v_add_co_u32_e32 v108, vcc, v4, v108
	v_addc_co_u32_e32 v109, vcc, v5, v109, vcc
	flat_load_dword v101, v[108:109]
	flat_load_dword v103, v[4:5] offset:48
	s_waitcnt vmcnt(0) lgkmcnt(0)
	flat_store_dword v[4:5], v101 offset:48
	flat_store_dword v[108:109], v103
.LBB92_210:
	s_or_b64 exec, exec, s[14:15]
	v_mov_b32_e32 v101, v100
	v_mov_b32_e32 v103, v100
.LBB92_211:
	s_or_b64 exec, exec, s[2:3]
.LBB92_212:
	s_andn2_saveexec_b64 s[0:1], s[0:1]
	s_cbranch_execz .LBB92_214
; %bb.213:
	v_mov_b32_e32 v103, 12
	ds_write2_b64 v102, v[68:69], v[66:67] offset0:13 offset1:14
	ds_write2_b64 v102, v[64:65], v[62:63] offset0:15 offset1:16
	;; [unrolled: 1-line block ×17, first 2 shown]
.LBB92_214:
	s_or_b64 exec, exec, s[0:1]
	v_cmp_lt_i32_e32 vcc, 12, v103
	s_waitcnt lgkmcnt(0)
	s_barrier
	s_and_saveexec_b64 s[0:1], vcc
	s_cbranch_execz .LBB92_216
; %bb.215:
	ds_read2_b64 v[108:111], v102 offset0:13 offset1:14
	ds_read2_b64 v[112:115], v102 offset0:15 offset1:16
	v_mul_f64 v[72:73], v[98:99], v[72:73]
	ds_read2_b64 v[116:119], v102 offset0:17 offset1:18
	s_waitcnt lgkmcnt(0)
	v_fma_f64 v[68:69], -v[72:73], v[108:109], v[68:69]
	v_fma_f64 v[66:67], -v[72:73], v[110:111], v[66:67]
	ds_read2_b64 v[108:111], v102 offset0:19 offset1:20
	v_fma_f64 v[64:65], -v[72:73], v[112:113], v[64:65]
	v_fma_f64 v[62:63], -v[72:73], v[114:115], v[62:63]
	ds_read2_b64 v[112:115], v102 offset0:21 offset1:22
	;; [unrolled: 3-line block ×3, first 2 shown]
	s_waitcnt lgkmcnt(0)
	v_fma_f64 v[56:57], -v[72:73], v[108:109], v[56:57]
	v_fma_f64 v[54:55], -v[72:73], v[110:111], v[54:55]
	;; [unrolled: 1-line block ×3, first 2 shown]
	ds_read2_b64 v[108:111], v102 offset0:25 offset1:26
	v_fma_f64 v[50:51], -v[72:73], v[114:115], v[50:51]
	ds_read2_b64 v[112:115], v102 offset0:27 offset1:28
	v_fma_f64 v[46:47], -v[72:73], v[116:117], v[46:47]
	v_fma_f64 v[48:49], -v[72:73], v[118:119], v[48:49]
	s_waitcnt lgkmcnt(0)
	v_fma_f64 v[44:45], -v[72:73], v[108:109], v[44:45]
	ds_read2_b64 v[116:119], v102 offset0:29 offset1:30
	v_fma_f64 v[42:43], -v[72:73], v[110:111], v[42:43]
	ds_read2_b64 v[108:111], v102 offset0:31 offset1:32
	v_fma_f64 v[40:41], -v[72:73], v[112:113], v[40:41]
	v_fma_f64 v[38:39], -v[72:73], v[114:115], v[38:39]
	ds_read2_b64 v[112:115], v102 offset0:33 offset1:34
	s_waitcnt lgkmcnt(0)
	v_fma_f64 v[36:37], -v[72:73], v[116:117], v[36:37]
	v_fma_f64 v[34:35], -v[72:73], v[118:119], v[34:35]
	ds_read2_b64 v[116:119], v102 offset0:35 offset1:36
	v_fma_f64 v[32:33], -v[72:73], v[108:109], v[32:33]
	v_fma_f64 v[30:31], -v[72:73], v[110:111], v[30:31]
	;; [unrolled: 1-line block ×3, first 2 shown]
	ds_read2_b64 v[108:111], v102 offset0:37 offset1:38
	v_fma_f64 v[26:27], -v[72:73], v[114:115], v[26:27]
	ds_read2_b64 v[112:115], v102 offset0:39 offset1:40
	s_waitcnt lgkmcnt(0)
	v_fma_f64 v[22:23], -v[72:73], v[116:117], v[22:23]
	v_fma_f64 v[24:25], -v[72:73], v[118:119], v[24:25]
	;; [unrolled: 1-line block ×4, first 2 shown]
	ds_read2_b64 v[108:111], v102 offset0:41 offset1:42
	ds_read2_b64 v[116:119], v102 offset0:43 offset1:44
	v_fma_f64 v[16:17], -v[72:73], v[112:113], v[16:17]
	v_fma_f64 v[14:15], -v[72:73], v[114:115], v[14:15]
	ds_read2_b64 v[112:115], v102 offset0:45 offset1:46
	s_waitcnt lgkmcnt(0)
	v_fma_f64 v[12:13], -v[72:73], v[108:109], v[12:13]
	v_fma_f64 v[10:11], -v[72:73], v[110:111], v[10:11]
	;; [unrolled: 1-line block ×6, first 2 shown]
.LBB92_216:
	s_or_b64 exec, exec, s[0:1]
	v_lshl_add_u32 v98, v103, 3, v102
	s_barrier
	ds_write_b64 v98, v[68:69]
	s_waitcnt lgkmcnt(0)
	s_barrier
	ds_read_b64 v[98:99], v102 offset:104
	s_cmp_lt_i32 s18, 15
	v_mov_b32_e32 v100, 13
	s_cbranch_scc1 .LBB92_219
; %bb.217:
	v_add_u32_e32 v107, 0x70, v102
	s_mov_b32 s0, 14
	v_mov_b32_e32 v100, 13
.LBB92_218:                             ; =>This Inner Loop Header: Depth=1
	ds_read_b64 v[108:109], v107
	v_mov_b32_e32 v110, s0
	s_add_i32 s0, s0, 1
	v_add_u32_e32 v107, 8, v107
	s_cmp_lg_u32 s18, s0
	s_waitcnt lgkmcnt(0)
	v_cmp_lt_f64_e64 vcc, |v[98:99]|, |v[108:109]|
	v_cndmask_b32_e32 v99, v99, v109, vcc
	v_cndmask_b32_e32 v98, v98, v108, vcc
	;; [unrolled: 1-line block ×3, first 2 shown]
	s_cbranch_scc1 .LBB92_218
.LBB92_219:
	s_waitcnt lgkmcnt(0)
	v_cmp_eq_f64_e32 vcc, 0, v[98:99]
	s_and_saveexec_b64 s[0:1], vcc
	s_xor_b64 s[0:1], exec, s[0:1]
; %bb.220:
	v_cmp_ne_u32_e32 vcc, 0, v106
	v_cndmask_b32_e32 v106, 14, v106, vcc
; %bb.221:
	s_andn2_saveexec_b64 s[0:1], s[0:1]
; %bb.222:
	v_div_scale_f64 v[108:109], s[2:3], v[98:99], v[98:99], 1.0
	v_rcp_f64_e32 v[110:111], v[108:109]
	v_div_scale_f64 v[112:113], vcc, 1.0, v[98:99], 1.0
	v_fma_f64 v[114:115], -v[108:109], v[110:111], 1.0
	v_fmac_f64_e32 v[110:111], v[110:111], v[114:115]
	v_fma_f64 v[114:115], -v[108:109], v[110:111], 1.0
	v_fmac_f64_e32 v[110:111], v[110:111], v[114:115]
	v_mul_f64 v[114:115], v[112:113], v[110:111]
	v_fma_f64 v[108:109], -v[108:109], v[114:115], v[112:113]
	v_div_fmas_f64 v[108:109], v[108:109], v[110:111], v[114:115]
	v_div_fixup_f64 v[98:99], v[108:109], v[98:99], 1.0
; %bb.223:
	s_or_b64 exec, exec, s[0:1]
	v_cmp_ne_u32_e32 vcc, v103, v100
	s_and_saveexec_b64 s[0:1], vcc
	s_xor_b64 s[0:1], exec, s[0:1]
	s_cbranch_execz .LBB92_229
; %bb.224:
	v_cmp_eq_u32_e32 vcc, 13, v103
	s_and_saveexec_b64 s[2:3], vcc
	s_cbranch_execz .LBB92_228
; %bb.225:
	v_cmp_ne_u32_e32 vcc, 13, v100
	s_xor_b64 s[14:15], s[6:7], -1
	s_and_b64 s[16:17], s[14:15], vcc
	s_and_saveexec_b64 s[14:15], s[16:17]
	s_cbranch_execz .LBB92_227
; %bb.226:
	v_ashrrev_i32_e32 v101, 31, v100
	v_lshlrev_b64 v[108:109], 2, v[100:101]
	v_add_co_u32_e32 v108, vcc, v4, v108
	v_addc_co_u32_e32 v109, vcc, v5, v109, vcc
	flat_load_dword v101, v[108:109]
	flat_load_dword v103, v[4:5] offset:52
	s_waitcnt vmcnt(0) lgkmcnt(0)
	flat_store_dword v[4:5], v101 offset:52
	flat_store_dword v[108:109], v103
.LBB92_227:
	s_or_b64 exec, exec, s[14:15]
	v_mov_b32_e32 v101, v100
	v_mov_b32_e32 v103, v100
.LBB92_228:
	s_or_b64 exec, exec, s[2:3]
.LBB92_229:
	s_andn2_saveexec_b64 s[0:1], s[0:1]
	s_cbranch_execz .LBB92_231
; %bb.230:
	v_mov_b32_e32 v108, v66
	v_mov_b32_e32 v109, v67
	v_mov_b32_e32 v110, v64
	v_mov_b32_e32 v111, v65
	ds_write2_b64 v102, v[108:109], v[110:111] offset0:14 offset1:15
	v_mov_b32_e32 v108, v62
	v_mov_b32_e32 v109, v63
	v_mov_b32_e32 v110, v60
	v_mov_b32_e32 v111, v61
	ds_write2_b64 v102, v[108:109], v[110:111] offset0:16 offset1:17
	;; [unrolled: 5-line block ×15, first 2 shown]
	v_mov_b32_e32 v108, v6
	v_mov_b32_e32 v109, v7
	;; [unrolled: 1-line block ×5, first 2 shown]
	ds_write2_b64 v102, v[108:109], v[110:111] offset0:44 offset1:45
	ds_write_b64 v102, v[96:97] offset:368
.LBB92_231:
	s_or_b64 exec, exec, s[0:1]
	v_cmp_lt_i32_e32 vcc, 13, v103
	s_waitcnt lgkmcnt(0)
	s_barrier
	s_and_saveexec_b64 s[0:1], vcc
	s_cbranch_execz .LBB92_233
; %bb.232:
	ds_read2_b64 v[108:111], v102 offset0:14 offset1:15
	ds_read2_b64 v[112:115], v102 offset0:16 offset1:17
	v_mul_f64 v[68:69], v[98:99], v[68:69]
	ds_read2_b64 v[116:119], v102 offset0:18 offset1:19
	ds_read_b64 v[98:99], v102 offset:368
	s_waitcnt lgkmcnt(0)
	v_fma_f64 v[66:67], -v[68:69], v[108:109], v[66:67]
	v_fma_f64 v[64:65], -v[68:69], v[110:111], v[64:65]
	ds_read2_b64 v[108:111], v102 offset0:20 offset1:21
	v_fma_f64 v[62:63], -v[68:69], v[112:113], v[62:63]
	v_fma_f64 v[60:61], -v[68:69], v[114:115], v[60:61]
	;; [unrolled: 1-line block ×3, first 2 shown]
	ds_read2_b64 v[112:115], v102 offset0:22 offset1:23
	v_fma_f64 v[56:57], -v[68:69], v[118:119], v[56:57]
	ds_read2_b64 v[116:119], v102 offset0:24 offset1:25
	s_waitcnt lgkmcnt(0)
	v_fma_f64 v[54:55], -v[68:69], v[108:109], v[54:55]
	v_fma_f64 v[52:53], -v[68:69], v[110:111], v[52:53]
	ds_read2_b64 v[108:111], v102 offset0:26 offset1:27
	v_fma_f64 v[50:51], -v[68:69], v[112:113], v[50:51]
	v_fma_f64 v[46:47], -v[68:69], v[114:115], v[46:47]
	ds_read2_b64 v[112:115], v102 offset0:28 offset1:29
	v_fma_f64 v[48:49], -v[68:69], v[116:117], v[48:49]
	v_fma_f64 v[44:45], -v[68:69], v[118:119], v[44:45]
	s_waitcnt lgkmcnt(0)
	v_fma_f64 v[42:43], -v[68:69], v[108:109], v[42:43]
	ds_read2_b64 v[116:119], v102 offset0:30 offset1:31
	v_fma_f64 v[40:41], -v[68:69], v[110:111], v[40:41]
	ds_read2_b64 v[108:111], v102 offset0:32 offset1:33
	v_fma_f64 v[38:39], -v[68:69], v[112:113], v[38:39]
	v_fma_f64 v[36:37], -v[68:69], v[114:115], v[36:37]
	s_waitcnt lgkmcnt(0)
	v_fma_f64 v[34:35], -v[68:69], v[116:117], v[34:35]
	ds_read2_b64 v[112:115], v102 offset0:34 offset1:35
	v_fma_f64 v[32:33], -v[68:69], v[118:119], v[32:33]
	ds_read2_b64 v[116:119], v102 offset0:36 offset1:37
	v_fma_f64 v[30:31], -v[68:69], v[108:109], v[30:31]
	v_fma_f64 v[28:29], -v[68:69], v[110:111], v[28:29]
	ds_read2_b64 v[108:111], v102 offset0:38 offset1:39
	s_waitcnt lgkmcnt(0)
	v_fma_f64 v[26:27], -v[68:69], v[112:113], v[26:27]
	v_fma_f64 v[22:23], -v[68:69], v[114:115], v[22:23]
	ds_read2_b64 v[112:115], v102 offset0:40 offset1:41
	v_fma_f64 v[24:25], -v[68:69], v[116:117], v[24:25]
	v_fma_f64 v[20:21], -v[68:69], v[118:119], v[20:21]
	;; [unrolled: 1-line block ×4, first 2 shown]
	ds_read2_b64 v[108:111], v102 offset0:42 offset1:43
	ds_read2_b64 v[116:119], v102 offset0:44 offset1:45
	s_waitcnt lgkmcnt(0)
	v_fma_f64 v[14:15], -v[68:69], v[112:113], v[14:15]
	v_fma_f64 v[12:13], -v[68:69], v[114:115], v[12:13]
	v_fma_f64 v[96:97], -v[68:69], v[98:99], v[96:97]
	v_fma_f64 v[10:11], -v[68:69], v[108:109], v[10:11]
	v_fma_f64 v[8:9], -v[68:69], v[110:111], v[8:9]
	v_fma_f64 v[6:7], -v[68:69], v[116:117], v[6:7]
	v_fma_f64 v[0:1], -v[68:69], v[118:119], v[0:1]
.LBB92_233:
	s_or_b64 exec, exec, s[0:1]
	v_lshl_add_u32 v98, v103, 3, v102
	s_barrier
	ds_write_b64 v98, v[66:67]
	s_waitcnt lgkmcnt(0)
	s_barrier
	ds_read_b64 v[98:99], v102 offset:112
	s_cmp_lt_i32 s18, 16
	v_mov_b32_e32 v100, 14
	s_cbranch_scc1 .LBB92_236
; %bb.234:
	v_add_u32_e32 v107, 0x78, v102
	s_mov_b32 s0, 15
	v_mov_b32_e32 v100, 14
.LBB92_235:                             ; =>This Inner Loop Header: Depth=1
	ds_read_b64 v[108:109], v107
	v_mov_b32_e32 v110, s0
	s_add_i32 s0, s0, 1
	v_add_u32_e32 v107, 8, v107
	s_cmp_lg_u32 s18, s0
	s_waitcnt lgkmcnt(0)
	v_cmp_lt_f64_e64 vcc, |v[98:99]|, |v[108:109]|
	v_cndmask_b32_e32 v99, v99, v109, vcc
	v_cndmask_b32_e32 v98, v98, v108, vcc
	;; [unrolled: 1-line block ×3, first 2 shown]
	s_cbranch_scc1 .LBB92_235
.LBB92_236:
	s_waitcnt lgkmcnt(0)
	v_cmp_eq_f64_e32 vcc, 0, v[98:99]
	s_and_saveexec_b64 s[0:1], vcc
	s_xor_b64 s[0:1], exec, s[0:1]
; %bb.237:
	v_cmp_ne_u32_e32 vcc, 0, v106
	v_cndmask_b32_e32 v106, 15, v106, vcc
; %bb.238:
	s_andn2_saveexec_b64 s[0:1], s[0:1]
; %bb.239:
	v_div_scale_f64 v[108:109], s[2:3], v[98:99], v[98:99], 1.0
	v_rcp_f64_e32 v[110:111], v[108:109]
	v_div_scale_f64 v[112:113], vcc, 1.0, v[98:99], 1.0
	v_fma_f64 v[114:115], -v[108:109], v[110:111], 1.0
	v_fmac_f64_e32 v[110:111], v[110:111], v[114:115]
	v_fma_f64 v[114:115], -v[108:109], v[110:111], 1.0
	v_fmac_f64_e32 v[110:111], v[110:111], v[114:115]
	v_mul_f64 v[114:115], v[112:113], v[110:111]
	v_fma_f64 v[108:109], -v[108:109], v[114:115], v[112:113]
	v_div_fmas_f64 v[108:109], v[108:109], v[110:111], v[114:115]
	v_div_fixup_f64 v[98:99], v[108:109], v[98:99], 1.0
; %bb.240:
	s_or_b64 exec, exec, s[0:1]
	v_cmp_ne_u32_e32 vcc, v103, v100
	s_and_saveexec_b64 s[0:1], vcc
	s_xor_b64 s[0:1], exec, s[0:1]
	s_cbranch_execz .LBB92_246
; %bb.241:
	v_cmp_eq_u32_e32 vcc, 14, v103
	s_and_saveexec_b64 s[2:3], vcc
	s_cbranch_execz .LBB92_245
; %bb.242:
	v_cmp_ne_u32_e32 vcc, 14, v100
	s_xor_b64 s[14:15], s[6:7], -1
	s_and_b64 s[16:17], s[14:15], vcc
	s_and_saveexec_b64 s[14:15], s[16:17]
	s_cbranch_execz .LBB92_244
; %bb.243:
	v_ashrrev_i32_e32 v101, 31, v100
	v_lshlrev_b64 v[108:109], 2, v[100:101]
	v_add_co_u32_e32 v108, vcc, v4, v108
	v_addc_co_u32_e32 v109, vcc, v5, v109, vcc
	flat_load_dword v101, v[108:109]
	flat_load_dword v103, v[4:5] offset:56
	s_waitcnt vmcnt(0) lgkmcnt(0)
	flat_store_dword v[4:5], v101 offset:56
	flat_store_dword v[108:109], v103
.LBB92_244:
	s_or_b64 exec, exec, s[14:15]
	v_mov_b32_e32 v101, v100
	v_mov_b32_e32 v103, v100
.LBB92_245:
	s_or_b64 exec, exec, s[2:3]
.LBB92_246:
	s_andn2_saveexec_b64 s[0:1], s[0:1]
	s_cbranch_execz .LBB92_248
; %bb.247:
	v_mov_b32_e32 v103, 14
	ds_write2_b64 v102, v[64:65], v[62:63] offset0:15 offset1:16
	ds_write2_b64 v102, v[60:61], v[58:59] offset0:17 offset1:18
	;; [unrolled: 1-line block ×16, first 2 shown]
.LBB92_248:
	s_or_b64 exec, exec, s[0:1]
	v_cmp_lt_i32_e32 vcc, 14, v103
	s_waitcnt lgkmcnt(0)
	s_barrier
	s_and_saveexec_b64 s[0:1], vcc
	s_cbranch_execz .LBB92_250
; %bb.249:
	ds_read2_b64 v[108:111], v102 offset0:15 offset1:16
	ds_read2_b64 v[112:115], v102 offset0:17 offset1:18
	v_mul_f64 v[66:67], v[98:99], v[66:67]
	ds_read2_b64 v[116:119], v102 offset0:19 offset1:20
	s_waitcnt lgkmcnt(0)
	v_fma_f64 v[64:65], -v[66:67], v[108:109], v[64:65]
	v_fma_f64 v[62:63], -v[66:67], v[110:111], v[62:63]
	ds_read2_b64 v[108:111], v102 offset0:21 offset1:22
	v_fma_f64 v[60:61], -v[66:67], v[112:113], v[60:61]
	v_fma_f64 v[58:59], -v[66:67], v[114:115], v[58:59]
	;; [unrolled: 1-line block ×3, first 2 shown]
	ds_read2_b64 v[112:115], v102 offset0:23 offset1:24
	v_fma_f64 v[54:55], -v[66:67], v[118:119], v[54:55]
	ds_read2_b64 v[116:119], v102 offset0:25 offset1:26
	s_waitcnt lgkmcnt(0)
	v_fma_f64 v[52:53], -v[66:67], v[108:109], v[52:53]
	v_fma_f64 v[50:51], -v[66:67], v[110:111], v[50:51]
	ds_read2_b64 v[108:111], v102 offset0:27 offset1:28
	v_fma_f64 v[46:47], -v[66:67], v[112:113], v[46:47]
	v_fma_f64 v[48:49], -v[66:67], v[114:115], v[48:49]
	ds_read2_b64 v[112:115], v102 offset0:29 offset1:30
	v_fma_f64 v[44:45], -v[66:67], v[116:117], v[44:45]
	v_fma_f64 v[42:43], -v[66:67], v[118:119], v[42:43]
	s_waitcnt lgkmcnt(0)
	v_fma_f64 v[40:41], -v[66:67], v[108:109], v[40:41]
	ds_read2_b64 v[116:119], v102 offset0:31 offset1:32
	v_fma_f64 v[38:39], -v[66:67], v[110:111], v[38:39]
	ds_read2_b64 v[108:111], v102 offset0:33 offset1:34
	v_fma_f64 v[36:37], -v[66:67], v[112:113], v[36:37]
	v_fma_f64 v[34:35], -v[66:67], v[114:115], v[34:35]
	s_waitcnt lgkmcnt(0)
	v_fma_f64 v[32:33], -v[66:67], v[116:117], v[32:33]
	ds_read2_b64 v[112:115], v102 offset0:35 offset1:36
	v_fma_f64 v[30:31], -v[66:67], v[118:119], v[30:31]
	ds_read2_b64 v[116:119], v102 offset0:37 offset1:38
	v_fma_f64 v[28:29], -v[66:67], v[108:109], v[28:29]
	v_fma_f64 v[26:27], -v[66:67], v[110:111], v[26:27]
	ds_read2_b64 v[108:111], v102 offset0:39 offset1:40
	s_waitcnt lgkmcnt(0)
	v_fma_f64 v[22:23], -v[66:67], v[112:113], v[22:23]
	v_fma_f64 v[24:25], -v[66:67], v[114:115], v[24:25]
	ds_read2_b64 v[112:115], v102 offset0:41 offset1:42
	v_fma_f64 v[20:21], -v[66:67], v[116:117], v[20:21]
	v_fma_f64 v[18:19], -v[66:67], v[118:119], v[18:19]
	;; [unrolled: 1-line block ×3, first 2 shown]
	ds_read2_b64 v[116:119], v102 offset0:43 offset1:44
	v_fma_f64 v[14:15], -v[66:67], v[110:111], v[14:15]
	ds_read2_b64 v[108:111], v102 offset0:45 offset1:46
	s_waitcnt lgkmcnt(0)
	v_fma_f64 v[12:13], -v[66:67], v[112:113], v[12:13]
	v_fma_f64 v[10:11], -v[66:67], v[114:115], v[10:11]
	;; [unrolled: 1-line block ×6, first 2 shown]
.LBB92_250:
	s_or_b64 exec, exec, s[0:1]
	v_lshl_add_u32 v98, v103, 3, v102
	s_barrier
	ds_write_b64 v98, v[64:65]
	s_waitcnt lgkmcnt(0)
	s_barrier
	ds_read_b64 v[98:99], v102 offset:120
	s_cmp_lt_i32 s18, 17
	v_mov_b32_e32 v100, 15
	s_cbranch_scc1 .LBB92_253
; %bb.251:
	v_add_u32_e32 v107, 0x80, v102
	s_mov_b32 s0, 16
	v_mov_b32_e32 v100, 15
.LBB92_252:                             ; =>This Inner Loop Header: Depth=1
	ds_read_b64 v[108:109], v107
	v_mov_b32_e32 v110, s0
	s_add_i32 s0, s0, 1
	v_add_u32_e32 v107, 8, v107
	s_cmp_lg_u32 s18, s0
	s_waitcnt lgkmcnt(0)
	v_cmp_lt_f64_e64 vcc, |v[98:99]|, |v[108:109]|
	v_cndmask_b32_e32 v99, v99, v109, vcc
	v_cndmask_b32_e32 v98, v98, v108, vcc
	;; [unrolled: 1-line block ×3, first 2 shown]
	s_cbranch_scc1 .LBB92_252
.LBB92_253:
	s_waitcnt lgkmcnt(0)
	v_cmp_eq_f64_e32 vcc, 0, v[98:99]
	s_and_saveexec_b64 s[0:1], vcc
	s_xor_b64 s[0:1], exec, s[0:1]
; %bb.254:
	v_cmp_ne_u32_e32 vcc, 0, v106
	v_cndmask_b32_e32 v106, 16, v106, vcc
; %bb.255:
	s_andn2_saveexec_b64 s[0:1], s[0:1]
; %bb.256:
	v_div_scale_f64 v[108:109], s[2:3], v[98:99], v[98:99], 1.0
	v_rcp_f64_e32 v[110:111], v[108:109]
	v_div_scale_f64 v[112:113], vcc, 1.0, v[98:99], 1.0
	v_fma_f64 v[114:115], -v[108:109], v[110:111], 1.0
	v_fmac_f64_e32 v[110:111], v[110:111], v[114:115]
	v_fma_f64 v[114:115], -v[108:109], v[110:111], 1.0
	v_fmac_f64_e32 v[110:111], v[110:111], v[114:115]
	v_mul_f64 v[114:115], v[112:113], v[110:111]
	v_fma_f64 v[108:109], -v[108:109], v[114:115], v[112:113]
	v_div_fmas_f64 v[108:109], v[108:109], v[110:111], v[114:115]
	v_div_fixup_f64 v[98:99], v[108:109], v[98:99], 1.0
; %bb.257:
	s_or_b64 exec, exec, s[0:1]
	v_cmp_ne_u32_e32 vcc, v103, v100
	s_and_saveexec_b64 s[0:1], vcc
	s_xor_b64 s[0:1], exec, s[0:1]
	s_cbranch_execz .LBB92_263
; %bb.258:
	v_cmp_eq_u32_e32 vcc, 15, v103
	s_and_saveexec_b64 s[2:3], vcc
	s_cbranch_execz .LBB92_262
; %bb.259:
	v_cmp_ne_u32_e32 vcc, 15, v100
	s_xor_b64 s[14:15], s[6:7], -1
	s_and_b64 s[16:17], s[14:15], vcc
	s_and_saveexec_b64 s[14:15], s[16:17]
	s_cbranch_execz .LBB92_261
; %bb.260:
	v_ashrrev_i32_e32 v101, 31, v100
	v_lshlrev_b64 v[108:109], 2, v[100:101]
	v_add_co_u32_e32 v108, vcc, v4, v108
	v_addc_co_u32_e32 v109, vcc, v5, v109, vcc
	flat_load_dword v101, v[108:109]
	flat_load_dword v103, v[4:5] offset:60
	s_waitcnt vmcnt(0) lgkmcnt(0)
	flat_store_dword v[4:5], v101 offset:60
	flat_store_dword v[108:109], v103
.LBB92_261:
	s_or_b64 exec, exec, s[14:15]
	v_mov_b32_e32 v101, v100
	v_mov_b32_e32 v103, v100
.LBB92_262:
	s_or_b64 exec, exec, s[2:3]
.LBB92_263:
	s_andn2_saveexec_b64 s[0:1], s[0:1]
	s_cbranch_execz .LBB92_265
; %bb.264:
	v_mov_b32_e32 v108, v62
	v_mov_b32_e32 v109, v63
	v_mov_b32_e32 v110, v60
	v_mov_b32_e32 v111, v61
	ds_write2_b64 v102, v[108:109], v[110:111] offset0:16 offset1:17
	v_mov_b32_e32 v108, v58
	v_mov_b32_e32 v109, v59
	v_mov_b32_e32 v110, v56
	v_mov_b32_e32 v111, v57
	ds_write2_b64 v102, v[108:109], v[110:111] offset0:18 offset1:19
	;; [unrolled: 5-line block ×14, first 2 shown]
	v_mov_b32_e32 v108, v6
	v_mov_b32_e32 v109, v7
	;; [unrolled: 1-line block ×5, first 2 shown]
	ds_write2_b64 v102, v[108:109], v[110:111] offset0:44 offset1:45
	ds_write_b64 v102, v[96:97] offset:368
.LBB92_265:
	s_or_b64 exec, exec, s[0:1]
	v_cmp_lt_i32_e32 vcc, 15, v103
	s_waitcnt lgkmcnt(0)
	s_barrier
	s_and_saveexec_b64 s[0:1], vcc
	s_cbranch_execz .LBB92_267
; %bb.266:
	ds_read2_b64 v[108:111], v102 offset0:16 offset1:17
	ds_read2_b64 v[112:115], v102 offset0:18 offset1:19
	;; [unrolled: 1-line block ×3, first 2 shown]
	v_mul_f64 v[64:65], v[98:99], v[64:65]
	ds_read_b64 v[98:99], v102 offset:368
	s_waitcnt lgkmcnt(0)
	v_fma_f64 v[62:63], -v[64:65], v[108:109], v[62:63]
	v_fma_f64 v[60:61], -v[64:65], v[110:111], v[60:61]
	ds_read2_b64 v[108:111], v102 offset0:22 offset1:23
	v_fma_f64 v[58:59], -v[64:65], v[112:113], v[58:59]
	v_fma_f64 v[56:57], -v[64:65], v[114:115], v[56:57]
	;; [unrolled: 1-line block ×3, first 2 shown]
	ds_read2_b64 v[112:115], v102 offset0:24 offset1:25
	v_fma_f64 v[52:53], -v[64:65], v[118:119], v[52:53]
	ds_read2_b64 v[116:119], v102 offset0:26 offset1:27
	s_waitcnt lgkmcnt(0)
	v_fma_f64 v[50:51], -v[64:65], v[108:109], v[50:51]
	v_fma_f64 v[46:47], -v[64:65], v[110:111], v[46:47]
	;; [unrolled: 1-line block ×3, first 2 shown]
	ds_read2_b64 v[108:111], v102 offset0:28 offset1:29
	v_fma_f64 v[44:45], -v[64:65], v[114:115], v[44:45]
	ds_read2_b64 v[112:115], v102 offset0:30 offset1:31
	v_fma_f64 v[42:43], -v[64:65], v[116:117], v[42:43]
	v_fma_f64 v[40:41], -v[64:65], v[118:119], v[40:41]
	ds_read2_b64 v[116:119], v102 offset0:32 offset1:33
	s_waitcnt lgkmcnt(0)
	v_fma_f64 v[38:39], -v[64:65], v[108:109], v[38:39]
	v_fma_f64 v[36:37], -v[64:65], v[110:111], v[36:37]
	ds_read2_b64 v[108:111], v102 offset0:34 offset1:35
	v_fma_f64 v[34:35], -v[64:65], v[112:113], v[34:35]
	v_fma_f64 v[32:33], -v[64:65], v[114:115], v[32:33]
	;; [unrolled: 1-line block ×3, first 2 shown]
	ds_read2_b64 v[112:115], v102 offset0:36 offset1:37
	v_fma_f64 v[28:29], -v[64:65], v[118:119], v[28:29]
	ds_read2_b64 v[116:119], v102 offset0:38 offset1:39
	s_waitcnt lgkmcnt(0)
	v_fma_f64 v[26:27], -v[64:65], v[108:109], v[26:27]
	v_fma_f64 v[22:23], -v[64:65], v[110:111], v[22:23]
	;; [unrolled: 1-line block ×3, first 2 shown]
	ds_read2_b64 v[108:111], v102 offset0:40 offset1:41
	v_fma_f64 v[20:21], -v[64:65], v[114:115], v[20:21]
	ds_read2_b64 v[112:115], v102 offset0:42 offset1:43
	v_fma_f64 v[18:19], -v[64:65], v[116:117], v[18:19]
	v_fma_f64 v[16:17], -v[64:65], v[118:119], v[16:17]
	ds_read2_b64 v[116:119], v102 offset0:44 offset1:45
	s_waitcnt lgkmcnt(0)
	v_fma_f64 v[14:15], -v[64:65], v[108:109], v[14:15]
	v_fma_f64 v[12:13], -v[64:65], v[110:111], v[12:13]
	;; [unrolled: 1-line block ×7, first 2 shown]
.LBB92_267:
	s_or_b64 exec, exec, s[0:1]
	v_lshl_add_u32 v98, v103, 3, v102
	s_barrier
	ds_write_b64 v98, v[62:63]
	s_waitcnt lgkmcnt(0)
	s_barrier
	ds_read_b64 v[98:99], v102 offset:128
	s_cmp_lt_i32 s18, 18
	v_mov_b32_e32 v100, 16
	s_cbranch_scc1 .LBB92_270
; %bb.268:
	v_add_u32_e32 v107, 0x88, v102
	s_mov_b32 s0, 17
	v_mov_b32_e32 v100, 16
.LBB92_269:                             ; =>This Inner Loop Header: Depth=1
	ds_read_b64 v[108:109], v107
	v_mov_b32_e32 v110, s0
	s_add_i32 s0, s0, 1
	v_add_u32_e32 v107, 8, v107
	s_cmp_lg_u32 s18, s0
	s_waitcnt lgkmcnt(0)
	v_cmp_lt_f64_e64 vcc, |v[98:99]|, |v[108:109]|
	v_cndmask_b32_e32 v99, v99, v109, vcc
	v_cndmask_b32_e32 v98, v98, v108, vcc
	;; [unrolled: 1-line block ×3, first 2 shown]
	s_cbranch_scc1 .LBB92_269
.LBB92_270:
	s_waitcnt lgkmcnt(0)
	v_cmp_eq_f64_e32 vcc, 0, v[98:99]
	s_and_saveexec_b64 s[0:1], vcc
	s_xor_b64 s[0:1], exec, s[0:1]
; %bb.271:
	v_cmp_ne_u32_e32 vcc, 0, v106
	v_cndmask_b32_e32 v106, 17, v106, vcc
; %bb.272:
	s_andn2_saveexec_b64 s[0:1], s[0:1]
; %bb.273:
	v_div_scale_f64 v[108:109], s[2:3], v[98:99], v[98:99], 1.0
	v_rcp_f64_e32 v[110:111], v[108:109]
	v_div_scale_f64 v[112:113], vcc, 1.0, v[98:99], 1.0
	v_fma_f64 v[114:115], -v[108:109], v[110:111], 1.0
	v_fmac_f64_e32 v[110:111], v[110:111], v[114:115]
	v_fma_f64 v[114:115], -v[108:109], v[110:111], 1.0
	v_fmac_f64_e32 v[110:111], v[110:111], v[114:115]
	v_mul_f64 v[114:115], v[112:113], v[110:111]
	v_fma_f64 v[108:109], -v[108:109], v[114:115], v[112:113]
	v_div_fmas_f64 v[108:109], v[108:109], v[110:111], v[114:115]
	v_div_fixup_f64 v[98:99], v[108:109], v[98:99], 1.0
; %bb.274:
	s_or_b64 exec, exec, s[0:1]
	v_cmp_ne_u32_e32 vcc, v103, v100
	s_and_saveexec_b64 s[0:1], vcc
	s_xor_b64 s[0:1], exec, s[0:1]
	s_cbranch_execz .LBB92_280
; %bb.275:
	v_cmp_eq_u32_e32 vcc, 16, v103
	s_and_saveexec_b64 s[2:3], vcc
	s_cbranch_execz .LBB92_279
; %bb.276:
	v_cmp_ne_u32_e32 vcc, 16, v100
	s_xor_b64 s[14:15], s[6:7], -1
	s_and_b64 s[16:17], s[14:15], vcc
	s_and_saveexec_b64 s[14:15], s[16:17]
	s_cbranch_execz .LBB92_278
; %bb.277:
	v_ashrrev_i32_e32 v101, 31, v100
	v_lshlrev_b64 v[108:109], 2, v[100:101]
	v_add_co_u32_e32 v108, vcc, v4, v108
	v_addc_co_u32_e32 v109, vcc, v5, v109, vcc
	flat_load_dword v101, v[108:109]
	flat_load_dword v103, v[4:5] offset:64
	s_waitcnt vmcnt(0) lgkmcnt(0)
	flat_store_dword v[4:5], v101 offset:64
	flat_store_dword v[108:109], v103
.LBB92_278:
	s_or_b64 exec, exec, s[14:15]
	v_mov_b32_e32 v101, v100
	v_mov_b32_e32 v103, v100
.LBB92_279:
	s_or_b64 exec, exec, s[2:3]
.LBB92_280:
	s_andn2_saveexec_b64 s[0:1], s[0:1]
	s_cbranch_execz .LBB92_282
; %bb.281:
	v_mov_b32_e32 v103, 16
	ds_write2_b64 v102, v[60:61], v[58:59] offset0:17 offset1:18
	ds_write2_b64 v102, v[56:57], v[54:55] offset0:19 offset1:20
	;; [unrolled: 1-line block ×15, first 2 shown]
.LBB92_282:
	s_or_b64 exec, exec, s[0:1]
	v_cmp_lt_i32_e32 vcc, 16, v103
	s_waitcnt lgkmcnt(0)
	s_barrier
	s_and_saveexec_b64 s[0:1], vcc
	s_cbranch_execz .LBB92_284
; %bb.283:
	ds_read2_b64 v[108:111], v102 offset0:17 offset1:18
	ds_read2_b64 v[112:115], v102 offset0:19 offset1:20
	;; [unrolled: 1-line block ×3, first 2 shown]
	v_mul_f64 v[62:63], v[98:99], v[62:63]
	s_waitcnt lgkmcnt(0)
	v_fma_f64 v[60:61], -v[62:63], v[108:109], v[60:61]
	v_fma_f64 v[58:59], -v[62:63], v[110:111], v[58:59]
	ds_read2_b64 v[108:111], v102 offset0:23 offset1:24
	v_fma_f64 v[56:57], -v[62:63], v[112:113], v[56:57]
	v_fma_f64 v[54:55], -v[62:63], v[114:115], v[54:55]
	;; [unrolled: 1-line block ×3, first 2 shown]
	ds_read2_b64 v[112:115], v102 offset0:25 offset1:26
	v_fma_f64 v[50:51], -v[62:63], v[118:119], v[50:51]
	ds_read2_b64 v[116:119], v102 offset0:27 offset1:28
	s_waitcnt lgkmcnt(0)
	v_fma_f64 v[46:47], -v[62:63], v[108:109], v[46:47]
	v_fma_f64 v[48:49], -v[62:63], v[110:111], v[48:49]
	;; [unrolled: 1-line block ×3, first 2 shown]
	ds_read2_b64 v[108:111], v102 offset0:29 offset1:30
	v_fma_f64 v[42:43], -v[62:63], v[114:115], v[42:43]
	ds_read2_b64 v[112:115], v102 offset0:31 offset1:32
	v_fma_f64 v[40:41], -v[62:63], v[116:117], v[40:41]
	v_fma_f64 v[38:39], -v[62:63], v[118:119], v[38:39]
	ds_read2_b64 v[116:119], v102 offset0:33 offset1:34
	s_waitcnt lgkmcnt(0)
	v_fma_f64 v[36:37], -v[62:63], v[108:109], v[36:37]
	v_fma_f64 v[34:35], -v[62:63], v[110:111], v[34:35]
	ds_read2_b64 v[108:111], v102 offset0:35 offset1:36
	v_fma_f64 v[32:33], -v[62:63], v[112:113], v[32:33]
	v_fma_f64 v[30:31], -v[62:63], v[114:115], v[30:31]
	;; [unrolled: 1-line block ×3, first 2 shown]
	ds_read2_b64 v[112:115], v102 offset0:37 offset1:38
	v_fma_f64 v[26:27], -v[62:63], v[118:119], v[26:27]
	ds_read2_b64 v[116:119], v102 offset0:39 offset1:40
	s_waitcnt lgkmcnt(0)
	v_fma_f64 v[22:23], -v[62:63], v[108:109], v[22:23]
	v_fma_f64 v[24:25], -v[62:63], v[110:111], v[24:25]
	;; [unrolled: 1-line block ×4, first 2 shown]
	ds_read2_b64 v[108:111], v102 offset0:41 offset1:42
	ds_read2_b64 v[112:115], v102 offset0:43 offset1:44
	v_fma_f64 v[16:17], -v[62:63], v[116:117], v[16:17]
	v_fma_f64 v[14:15], -v[62:63], v[118:119], v[14:15]
	ds_read2_b64 v[116:119], v102 offset0:45 offset1:46
	s_waitcnt lgkmcnt(0)
	v_fma_f64 v[12:13], -v[62:63], v[108:109], v[12:13]
	v_fma_f64 v[10:11], -v[62:63], v[110:111], v[10:11]
	;; [unrolled: 1-line block ×6, first 2 shown]
.LBB92_284:
	s_or_b64 exec, exec, s[0:1]
	v_lshl_add_u32 v98, v103, 3, v102
	s_barrier
	ds_write_b64 v98, v[60:61]
	s_waitcnt lgkmcnt(0)
	s_barrier
	ds_read_b64 v[98:99], v102 offset:136
	s_cmp_lt_i32 s18, 19
	v_mov_b32_e32 v100, 17
	s_cbranch_scc1 .LBB92_287
; %bb.285:
	v_add_u32_e32 v107, 0x90, v102
	s_mov_b32 s0, 18
	v_mov_b32_e32 v100, 17
.LBB92_286:                             ; =>This Inner Loop Header: Depth=1
	ds_read_b64 v[108:109], v107
	v_mov_b32_e32 v110, s0
	s_add_i32 s0, s0, 1
	v_add_u32_e32 v107, 8, v107
	s_cmp_lg_u32 s18, s0
	s_waitcnt lgkmcnt(0)
	v_cmp_lt_f64_e64 vcc, |v[98:99]|, |v[108:109]|
	v_cndmask_b32_e32 v99, v99, v109, vcc
	v_cndmask_b32_e32 v98, v98, v108, vcc
	;; [unrolled: 1-line block ×3, first 2 shown]
	s_cbranch_scc1 .LBB92_286
.LBB92_287:
	s_waitcnt lgkmcnt(0)
	v_cmp_eq_f64_e32 vcc, 0, v[98:99]
	s_and_saveexec_b64 s[0:1], vcc
	s_xor_b64 s[0:1], exec, s[0:1]
; %bb.288:
	v_cmp_ne_u32_e32 vcc, 0, v106
	v_cndmask_b32_e32 v106, 18, v106, vcc
; %bb.289:
	s_andn2_saveexec_b64 s[0:1], s[0:1]
; %bb.290:
	v_div_scale_f64 v[108:109], s[2:3], v[98:99], v[98:99], 1.0
	v_rcp_f64_e32 v[110:111], v[108:109]
	v_div_scale_f64 v[112:113], vcc, 1.0, v[98:99], 1.0
	v_fma_f64 v[114:115], -v[108:109], v[110:111], 1.0
	v_fmac_f64_e32 v[110:111], v[110:111], v[114:115]
	v_fma_f64 v[114:115], -v[108:109], v[110:111], 1.0
	v_fmac_f64_e32 v[110:111], v[110:111], v[114:115]
	v_mul_f64 v[114:115], v[112:113], v[110:111]
	v_fma_f64 v[108:109], -v[108:109], v[114:115], v[112:113]
	v_div_fmas_f64 v[108:109], v[108:109], v[110:111], v[114:115]
	v_div_fixup_f64 v[98:99], v[108:109], v[98:99], 1.0
; %bb.291:
	s_or_b64 exec, exec, s[0:1]
	v_cmp_ne_u32_e32 vcc, v103, v100
	s_and_saveexec_b64 s[0:1], vcc
	s_xor_b64 s[0:1], exec, s[0:1]
	s_cbranch_execz .LBB92_297
; %bb.292:
	v_cmp_eq_u32_e32 vcc, 17, v103
	s_and_saveexec_b64 s[2:3], vcc
	s_cbranch_execz .LBB92_296
; %bb.293:
	v_cmp_ne_u32_e32 vcc, 17, v100
	s_xor_b64 s[14:15], s[6:7], -1
	s_and_b64 s[16:17], s[14:15], vcc
	s_and_saveexec_b64 s[14:15], s[16:17]
	s_cbranch_execz .LBB92_295
; %bb.294:
	v_ashrrev_i32_e32 v101, 31, v100
	v_lshlrev_b64 v[108:109], 2, v[100:101]
	v_add_co_u32_e32 v108, vcc, v4, v108
	v_addc_co_u32_e32 v109, vcc, v5, v109, vcc
	flat_load_dword v101, v[108:109]
	flat_load_dword v103, v[4:5] offset:68
	s_waitcnt vmcnt(0) lgkmcnt(0)
	flat_store_dword v[4:5], v101 offset:68
	flat_store_dword v[108:109], v103
.LBB92_295:
	s_or_b64 exec, exec, s[14:15]
	v_mov_b32_e32 v101, v100
	v_mov_b32_e32 v103, v100
.LBB92_296:
	s_or_b64 exec, exec, s[2:3]
.LBB92_297:
	s_andn2_saveexec_b64 s[0:1], s[0:1]
	s_cbranch_execz .LBB92_299
; %bb.298:
	v_mov_b32_e32 v108, v58
	v_mov_b32_e32 v109, v59
	v_mov_b32_e32 v110, v56
	v_mov_b32_e32 v111, v57
	ds_write2_b64 v102, v[108:109], v[110:111] offset0:18 offset1:19
	v_mov_b32_e32 v108, v54
	v_mov_b32_e32 v109, v55
	v_mov_b32_e32 v110, v52
	v_mov_b32_e32 v111, v53
	ds_write2_b64 v102, v[108:109], v[110:111] offset0:20 offset1:21
	;; [unrolled: 5-line block ×13, first 2 shown]
	v_mov_b32_e32 v108, v6
	v_mov_b32_e32 v109, v7
	;; [unrolled: 1-line block ×5, first 2 shown]
	ds_write2_b64 v102, v[108:109], v[110:111] offset0:44 offset1:45
	ds_write_b64 v102, v[96:97] offset:368
.LBB92_299:
	s_or_b64 exec, exec, s[0:1]
	v_cmp_lt_i32_e32 vcc, 17, v103
	s_waitcnt lgkmcnt(0)
	s_barrier
	s_and_saveexec_b64 s[0:1], vcc
	s_cbranch_execz .LBB92_301
; %bb.300:
	ds_read2_b64 v[108:111], v102 offset0:18 offset1:19
	ds_read2_b64 v[112:115], v102 offset0:20 offset1:21
	v_mul_f64 v[60:61], v[98:99], v[60:61]
	ds_read2_b64 v[116:119], v102 offset0:22 offset1:23
	ds_read_b64 v[98:99], v102 offset:368
	s_waitcnt lgkmcnt(0)
	v_fma_f64 v[58:59], -v[60:61], v[108:109], v[58:59]
	v_fma_f64 v[56:57], -v[60:61], v[110:111], v[56:57]
	ds_read2_b64 v[108:111], v102 offset0:24 offset1:25
	v_fma_f64 v[54:55], -v[60:61], v[112:113], v[54:55]
	v_fma_f64 v[52:53], -v[60:61], v[114:115], v[52:53]
	ds_read2_b64 v[112:115], v102 offset0:26 offset1:27
	;; [unrolled: 3-line block ×3, first 2 shown]
	s_waitcnt lgkmcnt(0)
	v_fma_f64 v[48:49], -v[60:61], v[108:109], v[48:49]
	v_fma_f64 v[44:45], -v[60:61], v[110:111], v[44:45]
	;; [unrolled: 1-line block ×3, first 2 shown]
	ds_read2_b64 v[108:111], v102 offset0:30 offset1:31
	v_fma_f64 v[40:41], -v[60:61], v[114:115], v[40:41]
	ds_read2_b64 v[112:115], v102 offset0:32 offset1:33
	v_fma_f64 v[38:39], -v[60:61], v[116:117], v[38:39]
	v_fma_f64 v[36:37], -v[60:61], v[118:119], v[36:37]
	s_waitcnt lgkmcnt(0)
	v_fma_f64 v[34:35], -v[60:61], v[108:109], v[34:35]
	ds_read2_b64 v[116:119], v102 offset0:34 offset1:35
	v_fma_f64 v[32:33], -v[60:61], v[110:111], v[32:33]
	ds_read2_b64 v[108:111], v102 offset0:36 offset1:37
	v_fma_f64 v[30:31], -v[60:61], v[112:113], v[30:31]
	v_fma_f64 v[28:29], -v[60:61], v[114:115], v[28:29]
	ds_read2_b64 v[112:115], v102 offset0:38 offset1:39
	s_waitcnt lgkmcnt(0)
	v_fma_f64 v[26:27], -v[60:61], v[116:117], v[26:27]
	v_fma_f64 v[22:23], -v[60:61], v[118:119], v[22:23]
	ds_read2_b64 v[116:119], v102 offset0:40 offset1:41
	v_fma_f64 v[24:25], -v[60:61], v[108:109], v[24:25]
	v_fma_f64 v[20:21], -v[60:61], v[110:111], v[20:21]
	;; [unrolled: 1-line block ×4, first 2 shown]
	ds_read2_b64 v[108:111], v102 offset0:42 offset1:43
	ds_read2_b64 v[112:115], v102 offset0:44 offset1:45
	s_waitcnt lgkmcnt(0)
	v_fma_f64 v[14:15], -v[60:61], v[116:117], v[14:15]
	v_fma_f64 v[12:13], -v[60:61], v[118:119], v[12:13]
	;; [unrolled: 1-line block ×7, first 2 shown]
.LBB92_301:
	s_or_b64 exec, exec, s[0:1]
	v_lshl_add_u32 v98, v103, 3, v102
	s_barrier
	ds_write_b64 v98, v[58:59]
	s_waitcnt lgkmcnt(0)
	s_barrier
	ds_read_b64 v[98:99], v102 offset:144
	s_cmp_lt_i32 s18, 20
	v_mov_b32_e32 v100, 18
	s_cbranch_scc1 .LBB92_304
; %bb.302:
	v_add_u32_e32 v107, 0x98, v102
	s_mov_b32 s0, 19
	v_mov_b32_e32 v100, 18
.LBB92_303:                             ; =>This Inner Loop Header: Depth=1
	ds_read_b64 v[108:109], v107
	v_mov_b32_e32 v110, s0
	s_add_i32 s0, s0, 1
	v_add_u32_e32 v107, 8, v107
	s_cmp_lg_u32 s18, s0
	s_waitcnt lgkmcnt(0)
	v_cmp_lt_f64_e64 vcc, |v[98:99]|, |v[108:109]|
	v_cndmask_b32_e32 v99, v99, v109, vcc
	v_cndmask_b32_e32 v98, v98, v108, vcc
	;; [unrolled: 1-line block ×3, first 2 shown]
	s_cbranch_scc1 .LBB92_303
.LBB92_304:
	s_waitcnt lgkmcnt(0)
	v_cmp_eq_f64_e32 vcc, 0, v[98:99]
	s_and_saveexec_b64 s[0:1], vcc
	s_xor_b64 s[0:1], exec, s[0:1]
; %bb.305:
	v_cmp_ne_u32_e32 vcc, 0, v106
	v_cndmask_b32_e32 v106, 19, v106, vcc
; %bb.306:
	s_andn2_saveexec_b64 s[0:1], s[0:1]
; %bb.307:
	v_div_scale_f64 v[108:109], s[2:3], v[98:99], v[98:99], 1.0
	v_rcp_f64_e32 v[110:111], v[108:109]
	v_div_scale_f64 v[112:113], vcc, 1.0, v[98:99], 1.0
	v_fma_f64 v[114:115], -v[108:109], v[110:111], 1.0
	v_fmac_f64_e32 v[110:111], v[110:111], v[114:115]
	v_fma_f64 v[114:115], -v[108:109], v[110:111], 1.0
	v_fmac_f64_e32 v[110:111], v[110:111], v[114:115]
	v_mul_f64 v[114:115], v[112:113], v[110:111]
	v_fma_f64 v[108:109], -v[108:109], v[114:115], v[112:113]
	v_div_fmas_f64 v[108:109], v[108:109], v[110:111], v[114:115]
	v_div_fixup_f64 v[98:99], v[108:109], v[98:99], 1.0
; %bb.308:
	s_or_b64 exec, exec, s[0:1]
	v_cmp_ne_u32_e32 vcc, v103, v100
	s_and_saveexec_b64 s[0:1], vcc
	s_xor_b64 s[0:1], exec, s[0:1]
	s_cbranch_execz .LBB92_314
; %bb.309:
	v_cmp_eq_u32_e32 vcc, 18, v103
	s_and_saveexec_b64 s[2:3], vcc
	s_cbranch_execz .LBB92_313
; %bb.310:
	v_cmp_ne_u32_e32 vcc, 18, v100
	s_xor_b64 s[14:15], s[6:7], -1
	s_and_b64 s[16:17], s[14:15], vcc
	s_and_saveexec_b64 s[14:15], s[16:17]
	s_cbranch_execz .LBB92_312
; %bb.311:
	v_ashrrev_i32_e32 v101, 31, v100
	v_lshlrev_b64 v[108:109], 2, v[100:101]
	v_add_co_u32_e32 v108, vcc, v4, v108
	v_addc_co_u32_e32 v109, vcc, v5, v109, vcc
	flat_load_dword v101, v[108:109]
	flat_load_dword v103, v[4:5] offset:72
	s_waitcnt vmcnt(0) lgkmcnt(0)
	flat_store_dword v[4:5], v101 offset:72
	flat_store_dword v[108:109], v103
.LBB92_312:
	s_or_b64 exec, exec, s[14:15]
	v_mov_b32_e32 v101, v100
	v_mov_b32_e32 v103, v100
.LBB92_313:
	s_or_b64 exec, exec, s[2:3]
.LBB92_314:
	s_andn2_saveexec_b64 s[0:1], s[0:1]
	s_cbranch_execz .LBB92_316
; %bb.315:
	v_mov_b32_e32 v103, 18
	ds_write2_b64 v102, v[56:57], v[54:55] offset0:19 offset1:20
	ds_write2_b64 v102, v[52:53], v[50:51] offset0:21 offset1:22
	;; [unrolled: 1-line block ×14, first 2 shown]
.LBB92_316:
	s_or_b64 exec, exec, s[0:1]
	v_cmp_lt_i32_e32 vcc, 18, v103
	s_waitcnt lgkmcnt(0)
	s_barrier
	s_and_saveexec_b64 s[0:1], vcc
	s_cbranch_execz .LBB92_318
; %bb.317:
	ds_read2_b64 v[108:111], v102 offset0:19 offset1:20
	ds_read2_b64 v[112:115], v102 offset0:21 offset1:22
	v_mul_f64 v[58:59], v[98:99], v[58:59]
	ds_read2_b64 v[116:119], v102 offset0:23 offset1:24
	s_waitcnt lgkmcnt(0)
	v_fma_f64 v[56:57], -v[58:59], v[108:109], v[56:57]
	v_fma_f64 v[54:55], -v[58:59], v[110:111], v[54:55]
	ds_read2_b64 v[108:111], v102 offset0:25 offset1:26
	v_fma_f64 v[52:53], -v[58:59], v[112:113], v[52:53]
	v_fma_f64 v[50:51], -v[58:59], v[114:115], v[50:51]
	ds_read2_b64 v[112:115], v102 offset0:27 offset1:28
	;; [unrolled: 3-line block ×3, first 2 shown]
	s_waitcnt lgkmcnt(0)
	v_fma_f64 v[44:45], -v[58:59], v[108:109], v[44:45]
	v_fma_f64 v[42:43], -v[58:59], v[110:111], v[42:43]
	v_fma_f64 v[40:41], -v[58:59], v[112:113], v[40:41]
	ds_read2_b64 v[108:111], v102 offset0:31 offset1:32
	v_fma_f64 v[38:39], -v[58:59], v[114:115], v[38:39]
	ds_read2_b64 v[112:115], v102 offset0:33 offset1:34
	v_fma_f64 v[36:37], -v[58:59], v[116:117], v[36:37]
	v_fma_f64 v[34:35], -v[58:59], v[118:119], v[34:35]
	s_waitcnt lgkmcnt(0)
	v_fma_f64 v[32:33], -v[58:59], v[108:109], v[32:33]
	ds_read2_b64 v[116:119], v102 offset0:35 offset1:36
	v_fma_f64 v[30:31], -v[58:59], v[110:111], v[30:31]
	ds_read2_b64 v[108:111], v102 offset0:37 offset1:38
	v_fma_f64 v[28:29], -v[58:59], v[112:113], v[28:29]
	v_fma_f64 v[26:27], -v[58:59], v[114:115], v[26:27]
	ds_read2_b64 v[112:115], v102 offset0:39 offset1:40
	s_waitcnt lgkmcnt(0)
	v_fma_f64 v[22:23], -v[58:59], v[116:117], v[22:23]
	v_fma_f64 v[24:25], -v[58:59], v[118:119], v[24:25]
	;; [unrolled: 1-line block ×4, first 2 shown]
	ds_read2_b64 v[108:111], v102 offset0:41 offset1:42
	v_fma_f64 v[16:17], -v[58:59], v[112:113], v[16:17]
	ds_read2_b64 v[116:119], v102 offset0:43 offset1:44
	v_fma_f64 v[14:15], -v[58:59], v[114:115], v[14:15]
	ds_read2_b64 v[112:115], v102 offset0:45 offset1:46
	s_waitcnt lgkmcnt(0)
	v_fma_f64 v[12:13], -v[58:59], v[108:109], v[12:13]
	v_fma_f64 v[10:11], -v[58:59], v[110:111], v[10:11]
	;; [unrolled: 1-line block ×6, first 2 shown]
.LBB92_318:
	s_or_b64 exec, exec, s[0:1]
	v_lshl_add_u32 v98, v103, 3, v102
	s_barrier
	ds_write_b64 v98, v[56:57]
	s_waitcnt lgkmcnt(0)
	s_barrier
	ds_read_b64 v[98:99], v102 offset:152
	s_cmp_lt_i32 s18, 21
	v_mov_b32_e32 v100, 19
	s_cbranch_scc1 .LBB92_321
; %bb.319:
	v_add_u32_e32 v107, 0xa0, v102
	s_mov_b32 s0, 20
	v_mov_b32_e32 v100, 19
.LBB92_320:                             ; =>This Inner Loop Header: Depth=1
	ds_read_b64 v[108:109], v107
	v_mov_b32_e32 v110, s0
	s_add_i32 s0, s0, 1
	v_add_u32_e32 v107, 8, v107
	s_cmp_lg_u32 s18, s0
	s_waitcnt lgkmcnt(0)
	v_cmp_lt_f64_e64 vcc, |v[98:99]|, |v[108:109]|
	v_cndmask_b32_e32 v99, v99, v109, vcc
	v_cndmask_b32_e32 v98, v98, v108, vcc
	;; [unrolled: 1-line block ×3, first 2 shown]
	s_cbranch_scc1 .LBB92_320
.LBB92_321:
	s_waitcnt lgkmcnt(0)
	v_cmp_eq_f64_e32 vcc, 0, v[98:99]
	s_and_saveexec_b64 s[0:1], vcc
	s_xor_b64 s[0:1], exec, s[0:1]
; %bb.322:
	v_cmp_ne_u32_e32 vcc, 0, v106
	v_cndmask_b32_e32 v106, 20, v106, vcc
; %bb.323:
	s_andn2_saveexec_b64 s[0:1], s[0:1]
; %bb.324:
	v_div_scale_f64 v[108:109], s[2:3], v[98:99], v[98:99], 1.0
	v_rcp_f64_e32 v[110:111], v[108:109]
	v_div_scale_f64 v[112:113], vcc, 1.0, v[98:99], 1.0
	v_fma_f64 v[114:115], -v[108:109], v[110:111], 1.0
	v_fmac_f64_e32 v[110:111], v[110:111], v[114:115]
	v_fma_f64 v[114:115], -v[108:109], v[110:111], 1.0
	v_fmac_f64_e32 v[110:111], v[110:111], v[114:115]
	v_mul_f64 v[114:115], v[112:113], v[110:111]
	v_fma_f64 v[108:109], -v[108:109], v[114:115], v[112:113]
	v_div_fmas_f64 v[108:109], v[108:109], v[110:111], v[114:115]
	v_div_fixup_f64 v[98:99], v[108:109], v[98:99], 1.0
; %bb.325:
	s_or_b64 exec, exec, s[0:1]
	v_cmp_ne_u32_e32 vcc, v103, v100
	s_and_saveexec_b64 s[0:1], vcc
	s_xor_b64 s[0:1], exec, s[0:1]
	s_cbranch_execz .LBB92_331
; %bb.326:
	v_cmp_eq_u32_e32 vcc, 19, v103
	s_and_saveexec_b64 s[2:3], vcc
	s_cbranch_execz .LBB92_330
; %bb.327:
	v_cmp_ne_u32_e32 vcc, 19, v100
	s_xor_b64 s[14:15], s[6:7], -1
	s_and_b64 s[16:17], s[14:15], vcc
	s_and_saveexec_b64 s[14:15], s[16:17]
	s_cbranch_execz .LBB92_329
; %bb.328:
	v_ashrrev_i32_e32 v101, 31, v100
	v_lshlrev_b64 v[108:109], 2, v[100:101]
	v_add_co_u32_e32 v108, vcc, v4, v108
	v_addc_co_u32_e32 v109, vcc, v5, v109, vcc
	flat_load_dword v101, v[108:109]
	flat_load_dword v103, v[4:5] offset:76
	s_waitcnt vmcnt(0) lgkmcnt(0)
	flat_store_dword v[4:5], v101 offset:76
	flat_store_dword v[108:109], v103
.LBB92_329:
	s_or_b64 exec, exec, s[14:15]
	v_mov_b32_e32 v101, v100
	v_mov_b32_e32 v103, v100
.LBB92_330:
	s_or_b64 exec, exec, s[2:3]
.LBB92_331:
	s_andn2_saveexec_b64 s[0:1], s[0:1]
	s_cbranch_execz .LBB92_333
; %bb.332:
	v_mov_b32_e32 v108, v54
	v_mov_b32_e32 v109, v55
	v_mov_b32_e32 v110, v52
	v_mov_b32_e32 v111, v53
	ds_write2_b64 v102, v[108:109], v[110:111] offset0:20 offset1:21
	v_mov_b32_e32 v108, v50
	v_mov_b32_e32 v109, v51
	v_mov_b32_e32 v110, v46
	v_mov_b32_e32 v111, v47
	ds_write2_b64 v102, v[108:109], v[110:111] offset0:22 offset1:23
	;; [unrolled: 5-line block ×12, first 2 shown]
	v_mov_b32_e32 v108, v6
	v_mov_b32_e32 v109, v7
	v_mov_b32_e32 v110, v0
	v_mov_b32_e32 v111, v1
	v_mov_b32_e32 v103, 19
	ds_write2_b64 v102, v[108:109], v[110:111] offset0:44 offset1:45
	ds_write_b64 v102, v[96:97] offset:368
.LBB92_333:
	s_or_b64 exec, exec, s[0:1]
	v_cmp_lt_i32_e32 vcc, 19, v103
	s_waitcnt lgkmcnt(0)
	s_barrier
	s_and_saveexec_b64 s[0:1], vcc
	s_cbranch_execz .LBB92_335
; %bb.334:
	ds_read2_b64 v[108:111], v102 offset0:20 offset1:21
	ds_read2_b64 v[112:115], v102 offset0:22 offset1:23
	v_mul_f64 v[56:57], v[98:99], v[56:57]
	ds_read2_b64 v[116:119], v102 offset0:24 offset1:25
	ds_read_b64 v[98:99], v102 offset:368
	s_waitcnt lgkmcnt(0)
	v_fma_f64 v[54:55], -v[56:57], v[108:109], v[54:55]
	v_fma_f64 v[52:53], -v[56:57], v[110:111], v[52:53]
	ds_read2_b64 v[108:111], v102 offset0:26 offset1:27
	v_fma_f64 v[50:51], -v[56:57], v[112:113], v[50:51]
	v_fma_f64 v[46:47], -v[56:57], v[114:115], v[46:47]
	;; [unrolled: 1-line block ×3, first 2 shown]
	ds_read2_b64 v[112:115], v102 offset0:28 offset1:29
	v_fma_f64 v[44:45], -v[56:57], v[118:119], v[44:45]
	ds_read2_b64 v[116:119], v102 offset0:30 offset1:31
	s_waitcnt lgkmcnt(0)
	v_fma_f64 v[42:43], -v[56:57], v[108:109], v[42:43]
	v_fma_f64 v[40:41], -v[56:57], v[110:111], v[40:41]
	ds_read2_b64 v[108:111], v102 offset0:32 offset1:33
	v_fma_f64 v[38:39], -v[56:57], v[112:113], v[38:39]
	v_fma_f64 v[36:37], -v[56:57], v[114:115], v[36:37]
	ds_read2_b64 v[112:115], v102 offset0:34 offset1:35
	v_fma_f64 v[34:35], -v[56:57], v[116:117], v[34:35]
	v_fma_f64 v[32:33], -v[56:57], v[118:119], v[32:33]
	s_waitcnt lgkmcnt(0)
	v_fma_f64 v[30:31], -v[56:57], v[108:109], v[30:31]
	ds_read2_b64 v[116:119], v102 offset0:36 offset1:37
	v_fma_f64 v[28:29], -v[56:57], v[110:111], v[28:29]
	ds_read2_b64 v[108:111], v102 offset0:38 offset1:39
	v_fma_f64 v[26:27], -v[56:57], v[112:113], v[26:27]
	v_fma_f64 v[22:23], -v[56:57], v[114:115], v[22:23]
	s_waitcnt lgkmcnt(0)
	v_fma_f64 v[24:25], -v[56:57], v[116:117], v[24:25]
	ds_read2_b64 v[112:115], v102 offset0:40 offset1:41
	v_fma_f64 v[20:21], -v[56:57], v[118:119], v[20:21]
	v_fma_f64 v[18:19], -v[56:57], v[108:109], v[18:19]
	;; [unrolled: 1-line block ×3, first 2 shown]
	ds_read2_b64 v[108:111], v102 offset0:42 offset1:43
	ds_read2_b64 v[116:119], v102 offset0:44 offset1:45
	s_waitcnt lgkmcnt(0)
	v_fma_f64 v[14:15], -v[56:57], v[112:113], v[14:15]
	v_fma_f64 v[12:13], -v[56:57], v[114:115], v[12:13]
	;; [unrolled: 1-line block ×7, first 2 shown]
.LBB92_335:
	s_or_b64 exec, exec, s[0:1]
	v_lshl_add_u32 v98, v103, 3, v102
	s_barrier
	ds_write_b64 v98, v[54:55]
	s_waitcnt lgkmcnt(0)
	s_barrier
	ds_read_b64 v[98:99], v102 offset:160
	s_cmp_lt_i32 s18, 22
	v_mov_b32_e32 v100, 20
	s_cbranch_scc1 .LBB92_338
; %bb.336:
	v_add_u32_e32 v107, 0xa8, v102
	s_mov_b32 s0, 21
	v_mov_b32_e32 v100, 20
.LBB92_337:                             ; =>This Inner Loop Header: Depth=1
	ds_read_b64 v[108:109], v107
	v_mov_b32_e32 v110, s0
	s_add_i32 s0, s0, 1
	v_add_u32_e32 v107, 8, v107
	s_cmp_lg_u32 s18, s0
	s_waitcnt lgkmcnt(0)
	v_cmp_lt_f64_e64 vcc, |v[98:99]|, |v[108:109]|
	v_cndmask_b32_e32 v99, v99, v109, vcc
	v_cndmask_b32_e32 v98, v98, v108, vcc
	;; [unrolled: 1-line block ×3, first 2 shown]
	s_cbranch_scc1 .LBB92_337
.LBB92_338:
	s_waitcnt lgkmcnt(0)
	v_cmp_eq_f64_e32 vcc, 0, v[98:99]
	s_and_saveexec_b64 s[0:1], vcc
	s_xor_b64 s[0:1], exec, s[0:1]
; %bb.339:
	v_cmp_ne_u32_e32 vcc, 0, v106
	v_cndmask_b32_e32 v106, 21, v106, vcc
; %bb.340:
	s_andn2_saveexec_b64 s[0:1], s[0:1]
; %bb.341:
	v_div_scale_f64 v[108:109], s[2:3], v[98:99], v[98:99], 1.0
	v_rcp_f64_e32 v[110:111], v[108:109]
	v_div_scale_f64 v[112:113], vcc, 1.0, v[98:99], 1.0
	v_fma_f64 v[114:115], -v[108:109], v[110:111], 1.0
	v_fmac_f64_e32 v[110:111], v[110:111], v[114:115]
	v_fma_f64 v[114:115], -v[108:109], v[110:111], 1.0
	v_fmac_f64_e32 v[110:111], v[110:111], v[114:115]
	v_mul_f64 v[114:115], v[112:113], v[110:111]
	v_fma_f64 v[108:109], -v[108:109], v[114:115], v[112:113]
	v_div_fmas_f64 v[108:109], v[108:109], v[110:111], v[114:115]
	v_div_fixup_f64 v[98:99], v[108:109], v[98:99], 1.0
; %bb.342:
	s_or_b64 exec, exec, s[0:1]
	v_cmp_ne_u32_e32 vcc, v103, v100
	s_and_saveexec_b64 s[0:1], vcc
	s_xor_b64 s[0:1], exec, s[0:1]
	s_cbranch_execz .LBB92_348
; %bb.343:
	v_cmp_eq_u32_e32 vcc, 20, v103
	s_and_saveexec_b64 s[2:3], vcc
	s_cbranch_execz .LBB92_347
; %bb.344:
	v_cmp_ne_u32_e32 vcc, 20, v100
	s_xor_b64 s[14:15], s[6:7], -1
	s_and_b64 s[16:17], s[14:15], vcc
	s_and_saveexec_b64 s[14:15], s[16:17]
	s_cbranch_execz .LBB92_346
; %bb.345:
	v_ashrrev_i32_e32 v101, 31, v100
	v_lshlrev_b64 v[108:109], 2, v[100:101]
	v_add_co_u32_e32 v108, vcc, v4, v108
	v_addc_co_u32_e32 v109, vcc, v5, v109, vcc
	flat_load_dword v101, v[108:109]
	flat_load_dword v103, v[4:5] offset:80
	s_waitcnt vmcnt(0) lgkmcnt(0)
	flat_store_dword v[4:5], v101 offset:80
	flat_store_dword v[108:109], v103
.LBB92_346:
	s_or_b64 exec, exec, s[14:15]
	v_mov_b32_e32 v101, v100
	v_mov_b32_e32 v103, v100
.LBB92_347:
	s_or_b64 exec, exec, s[2:3]
.LBB92_348:
	s_andn2_saveexec_b64 s[0:1], s[0:1]
	s_cbranch_execz .LBB92_350
; %bb.349:
	v_mov_b32_e32 v103, 20
	ds_write2_b64 v102, v[52:53], v[50:51] offset0:21 offset1:22
	ds_write2_b64 v102, v[46:47], v[48:49] offset0:23 offset1:24
	;; [unrolled: 1-line block ×13, first 2 shown]
.LBB92_350:
	s_or_b64 exec, exec, s[0:1]
	v_cmp_lt_i32_e32 vcc, 20, v103
	s_waitcnt lgkmcnt(0)
	s_barrier
	s_and_saveexec_b64 s[0:1], vcc
	s_cbranch_execz .LBB92_352
; %bb.351:
	ds_read2_b64 v[108:111], v102 offset0:21 offset1:22
	ds_read2_b64 v[112:115], v102 offset0:23 offset1:24
	v_mul_f64 v[54:55], v[98:99], v[54:55]
	ds_read2_b64 v[116:119], v102 offset0:25 offset1:26
	s_waitcnt lgkmcnt(0)
	v_fma_f64 v[52:53], -v[54:55], v[108:109], v[52:53]
	v_fma_f64 v[50:51], -v[54:55], v[110:111], v[50:51]
	ds_read2_b64 v[108:111], v102 offset0:27 offset1:28
	v_fma_f64 v[46:47], -v[54:55], v[112:113], v[46:47]
	v_fma_f64 v[48:49], -v[54:55], v[114:115], v[48:49]
	;; [unrolled: 1-line block ×3, first 2 shown]
	ds_read2_b64 v[112:115], v102 offset0:29 offset1:30
	v_fma_f64 v[42:43], -v[54:55], v[118:119], v[42:43]
	ds_read2_b64 v[116:119], v102 offset0:31 offset1:32
	s_waitcnt lgkmcnt(0)
	v_fma_f64 v[40:41], -v[54:55], v[108:109], v[40:41]
	v_fma_f64 v[38:39], -v[54:55], v[110:111], v[38:39]
	ds_read2_b64 v[108:111], v102 offset0:33 offset1:34
	v_fma_f64 v[36:37], -v[54:55], v[112:113], v[36:37]
	v_fma_f64 v[34:35], -v[54:55], v[114:115], v[34:35]
	ds_read2_b64 v[112:115], v102 offset0:35 offset1:36
	v_fma_f64 v[32:33], -v[54:55], v[116:117], v[32:33]
	v_fma_f64 v[30:31], -v[54:55], v[118:119], v[30:31]
	s_waitcnt lgkmcnt(0)
	v_fma_f64 v[28:29], -v[54:55], v[108:109], v[28:29]
	ds_read2_b64 v[116:119], v102 offset0:37 offset1:38
	v_fma_f64 v[26:27], -v[54:55], v[110:111], v[26:27]
	ds_read2_b64 v[108:111], v102 offset0:39 offset1:40
	v_fma_f64 v[22:23], -v[54:55], v[112:113], v[22:23]
	v_fma_f64 v[24:25], -v[54:55], v[114:115], v[24:25]
	s_waitcnt lgkmcnt(0)
	v_fma_f64 v[20:21], -v[54:55], v[116:117], v[20:21]
	v_fma_f64 v[18:19], -v[54:55], v[118:119], v[18:19]
	ds_read2_b64 v[112:115], v102 offset0:41 offset1:42
	ds_read2_b64 v[116:119], v102 offset0:43 offset1:44
	v_fma_f64 v[16:17], -v[54:55], v[108:109], v[16:17]
	v_fma_f64 v[14:15], -v[54:55], v[110:111], v[14:15]
	ds_read2_b64 v[108:111], v102 offset0:45 offset1:46
	s_waitcnt lgkmcnt(0)
	v_fma_f64 v[12:13], -v[54:55], v[112:113], v[12:13]
	v_fma_f64 v[10:11], -v[54:55], v[114:115], v[10:11]
	;; [unrolled: 1-line block ×6, first 2 shown]
.LBB92_352:
	s_or_b64 exec, exec, s[0:1]
	v_lshl_add_u32 v98, v103, 3, v102
	s_barrier
	ds_write_b64 v98, v[52:53]
	s_waitcnt lgkmcnt(0)
	s_barrier
	ds_read_b64 v[98:99], v102 offset:168
	s_cmp_lt_i32 s18, 23
	v_mov_b32_e32 v100, 21
	s_cbranch_scc1 .LBB92_355
; %bb.353:
	v_add_u32_e32 v107, 0xb0, v102
	s_mov_b32 s0, 22
	v_mov_b32_e32 v100, 21
.LBB92_354:                             ; =>This Inner Loop Header: Depth=1
	ds_read_b64 v[108:109], v107
	v_mov_b32_e32 v110, s0
	s_add_i32 s0, s0, 1
	v_add_u32_e32 v107, 8, v107
	s_cmp_lg_u32 s18, s0
	s_waitcnt lgkmcnt(0)
	v_cmp_lt_f64_e64 vcc, |v[98:99]|, |v[108:109]|
	v_cndmask_b32_e32 v99, v99, v109, vcc
	v_cndmask_b32_e32 v98, v98, v108, vcc
	;; [unrolled: 1-line block ×3, first 2 shown]
	s_cbranch_scc1 .LBB92_354
.LBB92_355:
	s_waitcnt lgkmcnt(0)
	v_cmp_eq_f64_e32 vcc, 0, v[98:99]
	s_and_saveexec_b64 s[0:1], vcc
	s_xor_b64 s[0:1], exec, s[0:1]
; %bb.356:
	v_cmp_ne_u32_e32 vcc, 0, v106
	v_cndmask_b32_e32 v106, 22, v106, vcc
; %bb.357:
	s_andn2_saveexec_b64 s[0:1], s[0:1]
; %bb.358:
	v_div_scale_f64 v[108:109], s[2:3], v[98:99], v[98:99], 1.0
	v_rcp_f64_e32 v[110:111], v[108:109]
	v_div_scale_f64 v[112:113], vcc, 1.0, v[98:99], 1.0
	v_fma_f64 v[114:115], -v[108:109], v[110:111], 1.0
	v_fmac_f64_e32 v[110:111], v[110:111], v[114:115]
	v_fma_f64 v[114:115], -v[108:109], v[110:111], 1.0
	v_fmac_f64_e32 v[110:111], v[110:111], v[114:115]
	v_mul_f64 v[114:115], v[112:113], v[110:111]
	v_fma_f64 v[108:109], -v[108:109], v[114:115], v[112:113]
	v_div_fmas_f64 v[108:109], v[108:109], v[110:111], v[114:115]
	v_div_fixup_f64 v[98:99], v[108:109], v[98:99], 1.0
; %bb.359:
	s_or_b64 exec, exec, s[0:1]
	v_cmp_ne_u32_e32 vcc, v103, v100
	s_and_saveexec_b64 s[0:1], vcc
	s_xor_b64 s[0:1], exec, s[0:1]
	s_cbranch_execz .LBB92_365
; %bb.360:
	v_cmp_eq_u32_e32 vcc, 21, v103
	s_and_saveexec_b64 s[2:3], vcc
	s_cbranch_execz .LBB92_364
; %bb.361:
	v_cmp_ne_u32_e32 vcc, 21, v100
	s_xor_b64 s[14:15], s[6:7], -1
	s_and_b64 s[16:17], s[14:15], vcc
	s_and_saveexec_b64 s[14:15], s[16:17]
	s_cbranch_execz .LBB92_363
; %bb.362:
	v_ashrrev_i32_e32 v101, 31, v100
	v_lshlrev_b64 v[108:109], 2, v[100:101]
	v_add_co_u32_e32 v108, vcc, v4, v108
	v_addc_co_u32_e32 v109, vcc, v5, v109, vcc
	flat_load_dword v101, v[108:109]
	flat_load_dword v103, v[4:5] offset:84
	s_waitcnt vmcnt(0) lgkmcnt(0)
	flat_store_dword v[4:5], v101 offset:84
	flat_store_dword v[108:109], v103
.LBB92_363:
	s_or_b64 exec, exec, s[14:15]
	v_mov_b32_e32 v101, v100
	v_mov_b32_e32 v103, v100
.LBB92_364:
	s_or_b64 exec, exec, s[2:3]
.LBB92_365:
	s_andn2_saveexec_b64 s[0:1], s[0:1]
	s_cbranch_execz .LBB92_367
; %bb.366:
	v_mov_b32_e32 v108, v50
	v_mov_b32_e32 v109, v51
	v_mov_b32_e32 v110, v46
	v_mov_b32_e32 v111, v47
	ds_write2_b64 v102, v[108:109], v[110:111] offset0:22 offset1:23
	v_mov_b32_e32 v108, v48
	v_mov_b32_e32 v109, v49
	v_mov_b32_e32 v110, v44
	v_mov_b32_e32 v111, v45
	ds_write2_b64 v102, v[108:109], v[110:111] offset0:24 offset1:25
	;; [unrolled: 5-line block ×11, first 2 shown]
	v_mov_b32_e32 v108, v6
	v_mov_b32_e32 v109, v7
	;; [unrolled: 1-line block ×5, first 2 shown]
	ds_write2_b64 v102, v[108:109], v[110:111] offset0:44 offset1:45
	ds_write_b64 v102, v[96:97] offset:368
.LBB92_367:
	s_or_b64 exec, exec, s[0:1]
	v_cmp_lt_i32_e32 vcc, 21, v103
	s_waitcnt lgkmcnt(0)
	s_barrier
	s_and_saveexec_b64 s[0:1], vcc
	s_cbranch_execz .LBB92_369
; %bb.368:
	ds_read2_b64 v[108:111], v102 offset0:22 offset1:23
	ds_read2_b64 v[112:115], v102 offset0:24 offset1:25
	;; [unrolled: 1-line block ×3, first 2 shown]
	v_mul_f64 v[52:53], v[98:99], v[52:53]
	ds_read_b64 v[98:99], v102 offset:368
	s_waitcnt lgkmcnt(0)
	v_fma_f64 v[50:51], -v[52:53], v[108:109], v[50:51]
	v_fma_f64 v[46:47], -v[52:53], v[110:111], v[46:47]
	ds_read2_b64 v[108:111], v102 offset0:28 offset1:29
	v_fma_f64 v[48:49], -v[52:53], v[112:113], v[48:49]
	v_fma_f64 v[44:45], -v[52:53], v[114:115], v[44:45]
	;; [unrolled: 1-line block ×3, first 2 shown]
	ds_read2_b64 v[112:115], v102 offset0:30 offset1:31
	v_fma_f64 v[40:41], -v[52:53], v[118:119], v[40:41]
	ds_read2_b64 v[116:119], v102 offset0:32 offset1:33
	s_waitcnt lgkmcnt(0)
	v_fma_f64 v[38:39], -v[52:53], v[108:109], v[38:39]
	v_fma_f64 v[36:37], -v[52:53], v[110:111], v[36:37]
	;; [unrolled: 1-line block ×3, first 2 shown]
	ds_read2_b64 v[108:111], v102 offset0:34 offset1:35
	v_fma_f64 v[32:33], -v[52:53], v[114:115], v[32:33]
	ds_read2_b64 v[112:115], v102 offset0:36 offset1:37
	v_fma_f64 v[30:31], -v[52:53], v[116:117], v[30:31]
	v_fma_f64 v[28:29], -v[52:53], v[118:119], v[28:29]
	ds_read2_b64 v[116:119], v102 offset0:38 offset1:39
	s_waitcnt lgkmcnt(0)
	v_fma_f64 v[26:27], -v[52:53], v[108:109], v[26:27]
	v_fma_f64 v[22:23], -v[52:53], v[110:111], v[22:23]
	ds_read2_b64 v[108:111], v102 offset0:40 offset1:41
	v_fma_f64 v[24:25], -v[52:53], v[112:113], v[24:25]
	v_fma_f64 v[20:21], -v[52:53], v[114:115], v[20:21]
	;; [unrolled: 1-line block ×4, first 2 shown]
	ds_read2_b64 v[112:115], v102 offset0:42 offset1:43
	ds_read2_b64 v[116:119], v102 offset0:44 offset1:45
	s_waitcnt lgkmcnt(0)
	v_fma_f64 v[14:15], -v[52:53], v[108:109], v[14:15]
	v_fma_f64 v[12:13], -v[52:53], v[110:111], v[12:13]
	;; [unrolled: 1-line block ×7, first 2 shown]
.LBB92_369:
	s_or_b64 exec, exec, s[0:1]
	v_lshl_add_u32 v98, v103, 3, v102
	s_barrier
	ds_write_b64 v98, v[50:51]
	s_waitcnt lgkmcnt(0)
	s_barrier
	ds_read_b64 v[98:99], v102 offset:176
	s_cmp_lt_i32 s18, 24
	v_mov_b32_e32 v100, 22
	s_cbranch_scc1 .LBB92_372
; %bb.370:
	v_add_u32_e32 v107, 0xb8, v102
	s_mov_b32 s0, 23
	v_mov_b32_e32 v100, 22
.LBB92_371:                             ; =>This Inner Loop Header: Depth=1
	ds_read_b64 v[108:109], v107
	v_mov_b32_e32 v110, s0
	s_add_i32 s0, s0, 1
	v_add_u32_e32 v107, 8, v107
	s_cmp_lg_u32 s18, s0
	s_waitcnt lgkmcnt(0)
	v_cmp_lt_f64_e64 vcc, |v[98:99]|, |v[108:109]|
	v_cndmask_b32_e32 v99, v99, v109, vcc
	v_cndmask_b32_e32 v98, v98, v108, vcc
	;; [unrolled: 1-line block ×3, first 2 shown]
	s_cbranch_scc1 .LBB92_371
.LBB92_372:
	s_waitcnt lgkmcnt(0)
	v_cmp_eq_f64_e32 vcc, 0, v[98:99]
	s_and_saveexec_b64 s[0:1], vcc
	s_xor_b64 s[0:1], exec, s[0:1]
; %bb.373:
	v_cmp_ne_u32_e32 vcc, 0, v106
	v_cndmask_b32_e32 v106, 23, v106, vcc
; %bb.374:
	s_andn2_saveexec_b64 s[0:1], s[0:1]
; %bb.375:
	v_div_scale_f64 v[108:109], s[2:3], v[98:99], v[98:99], 1.0
	v_rcp_f64_e32 v[110:111], v[108:109]
	v_div_scale_f64 v[112:113], vcc, 1.0, v[98:99], 1.0
	v_fma_f64 v[114:115], -v[108:109], v[110:111], 1.0
	v_fmac_f64_e32 v[110:111], v[110:111], v[114:115]
	v_fma_f64 v[114:115], -v[108:109], v[110:111], 1.0
	v_fmac_f64_e32 v[110:111], v[110:111], v[114:115]
	v_mul_f64 v[114:115], v[112:113], v[110:111]
	v_fma_f64 v[108:109], -v[108:109], v[114:115], v[112:113]
	v_div_fmas_f64 v[108:109], v[108:109], v[110:111], v[114:115]
	v_div_fixup_f64 v[98:99], v[108:109], v[98:99], 1.0
; %bb.376:
	s_or_b64 exec, exec, s[0:1]
	v_cmp_ne_u32_e32 vcc, v103, v100
	s_and_saveexec_b64 s[0:1], vcc
	s_xor_b64 s[0:1], exec, s[0:1]
	s_cbranch_execz .LBB92_382
; %bb.377:
	v_cmp_eq_u32_e32 vcc, 22, v103
	s_and_saveexec_b64 s[2:3], vcc
	s_cbranch_execz .LBB92_381
; %bb.378:
	v_cmp_ne_u32_e32 vcc, 22, v100
	s_xor_b64 s[14:15], s[6:7], -1
	s_and_b64 s[16:17], s[14:15], vcc
	s_and_saveexec_b64 s[14:15], s[16:17]
	s_cbranch_execz .LBB92_380
; %bb.379:
	v_ashrrev_i32_e32 v101, 31, v100
	v_lshlrev_b64 v[108:109], 2, v[100:101]
	v_add_co_u32_e32 v108, vcc, v4, v108
	v_addc_co_u32_e32 v109, vcc, v5, v109, vcc
	flat_load_dword v101, v[108:109]
	flat_load_dword v103, v[4:5] offset:88
	s_waitcnt vmcnt(0) lgkmcnt(0)
	flat_store_dword v[4:5], v101 offset:88
	flat_store_dword v[108:109], v103
.LBB92_380:
	s_or_b64 exec, exec, s[14:15]
	v_mov_b32_e32 v101, v100
	v_mov_b32_e32 v103, v100
.LBB92_381:
	s_or_b64 exec, exec, s[2:3]
.LBB92_382:
	s_andn2_saveexec_b64 s[0:1], s[0:1]
	s_cbranch_execz .LBB92_384
; %bb.383:
	v_mov_b32_e32 v103, 22
	ds_write2_b64 v102, v[46:47], v[48:49] offset0:23 offset1:24
	ds_write2_b64 v102, v[44:45], v[42:43] offset0:25 offset1:26
	;; [unrolled: 1-line block ×12, first 2 shown]
.LBB92_384:
	s_or_b64 exec, exec, s[0:1]
	v_cmp_lt_i32_e32 vcc, 22, v103
	s_waitcnt lgkmcnt(0)
	s_barrier
	s_and_saveexec_b64 s[0:1], vcc
	s_cbranch_execz .LBB92_386
; %bb.385:
	ds_read2_b64 v[108:111], v102 offset0:23 offset1:24
	ds_read2_b64 v[112:115], v102 offset0:25 offset1:26
	;; [unrolled: 1-line block ×3, first 2 shown]
	v_mul_f64 v[50:51], v[98:99], v[50:51]
	s_waitcnt lgkmcnt(0)
	v_fma_f64 v[46:47], -v[50:51], v[108:109], v[46:47]
	v_fma_f64 v[48:49], -v[50:51], v[110:111], v[48:49]
	ds_read2_b64 v[108:111], v102 offset0:29 offset1:30
	v_fma_f64 v[44:45], -v[50:51], v[112:113], v[44:45]
	v_fma_f64 v[42:43], -v[50:51], v[114:115], v[42:43]
	;; [unrolled: 1-line block ×3, first 2 shown]
	ds_read2_b64 v[112:115], v102 offset0:31 offset1:32
	v_fma_f64 v[38:39], -v[50:51], v[118:119], v[38:39]
	ds_read2_b64 v[116:119], v102 offset0:33 offset1:34
	s_waitcnt lgkmcnt(0)
	v_fma_f64 v[36:37], -v[50:51], v[108:109], v[36:37]
	v_fma_f64 v[34:35], -v[50:51], v[110:111], v[34:35]
	;; [unrolled: 1-line block ×3, first 2 shown]
	ds_read2_b64 v[108:111], v102 offset0:35 offset1:36
	v_fma_f64 v[30:31], -v[50:51], v[114:115], v[30:31]
	ds_read2_b64 v[112:115], v102 offset0:37 offset1:38
	v_fma_f64 v[28:29], -v[50:51], v[116:117], v[28:29]
	v_fma_f64 v[26:27], -v[50:51], v[118:119], v[26:27]
	ds_read2_b64 v[116:119], v102 offset0:39 offset1:40
	s_waitcnt lgkmcnt(0)
	v_fma_f64 v[22:23], -v[50:51], v[108:109], v[22:23]
	v_fma_f64 v[24:25], -v[50:51], v[110:111], v[24:25]
	ds_read2_b64 v[108:111], v102 offset0:41 offset1:42
	v_fma_f64 v[20:21], -v[50:51], v[112:113], v[20:21]
	v_fma_f64 v[18:19], -v[50:51], v[114:115], v[18:19]
	;; [unrolled: 1-line block ×3, first 2 shown]
	ds_read2_b64 v[112:115], v102 offset0:43 offset1:44
	v_fma_f64 v[14:15], -v[50:51], v[118:119], v[14:15]
	ds_read2_b64 v[116:119], v102 offset0:45 offset1:46
	s_waitcnt lgkmcnt(0)
	v_fma_f64 v[12:13], -v[50:51], v[108:109], v[12:13]
	v_fma_f64 v[10:11], -v[50:51], v[110:111], v[10:11]
	;; [unrolled: 1-line block ×6, first 2 shown]
.LBB92_386:
	s_or_b64 exec, exec, s[0:1]
	v_lshl_add_u32 v98, v103, 3, v102
	s_barrier
	ds_write_b64 v98, v[46:47]
	s_waitcnt lgkmcnt(0)
	s_barrier
	ds_read_b64 v[98:99], v102 offset:184
	s_cmp_lt_i32 s18, 25
	v_mov_b32_e32 v100, 23
	s_cbranch_scc1 .LBB92_389
; %bb.387:
	v_add_u32_e32 v107, 0xc0, v102
	s_mov_b32 s0, 24
	v_mov_b32_e32 v100, 23
.LBB92_388:                             ; =>This Inner Loop Header: Depth=1
	ds_read_b64 v[108:109], v107
	v_mov_b32_e32 v110, s0
	s_add_i32 s0, s0, 1
	v_add_u32_e32 v107, 8, v107
	s_cmp_lg_u32 s18, s0
	s_waitcnt lgkmcnt(0)
	v_cmp_lt_f64_e64 vcc, |v[98:99]|, |v[108:109]|
	v_cndmask_b32_e32 v99, v99, v109, vcc
	v_cndmask_b32_e32 v98, v98, v108, vcc
	;; [unrolled: 1-line block ×3, first 2 shown]
	s_cbranch_scc1 .LBB92_388
.LBB92_389:
	s_waitcnt lgkmcnt(0)
	v_cmp_eq_f64_e32 vcc, 0, v[98:99]
	s_and_saveexec_b64 s[0:1], vcc
	s_xor_b64 s[0:1], exec, s[0:1]
; %bb.390:
	v_cmp_ne_u32_e32 vcc, 0, v106
	v_cndmask_b32_e32 v106, 24, v106, vcc
; %bb.391:
	s_andn2_saveexec_b64 s[0:1], s[0:1]
; %bb.392:
	v_div_scale_f64 v[108:109], s[2:3], v[98:99], v[98:99], 1.0
	v_rcp_f64_e32 v[110:111], v[108:109]
	v_div_scale_f64 v[112:113], vcc, 1.0, v[98:99], 1.0
	v_fma_f64 v[114:115], -v[108:109], v[110:111], 1.0
	v_fmac_f64_e32 v[110:111], v[110:111], v[114:115]
	v_fma_f64 v[114:115], -v[108:109], v[110:111], 1.0
	v_fmac_f64_e32 v[110:111], v[110:111], v[114:115]
	v_mul_f64 v[114:115], v[112:113], v[110:111]
	v_fma_f64 v[108:109], -v[108:109], v[114:115], v[112:113]
	v_div_fmas_f64 v[108:109], v[108:109], v[110:111], v[114:115]
	v_div_fixup_f64 v[98:99], v[108:109], v[98:99], 1.0
; %bb.393:
	s_or_b64 exec, exec, s[0:1]
	v_cmp_ne_u32_e32 vcc, v103, v100
	s_and_saveexec_b64 s[0:1], vcc
	s_xor_b64 s[0:1], exec, s[0:1]
	s_cbranch_execz .LBB92_399
; %bb.394:
	v_cmp_eq_u32_e32 vcc, 23, v103
	s_and_saveexec_b64 s[2:3], vcc
	s_cbranch_execz .LBB92_398
; %bb.395:
	v_cmp_ne_u32_e32 vcc, 23, v100
	s_xor_b64 s[14:15], s[6:7], -1
	s_and_b64 s[16:17], s[14:15], vcc
	s_and_saveexec_b64 s[14:15], s[16:17]
	s_cbranch_execz .LBB92_397
; %bb.396:
	v_ashrrev_i32_e32 v101, 31, v100
	v_lshlrev_b64 v[108:109], 2, v[100:101]
	v_add_co_u32_e32 v108, vcc, v4, v108
	v_addc_co_u32_e32 v109, vcc, v5, v109, vcc
	flat_load_dword v101, v[108:109]
	flat_load_dword v103, v[4:5] offset:92
	s_waitcnt vmcnt(0) lgkmcnt(0)
	flat_store_dword v[4:5], v101 offset:92
	flat_store_dword v[108:109], v103
.LBB92_397:
	s_or_b64 exec, exec, s[14:15]
	v_mov_b32_e32 v101, v100
	v_mov_b32_e32 v103, v100
.LBB92_398:
	s_or_b64 exec, exec, s[2:3]
.LBB92_399:
	s_andn2_saveexec_b64 s[0:1], s[0:1]
	s_cbranch_execz .LBB92_401
; %bb.400:
	v_mov_b32_e32 v108, v48
	v_mov_b32_e32 v109, v49
	v_mov_b32_e32 v110, v44
	v_mov_b32_e32 v111, v45
	ds_write2_b64 v102, v[108:109], v[110:111] offset0:24 offset1:25
	v_mov_b32_e32 v108, v42
	v_mov_b32_e32 v109, v43
	v_mov_b32_e32 v110, v40
	v_mov_b32_e32 v111, v41
	ds_write2_b64 v102, v[108:109], v[110:111] offset0:26 offset1:27
	;; [unrolled: 5-line block ×10, first 2 shown]
	v_mov_b32_e32 v108, v6
	v_mov_b32_e32 v109, v7
	;; [unrolled: 1-line block ×5, first 2 shown]
	ds_write2_b64 v102, v[108:109], v[110:111] offset0:44 offset1:45
	ds_write_b64 v102, v[96:97] offset:368
.LBB92_401:
	s_or_b64 exec, exec, s[0:1]
	v_cmp_lt_i32_e32 vcc, 23, v103
	s_waitcnt lgkmcnt(0)
	s_barrier
	s_and_saveexec_b64 s[0:1], vcc
	s_cbranch_execz .LBB92_403
; %bb.402:
	ds_read2_b64 v[108:111], v102 offset0:24 offset1:25
	ds_read2_b64 v[112:115], v102 offset0:26 offset1:27
	v_mul_f64 v[46:47], v[98:99], v[46:47]
	ds_read2_b64 v[116:119], v102 offset0:28 offset1:29
	ds_read_b64 v[98:99], v102 offset:368
	s_waitcnt lgkmcnt(0)
	v_fma_f64 v[48:49], -v[46:47], v[108:109], v[48:49]
	v_fma_f64 v[44:45], -v[46:47], v[110:111], v[44:45]
	ds_read2_b64 v[108:111], v102 offset0:30 offset1:31
	v_fma_f64 v[42:43], -v[46:47], v[112:113], v[42:43]
	v_fma_f64 v[40:41], -v[46:47], v[114:115], v[40:41]
	ds_read2_b64 v[112:115], v102 offset0:32 offset1:33
	;; [unrolled: 3-line block ×3, first 2 shown]
	s_waitcnt lgkmcnt(0)
	v_fma_f64 v[34:35], -v[46:47], v[108:109], v[34:35]
	v_fma_f64 v[32:33], -v[46:47], v[110:111], v[32:33]
	;; [unrolled: 1-line block ×3, first 2 shown]
	ds_read2_b64 v[108:111], v102 offset0:36 offset1:37
	v_fma_f64 v[28:29], -v[46:47], v[114:115], v[28:29]
	ds_read2_b64 v[112:115], v102 offset0:38 offset1:39
	v_fma_f64 v[26:27], -v[46:47], v[116:117], v[26:27]
	v_fma_f64 v[22:23], -v[46:47], v[118:119], v[22:23]
	s_waitcnt lgkmcnt(0)
	v_fma_f64 v[24:25], -v[46:47], v[108:109], v[24:25]
	ds_read2_b64 v[116:119], v102 offset0:40 offset1:41
	v_fma_f64 v[20:21], -v[46:47], v[110:111], v[20:21]
	ds_read2_b64 v[108:111], v102 offset0:42 offset1:43
	v_fma_f64 v[18:19], -v[46:47], v[112:113], v[18:19]
	v_fma_f64 v[16:17], -v[46:47], v[114:115], v[16:17]
	ds_read2_b64 v[112:115], v102 offset0:44 offset1:45
	s_waitcnt lgkmcnt(0)
	v_fma_f64 v[14:15], -v[46:47], v[116:117], v[14:15]
	v_fma_f64 v[12:13], -v[46:47], v[118:119], v[12:13]
	;; [unrolled: 1-line block ×7, first 2 shown]
.LBB92_403:
	s_or_b64 exec, exec, s[0:1]
	v_lshl_add_u32 v98, v103, 3, v102
	s_barrier
	ds_write_b64 v98, v[48:49]
	s_waitcnt lgkmcnt(0)
	s_barrier
	ds_read_b64 v[98:99], v102 offset:192
	s_cmp_lt_i32 s18, 26
	v_mov_b32_e32 v100, 24
	s_cbranch_scc1 .LBB92_406
; %bb.404:
	v_add_u32_e32 v107, 0xc8, v102
	s_mov_b32 s0, 25
	v_mov_b32_e32 v100, 24
.LBB92_405:                             ; =>This Inner Loop Header: Depth=1
	ds_read_b64 v[108:109], v107
	v_mov_b32_e32 v110, s0
	s_add_i32 s0, s0, 1
	v_add_u32_e32 v107, 8, v107
	s_cmp_lg_u32 s18, s0
	s_waitcnt lgkmcnt(0)
	v_cmp_lt_f64_e64 vcc, |v[98:99]|, |v[108:109]|
	v_cndmask_b32_e32 v99, v99, v109, vcc
	v_cndmask_b32_e32 v98, v98, v108, vcc
	;; [unrolled: 1-line block ×3, first 2 shown]
	s_cbranch_scc1 .LBB92_405
.LBB92_406:
	s_waitcnt lgkmcnt(0)
	v_cmp_eq_f64_e32 vcc, 0, v[98:99]
	s_and_saveexec_b64 s[0:1], vcc
	s_xor_b64 s[0:1], exec, s[0:1]
; %bb.407:
	v_cmp_ne_u32_e32 vcc, 0, v106
	v_cndmask_b32_e32 v106, 25, v106, vcc
; %bb.408:
	s_andn2_saveexec_b64 s[0:1], s[0:1]
; %bb.409:
	v_div_scale_f64 v[108:109], s[2:3], v[98:99], v[98:99], 1.0
	v_rcp_f64_e32 v[110:111], v[108:109]
	v_div_scale_f64 v[112:113], vcc, 1.0, v[98:99], 1.0
	v_fma_f64 v[114:115], -v[108:109], v[110:111], 1.0
	v_fmac_f64_e32 v[110:111], v[110:111], v[114:115]
	v_fma_f64 v[114:115], -v[108:109], v[110:111], 1.0
	v_fmac_f64_e32 v[110:111], v[110:111], v[114:115]
	v_mul_f64 v[114:115], v[112:113], v[110:111]
	v_fma_f64 v[108:109], -v[108:109], v[114:115], v[112:113]
	v_div_fmas_f64 v[108:109], v[108:109], v[110:111], v[114:115]
	v_div_fixup_f64 v[98:99], v[108:109], v[98:99], 1.0
; %bb.410:
	s_or_b64 exec, exec, s[0:1]
	v_cmp_ne_u32_e32 vcc, v103, v100
	s_and_saveexec_b64 s[0:1], vcc
	s_xor_b64 s[0:1], exec, s[0:1]
	s_cbranch_execz .LBB92_416
; %bb.411:
	v_cmp_eq_u32_e32 vcc, 24, v103
	s_and_saveexec_b64 s[2:3], vcc
	s_cbranch_execz .LBB92_415
; %bb.412:
	v_cmp_ne_u32_e32 vcc, 24, v100
	s_xor_b64 s[14:15], s[6:7], -1
	s_and_b64 s[16:17], s[14:15], vcc
	s_and_saveexec_b64 s[14:15], s[16:17]
	s_cbranch_execz .LBB92_414
; %bb.413:
	v_ashrrev_i32_e32 v101, 31, v100
	v_lshlrev_b64 v[108:109], 2, v[100:101]
	v_add_co_u32_e32 v108, vcc, v4, v108
	v_addc_co_u32_e32 v109, vcc, v5, v109, vcc
	flat_load_dword v101, v[108:109]
	flat_load_dword v103, v[4:5] offset:96
	s_waitcnt vmcnt(0) lgkmcnt(0)
	flat_store_dword v[4:5], v101 offset:96
	flat_store_dword v[108:109], v103
.LBB92_414:
	s_or_b64 exec, exec, s[14:15]
	v_mov_b32_e32 v101, v100
	v_mov_b32_e32 v103, v100
.LBB92_415:
	s_or_b64 exec, exec, s[2:3]
.LBB92_416:
	s_andn2_saveexec_b64 s[0:1], s[0:1]
	s_cbranch_execz .LBB92_418
; %bb.417:
	v_mov_b32_e32 v103, 24
	ds_write2_b64 v102, v[44:45], v[42:43] offset0:25 offset1:26
	ds_write2_b64 v102, v[40:41], v[38:39] offset0:27 offset1:28
	;; [unrolled: 1-line block ×11, first 2 shown]
.LBB92_418:
	s_or_b64 exec, exec, s[0:1]
	v_cmp_lt_i32_e32 vcc, 24, v103
	s_waitcnt lgkmcnt(0)
	s_barrier
	s_and_saveexec_b64 s[0:1], vcc
	s_cbranch_execz .LBB92_420
; %bb.419:
	ds_read2_b64 v[108:111], v102 offset0:25 offset1:26
	ds_read2_b64 v[112:115], v102 offset0:27 offset1:28
	v_mul_f64 v[48:49], v[98:99], v[48:49]
	ds_read2_b64 v[116:119], v102 offset0:29 offset1:30
	s_waitcnt lgkmcnt(0)
	v_fma_f64 v[44:45], -v[48:49], v[108:109], v[44:45]
	v_fma_f64 v[42:43], -v[48:49], v[110:111], v[42:43]
	ds_read2_b64 v[108:111], v102 offset0:31 offset1:32
	v_fma_f64 v[40:41], -v[48:49], v[112:113], v[40:41]
	v_fma_f64 v[38:39], -v[48:49], v[114:115], v[38:39]
	ds_read2_b64 v[112:115], v102 offset0:33 offset1:34
	;; [unrolled: 3-line block ×3, first 2 shown]
	s_waitcnt lgkmcnt(0)
	v_fma_f64 v[32:33], -v[48:49], v[108:109], v[32:33]
	v_fma_f64 v[30:31], -v[48:49], v[110:111], v[30:31]
	;; [unrolled: 1-line block ×3, first 2 shown]
	ds_read2_b64 v[108:111], v102 offset0:37 offset1:38
	v_fma_f64 v[26:27], -v[48:49], v[114:115], v[26:27]
	ds_read2_b64 v[112:115], v102 offset0:39 offset1:40
	v_fma_f64 v[22:23], -v[48:49], v[116:117], v[22:23]
	v_fma_f64 v[24:25], -v[48:49], v[118:119], v[24:25]
	s_waitcnt lgkmcnt(0)
	v_fma_f64 v[20:21], -v[48:49], v[108:109], v[20:21]
	v_fma_f64 v[18:19], -v[48:49], v[110:111], v[18:19]
	ds_read2_b64 v[108:111], v102 offset0:41 offset1:42
	ds_read2_b64 v[116:119], v102 offset0:43 offset1:44
	v_fma_f64 v[16:17], -v[48:49], v[112:113], v[16:17]
	v_fma_f64 v[14:15], -v[48:49], v[114:115], v[14:15]
	ds_read2_b64 v[112:115], v102 offset0:45 offset1:46
	s_waitcnt lgkmcnt(0)
	v_fma_f64 v[12:13], -v[48:49], v[108:109], v[12:13]
	v_fma_f64 v[10:11], -v[48:49], v[110:111], v[10:11]
	v_fma_f64 v[8:9], -v[48:49], v[116:117], v[8:9]
	v_fma_f64 v[6:7], -v[48:49], v[118:119], v[6:7]
	v_fma_f64 v[0:1], -v[48:49], v[112:113], v[0:1]
	v_fma_f64 v[96:97], -v[48:49], v[114:115], v[96:97]
.LBB92_420:
	s_or_b64 exec, exec, s[0:1]
	v_lshl_add_u32 v98, v103, 3, v102
	s_barrier
	ds_write_b64 v98, v[44:45]
	s_waitcnt lgkmcnt(0)
	s_barrier
	ds_read_b64 v[98:99], v102 offset:200
	s_cmp_lt_i32 s18, 27
	v_mov_b32_e32 v100, 25
	s_cbranch_scc1 .LBB92_423
; %bb.421:
	v_add_u32_e32 v107, 0xd0, v102
	s_mov_b32 s0, 26
	v_mov_b32_e32 v100, 25
.LBB92_422:                             ; =>This Inner Loop Header: Depth=1
	ds_read_b64 v[108:109], v107
	v_mov_b32_e32 v110, s0
	s_add_i32 s0, s0, 1
	v_add_u32_e32 v107, 8, v107
	s_cmp_lg_u32 s18, s0
	s_waitcnt lgkmcnt(0)
	v_cmp_lt_f64_e64 vcc, |v[98:99]|, |v[108:109]|
	v_cndmask_b32_e32 v99, v99, v109, vcc
	v_cndmask_b32_e32 v98, v98, v108, vcc
	;; [unrolled: 1-line block ×3, first 2 shown]
	s_cbranch_scc1 .LBB92_422
.LBB92_423:
	s_waitcnt lgkmcnt(0)
	v_cmp_eq_f64_e32 vcc, 0, v[98:99]
	s_and_saveexec_b64 s[0:1], vcc
	s_xor_b64 s[0:1], exec, s[0:1]
; %bb.424:
	v_cmp_ne_u32_e32 vcc, 0, v106
	v_cndmask_b32_e32 v106, 26, v106, vcc
; %bb.425:
	s_andn2_saveexec_b64 s[0:1], s[0:1]
; %bb.426:
	v_div_scale_f64 v[108:109], s[2:3], v[98:99], v[98:99], 1.0
	v_rcp_f64_e32 v[110:111], v[108:109]
	v_div_scale_f64 v[112:113], vcc, 1.0, v[98:99], 1.0
	v_fma_f64 v[114:115], -v[108:109], v[110:111], 1.0
	v_fmac_f64_e32 v[110:111], v[110:111], v[114:115]
	v_fma_f64 v[114:115], -v[108:109], v[110:111], 1.0
	v_fmac_f64_e32 v[110:111], v[110:111], v[114:115]
	v_mul_f64 v[114:115], v[112:113], v[110:111]
	v_fma_f64 v[108:109], -v[108:109], v[114:115], v[112:113]
	v_div_fmas_f64 v[108:109], v[108:109], v[110:111], v[114:115]
	v_div_fixup_f64 v[98:99], v[108:109], v[98:99], 1.0
; %bb.427:
	s_or_b64 exec, exec, s[0:1]
	v_cmp_ne_u32_e32 vcc, v103, v100
	s_and_saveexec_b64 s[0:1], vcc
	s_xor_b64 s[0:1], exec, s[0:1]
	s_cbranch_execz .LBB92_433
; %bb.428:
	v_cmp_eq_u32_e32 vcc, 25, v103
	s_and_saveexec_b64 s[2:3], vcc
	s_cbranch_execz .LBB92_432
; %bb.429:
	v_cmp_ne_u32_e32 vcc, 25, v100
	s_xor_b64 s[14:15], s[6:7], -1
	s_and_b64 s[16:17], s[14:15], vcc
	s_and_saveexec_b64 s[14:15], s[16:17]
	s_cbranch_execz .LBB92_431
; %bb.430:
	v_ashrrev_i32_e32 v101, 31, v100
	v_lshlrev_b64 v[108:109], 2, v[100:101]
	v_add_co_u32_e32 v108, vcc, v4, v108
	v_addc_co_u32_e32 v109, vcc, v5, v109, vcc
	flat_load_dword v101, v[108:109]
	flat_load_dword v103, v[4:5] offset:100
	s_waitcnt vmcnt(0) lgkmcnt(0)
	flat_store_dword v[4:5], v101 offset:100
	flat_store_dword v[108:109], v103
.LBB92_431:
	s_or_b64 exec, exec, s[14:15]
	v_mov_b32_e32 v101, v100
	v_mov_b32_e32 v103, v100
.LBB92_432:
	s_or_b64 exec, exec, s[2:3]
.LBB92_433:
	s_andn2_saveexec_b64 s[0:1], s[0:1]
	s_cbranch_execz .LBB92_435
; %bb.434:
	v_mov_b32_e32 v108, v42
	v_mov_b32_e32 v109, v43
	v_mov_b32_e32 v110, v40
	v_mov_b32_e32 v111, v41
	ds_write2_b64 v102, v[108:109], v[110:111] offset0:26 offset1:27
	v_mov_b32_e32 v108, v38
	v_mov_b32_e32 v109, v39
	v_mov_b32_e32 v110, v36
	v_mov_b32_e32 v111, v37
	ds_write2_b64 v102, v[108:109], v[110:111] offset0:28 offset1:29
	;; [unrolled: 5-line block ×9, first 2 shown]
	v_mov_b32_e32 v108, v6
	v_mov_b32_e32 v109, v7
	v_mov_b32_e32 v110, v0
	v_mov_b32_e32 v111, v1
	v_mov_b32_e32 v103, 25
	ds_write2_b64 v102, v[108:109], v[110:111] offset0:44 offset1:45
	ds_write_b64 v102, v[96:97] offset:368
.LBB92_435:
	s_or_b64 exec, exec, s[0:1]
	v_cmp_lt_i32_e32 vcc, 25, v103
	s_waitcnt lgkmcnt(0)
	s_barrier
	s_and_saveexec_b64 s[0:1], vcc
	s_cbranch_execz .LBB92_437
; %bb.436:
	ds_read2_b64 v[108:111], v102 offset0:26 offset1:27
	ds_read2_b64 v[112:115], v102 offset0:28 offset1:29
	v_mul_f64 v[44:45], v[98:99], v[44:45]
	ds_read2_b64 v[116:119], v102 offset0:30 offset1:31
	ds_read_b64 v[98:99], v102 offset:368
	s_waitcnt lgkmcnt(0)
	v_fma_f64 v[42:43], -v[44:45], v[108:109], v[42:43]
	v_fma_f64 v[40:41], -v[44:45], v[110:111], v[40:41]
	ds_read2_b64 v[108:111], v102 offset0:32 offset1:33
	v_fma_f64 v[38:39], -v[44:45], v[112:113], v[38:39]
	v_fma_f64 v[36:37], -v[44:45], v[114:115], v[36:37]
	;; [unrolled: 1-line block ×3, first 2 shown]
	ds_read2_b64 v[112:115], v102 offset0:34 offset1:35
	v_fma_f64 v[32:33], -v[44:45], v[118:119], v[32:33]
	ds_read2_b64 v[116:119], v102 offset0:36 offset1:37
	s_waitcnt lgkmcnt(0)
	v_fma_f64 v[30:31], -v[44:45], v[108:109], v[30:31]
	v_fma_f64 v[28:29], -v[44:45], v[110:111], v[28:29]
	ds_read2_b64 v[108:111], v102 offset0:38 offset1:39
	v_fma_f64 v[26:27], -v[44:45], v[112:113], v[26:27]
	v_fma_f64 v[22:23], -v[44:45], v[114:115], v[22:23]
	ds_read2_b64 v[112:115], v102 offset0:40 offset1:41
	v_fma_f64 v[24:25], -v[44:45], v[116:117], v[24:25]
	v_fma_f64 v[20:21], -v[44:45], v[118:119], v[20:21]
	s_waitcnt lgkmcnt(0)
	v_fma_f64 v[18:19], -v[44:45], v[108:109], v[18:19]
	v_fma_f64 v[16:17], -v[44:45], v[110:111], v[16:17]
	ds_read2_b64 v[108:111], v102 offset0:42 offset1:43
	ds_read2_b64 v[116:119], v102 offset0:44 offset1:45
	v_fma_f64 v[14:15], -v[44:45], v[112:113], v[14:15]
	v_fma_f64 v[12:13], -v[44:45], v[114:115], v[12:13]
	;; [unrolled: 1-line block ×3, first 2 shown]
	s_waitcnt lgkmcnt(0)
	v_fma_f64 v[10:11], -v[44:45], v[108:109], v[10:11]
	v_fma_f64 v[8:9], -v[44:45], v[110:111], v[8:9]
	;; [unrolled: 1-line block ×4, first 2 shown]
.LBB92_437:
	s_or_b64 exec, exec, s[0:1]
	v_lshl_add_u32 v98, v103, 3, v102
	s_barrier
	ds_write_b64 v98, v[42:43]
	s_waitcnt lgkmcnt(0)
	s_barrier
	ds_read_b64 v[98:99], v102 offset:208
	s_cmp_lt_i32 s18, 28
	v_mov_b32_e32 v100, 26
	s_cbranch_scc1 .LBB92_440
; %bb.438:
	v_add_u32_e32 v107, 0xd8, v102
	s_mov_b32 s0, 27
	v_mov_b32_e32 v100, 26
.LBB92_439:                             ; =>This Inner Loop Header: Depth=1
	ds_read_b64 v[108:109], v107
	v_mov_b32_e32 v110, s0
	s_add_i32 s0, s0, 1
	v_add_u32_e32 v107, 8, v107
	s_cmp_lg_u32 s18, s0
	s_waitcnt lgkmcnt(0)
	v_cmp_lt_f64_e64 vcc, |v[98:99]|, |v[108:109]|
	v_cndmask_b32_e32 v99, v99, v109, vcc
	v_cndmask_b32_e32 v98, v98, v108, vcc
	v_cndmask_b32_e32 v100, v100, v110, vcc
	s_cbranch_scc1 .LBB92_439
.LBB92_440:
	s_waitcnt lgkmcnt(0)
	v_cmp_eq_f64_e32 vcc, 0, v[98:99]
	s_and_saveexec_b64 s[0:1], vcc
	s_xor_b64 s[0:1], exec, s[0:1]
; %bb.441:
	v_cmp_ne_u32_e32 vcc, 0, v106
	v_cndmask_b32_e32 v106, 27, v106, vcc
; %bb.442:
	s_andn2_saveexec_b64 s[0:1], s[0:1]
; %bb.443:
	v_div_scale_f64 v[108:109], s[2:3], v[98:99], v[98:99], 1.0
	v_rcp_f64_e32 v[110:111], v[108:109]
	v_div_scale_f64 v[112:113], vcc, 1.0, v[98:99], 1.0
	v_fma_f64 v[114:115], -v[108:109], v[110:111], 1.0
	v_fmac_f64_e32 v[110:111], v[110:111], v[114:115]
	v_fma_f64 v[114:115], -v[108:109], v[110:111], 1.0
	v_fmac_f64_e32 v[110:111], v[110:111], v[114:115]
	v_mul_f64 v[114:115], v[112:113], v[110:111]
	v_fma_f64 v[108:109], -v[108:109], v[114:115], v[112:113]
	v_div_fmas_f64 v[108:109], v[108:109], v[110:111], v[114:115]
	v_div_fixup_f64 v[98:99], v[108:109], v[98:99], 1.0
; %bb.444:
	s_or_b64 exec, exec, s[0:1]
	v_cmp_ne_u32_e32 vcc, v103, v100
	s_and_saveexec_b64 s[0:1], vcc
	s_xor_b64 s[0:1], exec, s[0:1]
	s_cbranch_execz .LBB92_450
; %bb.445:
	v_cmp_eq_u32_e32 vcc, 26, v103
	s_and_saveexec_b64 s[2:3], vcc
	s_cbranch_execz .LBB92_449
; %bb.446:
	v_cmp_ne_u32_e32 vcc, 26, v100
	s_xor_b64 s[14:15], s[6:7], -1
	s_and_b64 s[16:17], s[14:15], vcc
	s_and_saveexec_b64 s[14:15], s[16:17]
	s_cbranch_execz .LBB92_448
; %bb.447:
	v_ashrrev_i32_e32 v101, 31, v100
	v_lshlrev_b64 v[108:109], 2, v[100:101]
	v_add_co_u32_e32 v108, vcc, v4, v108
	v_addc_co_u32_e32 v109, vcc, v5, v109, vcc
	flat_load_dword v101, v[108:109]
	flat_load_dword v103, v[4:5] offset:104
	s_waitcnt vmcnt(0) lgkmcnt(0)
	flat_store_dword v[4:5], v101 offset:104
	flat_store_dword v[108:109], v103
.LBB92_448:
	s_or_b64 exec, exec, s[14:15]
	v_mov_b32_e32 v101, v100
	v_mov_b32_e32 v103, v100
.LBB92_449:
	s_or_b64 exec, exec, s[2:3]
.LBB92_450:
	s_andn2_saveexec_b64 s[0:1], s[0:1]
	s_cbranch_execz .LBB92_452
; %bb.451:
	v_mov_b32_e32 v103, 26
	ds_write2_b64 v102, v[40:41], v[38:39] offset0:27 offset1:28
	ds_write2_b64 v102, v[36:37], v[34:35] offset0:29 offset1:30
	;; [unrolled: 1-line block ×10, first 2 shown]
.LBB92_452:
	s_or_b64 exec, exec, s[0:1]
	v_cmp_lt_i32_e32 vcc, 26, v103
	s_waitcnt lgkmcnt(0)
	s_barrier
	s_and_saveexec_b64 s[0:1], vcc
	s_cbranch_execz .LBB92_454
; %bb.453:
	ds_read2_b64 v[108:111], v102 offset0:27 offset1:28
	ds_read2_b64 v[112:115], v102 offset0:29 offset1:30
	v_mul_f64 v[42:43], v[98:99], v[42:43]
	ds_read2_b64 v[116:119], v102 offset0:31 offset1:32
	s_waitcnt lgkmcnt(0)
	v_fma_f64 v[40:41], -v[42:43], v[108:109], v[40:41]
	v_fma_f64 v[38:39], -v[42:43], v[110:111], v[38:39]
	ds_read2_b64 v[108:111], v102 offset0:33 offset1:34
	v_fma_f64 v[36:37], -v[42:43], v[112:113], v[36:37]
	v_fma_f64 v[34:35], -v[42:43], v[114:115], v[34:35]
	;; [unrolled: 1-line block ×3, first 2 shown]
	ds_read2_b64 v[112:115], v102 offset0:35 offset1:36
	v_fma_f64 v[30:31], -v[42:43], v[118:119], v[30:31]
	ds_read2_b64 v[116:119], v102 offset0:37 offset1:38
	s_waitcnt lgkmcnt(0)
	v_fma_f64 v[28:29], -v[42:43], v[108:109], v[28:29]
	v_fma_f64 v[26:27], -v[42:43], v[110:111], v[26:27]
	ds_read2_b64 v[108:111], v102 offset0:39 offset1:40
	v_fma_f64 v[22:23], -v[42:43], v[112:113], v[22:23]
	v_fma_f64 v[24:25], -v[42:43], v[114:115], v[24:25]
	ds_read2_b64 v[112:115], v102 offset0:41 offset1:42
	v_fma_f64 v[20:21], -v[42:43], v[116:117], v[20:21]
	v_fma_f64 v[18:19], -v[42:43], v[118:119], v[18:19]
	s_waitcnt lgkmcnt(0)
	v_fma_f64 v[16:17], -v[42:43], v[108:109], v[16:17]
	ds_read2_b64 v[116:119], v102 offset0:43 offset1:44
	v_fma_f64 v[14:15], -v[42:43], v[110:111], v[14:15]
	ds_read2_b64 v[108:111], v102 offset0:45 offset1:46
	v_fma_f64 v[12:13], -v[42:43], v[112:113], v[12:13]
	v_fma_f64 v[10:11], -v[42:43], v[114:115], v[10:11]
	s_waitcnt lgkmcnt(0)
	v_fma_f64 v[8:9], -v[42:43], v[116:117], v[8:9]
	v_fma_f64 v[6:7], -v[42:43], v[118:119], v[6:7]
	;; [unrolled: 1-line block ×4, first 2 shown]
.LBB92_454:
	s_or_b64 exec, exec, s[0:1]
	v_lshl_add_u32 v98, v103, 3, v102
	s_barrier
	ds_write_b64 v98, v[40:41]
	s_waitcnt lgkmcnt(0)
	s_barrier
	ds_read_b64 v[98:99], v102 offset:216
	s_cmp_lt_i32 s18, 29
	v_mov_b32_e32 v100, 27
	s_cbranch_scc1 .LBB92_457
; %bb.455:
	v_add_u32_e32 v107, 0xe0, v102
	s_mov_b32 s0, 28
	v_mov_b32_e32 v100, 27
.LBB92_456:                             ; =>This Inner Loop Header: Depth=1
	ds_read_b64 v[108:109], v107
	v_mov_b32_e32 v110, s0
	s_add_i32 s0, s0, 1
	v_add_u32_e32 v107, 8, v107
	s_cmp_lg_u32 s18, s0
	s_waitcnt lgkmcnt(0)
	v_cmp_lt_f64_e64 vcc, |v[98:99]|, |v[108:109]|
	v_cndmask_b32_e32 v99, v99, v109, vcc
	v_cndmask_b32_e32 v98, v98, v108, vcc
	;; [unrolled: 1-line block ×3, first 2 shown]
	s_cbranch_scc1 .LBB92_456
.LBB92_457:
	s_waitcnt lgkmcnt(0)
	v_cmp_eq_f64_e32 vcc, 0, v[98:99]
	s_and_saveexec_b64 s[0:1], vcc
	s_xor_b64 s[0:1], exec, s[0:1]
; %bb.458:
	v_cmp_ne_u32_e32 vcc, 0, v106
	v_cndmask_b32_e32 v106, 28, v106, vcc
; %bb.459:
	s_andn2_saveexec_b64 s[0:1], s[0:1]
; %bb.460:
	v_div_scale_f64 v[108:109], s[2:3], v[98:99], v[98:99], 1.0
	v_rcp_f64_e32 v[110:111], v[108:109]
	v_div_scale_f64 v[112:113], vcc, 1.0, v[98:99], 1.0
	v_fma_f64 v[114:115], -v[108:109], v[110:111], 1.0
	v_fmac_f64_e32 v[110:111], v[110:111], v[114:115]
	v_fma_f64 v[114:115], -v[108:109], v[110:111], 1.0
	v_fmac_f64_e32 v[110:111], v[110:111], v[114:115]
	v_mul_f64 v[114:115], v[112:113], v[110:111]
	v_fma_f64 v[108:109], -v[108:109], v[114:115], v[112:113]
	v_div_fmas_f64 v[108:109], v[108:109], v[110:111], v[114:115]
	v_div_fixup_f64 v[98:99], v[108:109], v[98:99], 1.0
; %bb.461:
	s_or_b64 exec, exec, s[0:1]
	v_cmp_ne_u32_e32 vcc, v103, v100
	s_and_saveexec_b64 s[0:1], vcc
	s_xor_b64 s[0:1], exec, s[0:1]
	s_cbranch_execz .LBB92_467
; %bb.462:
	v_cmp_eq_u32_e32 vcc, 27, v103
	s_and_saveexec_b64 s[2:3], vcc
	s_cbranch_execz .LBB92_466
; %bb.463:
	v_cmp_ne_u32_e32 vcc, 27, v100
	s_xor_b64 s[14:15], s[6:7], -1
	s_and_b64 s[16:17], s[14:15], vcc
	s_and_saveexec_b64 s[14:15], s[16:17]
	s_cbranch_execz .LBB92_465
; %bb.464:
	v_ashrrev_i32_e32 v101, 31, v100
	v_lshlrev_b64 v[108:109], 2, v[100:101]
	v_add_co_u32_e32 v108, vcc, v4, v108
	v_addc_co_u32_e32 v109, vcc, v5, v109, vcc
	flat_load_dword v101, v[108:109]
	flat_load_dword v103, v[4:5] offset:108
	s_waitcnt vmcnt(0) lgkmcnt(0)
	flat_store_dword v[4:5], v101 offset:108
	flat_store_dword v[108:109], v103
.LBB92_465:
	s_or_b64 exec, exec, s[14:15]
	v_mov_b32_e32 v101, v100
	v_mov_b32_e32 v103, v100
.LBB92_466:
	s_or_b64 exec, exec, s[2:3]
.LBB92_467:
	s_andn2_saveexec_b64 s[0:1], s[0:1]
	s_cbranch_execz .LBB92_469
; %bb.468:
	v_mov_b32_e32 v108, v38
	v_mov_b32_e32 v109, v39
	v_mov_b32_e32 v110, v36
	v_mov_b32_e32 v111, v37
	ds_write2_b64 v102, v[108:109], v[110:111] offset0:28 offset1:29
	v_mov_b32_e32 v108, v34
	v_mov_b32_e32 v109, v35
	v_mov_b32_e32 v110, v32
	v_mov_b32_e32 v111, v33
	ds_write2_b64 v102, v[108:109], v[110:111] offset0:30 offset1:31
	;; [unrolled: 5-line block ×8, first 2 shown]
	v_mov_b32_e32 v108, v6
	v_mov_b32_e32 v109, v7
	;; [unrolled: 1-line block ×5, first 2 shown]
	ds_write2_b64 v102, v[108:109], v[110:111] offset0:44 offset1:45
	ds_write_b64 v102, v[96:97] offset:368
.LBB92_469:
	s_or_b64 exec, exec, s[0:1]
	v_cmp_lt_i32_e32 vcc, 27, v103
	s_waitcnt lgkmcnt(0)
	s_barrier
	s_and_saveexec_b64 s[0:1], vcc
	s_cbranch_execz .LBB92_471
; %bb.470:
	ds_read2_b64 v[108:111], v102 offset0:28 offset1:29
	ds_read2_b64 v[112:115], v102 offset0:30 offset1:31
	;; [unrolled: 1-line block ×3, first 2 shown]
	v_mul_f64 v[40:41], v[98:99], v[40:41]
	ds_read_b64 v[98:99], v102 offset:368
	s_waitcnt lgkmcnt(0)
	v_fma_f64 v[38:39], -v[40:41], v[108:109], v[38:39]
	v_fma_f64 v[36:37], -v[40:41], v[110:111], v[36:37]
	ds_read2_b64 v[108:111], v102 offset0:34 offset1:35
	v_fma_f64 v[34:35], -v[40:41], v[112:113], v[34:35]
	v_fma_f64 v[32:33], -v[40:41], v[114:115], v[32:33]
	;; [unrolled: 1-line block ×3, first 2 shown]
	ds_read2_b64 v[112:115], v102 offset0:36 offset1:37
	v_fma_f64 v[28:29], -v[40:41], v[118:119], v[28:29]
	ds_read2_b64 v[116:119], v102 offset0:38 offset1:39
	s_waitcnt lgkmcnt(0)
	v_fma_f64 v[26:27], -v[40:41], v[108:109], v[26:27]
	v_fma_f64 v[22:23], -v[40:41], v[110:111], v[22:23]
	;; [unrolled: 1-line block ×3, first 2 shown]
	ds_read2_b64 v[108:111], v102 offset0:40 offset1:41
	v_fma_f64 v[20:21], -v[40:41], v[114:115], v[20:21]
	ds_read2_b64 v[112:115], v102 offset0:42 offset1:43
	v_fma_f64 v[18:19], -v[40:41], v[116:117], v[18:19]
	v_fma_f64 v[16:17], -v[40:41], v[118:119], v[16:17]
	ds_read2_b64 v[116:119], v102 offset0:44 offset1:45
	s_waitcnt lgkmcnt(0)
	v_fma_f64 v[14:15], -v[40:41], v[108:109], v[14:15]
	v_fma_f64 v[12:13], -v[40:41], v[110:111], v[12:13]
	;; [unrolled: 1-line block ×7, first 2 shown]
.LBB92_471:
	s_or_b64 exec, exec, s[0:1]
	v_lshl_add_u32 v98, v103, 3, v102
	s_barrier
	ds_write_b64 v98, v[38:39]
	s_waitcnt lgkmcnt(0)
	s_barrier
	ds_read_b64 v[98:99], v102 offset:224
	s_cmp_lt_i32 s18, 30
	v_mov_b32_e32 v100, 28
	s_cbranch_scc1 .LBB92_474
; %bb.472:
	v_add_u32_e32 v107, 0xe8, v102
	s_mov_b32 s0, 29
	v_mov_b32_e32 v100, 28
.LBB92_473:                             ; =>This Inner Loop Header: Depth=1
	ds_read_b64 v[108:109], v107
	v_mov_b32_e32 v110, s0
	s_add_i32 s0, s0, 1
	v_add_u32_e32 v107, 8, v107
	s_cmp_lg_u32 s18, s0
	s_waitcnt lgkmcnt(0)
	v_cmp_lt_f64_e64 vcc, |v[98:99]|, |v[108:109]|
	v_cndmask_b32_e32 v99, v99, v109, vcc
	v_cndmask_b32_e32 v98, v98, v108, vcc
	;; [unrolled: 1-line block ×3, first 2 shown]
	s_cbranch_scc1 .LBB92_473
.LBB92_474:
	s_waitcnt lgkmcnt(0)
	v_cmp_eq_f64_e32 vcc, 0, v[98:99]
	s_and_saveexec_b64 s[0:1], vcc
	s_xor_b64 s[0:1], exec, s[0:1]
; %bb.475:
	v_cmp_ne_u32_e32 vcc, 0, v106
	v_cndmask_b32_e32 v106, 29, v106, vcc
; %bb.476:
	s_andn2_saveexec_b64 s[0:1], s[0:1]
; %bb.477:
	v_div_scale_f64 v[108:109], s[2:3], v[98:99], v[98:99], 1.0
	v_rcp_f64_e32 v[110:111], v[108:109]
	v_div_scale_f64 v[112:113], vcc, 1.0, v[98:99], 1.0
	v_fma_f64 v[114:115], -v[108:109], v[110:111], 1.0
	v_fmac_f64_e32 v[110:111], v[110:111], v[114:115]
	v_fma_f64 v[114:115], -v[108:109], v[110:111], 1.0
	v_fmac_f64_e32 v[110:111], v[110:111], v[114:115]
	v_mul_f64 v[114:115], v[112:113], v[110:111]
	v_fma_f64 v[108:109], -v[108:109], v[114:115], v[112:113]
	v_div_fmas_f64 v[108:109], v[108:109], v[110:111], v[114:115]
	v_div_fixup_f64 v[98:99], v[108:109], v[98:99], 1.0
; %bb.478:
	s_or_b64 exec, exec, s[0:1]
	v_cmp_ne_u32_e32 vcc, v103, v100
	s_and_saveexec_b64 s[0:1], vcc
	s_xor_b64 s[0:1], exec, s[0:1]
	s_cbranch_execz .LBB92_484
; %bb.479:
	v_cmp_eq_u32_e32 vcc, 28, v103
	s_and_saveexec_b64 s[2:3], vcc
	s_cbranch_execz .LBB92_483
; %bb.480:
	v_cmp_ne_u32_e32 vcc, 28, v100
	s_xor_b64 s[14:15], s[6:7], -1
	s_and_b64 s[16:17], s[14:15], vcc
	s_and_saveexec_b64 s[14:15], s[16:17]
	s_cbranch_execz .LBB92_482
; %bb.481:
	v_ashrrev_i32_e32 v101, 31, v100
	v_lshlrev_b64 v[108:109], 2, v[100:101]
	v_add_co_u32_e32 v108, vcc, v4, v108
	v_addc_co_u32_e32 v109, vcc, v5, v109, vcc
	flat_load_dword v101, v[108:109]
	flat_load_dword v103, v[4:5] offset:112
	s_waitcnt vmcnt(0) lgkmcnt(0)
	flat_store_dword v[4:5], v101 offset:112
	flat_store_dword v[108:109], v103
.LBB92_482:
	s_or_b64 exec, exec, s[14:15]
	v_mov_b32_e32 v101, v100
	v_mov_b32_e32 v103, v100
.LBB92_483:
	s_or_b64 exec, exec, s[2:3]
.LBB92_484:
	s_andn2_saveexec_b64 s[0:1], s[0:1]
	s_cbranch_execz .LBB92_486
; %bb.485:
	v_mov_b32_e32 v103, 28
	ds_write2_b64 v102, v[36:37], v[34:35] offset0:29 offset1:30
	ds_write2_b64 v102, v[32:33], v[30:31] offset0:31 offset1:32
	;; [unrolled: 1-line block ×9, first 2 shown]
.LBB92_486:
	s_or_b64 exec, exec, s[0:1]
	v_cmp_lt_i32_e32 vcc, 28, v103
	s_waitcnt lgkmcnt(0)
	s_barrier
	s_and_saveexec_b64 s[0:1], vcc
	s_cbranch_execz .LBB92_488
; %bb.487:
	ds_read2_b64 v[108:111], v102 offset0:29 offset1:30
	ds_read2_b64 v[112:115], v102 offset0:31 offset1:32
	;; [unrolled: 1-line block ×3, first 2 shown]
	v_mul_f64 v[38:39], v[98:99], v[38:39]
	s_waitcnt lgkmcnt(0)
	v_fma_f64 v[36:37], -v[38:39], v[108:109], v[36:37]
	v_fma_f64 v[34:35], -v[38:39], v[110:111], v[34:35]
	ds_read2_b64 v[108:111], v102 offset0:35 offset1:36
	v_fma_f64 v[32:33], -v[38:39], v[112:113], v[32:33]
	v_fma_f64 v[30:31], -v[38:39], v[114:115], v[30:31]
	;; [unrolled: 1-line block ×3, first 2 shown]
	ds_read2_b64 v[112:115], v102 offset0:37 offset1:38
	v_fma_f64 v[26:27], -v[38:39], v[118:119], v[26:27]
	ds_read2_b64 v[116:119], v102 offset0:39 offset1:40
	s_waitcnt lgkmcnt(0)
	v_fma_f64 v[22:23], -v[38:39], v[108:109], v[22:23]
	v_fma_f64 v[24:25], -v[38:39], v[110:111], v[24:25]
	;; [unrolled: 1-line block ×4, first 2 shown]
	ds_read2_b64 v[108:111], v102 offset0:41 offset1:42
	ds_read2_b64 v[112:115], v102 offset0:43 offset1:44
	v_fma_f64 v[16:17], -v[38:39], v[116:117], v[16:17]
	v_fma_f64 v[14:15], -v[38:39], v[118:119], v[14:15]
	ds_read2_b64 v[116:119], v102 offset0:45 offset1:46
	s_waitcnt lgkmcnt(0)
	v_fma_f64 v[12:13], -v[38:39], v[108:109], v[12:13]
	v_fma_f64 v[10:11], -v[38:39], v[110:111], v[10:11]
	;; [unrolled: 1-line block ×6, first 2 shown]
.LBB92_488:
	s_or_b64 exec, exec, s[0:1]
	v_lshl_add_u32 v98, v103, 3, v102
	s_barrier
	ds_write_b64 v98, v[36:37]
	s_waitcnt lgkmcnt(0)
	s_barrier
	ds_read_b64 v[98:99], v102 offset:232
	s_cmp_lt_i32 s18, 31
	v_mov_b32_e32 v100, 29
	s_cbranch_scc1 .LBB92_491
; %bb.489:
	v_add_u32_e32 v107, 0xf0, v102
	s_mov_b32 s0, 30
	v_mov_b32_e32 v100, 29
.LBB92_490:                             ; =>This Inner Loop Header: Depth=1
	ds_read_b64 v[108:109], v107
	v_mov_b32_e32 v110, s0
	s_add_i32 s0, s0, 1
	v_add_u32_e32 v107, 8, v107
	s_cmp_lg_u32 s18, s0
	s_waitcnt lgkmcnt(0)
	v_cmp_lt_f64_e64 vcc, |v[98:99]|, |v[108:109]|
	v_cndmask_b32_e32 v99, v99, v109, vcc
	v_cndmask_b32_e32 v98, v98, v108, vcc
	;; [unrolled: 1-line block ×3, first 2 shown]
	s_cbranch_scc1 .LBB92_490
.LBB92_491:
	s_waitcnt lgkmcnt(0)
	v_cmp_eq_f64_e32 vcc, 0, v[98:99]
	s_and_saveexec_b64 s[0:1], vcc
	s_xor_b64 s[0:1], exec, s[0:1]
; %bb.492:
	v_cmp_ne_u32_e32 vcc, 0, v106
	v_cndmask_b32_e32 v106, 30, v106, vcc
; %bb.493:
	s_andn2_saveexec_b64 s[0:1], s[0:1]
; %bb.494:
	v_div_scale_f64 v[108:109], s[2:3], v[98:99], v[98:99], 1.0
	v_rcp_f64_e32 v[110:111], v[108:109]
	v_div_scale_f64 v[112:113], vcc, 1.0, v[98:99], 1.0
	v_fma_f64 v[114:115], -v[108:109], v[110:111], 1.0
	v_fmac_f64_e32 v[110:111], v[110:111], v[114:115]
	v_fma_f64 v[114:115], -v[108:109], v[110:111], 1.0
	v_fmac_f64_e32 v[110:111], v[110:111], v[114:115]
	v_mul_f64 v[114:115], v[112:113], v[110:111]
	v_fma_f64 v[108:109], -v[108:109], v[114:115], v[112:113]
	v_div_fmas_f64 v[108:109], v[108:109], v[110:111], v[114:115]
	v_div_fixup_f64 v[98:99], v[108:109], v[98:99], 1.0
; %bb.495:
	s_or_b64 exec, exec, s[0:1]
	v_cmp_ne_u32_e32 vcc, v103, v100
	s_and_saveexec_b64 s[0:1], vcc
	s_xor_b64 s[0:1], exec, s[0:1]
	s_cbranch_execz .LBB92_501
; %bb.496:
	v_cmp_eq_u32_e32 vcc, 29, v103
	s_and_saveexec_b64 s[2:3], vcc
	s_cbranch_execz .LBB92_500
; %bb.497:
	v_cmp_ne_u32_e32 vcc, 29, v100
	s_xor_b64 s[14:15], s[6:7], -1
	s_and_b64 s[16:17], s[14:15], vcc
	s_and_saveexec_b64 s[14:15], s[16:17]
	s_cbranch_execz .LBB92_499
; %bb.498:
	v_ashrrev_i32_e32 v101, 31, v100
	v_lshlrev_b64 v[108:109], 2, v[100:101]
	v_add_co_u32_e32 v108, vcc, v4, v108
	v_addc_co_u32_e32 v109, vcc, v5, v109, vcc
	flat_load_dword v101, v[108:109]
	flat_load_dword v103, v[4:5] offset:116
	s_waitcnt vmcnt(0) lgkmcnt(0)
	flat_store_dword v[4:5], v101 offset:116
	flat_store_dword v[108:109], v103
.LBB92_499:
	s_or_b64 exec, exec, s[14:15]
	v_mov_b32_e32 v101, v100
	v_mov_b32_e32 v103, v100
.LBB92_500:
	s_or_b64 exec, exec, s[2:3]
.LBB92_501:
	s_andn2_saveexec_b64 s[0:1], s[0:1]
	s_cbranch_execz .LBB92_503
; %bb.502:
	v_mov_b32_e32 v108, v34
	v_mov_b32_e32 v109, v35
	v_mov_b32_e32 v110, v32
	v_mov_b32_e32 v111, v33
	ds_write2_b64 v102, v[108:109], v[110:111] offset0:30 offset1:31
	v_mov_b32_e32 v108, v30
	v_mov_b32_e32 v109, v31
	v_mov_b32_e32 v110, v28
	v_mov_b32_e32 v111, v29
	ds_write2_b64 v102, v[108:109], v[110:111] offset0:32 offset1:33
	v_mov_b32_e32 v108, v26
	v_mov_b32_e32 v109, v27
	v_mov_b32_e32 v110, v22
	v_mov_b32_e32 v111, v23
	ds_write2_b64 v102, v[108:109], v[110:111] offset0:34 offset1:35
	v_mov_b32_e32 v108, v24
	v_mov_b32_e32 v109, v25
	v_mov_b32_e32 v110, v20
	v_mov_b32_e32 v111, v21
	ds_write2_b64 v102, v[108:109], v[110:111] offset0:36 offset1:37
	v_mov_b32_e32 v108, v18
	v_mov_b32_e32 v109, v19
	v_mov_b32_e32 v110, v16
	v_mov_b32_e32 v111, v17
	ds_write2_b64 v102, v[108:109], v[110:111] offset0:38 offset1:39
	v_mov_b32_e32 v108, v14
	v_mov_b32_e32 v109, v15
	v_mov_b32_e32 v110, v12
	v_mov_b32_e32 v111, v13
	ds_write2_b64 v102, v[108:109], v[110:111] offset0:40 offset1:41
	v_mov_b32_e32 v108, v10
	v_mov_b32_e32 v109, v11
	v_mov_b32_e32 v110, v8
	v_mov_b32_e32 v111, v9
	ds_write2_b64 v102, v[108:109], v[110:111] offset0:42 offset1:43
	v_mov_b32_e32 v108, v6
	v_mov_b32_e32 v109, v7
	;; [unrolled: 1-line block ×5, first 2 shown]
	ds_write2_b64 v102, v[108:109], v[110:111] offset0:44 offset1:45
	ds_write_b64 v102, v[96:97] offset:368
.LBB92_503:
	s_or_b64 exec, exec, s[0:1]
	v_cmp_lt_i32_e32 vcc, 29, v103
	s_waitcnt lgkmcnt(0)
	s_barrier
	s_and_saveexec_b64 s[0:1], vcc
	s_cbranch_execz .LBB92_505
; %bb.504:
	ds_read2_b64 v[108:111], v102 offset0:30 offset1:31
	ds_read2_b64 v[112:115], v102 offset0:32 offset1:33
	v_mul_f64 v[36:37], v[98:99], v[36:37]
	ds_read2_b64 v[116:119], v102 offset0:34 offset1:35
	ds_read_b64 v[98:99], v102 offset:368
	s_waitcnt lgkmcnt(0)
	v_fma_f64 v[34:35], -v[36:37], v[108:109], v[34:35]
	v_fma_f64 v[32:33], -v[36:37], v[110:111], v[32:33]
	ds_read2_b64 v[108:111], v102 offset0:36 offset1:37
	v_fma_f64 v[30:31], -v[36:37], v[112:113], v[30:31]
	v_fma_f64 v[28:29], -v[36:37], v[114:115], v[28:29]
	ds_read2_b64 v[112:115], v102 offset0:38 offset1:39
	;; [unrolled: 3-line block ×3, first 2 shown]
	s_waitcnt lgkmcnt(0)
	v_fma_f64 v[24:25], -v[36:37], v[108:109], v[24:25]
	v_fma_f64 v[20:21], -v[36:37], v[110:111], v[20:21]
	v_fma_f64 v[18:19], -v[36:37], v[112:113], v[18:19]
	v_fma_f64 v[16:17], -v[36:37], v[114:115], v[16:17]
	ds_read2_b64 v[108:111], v102 offset0:42 offset1:43
	ds_read2_b64 v[112:115], v102 offset0:44 offset1:45
	v_fma_f64 v[14:15], -v[36:37], v[116:117], v[14:15]
	v_fma_f64 v[12:13], -v[36:37], v[118:119], v[12:13]
	;; [unrolled: 1-line block ×3, first 2 shown]
	s_waitcnt lgkmcnt(0)
	v_fma_f64 v[10:11], -v[36:37], v[108:109], v[10:11]
	v_fma_f64 v[8:9], -v[36:37], v[110:111], v[8:9]
	;; [unrolled: 1-line block ×4, first 2 shown]
.LBB92_505:
	s_or_b64 exec, exec, s[0:1]
	v_lshl_add_u32 v98, v103, 3, v102
	s_barrier
	ds_write_b64 v98, v[34:35]
	s_waitcnt lgkmcnt(0)
	s_barrier
	ds_read_b64 v[98:99], v102 offset:240
	s_cmp_lt_i32 s18, 32
	v_mov_b32_e32 v100, 30
	s_cbranch_scc1 .LBB92_508
; %bb.506:
	v_add_u32_e32 v107, 0xf8, v102
	s_mov_b32 s0, 31
	v_mov_b32_e32 v100, 30
.LBB92_507:                             ; =>This Inner Loop Header: Depth=1
	ds_read_b64 v[108:109], v107
	v_mov_b32_e32 v110, s0
	s_add_i32 s0, s0, 1
	v_add_u32_e32 v107, 8, v107
	s_cmp_lg_u32 s18, s0
	s_waitcnt lgkmcnt(0)
	v_cmp_lt_f64_e64 vcc, |v[98:99]|, |v[108:109]|
	v_cndmask_b32_e32 v99, v99, v109, vcc
	v_cndmask_b32_e32 v98, v98, v108, vcc
	;; [unrolled: 1-line block ×3, first 2 shown]
	s_cbranch_scc1 .LBB92_507
.LBB92_508:
	s_waitcnt lgkmcnt(0)
	v_cmp_eq_f64_e32 vcc, 0, v[98:99]
	s_and_saveexec_b64 s[0:1], vcc
	s_xor_b64 s[0:1], exec, s[0:1]
; %bb.509:
	v_cmp_ne_u32_e32 vcc, 0, v106
	v_cndmask_b32_e32 v106, 31, v106, vcc
; %bb.510:
	s_andn2_saveexec_b64 s[0:1], s[0:1]
; %bb.511:
	v_div_scale_f64 v[108:109], s[2:3], v[98:99], v[98:99], 1.0
	v_rcp_f64_e32 v[110:111], v[108:109]
	v_div_scale_f64 v[112:113], vcc, 1.0, v[98:99], 1.0
	v_fma_f64 v[114:115], -v[108:109], v[110:111], 1.0
	v_fmac_f64_e32 v[110:111], v[110:111], v[114:115]
	v_fma_f64 v[114:115], -v[108:109], v[110:111], 1.0
	v_fmac_f64_e32 v[110:111], v[110:111], v[114:115]
	v_mul_f64 v[114:115], v[112:113], v[110:111]
	v_fma_f64 v[108:109], -v[108:109], v[114:115], v[112:113]
	v_div_fmas_f64 v[108:109], v[108:109], v[110:111], v[114:115]
	v_div_fixup_f64 v[98:99], v[108:109], v[98:99], 1.0
; %bb.512:
	s_or_b64 exec, exec, s[0:1]
	v_cmp_ne_u32_e32 vcc, v103, v100
	s_and_saveexec_b64 s[0:1], vcc
	s_xor_b64 s[0:1], exec, s[0:1]
	s_cbranch_execz .LBB92_518
; %bb.513:
	v_cmp_eq_u32_e32 vcc, 30, v103
	s_and_saveexec_b64 s[2:3], vcc
	s_cbranch_execz .LBB92_517
; %bb.514:
	v_cmp_ne_u32_e32 vcc, 30, v100
	s_xor_b64 s[14:15], s[6:7], -1
	s_and_b64 s[16:17], s[14:15], vcc
	s_and_saveexec_b64 s[14:15], s[16:17]
	s_cbranch_execz .LBB92_516
; %bb.515:
	v_ashrrev_i32_e32 v101, 31, v100
	v_lshlrev_b64 v[108:109], 2, v[100:101]
	v_add_co_u32_e32 v108, vcc, v4, v108
	v_addc_co_u32_e32 v109, vcc, v5, v109, vcc
	flat_load_dword v101, v[108:109]
	flat_load_dword v103, v[4:5] offset:120
	s_waitcnt vmcnt(0) lgkmcnt(0)
	flat_store_dword v[4:5], v101 offset:120
	flat_store_dword v[108:109], v103
.LBB92_516:
	s_or_b64 exec, exec, s[14:15]
	v_mov_b32_e32 v101, v100
	v_mov_b32_e32 v103, v100
.LBB92_517:
	s_or_b64 exec, exec, s[2:3]
.LBB92_518:
	s_andn2_saveexec_b64 s[0:1], s[0:1]
	s_cbranch_execz .LBB92_520
; %bb.519:
	v_mov_b32_e32 v103, 30
	ds_write2_b64 v102, v[32:33], v[30:31] offset0:31 offset1:32
	ds_write2_b64 v102, v[28:29], v[26:27] offset0:33 offset1:34
	ds_write2_b64 v102, v[22:23], v[24:25] offset0:35 offset1:36
	ds_write2_b64 v102, v[20:21], v[18:19] offset0:37 offset1:38
	ds_write2_b64 v102, v[16:17], v[14:15] offset0:39 offset1:40
	ds_write2_b64 v102, v[12:13], v[10:11] offset0:41 offset1:42
	ds_write2_b64 v102, v[8:9], v[6:7] offset0:43 offset1:44
	ds_write2_b64 v102, v[0:1], v[96:97] offset0:45 offset1:46
.LBB92_520:
	s_or_b64 exec, exec, s[0:1]
	v_cmp_lt_i32_e32 vcc, 30, v103
	s_waitcnt lgkmcnt(0)
	s_barrier
	s_and_saveexec_b64 s[0:1], vcc
	s_cbranch_execz .LBB92_522
; %bb.521:
	ds_read2_b64 v[108:111], v102 offset0:31 offset1:32
	ds_read2_b64 v[112:115], v102 offset0:33 offset1:34
	v_mul_f64 v[34:35], v[98:99], v[34:35]
	ds_read2_b64 v[116:119], v102 offset0:35 offset1:36
	s_waitcnt lgkmcnt(0)
	v_fma_f64 v[32:33], -v[34:35], v[108:109], v[32:33]
	v_fma_f64 v[30:31], -v[34:35], v[110:111], v[30:31]
	ds_read2_b64 v[108:111], v102 offset0:37 offset1:38
	v_fma_f64 v[28:29], -v[34:35], v[112:113], v[28:29]
	v_fma_f64 v[26:27], -v[34:35], v[114:115], v[26:27]
	ds_read2_b64 v[112:115], v102 offset0:39 offset1:40
	v_fma_f64 v[22:23], -v[34:35], v[116:117], v[22:23]
	v_fma_f64 v[24:25], -v[34:35], v[118:119], v[24:25]
	s_waitcnt lgkmcnt(0)
	v_fma_f64 v[20:21], -v[34:35], v[108:109], v[20:21]
	v_fma_f64 v[18:19], -v[34:35], v[110:111], v[18:19]
	ds_read2_b64 v[108:111], v102 offset0:41 offset1:42
	v_fma_f64 v[16:17], -v[34:35], v[112:113], v[16:17]
	ds_read2_b64 v[116:119], v102 offset0:43 offset1:44
	;; [unrolled: 2-line block ×3, first 2 shown]
	s_waitcnt lgkmcnt(0)
	v_fma_f64 v[12:13], -v[34:35], v[108:109], v[12:13]
	v_fma_f64 v[10:11], -v[34:35], v[110:111], v[10:11]
	;; [unrolled: 1-line block ×6, first 2 shown]
.LBB92_522:
	s_or_b64 exec, exec, s[0:1]
	v_lshl_add_u32 v98, v103, 3, v102
	s_barrier
	ds_write_b64 v98, v[32:33]
	s_waitcnt lgkmcnt(0)
	s_barrier
	ds_read_b64 v[98:99], v102 offset:248
	s_cmp_lt_i32 s18, 33
	v_mov_b32_e32 v100, 31
	s_cbranch_scc1 .LBB92_525
; %bb.523:
	v_add_u32_e32 v107, 0x100, v102
	s_mov_b32 s0, 32
	v_mov_b32_e32 v100, 31
.LBB92_524:                             ; =>This Inner Loop Header: Depth=1
	ds_read_b64 v[108:109], v107
	v_mov_b32_e32 v110, s0
	s_add_i32 s0, s0, 1
	v_add_u32_e32 v107, 8, v107
	s_cmp_lg_u32 s18, s0
	s_waitcnt lgkmcnt(0)
	v_cmp_lt_f64_e64 vcc, |v[98:99]|, |v[108:109]|
	v_cndmask_b32_e32 v99, v99, v109, vcc
	v_cndmask_b32_e32 v98, v98, v108, vcc
	;; [unrolled: 1-line block ×3, first 2 shown]
	s_cbranch_scc1 .LBB92_524
.LBB92_525:
	s_waitcnt lgkmcnt(0)
	v_cmp_eq_f64_e32 vcc, 0, v[98:99]
	s_and_saveexec_b64 s[0:1], vcc
	s_xor_b64 s[0:1], exec, s[0:1]
; %bb.526:
	v_cmp_ne_u32_e32 vcc, 0, v106
	v_cndmask_b32_e32 v106, 32, v106, vcc
; %bb.527:
	s_andn2_saveexec_b64 s[0:1], s[0:1]
; %bb.528:
	v_div_scale_f64 v[108:109], s[2:3], v[98:99], v[98:99], 1.0
	v_rcp_f64_e32 v[110:111], v[108:109]
	v_div_scale_f64 v[112:113], vcc, 1.0, v[98:99], 1.0
	v_fma_f64 v[114:115], -v[108:109], v[110:111], 1.0
	v_fmac_f64_e32 v[110:111], v[110:111], v[114:115]
	v_fma_f64 v[114:115], -v[108:109], v[110:111], 1.0
	v_fmac_f64_e32 v[110:111], v[110:111], v[114:115]
	v_mul_f64 v[114:115], v[112:113], v[110:111]
	v_fma_f64 v[108:109], -v[108:109], v[114:115], v[112:113]
	v_div_fmas_f64 v[108:109], v[108:109], v[110:111], v[114:115]
	v_div_fixup_f64 v[98:99], v[108:109], v[98:99], 1.0
; %bb.529:
	s_or_b64 exec, exec, s[0:1]
	v_cmp_ne_u32_e32 vcc, v103, v100
	s_and_saveexec_b64 s[0:1], vcc
	s_xor_b64 s[0:1], exec, s[0:1]
	s_cbranch_execz .LBB92_535
; %bb.530:
	v_cmp_eq_u32_e32 vcc, 31, v103
	s_and_saveexec_b64 s[2:3], vcc
	s_cbranch_execz .LBB92_534
; %bb.531:
	v_cmp_ne_u32_e32 vcc, 31, v100
	s_xor_b64 s[14:15], s[6:7], -1
	s_and_b64 s[16:17], s[14:15], vcc
	s_and_saveexec_b64 s[14:15], s[16:17]
	s_cbranch_execz .LBB92_533
; %bb.532:
	v_ashrrev_i32_e32 v101, 31, v100
	v_lshlrev_b64 v[108:109], 2, v[100:101]
	v_add_co_u32_e32 v108, vcc, v4, v108
	v_addc_co_u32_e32 v109, vcc, v5, v109, vcc
	flat_load_dword v101, v[108:109]
	flat_load_dword v103, v[4:5] offset:124
	s_waitcnt vmcnt(0) lgkmcnt(0)
	flat_store_dword v[4:5], v101 offset:124
	flat_store_dword v[108:109], v103
.LBB92_533:
	s_or_b64 exec, exec, s[14:15]
	v_mov_b32_e32 v101, v100
	v_mov_b32_e32 v103, v100
.LBB92_534:
	s_or_b64 exec, exec, s[2:3]
.LBB92_535:
	s_andn2_saveexec_b64 s[0:1], s[0:1]
	s_cbranch_execz .LBB92_537
; %bb.536:
	v_mov_b32_e32 v108, v30
	v_mov_b32_e32 v109, v31
	v_mov_b32_e32 v110, v28
	v_mov_b32_e32 v111, v29
	ds_write2_b64 v102, v[108:109], v[110:111] offset0:32 offset1:33
	v_mov_b32_e32 v108, v26
	v_mov_b32_e32 v109, v27
	v_mov_b32_e32 v110, v22
	v_mov_b32_e32 v111, v23
	ds_write2_b64 v102, v[108:109], v[110:111] offset0:34 offset1:35
	;; [unrolled: 5-line block ×6, first 2 shown]
	v_mov_b32_e32 v108, v6
	v_mov_b32_e32 v109, v7
	;; [unrolled: 1-line block ×5, first 2 shown]
	ds_write2_b64 v102, v[108:109], v[110:111] offset0:44 offset1:45
	ds_write_b64 v102, v[96:97] offset:368
.LBB92_537:
	s_or_b64 exec, exec, s[0:1]
	v_cmp_lt_i32_e32 vcc, 31, v103
	s_waitcnt lgkmcnt(0)
	s_barrier
	s_and_saveexec_b64 s[0:1], vcc
	s_cbranch_execz .LBB92_539
; %bb.538:
	ds_read2_b64 v[108:111], v102 offset0:32 offset1:33
	ds_read2_b64 v[112:115], v102 offset0:34 offset1:35
	v_mul_f64 v[32:33], v[98:99], v[32:33]
	ds_read2_b64 v[116:119], v102 offset0:36 offset1:37
	ds_read_b64 v[98:99], v102 offset:368
	s_waitcnt lgkmcnt(0)
	v_fma_f64 v[30:31], -v[32:33], v[108:109], v[30:31]
	v_fma_f64 v[28:29], -v[32:33], v[110:111], v[28:29]
	ds_read2_b64 v[108:111], v102 offset0:38 offset1:39
	v_fma_f64 v[26:27], -v[32:33], v[112:113], v[26:27]
	v_fma_f64 v[22:23], -v[32:33], v[114:115], v[22:23]
	;; [unrolled: 1-line block ×3, first 2 shown]
	ds_read2_b64 v[112:115], v102 offset0:40 offset1:41
	v_fma_f64 v[20:21], -v[32:33], v[118:119], v[20:21]
	s_waitcnt lgkmcnt(0)
	v_fma_f64 v[18:19], -v[32:33], v[108:109], v[18:19]
	v_fma_f64 v[16:17], -v[32:33], v[110:111], v[16:17]
	ds_read2_b64 v[108:111], v102 offset0:42 offset1:43
	ds_read2_b64 v[116:119], v102 offset0:44 offset1:45
	v_fma_f64 v[14:15], -v[32:33], v[112:113], v[14:15]
	v_fma_f64 v[12:13], -v[32:33], v[114:115], v[12:13]
	;; [unrolled: 1-line block ×3, first 2 shown]
	s_waitcnt lgkmcnt(0)
	v_fma_f64 v[10:11], -v[32:33], v[108:109], v[10:11]
	v_fma_f64 v[8:9], -v[32:33], v[110:111], v[8:9]
	;; [unrolled: 1-line block ×4, first 2 shown]
.LBB92_539:
	s_or_b64 exec, exec, s[0:1]
	v_lshl_add_u32 v98, v103, 3, v102
	s_barrier
	ds_write_b64 v98, v[30:31]
	s_waitcnt lgkmcnt(0)
	s_barrier
	ds_read_b64 v[98:99], v102 offset:256
	s_cmp_lt_i32 s18, 34
	v_mov_b32_e32 v100, 32
	s_cbranch_scc1 .LBB92_542
; %bb.540:
	v_add_u32_e32 v107, 0x108, v102
	s_mov_b32 s0, 33
	v_mov_b32_e32 v100, 32
.LBB92_541:                             ; =>This Inner Loop Header: Depth=1
	ds_read_b64 v[108:109], v107
	v_mov_b32_e32 v110, s0
	s_add_i32 s0, s0, 1
	v_add_u32_e32 v107, 8, v107
	s_cmp_lg_u32 s18, s0
	s_waitcnt lgkmcnt(0)
	v_cmp_lt_f64_e64 vcc, |v[98:99]|, |v[108:109]|
	v_cndmask_b32_e32 v99, v99, v109, vcc
	v_cndmask_b32_e32 v98, v98, v108, vcc
	;; [unrolled: 1-line block ×3, first 2 shown]
	s_cbranch_scc1 .LBB92_541
.LBB92_542:
	s_waitcnt lgkmcnt(0)
	v_cmp_eq_f64_e32 vcc, 0, v[98:99]
	s_and_saveexec_b64 s[0:1], vcc
	s_xor_b64 s[0:1], exec, s[0:1]
; %bb.543:
	v_cmp_ne_u32_e32 vcc, 0, v106
	v_cndmask_b32_e32 v106, 33, v106, vcc
; %bb.544:
	s_andn2_saveexec_b64 s[0:1], s[0:1]
; %bb.545:
	v_div_scale_f64 v[108:109], s[2:3], v[98:99], v[98:99], 1.0
	v_rcp_f64_e32 v[110:111], v[108:109]
	v_div_scale_f64 v[112:113], vcc, 1.0, v[98:99], 1.0
	v_fma_f64 v[114:115], -v[108:109], v[110:111], 1.0
	v_fmac_f64_e32 v[110:111], v[110:111], v[114:115]
	v_fma_f64 v[114:115], -v[108:109], v[110:111], 1.0
	v_fmac_f64_e32 v[110:111], v[110:111], v[114:115]
	v_mul_f64 v[114:115], v[112:113], v[110:111]
	v_fma_f64 v[108:109], -v[108:109], v[114:115], v[112:113]
	v_div_fmas_f64 v[108:109], v[108:109], v[110:111], v[114:115]
	v_div_fixup_f64 v[98:99], v[108:109], v[98:99], 1.0
; %bb.546:
	s_or_b64 exec, exec, s[0:1]
	v_cmp_ne_u32_e32 vcc, v103, v100
	s_and_saveexec_b64 s[0:1], vcc
	s_xor_b64 s[0:1], exec, s[0:1]
	s_cbranch_execz .LBB92_552
; %bb.547:
	v_cmp_eq_u32_e32 vcc, 32, v103
	s_and_saveexec_b64 s[2:3], vcc
	s_cbranch_execz .LBB92_551
; %bb.548:
	v_cmp_ne_u32_e32 vcc, 32, v100
	s_xor_b64 s[14:15], s[6:7], -1
	s_and_b64 s[16:17], s[14:15], vcc
	s_and_saveexec_b64 s[14:15], s[16:17]
	s_cbranch_execz .LBB92_550
; %bb.549:
	v_ashrrev_i32_e32 v101, 31, v100
	v_lshlrev_b64 v[108:109], 2, v[100:101]
	v_add_co_u32_e32 v108, vcc, v4, v108
	v_addc_co_u32_e32 v109, vcc, v5, v109, vcc
	flat_load_dword v101, v[108:109]
	flat_load_dword v103, v[4:5] offset:128
	s_waitcnt vmcnt(0) lgkmcnt(0)
	flat_store_dword v[4:5], v101 offset:128
	flat_store_dword v[108:109], v103
.LBB92_550:
	s_or_b64 exec, exec, s[14:15]
	v_mov_b32_e32 v101, v100
	v_mov_b32_e32 v103, v100
.LBB92_551:
	s_or_b64 exec, exec, s[2:3]
.LBB92_552:
	s_andn2_saveexec_b64 s[0:1], s[0:1]
	s_cbranch_execz .LBB92_554
; %bb.553:
	v_mov_b32_e32 v103, 32
	ds_write2_b64 v102, v[28:29], v[26:27] offset0:33 offset1:34
	ds_write2_b64 v102, v[22:23], v[24:25] offset0:35 offset1:36
	;; [unrolled: 1-line block ×7, first 2 shown]
.LBB92_554:
	s_or_b64 exec, exec, s[0:1]
	v_cmp_lt_i32_e32 vcc, 32, v103
	s_waitcnt lgkmcnt(0)
	s_barrier
	s_and_saveexec_b64 s[0:1], vcc
	s_cbranch_execz .LBB92_556
; %bb.555:
	ds_read2_b64 v[108:111], v102 offset0:33 offset1:34
	ds_read2_b64 v[112:115], v102 offset0:35 offset1:36
	v_mul_f64 v[30:31], v[98:99], v[30:31]
	ds_read2_b64 v[116:119], v102 offset0:37 offset1:38
	s_waitcnt lgkmcnt(0)
	v_fma_f64 v[28:29], -v[30:31], v[108:109], v[28:29]
	v_fma_f64 v[26:27], -v[30:31], v[110:111], v[26:27]
	ds_read2_b64 v[108:111], v102 offset0:39 offset1:40
	v_fma_f64 v[22:23], -v[30:31], v[112:113], v[22:23]
	v_fma_f64 v[24:25], -v[30:31], v[114:115], v[24:25]
	;; [unrolled: 1-line block ×4, first 2 shown]
	ds_read2_b64 v[112:115], v102 offset0:41 offset1:42
	ds_read2_b64 v[116:119], v102 offset0:43 offset1:44
	s_waitcnt lgkmcnt(0)
	v_fma_f64 v[16:17], -v[30:31], v[108:109], v[16:17]
	v_fma_f64 v[14:15], -v[30:31], v[110:111], v[14:15]
	ds_read2_b64 v[108:111], v102 offset0:45 offset1:46
	v_fma_f64 v[12:13], -v[30:31], v[112:113], v[12:13]
	v_fma_f64 v[10:11], -v[30:31], v[114:115], v[10:11]
	;; [unrolled: 1-line block ×4, first 2 shown]
	s_waitcnt lgkmcnt(0)
	v_fma_f64 v[0:1], -v[30:31], v[108:109], v[0:1]
	v_fma_f64 v[96:97], -v[30:31], v[110:111], v[96:97]
.LBB92_556:
	s_or_b64 exec, exec, s[0:1]
	v_lshl_add_u32 v98, v103, 3, v102
	s_barrier
	ds_write_b64 v98, v[28:29]
	s_waitcnt lgkmcnt(0)
	s_barrier
	ds_read_b64 v[98:99], v102 offset:264
	s_cmp_lt_i32 s18, 35
	v_mov_b32_e32 v100, 33
	s_cbranch_scc1 .LBB92_559
; %bb.557:
	v_add_u32_e32 v107, 0x110, v102
	s_mov_b32 s0, 34
	v_mov_b32_e32 v100, 33
.LBB92_558:                             ; =>This Inner Loop Header: Depth=1
	ds_read_b64 v[108:109], v107
	v_mov_b32_e32 v110, s0
	s_add_i32 s0, s0, 1
	v_add_u32_e32 v107, 8, v107
	s_cmp_lg_u32 s18, s0
	s_waitcnt lgkmcnt(0)
	v_cmp_lt_f64_e64 vcc, |v[98:99]|, |v[108:109]|
	v_cndmask_b32_e32 v99, v99, v109, vcc
	v_cndmask_b32_e32 v98, v98, v108, vcc
	;; [unrolled: 1-line block ×3, first 2 shown]
	s_cbranch_scc1 .LBB92_558
.LBB92_559:
	s_waitcnt lgkmcnt(0)
	v_cmp_eq_f64_e32 vcc, 0, v[98:99]
	s_and_saveexec_b64 s[0:1], vcc
	s_xor_b64 s[0:1], exec, s[0:1]
; %bb.560:
	v_cmp_ne_u32_e32 vcc, 0, v106
	v_cndmask_b32_e32 v106, 34, v106, vcc
; %bb.561:
	s_andn2_saveexec_b64 s[0:1], s[0:1]
; %bb.562:
	v_div_scale_f64 v[108:109], s[2:3], v[98:99], v[98:99], 1.0
	v_rcp_f64_e32 v[110:111], v[108:109]
	v_div_scale_f64 v[112:113], vcc, 1.0, v[98:99], 1.0
	v_fma_f64 v[114:115], -v[108:109], v[110:111], 1.0
	v_fmac_f64_e32 v[110:111], v[110:111], v[114:115]
	v_fma_f64 v[114:115], -v[108:109], v[110:111], 1.0
	v_fmac_f64_e32 v[110:111], v[110:111], v[114:115]
	v_mul_f64 v[114:115], v[112:113], v[110:111]
	v_fma_f64 v[108:109], -v[108:109], v[114:115], v[112:113]
	v_div_fmas_f64 v[108:109], v[108:109], v[110:111], v[114:115]
	v_div_fixup_f64 v[98:99], v[108:109], v[98:99], 1.0
; %bb.563:
	s_or_b64 exec, exec, s[0:1]
	v_cmp_ne_u32_e32 vcc, v103, v100
	s_and_saveexec_b64 s[0:1], vcc
	s_xor_b64 s[0:1], exec, s[0:1]
	s_cbranch_execz .LBB92_569
; %bb.564:
	v_cmp_eq_u32_e32 vcc, 33, v103
	s_and_saveexec_b64 s[2:3], vcc
	s_cbranch_execz .LBB92_568
; %bb.565:
	v_cmp_ne_u32_e32 vcc, 33, v100
	s_xor_b64 s[14:15], s[6:7], -1
	s_and_b64 s[16:17], s[14:15], vcc
	s_and_saveexec_b64 s[14:15], s[16:17]
	s_cbranch_execz .LBB92_567
; %bb.566:
	v_ashrrev_i32_e32 v101, 31, v100
	v_lshlrev_b64 v[108:109], 2, v[100:101]
	v_add_co_u32_e32 v108, vcc, v4, v108
	v_addc_co_u32_e32 v109, vcc, v5, v109, vcc
	flat_load_dword v101, v[108:109]
	flat_load_dword v103, v[4:5] offset:132
	s_waitcnt vmcnt(0) lgkmcnt(0)
	flat_store_dword v[4:5], v101 offset:132
	flat_store_dword v[108:109], v103
.LBB92_567:
	s_or_b64 exec, exec, s[14:15]
	v_mov_b32_e32 v101, v100
	v_mov_b32_e32 v103, v100
.LBB92_568:
	s_or_b64 exec, exec, s[2:3]
.LBB92_569:
	s_andn2_saveexec_b64 s[0:1], s[0:1]
	s_cbranch_execz .LBB92_571
; %bb.570:
	v_mov_b32_e32 v108, v26
	v_mov_b32_e32 v109, v27
	v_mov_b32_e32 v110, v22
	v_mov_b32_e32 v111, v23
	ds_write2_b64 v102, v[108:109], v[110:111] offset0:34 offset1:35
	v_mov_b32_e32 v108, v24
	v_mov_b32_e32 v109, v25
	v_mov_b32_e32 v110, v20
	v_mov_b32_e32 v111, v21
	ds_write2_b64 v102, v[108:109], v[110:111] offset0:36 offset1:37
	;; [unrolled: 5-line block ×5, first 2 shown]
	v_mov_b32_e32 v108, v6
	v_mov_b32_e32 v109, v7
	;; [unrolled: 1-line block ×5, first 2 shown]
	ds_write2_b64 v102, v[108:109], v[110:111] offset0:44 offset1:45
	ds_write_b64 v102, v[96:97] offset:368
.LBB92_571:
	s_or_b64 exec, exec, s[0:1]
	v_cmp_lt_i32_e32 vcc, 33, v103
	s_waitcnt lgkmcnt(0)
	s_barrier
	s_and_saveexec_b64 s[0:1], vcc
	s_cbranch_execz .LBB92_573
; %bb.572:
	ds_read2_b64 v[108:111], v102 offset0:34 offset1:35
	ds_read2_b64 v[112:115], v102 offset0:36 offset1:37
	;; [unrolled: 1-line block ×3, first 2 shown]
	v_mul_f64 v[28:29], v[98:99], v[28:29]
	ds_read_b64 v[98:99], v102 offset:368
	s_waitcnt lgkmcnt(0)
	v_fma_f64 v[26:27], -v[28:29], v[108:109], v[26:27]
	v_fma_f64 v[22:23], -v[28:29], v[110:111], v[22:23]
	ds_read2_b64 v[108:111], v102 offset0:40 offset1:41
	v_fma_f64 v[24:25], -v[28:29], v[112:113], v[24:25]
	v_fma_f64 v[20:21], -v[28:29], v[114:115], v[20:21]
	;; [unrolled: 1-line block ×4, first 2 shown]
	ds_read2_b64 v[112:115], v102 offset0:42 offset1:43
	ds_read2_b64 v[116:119], v102 offset0:44 offset1:45
	s_waitcnt lgkmcnt(0)
	v_fma_f64 v[14:15], -v[28:29], v[108:109], v[14:15]
	v_fma_f64 v[12:13], -v[28:29], v[110:111], v[12:13]
	;; [unrolled: 1-line block ×7, first 2 shown]
.LBB92_573:
	s_or_b64 exec, exec, s[0:1]
	v_lshl_add_u32 v98, v103, 3, v102
	s_barrier
	ds_write_b64 v98, v[26:27]
	s_waitcnt lgkmcnt(0)
	s_barrier
	ds_read_b64 v[98:99], v102 offset:272
	s_cmp_lt_i32 s18, 36
	v_mov_b32_e32 v100, 34
	s_cbranch_scc1 .LBB92_576
; %bb.574:
	v_add_u32_e32 v107, 0x118, v102
	s_mov_b32 s0, 35
	v_mov_b32_e32 v100, 34
.LBB92_575:                             ; =>This Inner Loop Header: Depth=1
	ds_read_b64 v[108:109], v107
	v_mov_b32_e32 v110, s0
	s_add_i32 s0, s0, 1
	v_add_u32_e32 v107, 8, v107
	s_cmp_lg_u32 s18, s0
	s_waitcnt lgkmcnt(0)
	v_cmp_lt_f64_e64 vcc, |v[98:99]|, |v[108:109]|
	v_cndmask_b32_e32 v99, v99, v109, vcc
	v_cndmask_b32_e32 v98, v98, v108, vcc
	;; [unrolled: 1-line block ×3, first 2 shown]
	s_cbranch_scc1 .LBB92_575
.LBB92_576:
	s_waitcnt lgkmcnt(0)
	v_cmp_eq_f64_e32 vcc, 0, v[98:99]
	s_and_saveexec_b64 s[0:1], vcc
	s_xor_b64 s[0:1], exec, s[0:1]
; %bb.577:
	v_cmp_ne_u32_e32 vcc, 0, v106
	v_cndmask_b32_e32 v106, 35, v106, vcc
; %bb.578:
	s_andn2_saveexec_b64 s[0:1], s[0:1]
; %bb.579:
	v_div_scale_f64 v[108:109], s[2:3], v[98:99], v[98:99], 1.0
	v_rcp_f64_e32 v[110:111], v[108:109]
	v_div_scale_f64 v[112:113], vcc, 1.0, v[98:99], 1.0
	v_fma_f64 v[114:115], -v[108:109], v[110:111], 1.0
	v_fmac_f64_e32 v[110:111], v[110:111], v[114:115]
	v_fma_f64 v[114:115], -v[108:109], v[110:111], 1.0
	v_fmac_f64_e32 v[110:111], v[110:111], v[114:115]
	v_mul_f64 v[114:115], v[112:113], v[110:111]
	v_fma_f64 v[108:109], -v[108:109], v[114:115], v[112:113]
	v_div_fmas_f64 v[108:109], v[108:109], v[110:111], v[114:115]
	v_div_fixup_f64 v[98:99], v[108:109], v[98:99], 1.0
; %bb.580:
	s_or_b64 exec, exec, s[0:1]
	v_cmp_ne_u32_e32 vcc, v103, v100
	s_and_saveexec_b64 s[0:1], vcc
	s_xor_b64 s[0:1], exec, s[0:1]
	s_cbranch_execz .LBB92_586
; %bb.581:
	v_cmp_eq_u32_e32 vcc, 34, v103
	s_and_saveexec_b64 s[2:3], vcc
	s_cbranch_execz .LBB92_585
; %bb.582:
	v_cmp_ne_u32_e32 vcc, 34, v100
	s_xor_b64 s[14:15], s[6:7], -1
	s_and_b64 s[16:17], s[14:15], vcc
	s_and_saveexec_b64 s[14:15], s[16:17]
	s_cbranch_execz .LBB92_584
; %bb.583:
	v_ashrrev_i32_e32 v101, 31, v100
	v_lshlrev_b64 v[108:109], 2, v[100:101]
	v_add_co_u32_e32 v108, vcc, v4, v108
	v_addc_co_u32_e32 v109, vcc, v5, v109, vcc
	flat_load_dword v101, v[108:109]
	flat_load_dword v103, v[4:5] offset:136
	s_waitcnt vmcnt(0) lgkmcnt(0)
	flat_store_dword v[4:5], v101 offset:136
	flat_store_dword v[108:109], v103
.LBB92_584:
	s_or_b64 exec, exec, s[14:15]
	v_mov_b32_e32 v101, v100
	v_mov_b32_e32 v103, v100
.LBB92_585:
	s_or_b64 exec, exec, s[2:3]
.LBB92_586:
	s_andn2_saveexec_b64 s[0:1], s[0:1]
	s_cbranch_execz .LBB92_588
; %bb.587:
	v_mov_b32_e32 v103, 34
	ds_write2_b64 v102, v[22:23], v[24:25] offset0:35 offset1:36
	ds_write2_b64 v102, v[20:21], v[18:19] offset0:37 offset1:38
	;; [unrolled: 1-line block ×6, first 2 shown]
.LBB92_588:
	s_or_b64 exec, exec, s[0:1]
	v_cmp_lt_i32_e32 vcc, 34, v103
	s_waitcnt lgkmcnt(0)
	s_barrier
	s_and_saveexec_b64 s[0:1], vcc
	s_cbranch_execz .LBB92_590
; %bb.589:
	ds_read2_b64 v[108:111], v102 offset0:35 offset1:36
	ds_read2_b64 v[112:115], v102 offset0:37 offset1:38
	;; [unrolled: 1-line block ×3, first 2 shown]
	v_mul_f64 v[26:27], v[98:99], v[26:27]
	s_waitcnt lgkmcnt(0)
	v_fma_f64 v[22:23], -v[26:27], v[108:109], v[22:23]
	v_fma_f64 v[24:25], -v[26:27], v[110:111], v[24:25]
	ds_read2_b64 v[108:111], v102 offset0:41 offset1:42
	v_fma_f64 v[20:21], -v[26:27], v[112:113], v[20:21]
	v_fma_f64 v[18:19], -v[26:27], v[114:115], v[18:19]
	v_fma_f64 v[16:17], -v[26:27], v[116:117], v[16:17]
	ds_read2_b64 v[112:115], v102 offset0:43 offset1:44
	v_fma_f64 v[14:15], -v[26:27], v[118:119], v[14:15]
	ds_read2_b64 v[116:119], v102 offset0:45 offset1:46
	s_waitcnt lgkmcnt(0)
	v_fma_f64 v[12:13], -v[26:27], v[108:109], v[12:13]
	v_fma_f64 v[10:11], -v[26:27], v[110:111], v[10:11]
	;; [unrolled: 1-line block ×6, first 2 shown]
.LBB92_590:
	s_or_b64 exec, exec, s[0:1]
	v_lshl_add_u32 v98, v103, 3, v102
	s_barrier
	ds_write_b64 v98, v[22:23]
	s_waitcnt lgkmcnt(0)
	s_barrier
	ds_read_b64 v[98:99], v102 offset:280
	s_cmp_lt_i32 s18, 37
	v_mov_b32_e32 v100, 35
	s_cbranch_scc1 .LBB92_593
; %bb.591:
	v_add_u32_e32 v107, 0x120, v102
	s_mov_b32 s0, 36
	v_mov_b32_e32 v100, 35
.LBB92_592:                             ; =>This Inner Loop Header: Depth=1
	ds_read_b64 v[108:109], v107
	v_mov_b32_e32 v110, s0
	s_add_i32 s0, s0, 1
	v_add_u32_e32 v107, 8, v107
	s_cmp_lg_u32 s18, s0
	s_waitcnt lgkmcnt(0)
	v_cmp_lt_f64_e64 vcc, |v[98:99]|, |v[108:109]|
	v_cndmask_b32_e32 v99, v99, v109, vcc
	v_cndmask_b32_e32 v98, v98, v108, vcc
	;; [unrolled: 1-line block ×3, first 2 shown]
	s_cbranch_scc1 .LBB92_592
.LBB92_593:
	s_waitcnt lgkmcnt(0)
	v_cmp_eq_f64_e32 vcc, 0, v[98:99]
	s_and_saveexec_b64 s[0:1], vcc
	s_xor_b64 s[0:1], exec, s[0:1]
; %bb.594:
	v_cmp_ne_u32_e32 vcc, 0, v106
	v_cndmask_b32_e32 v106, 36, v106, vcc
; %bb.595:
	s_andn2_saveexec_b64 s[0:1], s[0:1]
; %bb.596:
	v_div_scale_f64 v[108:109], s[2:3], v[98:99], v[98:99], 1.0
	v_rcp_f64_e32 v[110:111], v[108:109]
	v_div_scale_f64 v[112:113], vcc, 1.0, v[98:99], 1.0
	v_fma_f64 v[114:115], -v[108:109], v[110:111], 1.0
	v_fmac_f64_e32 v[110:111], v[110:111], v[114:115]
	v_fma_f64 v[114:115], -v[108:109], v[110:111], 1.0
	v_fmac_f64_e32 v[110:111], v[110:111], v[114:115]
	v_mul_f64 v[114:115], v[112:113], v[110:111]
	v_fma_f64 v[108:109], -v[108:109], v[114:115], v[112:113]
	v_div_fmas_f64 v[108:109], v[108:109], v[110:111], v[114:115]
	v_div_fixup_f64 v[98:99], v[108:109], v[98:99], 1.0
; %bb.597:
	s_or_b64 exec, exec, s[0:1]
	v_cmp_ne_u32_e32 vcc, v103, v100
	s_and_saveexec_b64 s[0:1], vcc
	s_xor_b64 s[0:1], exec, s[0:1]
	s_cbranch_execz .LBB92_603
; %bb.598:
	v_cmp_eq_u32_e32 vcc, 35, v103
	s_and_saveexec_b64 s[2:3], vcc
	s_cbranch_execz .LBB92_602
; %bb.599:
	v_cmp_ne_u32_e32 vcc, 35, v100
	s_xor_b64 s[14:15], s[6:7], -1
	s_and_b64 s[16:17], s[14:15], vcc
	s_and_saveexec_b64 s[14:15], s[16:17]
	s_cbranch_execz .LBB92_601
; %bb.600:
	v_ashrrev_i32_e32 v101, 31, v100
	v_lshlrev_b64 v[108:109], 2, v[100:101]
	v_add_co_u32_e32 v108, vcc, v4, v108
	v_addc_co_u32_e32 v109, vcc, v5, v109, vcc
	flat_load_dword v101, v[108:109]
	flat_load_dword v103, v[4:5] offset:140
	s_waitcnt vmcnt(0) lgkmcnt(0)
	flat_store_dword v[4:5], v101 offset:140
	flat_store_dword v[108:109], v103
.LBB92_601:
	s_or_b64 exec, exec, s[14:15]
	v_mov_b32_e32 v101, v100
	v_mov_b32_e32 v103, v100
.LBB92_602:
	s_or_b64 exec, exec, s[2:3]
.LBB92_603:
	s_andn2_saveexec_b64 s[0:1], s[0:1]
	s_cbranch_execz .LBB92_605
; %bb.604:
	v_mov_b32_e32 v108, v24
	v_mov_b32_e32 v109, v25
	v_mov_b32_e32 v110, v20
	v_mov_b32_e32 v111, v21
	ds_write2_b64 v102, v[108:109], v[110:111] offset0:36 offset1:37
	v_mov_b32_e32 v108, v18
	v_mov_b32_e32 v109, v19
	v_mov_b32_e32 v110, v16
	v_mov_b32_e32 v111, v17
	ds_write2_b64 v102, v[108:109], v[110:111] offset0:38 offset1:39
	;; [unrolled: 5-line block ×4, first 2 shown]
	v_mov_b32_e32 v108, v6
	v_mov_b32_e32 v109, v7
	;; [unrolled: 1-line block ×5, first 2 shown]
	ds_write2_b64 v102, v[108:109], v[110:111] offset0:44 offset1:45
	ds_write_b64 v102, v[96:97] offset:368
.LBB92_605:
	s_or_b64 exec, exec, s[0:1]
	v_cmp_lt_i32_e32 vcc, 35, v103
	s_waitcnt lgkmcnt(0)
	s_barrier
	s_and_saveexec_b64 s[0:1], vcc
	s_cbranch_execz .LBB92_607
; %bb.606:
	ds_read2_b64 v[108:111], v102 offset0:36 offset1:37
	ds_read2_b64 v[112:115], v102 offset0:38 offset1:39
	v_mul_f64 v[22:23], v[98:99], v[22:23]
	ds_read2_b64 v[116:119], v102 offset0:40 offset1:41
	ds_read_b64 v[98:99], v102 offset:368
	s_waitcnt lgkmcnt(0)
	v_fma_f64 v[24:25], -v[22:23], v[108:109], v[24:25]
	v_fma_f64 v[20:21], -v[22:23], v[110:111], v[20:21]
	ds_read2_b64 v[108:111], v102 offset0:42 offset1:43
	v_fma_f64 v[18:19], -v[22:23], v[112:113], v[18:19]
	v_fma_f64 v[16:17], -v[22:23], v[114:115], v[16:17]
	ds_read2_b64 v[112:115], v102 offset0:44 offset1:45
	v_fma_f64 v[14:15], -v[22:23], v[116:117], v[14:15]
	v_fma_f64 v[12:13], -v[22:23], v[118:119], v[12:13]
	s_waitcnt lgkmcnt(0)
	v_fma_f64 v[10:11], -v[22:23], v[108:109], v[10:11]
	v_fma_f64 v[8:9], -v[22:23], v[110:111], v[8:9]
	;; [unrolled: 1-line block ×5, first 2 shown]
.LBB92_607:
	s_or_b64 exec, exec, s[0:1]
	v_lshl_add_u32 v98, v103, 3, v102
	s_barrier
	ds_write_b64 v98, v[24:25]
	s_waitcnt lgkmcnt(0)
	s_barrier
	ds_read_b64 v[98:99], v102 offset:288
	s_cmp_lt_i32 s18, 38
	v_mov_b32_e32 v100, 36
	s_cbranch_scc1 .LBB92_610
; %bb.608:
	v_add_u32_e32 v107, 0x128, v102
	s_mov_b32 s0, 37
	v_mov_b32_e32 v100, 36
.LBB92_609:                             ; =>This Inner Loop Header: Depth=1
	ds_read_b64 v[108:109], v107
	v_mov_b32_e32 v110, s0
	s_add_i32 s0, s0, 1
	v_add_u32_e32 v107, 8, v107
	s_cmp_lg_u32 s18, s0
	s_waitcnt lgkmcnt(0)
	v_cmp_lt_f64_e64 vcc, |v[98:99]|, |v[108:109]|
	v_cndmask_b32_e32 v99, v99, v109, vcc
	v_cndmask_b32_e32 v98, v98, v108, vcc
	;; [unrolled: 1-line block ×3, first 2 shown]
	s_cbranch_scc1 .LBB92_609
.LBB92_610:
	s_waitcnt lgkmcnt(0)
	v_cmp_eq_f64_e32 vcc, 0, v[98:99]
	s_and_saveexec_b64 s[0:1], vcc
	s_xor_b64 s[0:1], exec, s[0:1]
; %bb.611:
	v_cmp_ne_u32_e32 vcc, 0, v106
	v_cndmask_b32_e32 v106, 37, v106, vcc
; %bb.612:
	s_andn2_saveexec_b64 s[0:1], s[0:1]
; %bb.613:
	v_div_scale_f64 v[108:109], s[2:3], v[98:99], v[98:99], 1.0
	v_rcp_f64_e32 v[110:111], v[108:109]
	v_div_scale_f64 v[112:113], vcc, 1.0, v[98:99], 1.0
	v_fma_f64 v[114:115], -v[108:109], v[110:111], 1.0
	v_fmac_f64_e32 v[110:111], v[110:111], v[114:115]
	v_fma_f64 v[114:115], -v[108:109], v[110:111], 1.0
	v_fmac_f64_e32 v[110:111], v[110:111], v[114:115]
	v_mul_f64 v[114:115], v[112:113], v[110:111]
	v_fma_f64 v[108:109], -v[108:109], v[114:115], v[112:113]
	v_div_fmas_f64 v[108:109], v[108:109], v[110:111], v[114:115]
	v_div_fixup_f64 v[98:99], v[108:109], v[98:99], 1.0
; %bb.614:
	s_or_b64 exec, exec, s[0:1]
	v_cmp_ne_u32_e32 vcc, v103, v100
	s_and_saveexec_b64 s[0:1], vcc
	s_xor_b64 s[0:1], exec, s[0:1]
	s_cbranch_execz .LBB92_620
; %bb.615:
	v_cmp_eq_u32_e32 vcc, 36, v103
	s_and_saveexec_b64 s[2:3], vcc
	s_cbranch_execz .LBB92_619
; %bb.616:
	v_cmp_ne_u32_e32 vcc, 36, v100
	s_xor_b64 s[14:15], s[6:7], -1
	s_and_b64 s[16:17], s[14:15], vcc
	s_and_saveexec_b64 s[14:15], s[16:17]
	s_cbranch_execz .LBB92_618
; %bb.617:
	v_ashrrev_i32_e32 v101, 31, v100
	v_lshlrev_b64 v[108:109], 2, v[100:101]
	v_add_co_u32_e32 v108, vcc, v4, v108
	v_addc_co_u32_e32 v109, vcc, v5, v109, vcc
	flat_load_dword v101, v[108:109]
	flat_load_dword v103, v[4:5] offset:144
	s_waitcnt vmcnt(0) lgkmcnt(0)
	flat_store_dword v[4:5], v101 offset:144
	flat_store_dword v[108:109], v103
.LBB92_618:
	s_or_b64 exec, exec, s[14:15]
	v_mov_b32_e32 v101, v100
	v_mov_b32_e32 v103, v100
.LBB92_619:
	s_or_b64 exec, exec, s[2:3]
.LBB92_620:
	s_andn2_saveexec_b64 s[0:1], s[0:1]
	s_cbranch_execz .LBB92_622
; %bb.621:
	v_mov_b32_e32 v103, 36
	ds_write2_b64 v102, v[20:21], v[18:19] offset0:37 offset1:38
	ds_write2_b64 v102, v[16:17], v[14:15] offset0:39 offset1:40
	;; [unrolled: 1-line block ×5, first 2 shown]
.LBB92_622:
	s_or_b64 exec, exec, s[0:1]
	v_cmp_lt_i32_e32 vcc, 36, v103
	s_waitcnt lgkmcnt(0)
	s_barrier
	s_and_saveexec_b64 s[0:1], vcc
	s_cbranch_execz .LBB92_624
; %bb.623:
	ds_read2_b64 v[108:111], v102 offset0:37 offset1:38
	ds_read2_b64 v[112:115], v102 offset0:39 offset1:40
	v_mul_f64 v[24:25], v[98:99], v[24:25]
	ds_read2_b64 v[116:119], v102 offset0:43 offset1:44
	s_waitcnt lgkmcnt(0)
	v_fma_f64 v[20:21], -v[24:25], v[108:109], v[20:21]
	v_fma_f64 v[18:19], -v[24:25], v[110:111], v[18:19]
	ds_read2_b64 v[108:111], v102 offset0:41 offset1:42
	v_fma_f64 v[16:17], -v[24:25], v[112:113], v[16:17]
	v_fma_f64 v[14:15], -v[24:25], v[114:115], v[14:15]
	ds_read2_b64 v[112:115], v102 offset0:45 offset1:46
	v_fma_f64 v[8:9], -v[24:25], v[116:117], v[8:9]
	s_waitcnt lgkmcnt(0)
	v_fma_f64 v[12:13], -v[24:25], v[108:109], v[12:13]
	v_fma_f64 v[10:11], -v[24:25], v[110:111], v[10:11]
	;; [unrolled: 1-line block ×5, first 2 shown]
.LBB92_624:
	s_or_b64 exec, exec, s[0:1]
	v_lshl_add_u32 v98, v103, 3, v102
	s_barrier
	ds_write_b64 v98, v[20:21]
	s_waitcnt lgkmcnt(0)
	s_barrier
	ds_read_b64 v[98:99], v102 offset:296
	s_cmp_lt_i32 s18, 39
	v_mov_b32_e32 v100, 37
	s_cbranch_scc1 .LBB92_627
; %bb.625:
	v_add_u32_e32 v107, 0x130, v102
	s_mov_b32 s0, 38
	v_mov_b32_e32 v100, 37
.LBB92_626:                             ; =>This Inner Loop Header: Depth=1
	ds_read_b64 v[108:109], v107
	v_mov_b32_e32 v110, s0
	s_add_i32 s0, s0, 1
	v_add_u32_e32 v107, 8, v107
	s_cmp_lg_u32 s18, s0
	s_waitcnt lgkmcnt(0)
	v_cmp_lt_f64_e64 vcc, |v[98:99]|, |v[108:109]|
	v_cndmask_b32_e32 v99, v99, v109, vcc
	v_cndmask_b32_e32 v98, v98, v108, vcc
	;; [unrolled: 1-line block ×3, first 2 shown]
	s_cbranch_scc1 .LBB92_626
.LBB92_627:
	s_waitcnt lgkmcnt(0)
	v_cmp_eq_f64_e32 vcc, 0, v[98:99]
	s_and_saveexec_b64 s[0:1], vcc
	s_xor_b64 s[0:1], exec, s[0:1]
; %bb.628:
	v_cmp_ne_u32_e32 vcc, 0, v106
	v_cndmask_b32_e32 v106, 38, v106, vcc
; %bb.629:
	s_andn2_saveexec_b64 s[0:1], s[0:1]
; %bb.630:
	v_div_scale_f64 v[108:109], s[2:3], v[98:99], v[98:99], 1.0
	v_rcp_f64_e32 v[110:111], v[108:109]
	v_div_scale_f64 v[112:113], vcc, 1.0, v[98:99], 1.0
	v_fma_f64 v[114:115], -v[108:109], v[110:111], 1.0
	v_fmac_f64_e32 v[110:111], v[110:111], v[114:115]
	v_fma_f64 v[114:115], -v[108:109], v[110:111], 1.0
	v_fmac_f64_e32 v[110:111], v[110:111], v[114:115]
	v_mul_f64 v[114:115], v[112:113], v[110:111]
	v_fma_f64 v[108:109], -v[108:109], v[114:115], v[112:113]
	v_div_fmas_f64 v[108:109], v[108:109], v[110:111], v[114:115]
	v_div_fixup_f64 v[98:99], v[108:109], v[98:99], 1.0
; %bb.631:
	s_or_b64 exec, exec, s[0:1]
	v_cmp_ne_u32_e32 vcc, v103, v100
	s_and_saveexec_b64 s[0:1], vcc
	s_xor_b64 s[0:1], exec, s[0:1]
	s_cbranch_execz .LBB92_637
; %bb.632:
	v_cmp_eq_u32_e32 vcc, 37, v103
	s_and_saveexec_b64 s[2:3], vcc
	s_cbranch_execz .LBB92_636
; %bb.633:
	v_cmp_ne_u32_e32 vcc, 37, v100
	s_xor_b64 s[14:15], s[6:7], -1
	s_and_b64 s[16:17], s[14:15], vcc
	s_and_saveexec_b64 s[14:15], s[16:17]
	s_cbranch_execz .LBB92_635
; %bb.634:
	v_ashrrev_i32_e32 v101, 31, v100
	v_lshlrev_b64 v[108:109], 2, v[100:101]
	v_add_co_u32_e32 v108, vcc, v4, v108
	v_addc_co_u32_e32 v109, vcc, v5, v109, vcc
	flat_load_dword v101, v[108:109]
	flat_load_dword v103, v[4:5] offset:148
	s_waitcnt vmcnt(0) lgkmcnt(0)
	flat_store_dword v[4:5], v101 offset:148
	flat_store_dword v[108:109], v103
.LBB92_635:
	s_or_b64 exec, exec, s[14:15]
	v_mov_b32_e32 v101, v100
	v_mov_b32_e32 v103, v100
.LBB92_636:
	s_or_b64 exec, exec, s[2:3]
.LBB92_637:
	s_andn2_saveexec_b64 s[0:1], s[0:1]
	s_cbranch_execz .LBB92_639
; %bb.638:
	v_mov_b32_e32 v108, v18
	v_mov_b32_e32 v109, v19
	v_mov_b32_e32 v110, v16
	v_mov_b32_e32 v111, v17
	ds_write2_b64 v102, v[108:109], v[110:111] offset0:38 offset1:39
	v_mov_b32_e32 v108, v14
	v_mov_b32_e32 v109, v15
	v_mov_b32_e32 v110, v12
	v_mov_b32_e32 v111, v13
	ds_write2_b64 v102, v[108:109], v[110:111] offset0:40 offset1:41
	;; [unrolled: 5-line block ×3, first 2 shown]
	v_mov_b32_e32 v108, v6
	v_mov_b32_e32 v109, v7
	;; [unrolled: 1-line block ×5, first 2 shown]
	ds_write2_b64 v102, v[108:109], v[110:111] offset0:44 offset1:45
	ds_write_b64 v102, v[96:97] offset:368
.LBB92_639:
	s_or_b64 exec, exec, s[0:1]
	v_cmp_lt_i32_e32 vcc, 37, v103
	s_waitcnt lgkmcnt(0)
	s_barrier
	s_and_saveexec_b64 s[0:1], vcc
	s_cbranch_execz .LBB92_641
; %bb.640:
	ds_read2_b64 v[108:111], v102 offset0:38 offset1:39
	ds_read2_b64 v[112:115], v102 offset0:40 offset1:41
	v_mul_f64 v[20:21], v[98:99], v[20:21]
	ds_read_b64 v[98:99], v102 offset:368
	ds_read2_b64 v[116:119], v102 offset0:44 offset1:45
	s_waitcnt lgkmcnt(0)
	v_fma_f64 v[18:19], -v[20:21], v[108:109], v[18:19]
	v_fma_f64 v[16:17], -v[20:21], v[110:111], v[16:17]
	ds_read2_b64 v[108:111], v102 offset0:42 offset1:43
	v_fma_f64 v[14:15], -v[20:21], v[112:113], v[14:15]
	v_fma_f64 v[12:13], -v[20:21], v[114:115], v[12:13]
	;; [unrolled: 1-line block ×4, first 2 shown]
	s_waitcnt lgkmcnt(0)
	v_fma_f64 v[10:11], -v[20:21], v[108:109], v[10:11]
	v_fma_f64 v[8:9], -v[20:21], v[110:111], v[8:9]
	;; [unrolled: 1-line block ×3, first 2 shown]
.LBB92_641:
	s_or_b64 exec, exec, s[0:1]
	v_lshl_add_u32 v98, v103, 3, v102
	s_barrier
	ds_write_b64 v98, v[18:19]
	s_waitcnt lgkmcnt(0)
	s_barrier
	ds_read_b64 v[98:99], v102 offset:304
	s_cmp_lt_i32 s18, 40
	v_mov_b32_e32 v100, 38
	s_cbranch_scc1 .LBB92_644
; %bb.642:
	v_add_u32_e32 v107, 0x138, v102
	s_mov_b32 s0, 39
	v_mov_b32_e32 v100, 38
.LBB92_643:                             ; =>This Inner Loop Header: Depth=1
	ds_read_b64 v[108:109], v107
	v_mov_b32_e32 v110, s0
	s_add_i32 s0, s0, 1
	v_add_u32_e32 v107, 8, v107
	s_cmp_lg_u32 s18, s0
	s_waitcnt lgkmcnt(0)
	v_cmp_lt_f64_e64 vcc, |v[98:99]|, |v[108:109]|
	v_cndmask_b32_e32 v99, v99, v109, vcc
	v_cndmask_b32_e32 v98, v98, v108, vcc
	;; [unrolled: 1-line block ×3, first 2 shown]
	s_cbranch_scc1 .LBB92_643
.LBB92_644:
	s_waitcnt lgkmcnt(0)
	v_cmp_eq_f64_e32 vcc, 0, v[98:99]
	s_and_saveexec_b64 s[0:1], vcc
	s_xor_b64 s[0:1], exec, s[0:1]
; %bb.645:
	v_cmp_ne_u32_e32 vcc, 0, v106
	v_cndmask_b32_e32 v106, 39, v106, vcc
; %bb.646:
	s_andn2_saveexec_b64 s[0:1], s[0:1]
; %bb.647:
	v_div_scale_f64 v[108:109], s[2:3], v[98:99], v[98:99], 1.0
	v_rcp_f64_e32 v[110:111], v[108:109]
	v_div_scale_f64 v[112:113], vcc, 1.0, v[98:99], 1.0
	v_fma_f64 v[114:115], -v[108:109], v[110:111], 1.0
	v_fmac_f64_e32 v[110:111], v[110:111], v[114:115]
	v_fma_f64 v[114:115], -v[108:109], v[110:111], 1.0
	v_fmac_f64_e32 v[110:111], v[110:111], v[114:115]
	v_mul_f64 v[114:115], v[112:113], v[110:111]
	v_fma_f64 v[108:109], -v[108:109], v[114:115], v[112:113]
	v_div_fmas_f64 v[108:109], v[108:109], v[110:111], v[114:115]
	v_div_fixup_f64 v[98:99], v[108:109], v[98:99], 1.0
; %bb.648:
	s_or_b64 exec, exec, s[0:1]
	v_cmp_ne_u32_e32 vcc, v103, v100
	s_and_saveexec_b64 s[0:1], vcc
	s_xor_b64 s[0:1], exec, s[0:1]
	s_cbranch_execz .LBB92_654
; %bb.649:
	v_cmp_eq_u32_e32 vcc, 38, v103
	s_and_saveexec_b64 s[2:3], vcc
	s_cbranch_execz .LBB92_653
; %bb.650:
	v_cmp_ne_u32_e32 vcc, 38, v100
	s_xor_b64 s[14:15], s[6:7], -1
	s_and_b64 s[16:17], s[14:15], vcc
	s_and_saveexec_b64 s[14:15], s[16:17]
	s_cbranch_execz .LBB92_652
; %bb.651:
	v_ashrrev_i32_e32 v101, 31, v100
	v_lshlrev_b64 v[108:109], 2, v[100:101]
	v_add_co_u32_e32 v108, vcc, v4, v108
	v_addc_co_u32_e32 v109, vcc, v5, v109, vcc
	flat_load_dword v101, v[108:109]
	flat_load_dword v103, v[4:5] offset:152
	s_waitcnt vmcnt(0) lgkmcnt(0)
	flat_store_dword v[4:5], v101 offset:152
	flat_store_dword v[108:109], v103
.LBB92_652:
	s_or_b64 exec, exec, s[14:15]
	v_mov_b32_e32 v101, v100
	v_mov_b32_e32 v103, v100
.LBB92_653:
	s_or_b64 exec, exec, s[2:3]
.LBB92_654:
	s_andn2_saveexec_b64 s[0:1], s[0:1]
	s_cbranch_execz .LBB92_656
; %bb.655:
	v_mov_b32_e32 v103, 38
	ds_write2_b64 v102, v[16:17], v[14:15] offset0:39 offset1:40
	ds_write2_b64 v102, v[12:13], v[10:11] offset0:41 offset1:42
	;; [unrolled: 1-line block ×4, first 2 shown]
.LBB92_656:
	s_or_b64 exec, exec, s[0:1]
	v_cmp_lt_i32_e32 vcc, 38, v103
	s_waitcnt lgkmcnt(0)
	s_barrier
	s_and_saveexec_b64 s[0:1], vcc
	s_cbranch_execz .LBB92_658
; %bb.657:
	ds_read2_b64 v[108:111], v102 offset0:39 offset1:40
	ds_read2_b64 v[112:115], v102 offset0:41 offset1:42
	v_mul_f64 v[18:19], v[98:99], v[18:19]
	ds_read2_b64 v[116:119], v102 offset0:43 offset1:44
	s_waitcnt lgkmcnt(0)
	v_fma_f64 v[16:17], -v[18:19], v[108:109], v[16:17]
	v_fma_f64 v[14:15], -v[18:19], v[110:111], v[14:15]
	ds_read2_b64 v[108:111], v102 offset0:45 offset1:46
	v_fma_f64 v[12:13], -v[18:19], v[112:113], v[12:13]
	v_fma_f64 v[10:11], -v[18:19], v[114:115], v[10:11]
	;; [unrolled: 1-line block ×4, first 2 shown]
	s_waitcnt lgkmcnt(0)
	v_fma_f64 v[0:1], -v[18:19], v[108:109], v[0:1]
	v_fma_f64 v[96:97], -v[18:19], v[110:111], v[96:97]
.LBB92_658:
	s_or_b64 exec, exec, s[0:1]
	v_lshl_add_u32 v98, v103, 3, v102
	s_barrier
	ds_write_b64 v98, v[16:17]
	s_waitcnt lgkmcnt(0)
	s_barrier
	ds_read_b64 v[98:99], v102 offset:312
	s_cmp_lt_i32 s18, 41
	v_mov_b32_e32 v100, 39
	s_cbranch_scc1 .LBB92_661
; %bb.659:
	v_add_u32_e32 v107, 0x140, v102
	s_mov_b32 s0, 40
	v_mov_b32_e32 v100, 39
.LBB92_660:                             ; =>This Inner Loop Header: Depth=1
	ds_read_b64 v[108:109], v107
	v_mov_b32_e32 v110, s0
	s_add_i32 s0, s0, 1
	v_add_u32_e32 v107, 8, v107
	s_cmp_lg_u32 s18, s0
	s_waitcnt lgkmcnt(0)
	v_cmp_lt_f64_e64 vcc, |v[98:99]|, |v[108:109]|
	v_cndmask_b32_e32 v99, v99, v109, vcc
	v_cndmask_b32_e32 v98, v98, v108, vcc
	;; [unrolled: 1-line block ×3, first 2 shown]
	s_cbranch_scc1 .LBB92_660
.LBB92_661:
	s_waitcnt lgkmcnt(0)
	v_cmp_eq_f64_e32 vcc, 0, v[98:99]
	s_and_saveexec_b64 s[0:1], vcc
	s_xor_b64 s[0:1], exec, s[0:1]
; %bb.662:
	v_cmp_ne_u32_e32 vcc, 0, v106
	v_cndmask_b32_e32 v106, 40, v106, vcc
; %bb.663:
	s_andn2_saveexec_b64 s[0:1], s[0:1]
; %bb.664:
	v_div_scale_f64 v[108:109], s[2:3], v[98:99], v[98:99], 1.0
	v_rcp_f64_e32 v[110:111], v[108:109]
	v_div_scale_f64 v[112:113], vcc, 1.0, v[98:99], 1.0
	v_fma_f64 v[114:115], -v[108:109], v[110:111], 1.0
	v_fmac_f64_e32 v[110:111], v[110:111], v[114:115]
	v_fma_f64 v[114:115], -v[108:109], v[110:111], 1.0
	v_fmac_f64_e32 v[110:111], v[110:111], v[114:115]
	v_mul_f64 v[114:115], v[112:113], v[110:111]
	v_fma_f64 v[108:109], -v[108:109], v[114:115], v[112:113]
	v_div_fmas_f64 v[108:109], v[108:109], v[110:111], v[114:115]
	v_div_fixup_f64 v[98:99], v[108:109], v[98:99], 1.0
; %bb.665:
	s_or_b64 exec, exec, s[0:1]
	v_cmp_ne_u32_e32 vcc, v103, v100
	s_and_saveexec_b64 s[0:1], vcc
	s_xor_b64 s[0:1], exec, s[0:1]
	s_cbranch_execz .LBB92_671
; %bb.666:
	v_cmp_eq_u32_e32 vcc, 39, v103
	s_and_saveexec_b64 s[2:3], vcc
	s_cbranch_execz .LBB92_670
; %bb.667:
	v_cmp_ne_u32_e32 vcc, 39, v100
	s_xor_b64 s[14:15], s[6:7], -1
	s_and_b64 s[16:17], s[14:15], vcc
	s_and_saveexec_b64 s[14:15], s[16:17]
	s_cbranch_execz .LBB92_669
; %bb.668:
	v_ashrrev_i32_e32 v101, 31, v100
	v_lshlrev_b64 v[108:109], 2, v[100:101]
	v_add_co_u32_e32 v108, vcc, v4, v108
	v_addc_co_u32_e32 v109, vcc, v5, v109, vcc
	flat_load_dword v101, v[108:109]
	flat_load_dword v103, v[4:5] offset:156
	s_waitcnt vmcnt(0) lgkmcnt(0)
	flat_store_dword v[4:5], v101 offset:156
	flat_store_dword v[108:109], v103
.LBB92_669:
	s_or_b64 exec, exec, s[14:15]
	v_mov_b32_e32 v101, v100
	v_mov_b32_e32 v103, v100
.LBB92_670:
	s_or_b64 exec, exec, s[2:3]
.LBB92_671:
	s_andn2_saveexec_b64 s[0:1], s[0:1]
	s_cbranch_execz .LBB92_673
; %bb.672:
	v_mov_b32_e32 v108, v14
	v_mov_b32_e32 v109, v15
	;; [unrolled: 1-line block ×4, first 2 shown]
	ds_write2_b64 v102, v[108:109], v[110:111] offset0:40 offset1:41
	v_mov_b32_e32 v108, v10
	v_mov_b32_e32 v109, v11
	;; [unrolled: 1-line block ×4, first 2 shown]
	ds_write2_b64 v102, v[108:109], v[110:111] offset0:42 offset1:43
	v_mov_b32_e32 v108, v6
	v_mov_b32_e32 v109, v7
	;; [unrolled: 1-line block ×5, first 2 shown]
	ds_write2_b64 v102, v[108:109], v[110:111] offset0:44 offset1:45
	ds_write_b64 v102, v[96:97] offset:368
.LBB92_673:
	s_or_b64 exec, exec, s[0:1]
	v_cmp_lt_i32_e32 vcc, 39, v103
	s_waitcnt lgkmcnt(0)
	s_barrier
	s_and_saveexec_b64 s[0:1], vcc
	s_cbranch_execz .LBB92_675
; %bb.674:
	ds_read2_b64 v[108:111], v102 offset0:40 offset1:41
	ds_read2_b64 v[112:115], v102 offset0:42 offset1:43
	v_mul_f64 v[16:17], v[98:99], v[16:17]
	ds_read2_b64 v[116:119], v102 offset0:44 offset1:45
	ds_read_b64 v[98:99], v102 offset:368
	s_waitcnt lgkmcnt(0)
	v_fma_f64 v[14:15], -v[16:17], v[108:109], v[14:15]
	v_fma_f64 v[12:13], -v[16:17], v[110:111], v[12:13]
	;; [unrolled: 1-line block ×7, first 2 shown]
.LBB92_675:
	s_or_b64 exec, exec, s[0:1]
	v_lshl_add_u32 v98, v103, 3, v102
	s_barrier
	ds_write_b64 v98, v[14:15]
	s_waitcnt lgkmcnt(0)
	s_barrier
	ds_read_b64 v[98:99], v102 offset:320
	s_cmp_lt_i32 s18, 42
	v_mov_b32_e32 v100, 40
	s_cbranch_scc1 .LBB92_678
; %bb.676:
	v_add_u32_e32 v107, 0x148, v102
	s_mov_b32 s0, 41
	v_mov_b32_e32 v100, 40
.LBB92_677:                             ; =>This Inner Loop Header: Depth=1
	ds_read_b64 v[108:109], v107
	v_mov_b32_e32 v110, s0
	s_add_i32 s0, s0, 1
	v_add_u32_e32 v107, 8, v107
	s_cmp_lg_u32 s18, s0
	s_waitcnt lgkmcnt(0)
	v_cmp_lt_f64_e64 vcc, |v[98:99]|, |v[108:109]|
	v_cndmask_b32_e32 v99, v99, v109, vcc
	v_cndmask_b32_e32 v98, v98, v108, vcc
	;; [unrolled: 1-line block ×3, first 2 shown]
	s_cbranch_scc1 .LBB92_677
.LBB92_678:
	s_waitcnt lgkmcnt(0)
	v_cmp_eq_f64_e32 vcc, 0, v[98:99]
	s_and_saveexec_b64 s[0:1], vcc
	s_xor_b64 s[0:1], exec, s[0:1]
; %bb.679:
	v_cmp_ne_u32_e32 vcc, 0, v106
	v_cndmask_b32_e32 v106, 41, v106, vcc
; %bb.680:
	s_andn2_saveexec_b64 s[0:1], s[0:1]
; %bb.681:
	v_div_scale_f64 v[108:109], s[2:3], v[98:99], v[98:99], 1.0
	v_rcp_f64_e32 v[110:111], v[108:109]
	v_div_scale_f64 v[112:113], vcc, 1.0, v[98:99], 1.0
	v_fma_f64 v[114:115], -v[108:109], v[110:111], 1.0
	v_fmac_f64_e32 v[110:111], v[110:111], v[114:115]
	v_fma_f64 v[114:115], -v[108:109], v[110:111], 1.0
	v_fmac_f64_e32 v[110:111], v[110:111], v[114:115]
	v_mul_f64 v[114:115], v[112:113], v[110:111]
	v_fma_f64 v[108:109], -v[108:109], v[114:115], v[112:113]
	v_div_fmas_f64 v[108:109], v[108:109], v[110:111], v[114:115]
	v_div_fixup_f64 v[98:99], v[108:109], v[98:99], 1.0
; %bb.682:
	s_or_b64 exec, exec, s[0:1]
	v_cmp_ne_u32_e32 vcc, v103, v100
	s_and_saveexec_b64 s[0:1], vcc
	s_xor_b64 s[0:1], exec, s[0:1]
	s_cbranch_execz .LBB92_688
; %bb.683:
	v_cmp_eq_u32_e32 vcc, 40, v103
	s_and_saveexec_b64 s[2:3], vcc
	s_cbranch_execz .LBB92_687
; %bb.684:
	v_cmp_ne_u32_e32 vcc, 40, v100
	s_xor_b64 s[14:15], s[6:7], -1
	s_and_b64 s[16:17], s[14:15], vcc
	s_and_saveexec_b64 s[14:15], s[16:17]
	s_cbranch_execz .LBB92_686
; %bb.685:
	v_ashrrev_i32_e32 v101, 31, v100
	v_lshlrev_b64 v[108:109], 2, v[100:101]
	v_add_co_u32_e32 v108, vcc, v4, v108
	v_addc_co_u32_e32 v109, vcc, v5, v109, vcc
	flat_load_dword v101, v[108:109]
	flat_load_dword v103, v[4:5] offset:160
	s_waitcnt vmcnt(0) lgkmcnt(0)
	flat_store_dword v[4:5], v101 offset:160
	flat_store_dword v[108:109], v103
.LBB92_686:
	s_or_b64 exec, exec, s[14:15]
	v_mov_b32_e32 v101, v100
	v_mov_b32_e32 v103, v100
.LBB92_687:
	s_or_b64 exec, exec, s[2:3]
.LBB92_688:
	s_andn2_saveexec_b64 s[0:1], s[0:1]
	s_cbranch_execz .LBB92_690
; %bb.689:
	v_mov_b32_e32 v103, 40
	ds_write2_b64 v102, v[12:13], v[10:11] offset0:41 offset1:42
	ds_write2_b64 v102, v[8:9], v[6:7] offset0:43 offset1:44
	;; [unrolled: 1-line block ×3, first 2 shown]
.LBB92_690:
	s_or_b64 exec, exec, s[0:1]
	v_cmp_lt_i32_e32 vcc, 40, v103
	s_waitcnt lgkmcnt(0)
	s_barrier
	s_and_saveexec_b64 s[0:1], vcc
	s_cbranch_execz .LBB92_692
; %bb.691:
	ds_read2_b64 v[108:111], v102 offset0:41 offset1:42
	ds_read2_b64 v[112:115], v102 offset0:43 offset1:44
	;; [unrolled: 1-line block ×3, first 2 shown]
	v_mul_f64 v[14:15], v[98:99], v[14:15]
	s_waitcnt lgkmcnt(0)
	v_fma_f64 v[12:13], -v[14:15], v[108:109], v[12:13]
	v_fma_f64 v[10:11], -v[14:15], v[110:111], v[10:11]
	v_fma_f64 v[8:9], -v[14:15], v[112:113], v[8:9]
	v_fma_f64 v[6:7], -v[14:15], v[114:115], v[6:7]
	v_fma_f64 v[0:1], -v[14:15], v[116:117], v[0:1]
	v_fma_f64 v[96:97], -v[14:15], v[118:119], v[96:97]
.LBB92_692:
	s_or_b64 exec, exec, s[0:1]
	v_lshl_add_u32 v98, v103, 3, v102
	s_barrier
	ds_write_b64 v98, v[12:13]
	s_waitcnt lgkmcnt(0)
	s_barrier
	ds_read_b64 v[98:99], v102 offset:328
	s_cmp_lt_i32 s18, 43
	v_mov_b32_e32 v100, 41
	s_cbranch_scc1 .LBB92_695
; %bb.693:
	v_add_u32_e32 v107, 0x150, v102
	s_mov_b32 s0, 42
	v_mov_b32_e32 v100, 41
.LBB92_694:                             ; =>This Inner Loop Header: Depth=1
	ds_read_b64 v[108:109], v107
	v_mov_b32_e32 v110, s0
	s_add_i32 s0, s0, 1
	v_add_u32_e32 v107, 8, v107
	s_cmp_lg_u32 s18, s0
	s_waitcnt lgkmcnt(0)
	v_cmp_lt_f64_e64 vcc, |v[98:99]|, |v[108:109]|
	v_cndmask_b32_e32 v99, v99, v109, vcc
	v_cndmask_b32_e32 v98, v98, v108, vcc
	v_cndmask_b32_e32 v100, v100, v110, vcc
	s_cbranch_scc1 .LBB92_694
.LBB92_695:
	s_waitcnt lgkmcnt(0)
	v_cmp_eq_f64_e32 vcc, 0, v[98:99]
	s_and_saveexec_b64 s[0:1], vcc
	s_xor_b64 s[0:1], exec, s[0:1]
; %bb.696:
	v_cmp_ne_u32_e32 vcc, 0, v106
	v_cndmask_b32_e32 v106, 42, v106, vcc
; %bb.697:
	s_andn2_saveexec_b64 s[0:1], s[0:1]
; %bb.698:
	v_div_scale_f64 v[108:109], s[2:3], v[98:99], v[98:99], 1.0
	v_rcp_f64_e32 v[110:111], v[108:109]
	v_div_scale_f64 v[112:113], vcc, 1.0, v[98:99], 1.0
	v_fma_f64 v[114:115], -v[108:109], v[110:111], 1.0
	v_fmac_f64_e32 v[110:111], v[110:111], v[114:115]
	v_fma_f64 v[114:115], -v[108:109], v[110:111], 1.0
	v_fmac_f64_e32 v[110:111], v[110:111], v[114:115]
	v_mul_f64 v[114:115], v[112:113], v[110:111]
	v_fma_f64 v[108:109], -v[108:109], v[114:115], v[112:113]
	v_div_fmas_f64 v[108:109], v[108:109], v[110:111], v[114:115]
	v_div_fixup_f64 v[98:99], v[108:109], v[98:99], 1.0
; %bb.699:
	s_or_b64 exec, exec, s[0:1]
	v_cmp_ne_u32_e32 vcc, v103, v100
	s_and_saveexec_b64 s[0:1], vcc
	s_xor_b64 s[0:1], exec, s[0:1]
	s_cbranch_execz .LBB92_705
; %bb.700:
	v_cmp_eq_u32_e32 vcc, 41, v103
	s_and_saveexec_b64 s[2:3], vcc
	s_cbranch_execz .LBB92_704
; %bb.701:
	v_cmp_ne_u32_e32 vcc, 41, v100
	s_xor_b64 s[14:15], s[6:7], -1
	s_and_b64 s[16:17], s[14:15], vcc
	s_and_saveexec_b64 s[14:15], s[16:17]
	s_cbranch_execz .LBB92_703
; %bb.702:
	v_ashrrev_i32_e32 v101, 31, v100
	v_lshlrev_b64 v[108:109], 2, v[100:101]
	v_add_co_u32_e32 v108, vcc, v4, v108
	v_addc_co_u32_e32 v109, vcc, v5, v109, vcc
	flat_load_dword v101, v[108:109]
	flat_load_dword v103, v[4:5] offset:164
	s_waitcnt vmcnt(0) lgkmcnt(0)
	flat_store_dword v[4:5], v101 offset:164
	flat_store_dword v[108:109], v103
.LBB92_703:
	s_or_b64 exec, exec, s[14:15]
	v_mov_b32_e32 v101, v100
	v_mov_b32_e32 v103, v100
.LBB92_704:
	s_or_b64 exec, exec, s[2:3]
.LBB92_705:
	s_andn2_saveexec_b64 s[0:1], s[0:1]
	s_cbranch_execz .LBB92_707
; %bb.706:
	v_mov_b32_e32 v108, v10
	v_mov_b32_e32 v109, v11
	;; [unrolled: 1-line block ×4, first 2 shown]
	ds_write2_b64 v102, v[108:109], v[110:111] offset0:42 offset1:43
	v_mov_b32_e32 v108, v6
	v_mov_b32_e32 v109, v7
	;; [unrolled: 1-line block ×5, first 2 shown]
	ds_write2_b64 v102, v[108:109], v[110:111] offset0:44 offset1:45
	ds_write_b64 v102, v[96:97] offset:368
.LBB92_707:
	s_or_b64 exec, exec, s[0:1]
	v_cmp_lt_i32_e32 vcc, 41, v103
	s_waitcnt lgkmcnt(0)
	s_barrier
	s_and_saveexec_b64 s[0:1], vcc
	s_cbranch_execz .LBB92_709
; %bb.708:
	ds_read2_b64 v[108:111], v102 offset0:42 offset1:43
	ds_read2_b64 v[112:115], v102 offset0:44 offset1:45
	v_mul_f64 v[12:13], v[98:99], v[12:13]
	ds_read_b64 v[98:99], v102 offset:368
	s_waitcnt lgkmcnt(0)
	v_fma_f64 v[10:11], -v[12:13], v[108:109], v[10:11]
	v_fma_f64 v[8:9], -v[12:13], v[110:111], v[8:9]
	;; [unrolled: 1-line block ×5, first 2 shown]
.LBB92_709:
	s_or_b64 exec, exec, s[0:1]
	v_lshl_add_u32 v98, v103, 3, v102
	s_barrier
	ds_write_b64 v98, v[10:11]
	s_waitcnt lgkmcnt(0)
	s_barrier
	ds_read_b64 v[98:99], v102 offset:336
	s_cmp_lt_i32 s18, 44
	v_mov_b32_e32 v100, 42
	s_cbranch_scc1 .LBB92_712
; %bb.710:
	v_add_u32_e32 v107, 0x158, v102
	s_mov_b32 s0, 43
	v_mov_b32_e32 v100, 42
.LBB92_711:                             ; =>This Inner Loop Header: Depth=1
	ds_read_b64 v[108:109], v107
	v_mov_b32_e32 v110, s0
	s_add_i32 s0, s0, 1
	v_add_u32_e32 v107, 8, v107
	s_cmp_lg_u32 s18, s0
	s_waitcnt lgkmcnt(0)
	v_cmp_lt_f64_e64 vcc, |v[98:99]|, |v[108:109]|
	v_cndmask_b32_e32 v99, v99, v109, vcc
	v_cndmask_b32_e32 v98, v98, v108, vcc
	;; [unrolled: 1-line block ×3, first 2 shown]
	s_cbranch_scc1 .LBB92_711
.LBB92_712:
	s_waitcnt lgkmcnt(0)
	v_cmp_eq_f64_e32 vcc, 0, v[98:99]
	s_and_saveexec_b64 s[0:1], vcc
	s_xor_b64 s[0:1], exec, s[0:1]
; %bb.713:
	v_cmp_ne_u32_e32 vcc, 0, v106
	v_cndmask_b32_e32 v106, 43, v106, vcc
; %bb.714:
	s_andn2_saveexec_b64 s[0:1], s[0:1]
; %bb.715:
	v_div_scale_f64 v[108:109], s[2:3], v[98:99], v[98:99], 1.0
	v_rcp_f64_e32 v[110:111], v[108:109]
	v_div_scale_f64 v[112:113], vcc, 1.0, v[98:99], 1.0
	v_fma_f64 v[114:115], -v[108:109], v[110:111], 1.0
	v_fmac_f64_e32 v[110:111], v[110:111], v[114:115]
	v_fma_f64 v[114:115], -v[108:109], v[110:111], 1.0
	v_fmac_f64_e32 v[110:111], v[110:111], v[114:115]
	v_mul_f64 v[114:115], v[112:113], v[110:111]
	v_fma_f64 v[108:109], -v[108:109], v[114:115], v[112:113]
	v_div_fmas_f64 v[108:109], v[108:109], v[110:111], v[114:115]
	v_div_fixup_f64 v[98:99], v[108:109], v[98:99], 1.0
; %bb.716:
	s_or_b64 exec, exec, s[0:1]
	v_cmp_ne_u32_e32 vcc, v103, v100
	s_and_saveexec_b64 s[0:1], vcc
	s_xor_b64 s[0:1], exec, s[0:1]
	s_cbranch_execz .LBB92_722
; %bb.717:
	v_cmp_eq_u32_e32 vcc, 42, v103
	s_and_saveexec_b64 s[2:3], vcc
	s_cbranch_execz .LBB92_721
; %bb.718:
	v_cmp_ne_u32_e32 vcc, 42, v100
	s_xor_b64 s[14:15], s[6:7], -1
	s_and_b64 s[16:17], s[14:15], vcc
	s_and_saveexec_b64 s[14:15], s[16:17]
	s_cbranch_execz .LBB92_720
; %bb.719:
	v_ashrrev_i32_e32 v101, 31, v100
	v_lshlrev_b64 v[108:109], 2, v[100:101]
	v_add_co_u32_e32 v108, vcc, v4, v108
	v_addc_co_u32_e32 v109, vcc, v5, v109, vcc
	flat_load_dword v101, v[108:109]
	flat_load_dword v103, v[4:5] offset:168
	s_waitcnt vmcnt(0) lgkmcnt(0)
	flat_store_dword v[4:5], v101 offset:168
	flat_store_dword v[108:109], v103
.LBB92_720:
	s_or_b64 exec, exec, s[14:15]
	v_mov_b32_e32 v101, v100
	v_mov_b32_e32 v103, v100
.LBB92_721:
	s_or_b64 exec, exec, s[2:3]
.LBB92_722:
	s_andn2_saveexec_b64 s[0:1], s[0:1]
	s_cbranch_execz .LBB92_724
; %bb.723:
	v_mov_b32_e32 v103, 42
	ds_write2_b64 v102, v[8:9], v[6:7] offset0:43 offset1:44
	ds_write2_b64 v102, v[0:1], v[96:97] offset0:45 offset1:46
.LBB92_724:
	s_or_b64 exec, exec, s[0:1]
	v_cmp_lt_i32_e32 vcc, 42, v103
	s_waitcnt lgkmcnt(0)
	s_barrier
	s_and_saveexec_b64 s[0:1], vcc
	s_cbranch_execz .LBB92_726
; %bb.725:
	ds_read2_b64 v[108:111], v102 offset0:43 offset1:44
	ds_read2_b64 v[112:115], v102 offset0:45 offset1:46
	v_mul_f64 v[10:11], v[98:99], v[10:11]
	s_waitcnt lgkmcnt(0)
	v_fma_f64 v[8:9], -v[10:11], v[108:109], v[8:9]
	v_fma_f64 v[6:7], -v[10:11], v[110:111], v[6:7]
	;; [unrolled: 1-line block ×4, first 2 shown]
.LBB92_726:
	s_or_b64 exec, exec, s[0:1]
	v_lshl_add_u32 v98, v103, 3, v102
	s_barrier
	ds_write_b64 v98, v[8:9]
	s_waitcnt lgkmcnt(0)
	s_barrier
	ds_read_b64 v[98:99], v102 offset:344
	s_cmp_lt_i32 s18, 45
	v_mov_b32_e32 v100, 43
	s_cbranch_scc1 .LBB92_729
; %bb.727:
	v_add_u32_e32 v107, 0x160, v102
	s_mov_b32 s0, 44
	v_mov_b32_e32 v100, 43
.LBB92_728:                             ; =>This Inner Loop Header: Depth=1
	ds_read_b64 v[108:109], v107
	v_mov_b32_e32 v110, s0
	s_add_i32 s0, s0, 1
	v_add_u32_e32 v107, 8, v107
	s_cmp_lg_u32 s18, s0
	s_waitcnt lgkmcnt(0)
	v_cmp_lt_f64_e64 vcc, |v[98:99]|, |v[108:109]|
	v_cndmask_b32_e32 v99, v99, v109, vcc
	v_cndmask_b32_e32 v98, v98, v108, vcc
	;; [unrolled: 1-line block ×3, first 2 shown]
	s_cbranch_scc1 .LBB92_728
.LBB92_729:
	s_waitcnt lgkmcnt(0)
	v_cmp_eq_f64_e32 vcc, 0, v[98:99]
	s_and_saveexec_b64 s[0:1], vcc
	s_xor_b64 s[0:1], exec, s[0:1]
; %bb.730:
	v_cmp_ne_u32_e32 vcc, 0, v106
	v_cndmask_b32_e32 v106, 44, v106, vcc
; %bb.731:
	s_andn2_saveexec_b64 s[0:1], s[0:1]
; %bb.732:
	v_div_scale_f64 v[108:109], s[2:3], v[98:99], v[98:99], 1.0
	v_rcp_f64_e32 v[110:111], v[108:109]
	v_div_scale_f64 v[112:113], vcc, 1.0, v[98:99], 1.0
	v_fma_f64 v[114:115], -v[108:109], v[110:111], 1.0
	v_fmac_f64_e32 v[110:111], v[110:111], v[114:115]
	v_fma_f64 v[114:115], -v[108:109], v[110:111], 1.0
	v_fmac_f64_e32 v[110:111], v[110:111], v[114:115]
	v_mul_f64 v[114:115], v[112:113], v[110:111]
	v_fma_f64 v[108:109], -v[108:109], v[114:115], v[112:113]
	v_div_fmas_f64 v[108:109], v[108:109], v[110:111], v[114:115]
	v_div_fixup_f64 v[98:99], v[108:109], v[98:99], 1.0
; %bb.733:
	s_or_b64 exec, exec, s[0:1]
	v_cmp_ne_u32_e32 vcc, v103, v100
	s_and_saveexec_b64 s[0:1], vcc
	s_xor_b64 s[0:1], exec, s[0:1]
	s_cbranch_execz .LBB92_739
; %bb.734:
	v_cmp_eq_u32_e32 vcc, 43, v103
	s_and_saveexec_b64 s[2:3], vcc
	s_cbranch_execz .LBB92_738
; %bb.735:
	v_cmp_ne_u32_e32 vcc, 43, v100
	s_xor_b64 s[14:15], s[6:7], -1
	s_and_b64 s[16:17], s[14:15], vcc
	s_and_saveexec_b64 s[14:15], s[16:17]
	s_cbranch_execz .LBB92_737
; %bb.736:
	v_ashrrev_i32_e32 v101, 31, v100
	v_lshlrev_b64 v[108:109], 2, v[100:101]
	v_add_co_u32_e32 v108, vcc, v4, v108
	v_addc_co_u32_e32 v109, vcc, v5, v109, vcc
	flat_load_dword v101, v[108:109]
	flat_load_dword v103, v[4:5] offset:172
	s_waitcnt vmcnt(0) lgkmcnt(0)
	flat_store_dword v[4:5], v101 offset:172
	flat_store_dword v[108:109], v103
.LBB92_737:
	s_or_b64 exec, exec, s[14:15]
	v_mov_b32_e32 v101, v100
	v_mov_b32_e32 v103, v100
.LBB92_738:
	s_or_b64 exec, exec, s[2:3]
.LBB92_739:
	s_andn2_saveexec_b64 s[0:1], s[0:1]
	s_cbranch_execz .LBB92_741
; %bb.740:
	v_mov_b32_e32 v108, v6
	v_mov_b32_e32 v109, v7
	;; [unrolled: 1-line block ×5, first 2 shown]
	ds_write2_b64 v102, v[108:109], v[110:111] offset0:44 offset1:45
	ds_write_b64 v102, v[96:97] offset:368
.LBB92_741:
	s_or_b64 exec, exec, s[0:1]
	v_cmp_lt_i32_e32 vcc, 43, v103
	s_waitcnt lgkmcnt(0)
	s_barrier
	s_and_saveexec_b64 s[0:1], vcc
	s_cbranch_execz .LBB92_743
; %bb.742:
	ds_read2_b64 v[108:111], v102 offset0:44 offset1:45
	ds_read_b64 v[112:113], v102 offset:368
	v_mul_f64 v[8:9], v[98:99], v[8:9]
	s_waitcnt lgkmcnt(0)
	v_fma_f64 v[6:7], -v[8:9], v[108:109], v[6:7]
	v_fma_f64 v[0:1], -v[8:9], v[110:111], v[0:1]
	;; [unrolled: 1-line block ×3, first 2 shown]
.LBB92_743:
	s_or_b64 exec, exec, s[0:1]
	v_lshl_add_u32 v98, v103, 3, v102
	s_barrier
	ds_write_b64 v98, v[6:7]
	s_waitcnt lgkmcnt(0)
	s_barrier
	ds_read_b64 v[98:99], v102 offset:352
	s_cmp_lt_i32 s18, 46
	v_mov_b32_e32 v100, 44
	s_cbranch_scc1 .LBB92_746
; %bb.744:
	v_add_u32_e32 v107, 0x168, v102
	s_mov_b32 s0, 45
	v_mov_b32_e32 v100, 44
.LBB92_745:                             ; =>This Inner Loop Header: Depth=1
	ds_read_b64 v[108:109], v107
	v_mov_b32_e32 v110, s0
	s_add_i32 s0, s0, 1
	v_add_u32_e32 v107, 8, v107
	s_cmp_lg_u32 s18, s0
	s_waitcnt lgkmcnt(0)
	v_cmp_lt_f64_e64 vcc, |v[98:99]|, |v[108:109]|
	v_cndmask_b32_e32 v99, v99, v109, vcc
	v_cndmask_b32_e32 v98, v98, v108, vcc
	;; [unrolled: 1-line block ×3, first 2 shown]
	s_cbranch_scc1 .LBB92_745
.LBB92_746:
	s_waitcnt lgkmcnt(0)
	v_cmp_eq_f64_e32 vcc, 0, v[98:99]
	s_and_saveexec_b64 s[0:1], vcc
	s_xor_b64 s[0:1], exec, s[0:1]
; %bb.747:
	v_cmp_ne_u32_e32 vcc, 0, v106
	v_cndmask_b32_e32 v106, 45, v106, vcc
; %bb.748:
	s_andn2_saveexec_b64 s[0:1], s[0:1]
; %bb.749:
	v_div_scale_f64 v[108:109], s[2:3], v[98:99], v[98:99], 1.0
	v_rcp_f64_e32 v[110:111], v[108:109]
	v_div_scale_f64 v[112:113], vcc, 1.0, v[98:99], 1.0
	v_fma_f64 v[114:115], -v[108:109], v[110:111], 1.0
	v_fmac_f64_e32 v[110:111], v[110:111], v[114:115]
	v_fma_f64 v[114:115], -v[108:109], v[110:111], 1.0
	v_fmac_f64_e32 v[110:111], v[110:111], v[114:115]
	v_mul_f64 v[114:115], v[112:113], v[110:111]
	v_fma_f64 v[108:109], -v[108:109], v[114:115], v[112:113]
	v_div_fmas_f64 v[108:109], v[108:109], v[110:111], v[114:115]
	v_div_fixup_f64 v[98:99], v[108:109], v[98:99], 1.0
; %bb.750:
	s_or_b64 exec, exec, s[0:1]
	v_cmp_ne_u32_e32 vcc, v103, v100
	s_and_saveexec_b64 s[0:1], vcc
	s_xor_b64 s[0:1], exec, s[0:1]
	s_cbranch_execz .LBB92_756
; %bb.751:
	v_cmp_eq_u32_e32 vcc, 44, v103
	s_and_saveexec_b64 s[2:3], vcc
	s_cbranch_execz .LBB92_755
; %bb.752:
	v_cmp_ne_u32_e32 vcc, 44, v100
	s_xor_b64 s[14:15], s[6:7], -1
	s_and_b64 s[16:17], s[14:15], vcc
	s_and_saveexec_b64 s[14:15], s[16:17]
	s_cbranch_execz .LBB92_754
; %bb.753:
	v_ashrrev_i32_e32 v101, 31, v100
	v_lshlrev_b64 v[108:109], 2, v[100:101]
	v_add_co_u32_e32 v108, vcc, v4, v108
	v_addc_co_u32_e32 v109, vcc, v5, v109, vcc
	flat_load_dword v101, v[108:109]
	flat_load_dword v103, v[4:5] offset:176
	s_waitcnt vmcnt(0) lgkmcnt(0)
	flat_store_dword v[4:5], v101 offset:176
	flat_store_dword v[108:109], v103
.LBB92_754:
	s_or_b64 exec, exec, s[14:15]
	v_mov_b32_e32 v101, v100
	v_mov_b32_e32 v103, v100
.LBB92_755:
	s_or_b64 exec, exec, s[2:3]
.LBB92_756:
	s_andn2_saveexec_b64 s[0:1], s[0:1]
	s_cbranch_execz .LBB92_758
; %bb.757:
	v_mov_b32_e32 v103, 44
	ds_write2_b64 v102, v[0:1], v[96:97] offset0:45 offset1:46
.LBB92_758:
	s_or_b64 exec, exec, s[0:1]
	v_cmp_lt_i32_e32 vcc, 44, v103
	s_waitcnt lgkmcnt(0)
	s_barrier
	s_and_saveexec_b64 s[0:1], vcc
	s_cbranch_execz .LBB92_760
; %bb.759:
	ds_read2_b64 v[108:111], v102 offset0:45 offset1:46
	v_mul_f64 v[6:7], v[98:99], v[6:7]
	s_waitcnt lgkmcnt(0)
	v_fma_f64 v[0:1], -v[6:7], v[108:109], v[0:1]
	v_fma_f64 v[96:97], -v[6:7], v[110:111], v[96:97]
.LBB92_760:
	s_or_b64 exec, exec, s[0:1]
	v_lshl_add_u32 v98, v103, 3, v102
	s_barrier
	ds_write_b64 v98, v[0:1]
	s_waitcnt lgkmcnt(0)
	s_barrier
	ds_read_b64 v[98:99], v102 offset:360
	s_cmp_lt_i32 s18, 47
	v_mov_b32_e32 v100, 45
	s_cbranch_scc1 .LBB92_763
; %bb.761:
	v_add_u32_e32 v107, 0x170, v102
	s_mov_b32 s0, 46
	v_mov_b32_e32 v100, 45
.LBB92_762:                             ; =>This Inner Loop Header: Depth=1
	ds_read_b64 v[108:109], v107
	v_mov_b32_e32 v110, s0
	s_add_i32 s0, s0, 1
	v_add_u32_e32 v107, 8, v107
	s_cmp_lg_u32 s18, s0
	s_waitcnt lgkmcnt(0)
	v_cmp_lt_f64_e64 vcc, |v[98:99]|, |v[108:109]|
	v_cndmask_b32_e32 v99, v99, v109, vcc
	v_cndmask_b32_e32 v98, v98, v108, vcc
	;; [unrolled: 1-line block ×3, first 2 shown]
	s_cbranch_scc1 .LBB92_762
.LBB92_763:
	s_waitcnt lgkmcnt(0)
	v_cmp_eq_f64_e32 vcc, 0, v[98:99]
	s_and_saveexec_b64 s[0:1], vcc
	s_xor_b64 s[0:1], exec, s[0:1]
; %bb.764:
	v_cmp_ne_u32_e32 vcc, 0, v106
	v_cndmask_b32_e32 v106, 46, v106, vcc
; %bb.765:
	s_andn2_saveexec_b64 s[0:1], s[0:1]
; %bb.766:
	v_div_scale_f64 v[108:109], s[2:3], v[98:99], v[98:99], 1.0
	v_rcp_f64_e32 v[110:111], v[108:109]
	v_div_scale_f64 v[112:113], vcc, 1.0, v[98:99], 1.0
	v_fma_f64 v[114:115], -v[108:109], v[110:111], 1.0
	v_fmac_f64_e32 v[110:111], v[110:111], v[114:115]
	v_fma_f64 v[114:115], -v[108:109], v[110:111], 1.0
	v_fmac_f64_e32 v[110:111], v[110:111], v[114:115]
	v_mul_f64 v[114:115], v[112:113], v[110:111]
	v_fma_f64 v[108:109], -v[108:109], v[114:115], v[112:113]
	v_div_fmas_f64 v[108:109], v[108:109], v[110:111], v[114:115]
	v_div_fixup_f64 v[98:99], v[108:109], v[98:99], 1.0
; %bb.767:
	s_or_b64 exec, exec, s[0:1]
	v_cmp_ne_u32_e32 vcc, v103, v100
	s_and_saveexec_b64 s[0:1], vcc
	s_xor_b64 s[0:1], exec, s[0:1]
	s_cbranch_execz .LBB92_773
; %bb.768:
	v_cmp_eq_u32_e32 vcc, 45, v103
	s_and_saveexec_b64 s[2:3], vcc
	s_cbranch_execz .LBB92_772
; %bb.769:
	v_cmp_ne_u32_e32 vcc, 45, v100
	s_xor_b64 s[14:15], s[6:7], -1
	s_and_b64 s[16:17], s[14:15], vcc
	s_and_saveexec_b64 s[14:15], s[16:17]
	s_cbranch_execz .LBB92_771
; %bb.770:
	v_ashrrev_i32_e32 v101, 31, v100
	v_lshlrev_b64 v[108:109], 2, v[100:101]
	v_add_co_u32_e32 v108, vcc, v4, v108
	v_addc_co_u32_e32 v109, vcc, v5, v109, vcc
	flat_load_dword v101, v[108:109]
	flat_load_dword v103, v[4:5] offset:180
	s_waitcnt vmcnt(0) lgkmcnt(0)
	flat_store_dword v[4:5], v101 offset:180
	flat_store_dword v[108:109], v103
.LBB92_771:
	s_or_b64 exec, exec, s[14:15]
	v_mov_b32_e32 v101, v100
	v_mov_b32_e32 v103, v100
.LBB92_772:
	s_or_b64 exec, exec, s[2:3]
.LBB92_773:
	s_andn2_saveexec_b64 s[0:1], s[0:1]
	s_cbranch_execz .LBB92_775
; %bb.774:
	v_mov_b32_e32 v103, 45
	ds_write_b64 v102, v[96:97] offset:368
.LBB92_775:
	s_or_b64 exec, exec, s[0:1]
	v_cmp_lt_i32_e32 vcc, 45, v103
	s_waitcnt lgkmcnt(0)
	s_barrier
	s_and_saveexec_b64 s[0:1], vcc
	s_cbranch_execz .LBB92_777
; %bb.776:
	ds_read_b64 v[108:109], v102 offset:368
	v_mul_f64 v[0:1], v[98:99], v[0:1]
	s_waitcnt lgkmcnt(0)
	v_fma_f64 v[96:97], -v[0:1], v[108:109], v[96:97]
.LBB92_777:
	s_or_b64 exec, exec, s[0:1]
	v_lshl_add_u32 v98, v103, 3, v102
	s_barrier
	ds_write_b64 v98, v[96:97]
	s_waitcnt lgkmcnt(0)
	s_barrier
	ds_read_b64 v[98:99], v102 offset:368
	s_cmp_lt_i32 s18, 48
	v_mov_b32_e32 v100, 46
	s_cbranch_scc1 .LBB92_780
; %bb.778:
	v_add_u32_e32 v102, 0x178, v102
	s_mov_b32 s0, 47
	v_mov_b32_e32 v100, 46
.LBB92_779:                             ; =>This Inner Loop Header: Depth=1
	ds_read_b64 v[108:109], v102
	v_mov_b32_e32 v107, s0
	s_add_i32 s0, s0, 1
	v_add_u32_e32 v102, 8, v102
	s_cmp_lg_u32 s18, s0
	s_waitcnt lgkmcnt(0)
	v_cmp_lt_f64_e64 vcc, |v[98:99]|, |v[108:109]|
	v_cndmask_b32_e32 v99, v99, v109, vcc
	v_cndmask_b32_e32 v98, v98, v108, vcc
	;; [unrolled: 1-line block ×3, first 2 shown]
	s_cbranch_scc1 .LBB92_779
.LBB92_780:
	s_waitcnt lgkmcnt(0)
	v_cmp_eq_f64_e32 vcc, 0, v[98:99]
	s_and_saveexec_b64 s[0:1], vcc
	s_xor_b64 s[0:1], exec, s[0:1]
; %bb.781:
	v_cmp_ne_u32_e32 vcc, 0, v106
	v_cndmask_b32_e32 v106, 47, v106, vcc
; %bb.782:
	s_andn2_saveexec_b64 s[0:1], s[0:1]
; %bb.783:
	v_div_scale_f64 v[108:109], s[2:3], v[98:99], v[98:99], 1.0
	v_rcp_f64_e32 v[110:111], v[108:109]
	v_div_scale_f64 v[112:113], vcc, 1.0, v[98:99], 1.0
	v_fma_f64 v[114:115], -v[108:109], v[110:111], 1.0
	v_fmac_f64_e32 v[110:111], v[110:111], v[114:115]
	v_fma_f64 v[114:115], -v[108:109], v[110:111], 1.0
	v_fmac_f64_e32 v[110:111], v[110:111], v[114:115]
	v_mul_f64 v[114:115], v[112:113], v[110:111]
	v_fma_f64 v[108:109], -v[108:109], v[114:115], v[112:113]
	v_div_fmas_f64 v[108:109], v[108:109], v[110:111], v[114:115]
	v_div_fixup_f64 v[98:99], v[108:109], v[98:99], 1.0
; %bb.784:
	s_or_b64 exec, exec, s[0:1]
	v_cmp_ne_u32_e32 vcc, v103, v100
	v_mov_b32_e32 v102, 46
	s_and_saveexec_b64 s[0:1], vcc
	s_cbranch_execz .LBB92_790
; %bb.785:
	v_cmp_eq_u32_e32 vcc, 46, v103
	s_and_saveexec_b64 s[2:3], vcc
	s_cbranch_execz .LBB92_789
; %bb.786:
	v_cmp_ne_u32_e32 vcc, 46, v100
	s_xor_b64 s[6:7], s[6:7], -1
	s_and_b64 s[14:15], s[6:7], vcc
	s_and_saveexec_b64 s[6:7], s[14:15]
	s_cbranch_execz .LBB92_788
; %bb.787:
	v_ashrrev_i32_e32 v101, 31, v100
	v_lshlrev_b64 v[102:103], 2, v[100:101]
	v_add_co_u32_e32 v102, vcc, v4, v102
	v_addc_co_u32_e32 v103, vcc, v5, v103, vcc
	flat_load_dword v101, v[102:103]
	flat_load_dword v107, v[4:5] offset:184
	s_waitcnt vmcnt(0) lgkmcnt(0)
	flat_store_dword v[4:5], v101 offset:184
	flat_store_dword v[102:103], v107
.LBB92_788:
	s_or_b64 exec, exec, s[6:7]
	v_mov_b32_e32 v101, v100
	v_mov_b32_e32 v103, v100
.LBB92_789:
	s_or_b64 exec, exec, s[2:3]
	v_mov_b32_e32 v102, v103
.LBB92_790:
	s_or_b64 exec, exec, s[0:1]
	s_load_dwordx8 s[0:7], s[4:5], 0x28
	v_cmp_gt_i32_e32 vcc, 47, v102
	v_ashrrev_i32_e32 v103, 31, v102
	s_waitcnt lgkmcnt(0)
	s_barrier
	s_barrier
	s_and_saveexec_b64 s[14:15], vcc
	s_cbranch_execz .LBB92_792
; %bb.791:
	v_mul_lo_u32 v100, v3, s4
	v_mul_lo_u32 v107, v2, s5
	v_mad_u64_u32 v[4:5], s[4:5], v2, s4, 0
	s_lshl_b64 s[2:3], s[2:3], 2
	v_add3_u32 v5, v5, v107, v100
	s_add_u32 s0, s2, s0
	v_lshlrev_b64 v[4:5], 2, v[4:5]
	s_addc_u32 s1, s3, s1
	v_mov_b32_e32 v100, s1
	v_add_co_u32_e32 v107, vcc, s0, v4
	v_addc_co_u32_e32 v100, vcc, v100, v5, vcc
	v_lshlrev_b64 v[4:5], 2, v[102:103]
	v_add_co_u32_e32 v4, vcc, v107, v4
	v_addc_co_u32_e32 v5, vcc, v100, v5, vcc
	v_add3_u32 v100, v101, s13, 1
	global_store_dword v[4:5], v100, off
.LBB92_792:
	s_or_b64 exec, exec, s[14:15]
	v_cmp_eq_u32_e32 vcc, 0, v102
	s_and_saveexec_b64 s[2:3], vcc
	s_cbranch_execz .LBB92_795
; %bb.793:
	v_lshlrev_b64 v[2:3], 2, v[2:3]
	v_mov_b32_e32 v4, s7
	v_add_co_u32_e32 v2, vcc, s6, v2
	v_addc_co_u32_e32 v3, vcc, v4, v3, vcc
	global_load_dword v4, v[2:3], off
	v_cmp_lt_i32_e64 s[0:1], 0, v106
	s_waitcnt vmcnt(0)
	v_cmp_eq_u32_e32 vcc, 0, v4
	s_and_b64 s[0:1], vcc, s[0:1]
	s_and_b64 exec, exec, s[0:1]
	s_cbranch_execz .LBB92_795
; %bb.794:
	v_add_u32_e32 v4, s13, v106
	global_store_dword v[2:3], v4, off
.LBB92_795:
	s_or_b64 exec, exec, s[2:3]
	v_mul_f64 v[2:3], v[98:99], v[96:97]
	v_cmp_lt_i32_e32 vcc, 46, v102
	v_lshlrev_b64 v[4:5], 3, v[102:103]
	v_cndmask_b32_e32 v3, v97, v3, vcc
	v_cndmask_b32_e32 v2, v96, v2, vcc
	v_add_co_u32_e32 v4, vcc, v104, v4
	v_addc_co_u32_e32 v5, vcc, v105, v5, vcc
	global_store_dwordx2 v[4:5], v[92:93], off
	v_mov_b32_e32 v92, s11
	v_add_co_u32_e32 v4, vcc, s10, v4
	v_addc_co_u32_e32 v5, vcc, v5, v92, vcc
	global_store_dwordx2 v[4:5], v[94:95], off
	v_add_u32_e32 v4, s12, v102
	v_ashrrev_i32_e32 v5, 31, v4
	v_lshlrev_b64 v[92:93], 3, v[4:5]
	v_add_co_u32_e32 v92, vcc, v104, v92
	v_add_u32_e32 v4, s8, v4
	v_addc_co_u32_e32 v93, vcc, v105, v93, vcc
	v_ashrrev_i32_e32 v5, 31, v4
	global_store_dwordx2 v[92:93], v[90:91], off
	v_lshlrev_b64 v[90:91], 3, v[4:5]
	v_add_co_u32_e32 v90, vcc, v104, v90
	v_add_u32_e32 v4, s8, v4
	v_addc_co_u32_e32 v91, vcc, v105, v91, vcc
	v_ashrrev_i32_e32 v5, 31, v4
	global_store_dwordx2 v[90:91], v[88:89], off
	;; [unrolled: 6-line block ×43, first 2 shown]
	v_lshlrev_b64 v[6:7], 3, v[4:5]
	v_add_co_u32_e32 v6, vcc, v104, v6
	v_addc_co_u32_e32 v7, vcc, v105, v7, vcc
	global_store_dwordx2 v[6:7], v[0:1], off
	v_add_u32_e32 v0, s8, v4
	v_ashrrev_i32_e32 v1, 31, v0
	v_lshlrev_b64 v[0:1], 3, v[0:1]
	v_add_co_u32_e32 v0, vcc, v104, v0
	v_addc_co_u32_e32 v1, vcc, v105, v1, vcc
	global_store_dwordx2 v[0:1], v[2:3], off
.LBB92_796:
	s_endpgm
	.section	.rodata,"a",@progbits
	.p2align	6, 0x0
	.amdhsa_kernel _ZN9rocsolver6v33100L18getf2_small_kernelILi47EdiiPKPdEEvT1_T3_lS5_lPS5_llPT2_S5_S5_S7_l
		.amdhsa_group_segment_fixed_size 0
		.amdhsa_private_segment_fixed_size 0
		.amdhsa_kernarg_size 352
		.amdhsa_user_sgpr_count 6
		.amdhsa_user_sgpr_private_segment_buffer 1
		.amdhsa_user_sgpr_dispatch_ptr 0
		.amdhsa_user_sgpr_queue_ptr 0
		.amdhsa_user_sgpr_kernarg_segment_ptr 1
		.amdhsa_user_sgpr_dispatch_id 0
		.amdhsa_user_sgpr_flat_scratch_init 0
		.amdhsa_user_sgpr_kernarg_preload_length 0
		.amdhsa_user_sgpr_kernarg_preload_offset 0
		.amdhsa_user_sgpr_private_segment_size 0
		.amdhsa_uses_dynamic_stack 0
		.amdhsa_system_sgpr_private_segment_wavefront_offset 0
		.amdhsa_system_sgpr_workgroup_id_x 1
		.amdhsa_system_sgpr_workgroup_id_y 1
		.amdhsa_system_sgpr_workgroup_id_z 0
		.amdhsa_system_sgpr_workgroup_info 0
		.amdhsa_system_vgpr_workitem_id 1
		.amdhsa_next_free_vgpr 150
		.amdhsa_next_free_sgpr 22
		.amdhsa_accum_offset 152
		.amdhsa_reserve_vcc 1
		.amdhsa_reserve_flat_scratch 0
		.amdhsa_float_round_mode_32 0
		.amdhsa_float_round_mode_16_64 0
		.amdhsa_float_denorm_mode_32 3
		.amdhsa_float_denorm_mode_16_64 3
		.amdhsa_dx10_clamp 1
		.amdhsa_ieee_mode 1
		.amdhsa_fp16_overflow 0
		.amdhsa_tg_split 0
		.amdhsa_exception_fp_ieee_invalid_op 0
		.amdhsa_exception_fp_denorm_src 0
		.amdhsa_exception_fp_ieee_div_zero 0
		.amdhsa_exception_fp_ieee_overflow 0
		.amdhsa_exception_fp_ieee_underflow 0
		.amdhsa_exception_fp_ieee_inexact 0
		.amdhsa_exception_int_div_zero 0
	.end_amdhsa_kernel
	.section	.text._ZN9rocsolver6v33100L18getf2_small_kernelILi47EdiiPKPdEEvT1_T3_lS5_lPS5_llPT2_S5_S5_S7_l,"axG",@progbits,_ZN9rocsolver6v33100L18getf2_small_kernelILi47EdiiPKPdEEvT1_T3_lS5_lPS5_llPT2_S5_S5_S7_l,comdat
.Lfunc_end92:
	.size	_ZN9rocsolver6v33100L18getf2_small_kernelILi47EdiiPKPdEEvT1_T3_lS5_lPS5_llPT2_S5_S5_S7_l, .Lfunc_end92-_ZN9rocsolver6v33100L18getf2_small_kernelILi47EdiiPKPdEEvT1_T3_lS5_lPS5_llPT2_S5_S5_S7_l
                                        ; -- End function
	.section	.AMDGPU.csdata,"",@progbits
; Kernel info:
; codeLenInByte = 44236
; NumSgprs: 26
; NumVgprs: 150
; NumAgprs: 0
; TotalNumVgprs: 150
; ScratchSize: 0
; MemoryBound: 0
; FloatMode: 240
; IeeeMode: 1
; LDSByteSize: 0 bytes/workgroup (compile time only)
; SGPRBlocks: 3
; VGPRBlocks: 18
; NumSGPRsForWavesPerEU: 26
; NumVGPRsForWavesPerEU: 150
; AccumOffset: 152
; Occupancy: 3
; WaveLimiterHint : 1
; COMPUTE_PGM_RSRC2:SCRATCH_EN: 0
; COMPUTE_PGM_RSRC2:USER_SGPR: 6
; COMPUTE_PGM_RSRC2:TRAP_HANDLER: 0
; COMPUTE_PGM_RSRC2:TGID_X_EN: 1
; COMPUTE_PGM_RSRC2:TGID_Y_EN: 1
; COMPUTE_PGM_RSRC2:TGID_Z_EN: 0
; COMPUTE_PGM_RSRC2:TIDIG_COMP_CNT: 1
; COMPUTE_PGM_RSRC3_GFX90A:ACCUM_OFFSET: 37
; COMPUTE_PGM_RSRC3_GFX90A:TG_SPLIT: 0
	.section	.text._ZN9rocsolver6v33100L23getf2_npvt_small_kernelILi47EdiiPKPdEEvT1_T3_lS5_lPT2_S5_S5_,"axG",@progbits,_ZN9rocsolver6v33100L23getf2_npvt_small_kernelILi47EdiiPKPdEEvT1_T3_lS5_lPT2_S5_S5_,comdat
	.globl	_ZN9rocsolver6v33100L23getf2_npvt_small_kernelILi47EdiiPKPdEEvT1_T3_lS5_lPT2_S5_S5_ ; -- Begin function _ZN9rocsolver6v33100L23getf2_npvt_small_kernelILi47EdiiPKPdEEvT1_T3_lS5_lPT2_S5_S5_
	.p2align	8
	.type	_ZN9rocsolver6v33100L23getf2_npvt_small_kernelILi47EdiiPKPdEEvT1_T3_lS5_lPT2_S5_S5_,@function
_ZN9rocsolver6v33100L23getf2_npvt_small_kernelILi47EdiiPKPdEEvT1_T3_lS5_lPT2_S5_S5_: ; @_ZN9rocsolver6v33100L23getf2_npvt_small_kernelILi47EdiiPKPdEEvT1_T3_lS5_lPT2_S5_S5_
; %bb.0:
	s_mov_b64 s[18:19], s[2:3]
	s_mov_b64 s[16:17], s[0:1]
	s_add_u32 s16, s16, s8
	s_load_dword s0, s[4:5], 0x44
	s_load_dwordx2 s[8:9], s[4:5], 0x30
	s_addc_u32 s17, s17, 0
	v_bfe_u32 v2, v0, 10, 10
	s_waitcnt lgkmcnt(0)
	s_lshr_b32 s6, s0, 16
	s_mul_i32 s7, s7, s6
	v_add_u32_e32 v224, s7, v2
	v_cmp_gt_i32_e32 vcc, s8, v224
	s_and_saveexec_b64 s[0:1], vcc
	s_cbranch_execz .LBB93_238
; %bb.1:
	s_load_dwordx4 s[12:15], s[4:5], 0x8
	s_load_dword s0, s[4:5], 0x18
	v_ashrrev_i32_e32 v225, 31, v224
	v_lshlrev_b64 v[4:5], 3, v[224:225]
	v_and_b32_e32 v218, 0x3ff, v0
	s_waitcnt lgkmcnt(0)
	v_mov_b32_e32 v1, s13
	v_add_co_u32_e32 v4, vcc, s12, v4
	v_addc_co_u32_e32 v5, vcc, v1, v5, vcc
	global_load_dwordx2 v[4:5], v[4:5], off
	s_add_i32 s1, s0, s0
	s_lshl_b64 s[2:3], s[14:15], 3
	v_add_u32_e32 v0, s1, v218
	v_mov_b32_e32 v3, s3
	v_ashrrev_i32_e32 v1, 31, v0
	v_add_u32_e32 v6, s0, v0
	v_lshlrev_b64 v[0:1], 3, v[0:1]
	v_ashrrev_i32_e32 v7, 31, v6
	v_add_u32_e32 v8, s0, v6
	v_lshlrev_b64 v[6:7], 3, v[6:7]
	;; [unrolled: 3-line block ×10, first 2 shown]
	v_ashrrev_i32_e32 v25, 31, v24
	v_add_u32_e32 v26, s0, v24
	v_ashrrev_i32_e32 v27, 31, v26
	v_add_u32_e32 v28, s0, v26
	;; [unrolled: 2-line block ×22, first 2 shown]
	v_ashrrev_i32_e32 v69, 31, v68
	s_waitcnt vmcnt(0)
	v_add_co_u32_e32 v92, vcc, s2, v4
	v_addc_co_u32_e32 v3, vcc, v5, v3, vcc
	v_add_co_u32_e32 v0, vcc, v92, v0
	v_addc_co_u32_e32 v1, vcc, v3, v1, vcc
	;; [unrolled: 2-line block ×11, first 2 shown]
	v_lshlrev_b64 v[22:23], 3, v[24:25]
	v_add_co_u32_e32 v22, vcc, v92, v22
	v_addc_co_u32_e32 v23, vcc, v3, v23, vcc
	v_lshlrev_b64 v[24:25], 3, v[26:27]
	v_add_co_u32_e32 v24, vcc, v92, v24
	v_addc_co_u32_e32 v25, vcc, v3, v25, vcc
	;; [unrolled: 3-line block ×22, first 2 shown]
	v_lshlrev_b64 v[66:67], 3, v[68:69]
	v_add_u32_e32 v70, s0, v68
	v_add_co_u32_e32 v66, vcc, v92, v66
	v_ashrrev_i32_e32 v71, 31, v70
	v_addc_co_u32_e32 v67, vcc, v3, v67, vcc
	v_lshlrev_b64 v[68:69], 3, v[70:71]
	v_add_u32_e32 v72, s0, v70
	v_add_co_u32_e32 v68, vcc, v92, v68
	v_ashrrev_i32_e32 v73, 31, v72
	v_addc_co_u32_e32 v69, vcc, v3, v69, vcc
	;; [unrolled: 5-line block ×12, first 2 shown]
	v_lshlrev_b64 v[90:91], 3, v[90:91]
	v_add_co_u32_e32 v90, vcc, v92, v90
	v_addc_co_u32_e32 v91, vcc, v3, v91, vcc
	v_lshlrev_b32_e32 v93, 3, v218
	v_add_co_u32_e32 v92, vcc, v92, v93
	s_ashr_i32 s1, s0, 31
	v_addc_co_u32_e32 v93, vcc, 0, v3, vcc
	s_lshl_b64 s[0:1], s[0:1], 3
	v_mov_b32_e32 v3, s1
	v_add_co_u32_e32 v94, vcc, s0, v92
	v_addc_co_u32_e32 v95, vcc, v93, v3, vcc
	global_load_dwordx2 v[96:97], v[92:93], off
	global_load_dwordx2 v[142:143], v[94:95], off
	s_nop 0
	buffer_store_dword v0, off, s[16:19], 0 ; 4-byte Folded Spill
	s_nop 0
	buffer_store_dword v1, off, s[16:19], 0 offset:4 ; 4-byte Folded Spill
	global_load_dwordx2 v[186:187], v[0:1], off
	global_load_dwordx2 v[140:141], v[4:5], off
	;; [unrolled: 1-line block ×10, first 2 shown]
	s_nop 0
	buffer_store_dword v22, off, s[16:19], 0 offset:8 ; 4-byte Folded Spill
	s_nop 0
	buffer_store_dword v23, off, s[16:19], 0 offset:12 ; 4-byte Folded Spill
	s_mulk_i32 s6, 0x178
	s_movk_i32 s0, 0x178
	s_add_i32 s1, s6, 0
	v_mad_u32_u24 v217, v2, s0, 0
	v_lshl_add_u32 v216, v2, 3, s1
	v_cmp_ne_u32_e64 s[2:3], 0, v218
	v_cmp_eq_u32_e64 s[0:1], 0, v218
	global_load_dwordx2 v[176:177], v[22:23], off
	s_nop 0
	buffer_store_dword v24, off, s[16:19], 0 offset:16 ; 4-byte Folded Spill
	s_nop 0
	buffer_store_dword v25, off, s[16:19], 0 offset:20 ; 4-byte Folded Spill
	global_load_dwordx2 v[130:131], v[24:25], off
	s_nop 0
	buffer_store_dword v26, off, s[16:19], 0 offset:24 ; 4-byte Folded Spill
	s_nop 0
	buffer_store_dword v27, off, s[16:19], 0 offset:28 ; 4-byte Folded Spill
	;; [unrolled: 5-line block ×17, first 2 shown]
	global_load_dwordx2 v[114:115], v[56:57], off
	global_load_dwordx2 v[158:159], v[58:59], off
	;; [unrolled: 1-line block ×18, first 2 shown]
	s_and_saveexec_b64 s[6:7], s[0:1]
	s_cbranch_execz .LBB93_4
; %bb.2:
	s_waitcnt vmcnt(62)
	ds_write_b64 v216, v[96:97]
	ds_write2_b64 v217, v[142:143], v[186:187] offset0:1 offset1:2
	ds_write2_b64 v217, v[140:141], v[184:185] offset0:3 offset1:4
	;; [unrolled: 1-line block ×7, first 2 shown]
	s_waitcnt vmcnt(56)
	ds_write2_b64 v217, v[128:129], v[172:173] offset0:15 offset1:16
	s_waitcnt vmcnt(50)
	ds_write2_b64 v217, v[126:127], v[170:171] offset0:17 offset1:18
	;; [unrolled: 2-line block ×16, first 2 shown]
	ds_read_b64 v[190:191], v216
	s_waitcnt lgkmcnt(0)
	v_cmp_neq_f64_e32 vcc, 0, v[190:191]
	s_and_b64 exec, exec, vcc
	s_cbranch_execz .LBB93_4
; %bb.3:
	v_div_scale_f64 v[2:3], s[10:11], v[190:191], v[190:191], 1.0
	v_rcp_f64_e32 v[192:193], v[2:3]
	v_div_scale_f64 v[194:195], vcc, 1.0, v[190:191], 1.0
	v_fma_f64 v[196:197], -v[2:3], v[192:193], 1.0
	v_fmac_f64_e32 v[192:193], v[192:193], v[196:197]
	v_fma_f64 v[196:197], -v[2:3], v[192:193], 1.0
	v_fmac_f64_e32 v[192:193], v[192:193], v[196:197]
	v_mul_f64 v[196:197], v[194:195], v[192:193]
	v_fma_f64 v[2:3], -v[2:3], v[196:197], v[194:195]
	v_div_fmas_f64 v[2:3], v[2:3], v[192:193], v[196:197]
	v_div_fixup_f64 v[2:3], v[2:3], v[190:191], 1.0
	ds_write_b64 v216, v[2:3]
.LBB93_4:
	s_or_b64 exec, exec, s[6:7]
	s_waitcnt lgkmcnt(0)
	s_barrier
	ds_read_b64 v[226:227], v216
	s_and_saveexec_b64 s[6:7], s[2:3]
	s_cbranch_execz .LBB93_6
; %bb.5:
	ds_read2_b64 v[190:193], v217 offset0:1 offset1:2
	ds_read2_b64 v[194:197], v217 offset0:3 offset1:4
	s_waitcnt lgkmcnt(2)
	v_mul_f64 v[96:97], v[226:227], v[96:97]
	ds_read2_b64 v[198:201], v217 offset0:5 offset1:6
	s_waitcnt lgkmcnt(2)
	v_fma_f64 v[142:143], -v[96:97], v[190:191], v[142:143]
	v_fma_f64 v[186:187], -v[96:97], v[192:193], v[186:187]
	ds_read2_b64 v[190:193], v217 offset0:7 offset1:8
	s_waitcnt lgkmcnt(2)
	v_fma_f64 v[140:141], -v[96:97], v[194:195], v[140:141]
	v_fma_f64 v[184:185], -v[96:97], v[196:197], v[184:185]
	;; [unrolled: 4-line block ×4, first 2 shown]
	s_waitcnt lgkmcnt(1)
	v_fma_f64 v[134:135], -v[96:97], v[194:195], v[134:135]
	ds_read2_b64 v[190:193], v217 offset0:13 offset1:14
	v_fma_f64 v[178:179], -v[96:97], v[196:197], v[178:179]
	ds_read2_b64 v[194:197], v217 offset0:15 offset1:16
	s_waitcnt lgkmcnt(2)
	v_fma_f64 v[132:133], -v[96:97], v[198:199], v[132:133]
	v_fma_f64 v[176:177], -v[96:97], v[200:201], v[176:177]
	s_waitcnt lgkmcnt(1)
	v_fma_f64 v[130:131], -v[96:97], v[190:191], v[130:131]
	ds_read2_b64 v[198:201], v217 offset0:17 offset1:18
	s_waitcnt vmcnt(62)
	v_fma_f64 v[174:175], -v[96:97], v[192:193], v[174:175]
	ds_read2_b64 v[190:193], v217 offset0:19 offset1:20
	s_waitcnt vmcnt(59) lgkmcnt(2)
	v_fma_f64 v[128:129], -v[96:97], v[194:195], v[128:129]
	s_waitcnt vmcnt(56)
	v_fma_f64 v[172:173], -v[96:97], v[196:197], v[172:173]
	ds_read2_b64 v[194:197], v217 offset0:21 offset1:22
	s_waitcnt vmcnt(53) lgkmcnt(2)
	v_fma_f64 v[126:127], -v[96:97], v[198:199], v[126:127]
	;; [unrolled: 5-line block ×3, first 2 shown]
	s_waitcnt vmcnt(44)
	v_fma_f64 v[168:169], -v[96:97], v[192:193], v[168:169]
	s_waitcnt vmcnt(41) lgkmcnt(1)
	v_fma_f64 v[122:123], -v[96:97], v[194:195], v[122:123]
	ds_read2_b64 v[190:193], v217 offset0:25 offset1:26
	s_waitcnt vmcnt(38)
	v_fma_f64 v[166:167], -v[96:97], v[196:197], v[166:167]
	ds_read2_b64 v[194:197], v217 offset0:27 offset1:28
	s_waitcnt vmcnt(35) lgkmcnt(2)
	v_fma_f64 v[120:121], -v[96:97], v[198:199], v[120:121]
	s_waitcnt vmcnt(32)
	v_fma_f64 v[164:165], -v[96:97], v[200:201], v[164:165]
	s_waitcnt vmcnt(29) lgkmcnt(1)
	v_fma_f64 v[118:119], -v[96:97], v[190:191], v[118:119]
	ds_read2_b64 v[198:201], v217 offset0:29 offset1:30
	s_waitcnt vmcnt(26)
	v_fma_f64 v[162:163], -v[96:97], v[192:193], v[162:163]
	ds_read2_b64 v[190:193], v217 offset0:31 offset1:32
	s_waitcnt vmcnt(23) lgkmcnt(2)
	v_fma_f64 v[116:117], -v[96:97], v[194:195], v[116:117]
	s_waitcnt vmcnt(20)
	v_fma_f64 v[160:161], -v[96:97], v[196:197], v[160:161]
	ds_read2_b64 v[194:197], v217 offset0:33 offset1:34
	s_waitcnt vmcnt(17) lgkmcnt(2)
	v_fma_f64 v[114:115], -v[96:97], v[198:199], v[114:115]
	;; [unrolled: 5-line block ×3, first 2 shown]
	s_waitcnt vmcnt(14)
	v_fma_f64 v[156:157], -v[96:97], v[192:193], v[156:157]
	s_waitcnt vmcnt(13) lgkmcnt(1)
	v_fma_f64 v[110:111], -v[96:97], v[194:195], v[110:111]
	ds_read2_b64 v[190:193], v217 offset0:37 offset1:38
	s_waitcnt vmcnt(12)
	v_fma_f64 v[154:155], -v[96:97], v[196:197], v[154:155]
	ds_read2_b64 v[194:197], v217 offset0:39 offset1:40
	s_waitcnt vmcnt(11) lgkmcnt(2)
	v_fma_f64 v[108:109], -v[96:97], v[198:199], v[108:109]
	s_waitcnt vmcnt(10)
	v_fma_f64 v[152:153], -v[96:97], v[200:201], v[152:153]
	s_waitcnt vmcnt(9) lgkmcnt(1)
	v_fma_f64 v[106:107], -v[96:97], v[190:191], v[106:107]
	s_waitcnt vmcnt(8)
	v_fma_f64 v[150:151], -v[96:97], v[192:193], v[150:151]
	ds_read2_b64 v[190:193], v217 offset0:41 offset1:42
	ds_read2_b64 v[198:201], v217 offset0:43 offset1:44
	s_waitcnt vmcnt(7) lgkmcnt(2)
	v_fma_f64 v[104:105], -v[96:97], v[194:195], v[104:105]
	s_waitcnt vmcnt(6)
	v_fma_f64 v[148:149], -v[96:97], v[196:197], v[148:149]
	ds_read2_b64 v[194:197], v217 offset0:45 offset1:46
	s_waitcnt vmcnt(5) lgkmcnt(2)
	v_fma_f64 v[102:103], -v[96:97], v[190:191], v[102:103]
	s_waitcnt vmcnt(4)
	v_fma_f64 v[146:147], -v[96:97], v[192:193], v[146:147]
	s_waitcnt vmcnt(3) lgkmcnt(1)
	v_fma_f64 v[100:101], -v[96:97], v[198:199], v[100:101]
	s_waitcnt vmcnt(2)
	v_fma_f64 v[144:145], -v[96:97], v[200:201], v[144:145]
	;; [unrolled: 4-line block ×3, first 2 shown]
.LBB93_6:
	s_or_b64 exec, exec, s[6:7]
	v_cmp_eq_u32_e32 vcc, 1, v218
	s_waitcnt lgkmcnt(0)
	s_barrier
	s_and_saveexec_b64 s[2:3], vcc
	s_cbranch_execz .LBB93_9
; %bb.7:
	v_mov_b32_e32 v2, v186
	v_mov_b32_e32 v3, v187
	;; [unrolled: 1-line block ×4, first 2 shown]
	ds_write_b64 v216, v[142:143]
	ds_write2_b64 v217, v[2:3], v[190:191] offset0:2 offset1:3
	v_mov_b32_e32 v2, v184
	v_mov_b32_e32 v3, v185
	v_mov_b32_e32 v190, v138
	v_mov_b32_e32 v191, v139
	ds_write2_b64 v217, v[2:3], v[190:191] offset0:4 offset1:5
	v_mov_b32_e32 v2, v182
	v_mov_b32_e32 v3, v183
	v_mov_b32_e32 v190, v136
	v_mov_b32_e32 v191, v137
	;; [unrolled: 5-line block ×5, first 2 shown]
	ds_write2_b64 v217, v[2:3], v[190:191] offset0:12 offset1:13
	s_waitcnt vmcnt(62)
	v_mov_b32_e32 v2, v174
	v_mov_b32_e32 v3, v175
	s_waitcnt vmcnt(59)
	v_mov_b32_e32 v190, v128
	v_mov_b32_e32 v191, v129
	ds_write2_b64 v217, v[2:3], v[190:191] offset0:14 offset1:15
	s_waitcnt vmcnt(56)
	v_mov_b32_e32 v2, v172
	v_mov_b32_e32 v3, v173
	s_waitcnt vmcnt(53)
	v_mov_b32_e32 v190, v126
	v_mov_b32_e32 v191, v127
	;; [unrolled: 7-line block ×16, first 2 shown]
	ds_write2_b64 v217, v[2:3], v[190:191] offset0:44 offset1:45
	s_waitcnt vmcnt(0)
	ds_write_b64 v217, v[188:189] offset:368
	ds_read_b64 v[190:191], v216
	s_waitcnt lgkmcnt(0)
	v_cmp_neq_f64_e32 vcc, 0, v[190:191]
	s_and_b64 exec, exec, vcc
	s_cbranch_execz .LBB93_9
; %bb.8:
	v_div_scale_f64 v[2:3], s[6:7], v[190:191], v[190:191], 1.0
	v_rcp_f64_e32 v[192:193], v[2:3]
	v_div_scale_f64 v[194:195], vcc, 1.0, v[190:191], 1.0
	v_fma_f64 v[196:197], -v[2:3], v[192:193], 1.0
	v_fmac_f64_e32 v[192:193], v[192:193], v[196:197]
	v_fma_f64 v[196:197], -v[2:3], v[192:193], 1.0
	v_fmac_f64_e32 v[192:193], v[192:193], v[196:197]
	v_mul_f64 v[196:197], v[194:195], v[192:193]
	v_fma_f64 v[2:3], -v[2:3], v[196:197], v[194:195]
	v_div_fmas_f64 v[2:3], v[2:3], v[192:193], v[196:197]
	v_div_fixup_f64 v[2:3], v[2:3], v[190:191], 1.0
	ds_write_b64 v216, v[2:3]
.LBB93_9:
	s_or_b64 exec, exec, s[2:3]
	s_waitcnt lgkmcnt(0)
	s_barrier
	ds_read_b64 v[0:1], v216
	v_cmp_lt_u32_e32 vcc, 1, v218
	s_and_saveexec_b64 s[2:3], vcc
	s_cbranch_execz .LBB93_11
; %bb.10:
	ds_read2_b64 v[190:193], v217 offset0:2 offset1:3
	ds_read2_b64 v[194:197], v217 offset0:4 offset1:5
	s_waitcnt lgkmcnt(2)
	v_mul_f64 v[142:143], v[0:1], v[142:143]
	ds_read2_b64 v[198:201], v217 offset0:6 offset1:7
	ds_read_b64 v[2:3], v217 offset:368
	s_waitcnt lgkmcnt(3)
	v_fma_f64 v[186:187], -v[142:143], v[190:191], v[186:187]
	v_fma_f64 v[140:141], -v[142:143], v[192:193], v[140:141]
	ds_read2_b64 v[190:193], v217 offset0:8 offset1:9
	s_waitcnt lgkmcnt(3)
	v_fma_f64 v[184:185], -v[142:143], v[194:195], v[184:185]
	v_fma_f64 v[138:139], -v[142:143], v[196:197], v[138:139]
	s_waitcnt lgkmcnt(2)
	v_fma_f64 v[182:183], -v[142:143], v[198:199], v[182:183]
	ds_read2_b64 v[194:197], v217 offset0:10 offset1:11
	v_fma_f64 v[136:137], -v[142:143], v[200:201], v[136:137]
	ds_read2_b64 v[198:201], v217 offset0:12 offset1:13
	s_waitcnt lgkmcnt(2)
	v_fma_f64 v[180:181], -v[142:143], v[190:191], v[180:181]
	v_fma_f64 v[134:135], -v[142:143], v[192:193], v[134:135]
	ds_read2_b64 v[190:193], v217 offset0:14 offset1:15
	s_waitcnt lgkmcnt(2)
	v_fma_f64 v[178:179], -v[142:143], v[194:195], v[178:179]
	;; [unrolled: 4-line block ×3, first 2 shown]
	v_fma_f64 v[130:131], -v[142:143], v[200:201], v[130:131]
	s_waitcnt vmcnt(62) lgkmcnt(1)
	v_fma_f64 v[174:175], -v[142:143], v[190:191], v[174:175]
	ds_read2_b64 v[198:201], v217 offset0:18 offset1:19
	s_waitcnt vmcnt(59)
	v_fma_f64 v[128:129], -v[142:143], v[192:193], v[128:129]
	ds_read2_b64 v[190:193], v217 offset0:20 offset1:21
	s_waitcnt vmcnt(56) lgkmcnt(2)
	v_fma_f64 v[172:173], -v[142:143], v[194:195], v[172:173]
	s_waitcnt vmcnt(53)
	v_fma_f64 v[126:127], -v[142:143], v[196:197], v[126:127]
	s_waitcnt vmcnt(50) lgkmcnt(1)
	v_fma_f64 v[170:171], -v[142:143], v[198:199], v[170:171]
	ds_read2_b64 v[194:197], v217 offset0:22 offset1:23
	s_waitcnt vmcnt(47)
	v_fma_f64 v[124:125], -v[142:143], v[200:201], v[124:125]
	ds_read2_b64 v[198:201], v217 offset0:24 offset1:25
	s_waitcnt vmcnt(44) lgkmcnt(2)
	v_fma_f64 v[168:169], -v[142:143], v[190:191], v[168:169]
	s_waitcnt vmcnt(41)
	v_fma_f64 v[122:123], -v[142:143], v[192:193], v[122:123]
	ds_read2_b64 v[190:193], v217 offset0:26 offset1:27
	s_waitcnt vmcnt(38) lgkmcnt(2)
	v_fma_f64 v[166:167], -v[142:143], v[194:195], v[166:167]
	;; [unrolled: 5-line block ×3, first 2 shown]
	s_waitcnt vmcnt(29)
	v_fma_f64 v[118:119], -v[142:143], v[200:201], v[118:119]
	s_waitcnt vmcnt(26) lgkmcnt(1)
	v_fma_f64 v[162:163], -v[142:143], v[190:191], v[162:163]
	ds_read2_b64 v[198:201], v217 offset0:30 offset1:31
	s_waitcnt vmcnt(23)
	v_fma_f64 v[116:117], -v[142:143], v[192:193], v[116:117]
	ds_read2_b64 v[190:193], v217 offset0:32 offset1:33
	s_waitcnt vmcnt(20) lgkmcnt(2)
	v_fma_f64 v[160:161], -v[142:143], v[194:195], v[160:161]
	s_waitcnt vmcnt(17)
	v_fma_f64 v[114:115], -v[142:143], v[196:197], v[114:115]
	s_waitcnt vmcnt(16) lgkmcnt(1)
	v_fma_f64 v[158:159], -v[142:143], v[198:199], v[158:159]
	ds_read2_b64 v[194:197], v217 offset0:34 offset1:35
	s_waitcnt vmcnt(15)
	v_fma_f64 v[112:113], -v[142:143], v[200:201], v[112:113]
	ds_read2_b64 v[198:201], v217 offset0:36 offset1:37
	s_waitcnt vmcnt(14) lgkmcnt(2)
	v_fma_f64 v[156:157], -v[142:143], v[190:191], v[156:157]
	s_waitcnt vmcnt(13)
	v_fma_f64 v[110:111], -v[142:143], v[192:193], v[110:111]
	ds_read2_b64 v[190:193], v217 offset0:38 offset1:39
	s_waitcnt vmcnt(12) lgkmcnt(2)
	v_fma_f64 v[154:155], -v[142:143], v[194:195], v[154:155]
	;; [unrolled: 5-line block ×3, first 2 shown]
	s_waitcnt vmcnt(9)
	v_fma_f64 v[106:107], -v[142:143], v[200:201], v[106:107]
	s_waitcnt vmcnt(8) lgkmcnt(1)
	v_fma_f64 v[150:151], -v[142:143], v[190:191], v[150:151]
	s_waitcnt vmcnt(7)
	v_fma_f64 v[104:105], -v[142:143], v[192:193], v[104:105]
	ds_read2_b64 v[190:193], v217 offset0:42 offset1:43
	ds_read2_b64 v[198:201], v217 offset0:44 offset1:45
	s_waitcnt vmcnt(6) lgkmcnt(2)
	v_fma_f64 v[148:149], -v[142:143], v[194:195], v[148:149]
	s_waitcnt vmcnt(5)
	v_fma_f64 v[102:103], -v[142:143], v[196:197], v[102:103]
	s_waitcnt vmcnt(0)
	v_fma_f64 v[188:189], -v[142:143], v[2:3], v[188:189]
	s_waitcnt lgkmcnt(1)
	v_fma_f64 v[146:147], -v[142:143], v[190:191], v[146:147]
	v_fma_f64 v[100:101], -v[142:143], v[192:193], v[100:101]
	s_waitcnt lgkmcnt(0)
	v_fma_f64 v[144:145], -v[142:143], v[198:199], v[144:145]
	v_fma_f64 v[98:99], -v[142:143], v[200:201], v[98:99]
.LBB93_11:
	s_or_b64 exec, exec, s[2:3]
	v_cmp_eq_u32_e32 vcc, 2, v218
	s_waitcnt lgkmcnt(0)
	s_barrier
	s_and_saveexec_b64 s[2:3], vcc
	s_cbranch_execz .LBB93_14
; %bb.12:
	ds_write_b64 v216, v[186:187]
	ds_write2_b64 v217, v[140:141], v[184:185] offset0:3 offset1:4
	ds_write2_b64 v217, v[138:139], v[182:183] offset0:5 offset1:6
	;; [unrolled: 1-line block ×5, first 2 shown]
	s_waitcnt vmcnt(62)
	ds_write2_b64 v217, v[130:131], v[174:175] offset0:13 offset1:14
	s_waitcnt vmcnt(56)
	ds_write2_b64 v217, v[128:129], v[172:173] offset0:15 offset1:16
	s_waitcnt vmcnt(50)
	ds_write2_b64 v217, v[126:127], v[170:171] offset0:17 offset1:18
	s_waitcnt vmcnt(44)
	ds_write2_b64 v217, v[124:125], v[168:169] offset0:19 offset1:20
	s_waitcnt vmcnt(38)
	ds_write2_b64 v217, v[122:123], v[166:167] offset0:21 offset1:22
	s_waitcnt vmcnt(32)
	ds_write2_b64 v217, v[120:121], v[164:165] offset0:23 offset1:24
	s_waitcnt vmcnt(26)
	ds_write2_b64 v217, v[118:119], v[162:163] offset0:25 offset1:26
	s_waitcnt vmcnt(20)
	ds_write2_b64 v217, v[116:117], v[160:161] offset0:27 offset1:28
	s_waitcnt vmcnt(16)
	ds_write2_b64 v217, v[114:115], v[158:159] offset0:29 offset1:30
	s_waitcnt vmcnt(14)
	ds_write2_b64 v217, v[112:113], v[156:157] offset0:31 offset1:32
	s_waitcnt vmcnt(12)
	ds_write2_b64 v217, v[110:111], v[154:155] offset0:33 offset1:34
	s_waitcnt vmcnt(10)
	ds_write2_b64 v217, v[108:109], v[152:153] offset0:35 offset1:36
	s_waitcnt vmcnt(8)
	ds_write2_b64 v217, v[106:107], v[150:151] offset0:37 offset1:38
	s_waitcnt vmcnt(6)
	ds_write2_b64 v217, v[104:105], v[148:149] offset0:39 offset1:40
	s_waitcnt vmcnt(4)
	ds_write2_b64 v217, v[102:103], v[146:147] offset0:41 offset1:42
	s_waitcnt vmcnt(2)
	ds_write2_b64 v217, v[100:101], v[144:145] offset0:43 offset1:44
	s_waitcnt vmcnt(0)
	ds_write2_b64 v217, v[98:99], v[188:189] offset0:45 offset1:46
	ds_read_b64 v[190:191], v216
	s_waitcnt lgkmcnt(0)
	v_cmp_neq_f64_e32 vcc, 0, v[190:191]
	s_and_b64 exec, exec, vcc
	s_cbranch_execz .LBB93_14
; %bb.13:
	v_div_scale_f64 v[2:3], s[6:7], v[190:191], v[190:191], 1.0
	v_rcp_f64_e32 v[192:193], v[2:3]
	v_div_scale_f64 v[194:195], vcc, 1.0, v[190:191], 1.0
	v_fma_f64 v[196:197], -v[2:3], v[192:193], 1.0
	v_fmac_f64_e32 v[192:193], v[192:193], v[196:197]
	v_fma_f64 v[196:197], -v[2:3], v[192:193], 1.0
	v_fmac_f64_e32 v[192:193], v[192:193], v[196:197]
	v_mul_f64 v[196:197], v[194:195], v[192:193]
	v_fma_f64 v[2:3], -v[2:3], v[196:197], v[194:195]
	v_div_fmas_f64 v[2:3], v[2:3], v[192:193], v[196:197]
	v_div_fixup_f64 v[2:3], v[2:3], v[190:191], 1.0
	ds_write_b64 v216, v[2:3]
.LBB93_14:
	s_or_b64 exec, exec, s[2:3]
	s_waitcnt lgkmcnt(0)
	s_barrier
	ds_read_b64 v[22:23], v216
	v_cmp_lt_u32_e32 vcc, 2, v218
	s_and_saveexec_b64 s[2:3], vcc
	s_cbranch_execz .LBB93_16
; %bb.15:
	ds_read2_b64 v[190:193], v217 offset0:3 offset1:4
	ds_read2_b64 v[194:197], v217 offset0:5 offset1:6
	s_waitcnt lgkmcnt(2)
	v_mul_f64 v[186:187], v[22:23], v[186:187]
	ds_read2_b64 v[198:201], v217 offset0:7 offset1:8
	s_waitcnt lgkmcnt(2)
	v_fma_f64 v[140:141], -v[186:187], v[190:191], v[140:141]
	v_fma_f64 v[184:185], -v[186:187], v[192:193], v[184:185]
	ds_read2_b64 v[190:193], v217 offset0:9 offset1:10
	s_waitcnt lgkmcnt(2)
	v_fma_f64 v[138:139], -v[186:187], v[194:195], v[138:139]
	v_fma_f64 v[182:183], -v[186:187], v[196:197], v[182:183]
	s_waitcnt lgkmcnt(1)
	v_fma_f64 v[136:137], -v[186:187], v[198:199], v[136:137]
	ds_read2_b64 v[194:197], v217 offset0:11 offset1:12
	v_fma_f64 v[180:181], -v[186:187], v[200:201], v[180:181]
	ds_read2_b64 v[198:201], v217 offset0:13 offset1:14
	s_waitcnt lgkmcnt(2)
	v_fma_f64 v[134:135], -v[186:187], v[190:191], v[134:135]
	v_fma_f64 v[178:179], -v[186:187], v[192:193], v[178:179]
	ds_read2_b64 v[190:193], v217 offset0:15 offset1:16
	s_waitcnt lgkmcnt(2)
	v_fma_f64 v[132:133], -v[186:187], v[194:195], v[132:133]
	;; [unrolled: 4-line block ×3, first 2 shown]
	s_waitcnt vmcnt(62)
	v_fma_f64 v[174:175], -v[186:187], v[200:201], v[174:175]
	s_waitcnt vmcnt(59) lgkmcnt(1)
	v_fma_f64 v[128:129], -v[186:187], v[190:191], v[128:129]
	ds_read2_b64 v[198:201], v217 offset0:19 offset1:20
	s_waitcnt vmcnt(56)
	v_fma_f64 v[172:173], -v[186:187], v[192:193], v[172:173]
	ds_read2_b64 v[190:193], v217 offset0:21 offset1:22
	s_waitcnt vmcnt(53) lgkmcnt(2)
	v_fma_f64 v[126:127], -v[186:187], v[194:195], v[126:127]
	s_waitcnt vmcnt(50)
	v_fma_f64 v[170:171], -v[186:187], v[196:197], v[170:171]
	s_waitcnt vmcnt(47) lgkmcnt(1)
	v_fma_f64 v[124:125], -v[186:187], v[198:199], v[124:125]
	ds_read2_b64 v[194:197], v217 offset0:23 offset1:24
	s_waitcnt vmcnt(44)
	v_fma_f64 v[168:169], -v[186:187], v[200:201], v[168:169]
	ds_read2_b64 v[198:201], v217 offset0:25 offset1:26
	s_waitcnt vmcnt(41) lgkmcnt(2)
	v_fma_f64 v[122:123], -v[186:187], v[190:191], v[122:123]
	s_waitcnt vmcnt(38)
	v_fma_f64 v[166:167], -v[186:187], v[192:193], v[166:167]
	ds_read2_b64 v[190:193], v217 offset0:27 offset1:28
	s_waitcnt vmcnt(35) lgkmcnt(2)
	v_fma_f64 v[120:121], -v[186:187], v[194:195], v[120:121]
	s_waitcnt vmcnt(32)
	v_fma_f64 v[164:165], -v[186:187], v[196:197], v[164:165]
	ds_read2_b64 v[194:197], v217 offset0:29 offset1:30
	s_waitcnt vmcnt(29) lgkmcnt(2)
	v_fma_f64 v[118:119], -v[186:187], v[198:199], v[118:119]
	s_waitcnt vmcnt(26)
	v_fma_f64 v[162:163], -v[186:187], v[200:201], v[162:163]
	s_waitcnt vmcnt(23) lgkmcnt(1)
	v_fma_f64 v[116:117], -v[186:187], v[190:191], v[116:117]
	ds_read2_b64 v[198:201], v217 offset0:31 offset1:32
	s_waitcnt vmcnt(20)
	v_fma_f64 v[160:161], -v[186:187], v[192:193], v[160:161]
	ds_read2_b64 v[190:193], v217 offset0:33 offset1:34
	s_waitcnt vmcnt(17) lgkmcnt(2)
	v_fma_f64 v[114:115], -v[186:187], v[194:195], v[114:115]
	s_waitcnt vmcnt(16)
	v_fma_f64 v[158:159], -v[186:187], v[196:197], v[158:159]
	s_waitcnt vmcnt(15) lgkmcnt(1)
	v_fma_f64 v[112:113], -v[186:187], v[198:199], v[112:113]
	ds_read2_b64 v[194:197], v217 offset0:35 offset1:36
	s_waitcnt vmcnt(14)
	v_fma_f64 v[156:157], -v[186:187], v[200:201], v[156:157]
	ds_read2_b64 v[198:201], v217 offset0:37 offset1:38
	s_waitcnt vmcnt(13) lgkmcnt(2)
	v_fma_f64 v[110:111], -v[186:187], v[190:191], v[110:111]
	s_waitcnt vmcnt(12)
	v_fma_f64 v[154:155], -v[186:187], v[192:193], v[154:155]
	ds_read2_b64 v[190:193], v217 offset0:39 offset1:40
	s_waitcnt vmcnt(11) lgkmcnt(2)
	v_fma_f64 v[108:109], -v[186:187], v[194:195], v[108:109]
	;; [unrolled: 5-line block ×3, first 2 shown]
	s_waitcnt vmcnt(8)
	v_fma_f64 v[150:151], -v[186:187], v[200:201], v[150:151]
	s_waitcnt vmcnt(7) lgkmcnt(1)
	v_fma_f64 v[104:105], -v[186:187], v[190:191], v[104:105]
	ds_read2_b64 v[198:201], v217 offset0:43 offset1:44
	s_waitcnt vmcnt(6)
	v_fma_f64 v[148:149], -v[186:187], v[192:193], v[148:149]
	ds_read2_b64 v[190:193], v217 offset0:45 offset1:46
	s_waitcnt vmcnt(5) lgkmcnt(2)
	v_fma_f64 v[102:103], -v[186:187], v[194:195], v[102:103]
	s_waitcnt vmcnt(4)
	v_fma_f64 v[146:147], -v[186:187], v[196:197], v[146:147]
	s_waitcnt vmcnt(3) lgkmcnt(1)
	v_fma_f64 v[100:101], -v[186:187], v[198:199], v[100:101]
	s_waitcnt vmcnt(2)
	v_fma_f64 v[144:145], -v[186:187], v[200:201], v[144:145]
	;; [unrolled: 4-line block ×3, first 2 shown]
.LBB93_16:
	s_or_b64 exec, exec, s[2:3]
	v_cmp_eq_u32_e32 vcc, 3, v218
	s_waitcnt lgkmcnt(0)
	s_barrier
	s_and_saveexec_b64 s[2:3], vcc
	s_cbranch_execz .LBB93_19
; %bb.17:
	v_mov_b32_e32 v2, v184
	v_mov_b32_e32 v3, v185
	;; [unrolled: 1-line block ×4, first 2 shown]
	ds_write_b64 v216, v[140:141]
	ds_write2_b64 v217, v[2:3], v[190:191] offset0:4 offset1:5
	v_mov_b32_e32 v2, v182
	v_mov_b32_e32 v3, v183
	v_mov_b32_e32 v190, v136
	v_mov_b32_e32 v191, v137
	ds_write2_b64 v217, v[2:3], v[190:191] offset0:6 offset1:7
	v_mov_b32_e32 v2, v180
	v_mov_b32_e32 v3, v181
	v_mov_b32_e32 v190, v134
	v_mov_b32_e32 v191, v135
	;; [unrolled: 5-line block ×4, first 2 shown]
	ds_write2_b64 v217, v[2:3], v[190:191] offset0:12 offset1:13
	s_waitcnt vmcnt(62)
	v_mov_b32_e32 v2, v174
	v_mov_b32_e32 v3, v175
	s_waitcnt vmcnt(59)
	v_mov_b32_e32 v190, v128
	v_mov_b32_e32 v191, v129
	ds_write2_b64 v217, v[2:3], v[190:191] offset0:14 offset1:15
	s_waitcnt vmcnt(56)
	v_mov_b32_e32 v2, v172
	v_mov_b32_e32 v3, v173
	s_waitcnt vmcnt(53)
	v_mov_b32_e32 v190, v126
	v_mov_b32_e32 v191, v127
	;; [unrolled: 7-line block ×16, first 2 shown]
	ds_write2_b64 v217, v[2:3], v[190:191] offset0:44 offset1:45
	s_waitcnt vmcnt(0)
	ds_write_b64 v217, v[188:189] offset:368
	ds_read_b64 v[190:191], v216
	s_waitcnt lgkmcnt(0)
	v_cmp_neq_f64_e32 vcc, 0, v[190:191]
	s_and_b64 exec, exec, vcc
	s_cbranch_execz .LBB93_19
; %bb.18:
	v_div_scale_f64 v[2:3], s[6:7], v[190:191], v[190:191], 1.0
	v_rcp_f64_e32 v[192:193], v[2:3]
	v_div_scale_f64 v[194:195], vcc, 1.0, v[190:191], 1.0
	v_fma_f64 v[196:197], -v[2:3], v[192:193], 1.0
	v_fmac_f64_e32 v[192:193], v[192:193], v[196:197]
	v_fma_f64 v[196:197], -v[2:3], v[192:193], 1.0
	v_fmac_f64_e32 v[192:193], v[192:193], v[196:197]
	v_mul_f64 v[196:197], v[194:195], v[192:193]
	v_fma_f64 v[2:3], -v[2:3], v[196:197], v[194:195]
	v_div_fmas_f64 v[2:3], v[2:3], v[192:193], v[196:197]
	v_div_fixup_f64 v[2:3], v[2:3], v[190:191], 1.0
	ds_write_b64 v216, v[2:3]
.LBB93_19:
	s_or_b64 exec, exec, s[2:3]
	s_waitcnt lgkmcnt(0)
	s_barrier
	ds_read_b64 v[24:25], v216
	v_cmp_lt_u32_e32 vcc, 3, v218
	s_and_saveexec_b64 s[2:3], vcc
	s_cbranch_execz .LBB93_21
; %bb.20:
	ds_read2_b64 v[190:193], v217 offset0:4 offset1:5
	ds_read2_b64 v[194:197], v217 offset0:6 offset1:7
	;; [unrolled: 1-line block ×3, first 2 shown]
	s_waitcnt lgkmcnt(3)
	v_mul_f64 v[140:141], v[24:25], v[140:141]
	ds_read_b64 v[2:3], v217 offset:368
	s_waitcnt lgkmcnt(3)
	v_fma_f64 v[184:185], -v[140:141], v[190:191], v[184:185]
	v_fma_f64 v[138:139], -v[140:141], v[192:193], v[138:139]
	ds_read2_b64 v[190:193], v217 offset0:10 offset1:11
	s_waitcnt lgkmcnt(3)
	v_fma_f64 v[182:183], -v[140:141], v[194:195], v[182:183]
	v_fma_f64 v[136:137], -v[140:141], v[196:197], v[136:137]
	s_waitcnt lgkmcnt(2)
	v_fma_f64 v[180:181], -v[140:141], v[198:199], v[180:181]
	ds_read2_b64 v[194:197], v217 offset0:12 offset1:13
	v_fma_f64 v[134:135], -v[140:141], v[200:201], v[134:135]
	ds_read2_b64 v[198:201], v217 offset0:14 offset1:15
	s_waitcnt lgkmcnt(2)
	v_fma_f64 v[178:179], -v[140:141], v[190:191], v[178:179]
	v_fma_f64 v[132:133], -v[140:141], v[192:193], v[132:133]
	s_waitcnt lgkmcnt(1)
	v_fma_f64 v[176:177], -v[140:141], v[194:195], v[176:177]
	ds_read2_b64 v[190:193], v217 offset0:16 offset1:17
	v_fma_f64 v[130:131], -v[140:141], v[196:197], v[130:131]
	ds_read2_b64 v[194:197], v217 offset0:18 offset1:19
	s_waitcnt vmcnt(62) lgkmcnt(2)
	v_fma_f64 v[174:175], -v[140:141], v[198:199], v[174:175]
	s_waitcnt vmcnt(59)
	v_fma_f64 v[128:129], -v[140:141], v[200:201], v[128:129]
	ds_read2_b64 v[198:201], v217 offset0:20 offset1:21
	s_waitcnt vmcnt(56) lgkmcnt(2)
	v_fma_f64 v[172:173], -v[140:141], v[190:191], v[172:173]
	s_waitcnt vmcnt(53)
	;; [unrolled: 5-line block ×3, first 2 shown]
	v_fma_f64 v[124:125], -v[140:141], v[196:197], v[124:125]
	s_waitcnt vmcnt(44) lgkmcnt(1)
	v_fma_f64 v[168:169], -v[140:141], v[198:199], v[168:169]
	ds_read2_b64 v[194:197], v217 offset0:24 offset1:25
	s_waitcnt vmcnt(41)
	v_fma_f64 v[122:123], -v[140:141], v[200:201], v[122:123]
	ds_read2_b64 v[198:201], v217 offset0:26 offset1:27
	s_waitcnt vmcnt(38) lgkmcnt(2)
	v_fma_f64 v[166:167], -v[140:141], v[190:191], v[166:167]
	s_waitcnt vmcnt(35)
	v_fma_f64 v[120:121], -v[140:141], v[192:193], v[120:121]
	s_waitcnt vmcnt(32) lgkmcnt(1)
	v_fma_f64 v[164:165], -v[140:141], v[194:195], v[164:165]
	ds_read2_b64 v[190:193], v217 offset0:28 offset1:29
	s_waitcnt vmcnt(29)
	v_fma_f64 v[118:119], -v[140:141], v[196:197], v[118:119]
	ds_read2_b64 v[194:197], v217 offset0:30 offset1:31
	s_waitcnt vmcnt(26) lgkmcnt(2)
	v_fma_f64 v[162:163], -v[140:141], v[198:199], v[162:163]
	s_waitcnt vmcnt(23)
	v_fma_f64 v[116:117], -v[140:141], v[200:201], v[116:117]
	ds_read2_b64 v[198:201], v217 offset0:32 offset1:33
	s_waitcnt vmcnt(20) lgkmcnt(2)
	v_fma_f64 v[160:161], -v[140:141], v[190:191], v[160:161]
	;; [unrolled: 5-line block ×3, first 2 shown]
	s_waitcnt vmcnt(15)
	v_fma_f64 v[112:113], -v[140:141], v[196:197], v[112:113]
	s_waitcnt vmcnt(14) lgkmcnt(1)
	v_fma_f64 v[156:157], -v[140:141], v[198:199], v[156:157]
	ds_read2_b64 v[194:197], v217 offset0:36 offset1:37
	s_waitcnt vmcnt(13)
	v_fma_f64 v[110:111], -v[140:141], v[200:201], v[110:111]
	ds_read2_b64 v[198:201], v217 offset0:38 offset1:39
	s_waitcnt vmcnt(12) lgkmcnt(2)
	v_fma_f64 v[154:155], -v[140:141], v[190:191], v[154:155]
	s_waitcnt vmcnt(11)
	v_fma_f64 v[108:109], -v[140:141], v[192:193], v[108:109]
	s_waitcnt vmcnt(10) lgkmcnt(1)
	v_fma_f64 v[152:153], -v[140:141], v[194:195], v[152:153]
	ds_read2_b64 v[190:193], v217 offset0:40 offset1:41
	s_waitcnt vmcnt(9)
	v_fma_f64 v[106:107], -v[140:141], v[196:197], v[106:107]
	ds_read2_b64 v[194:197], v217 offset0:42 offset1:43
	s_waitcnt vmcnt(8) lgkmcnt(2)
	v_fma_f64 v[150:151], -v[140:141], v[198:199], v[150:151]
	s_waitcnt vmcnt(7)
	v_fma_f64 v[104:105], -v[140:141], v[200:201], v[104:105]
	ds_read2_b64 v[198:201], v217 offset0:44 offset1:45
	s_waitcnt vmcnt(6) lgkmcnt(2)
	v_fma_f64 v[148:149], -v[140:141], v[190:191], v[148:149]
	s_waitcnt vmcnt(5)
	v_fma_f64 v[102:103], -v[140:141], v[192:193], v[102:103]
	s_waitcnt vmcnt(4) lgkmcnt(1)
	v_fma_f64 v[146:147], -v[140:141], v[194:195], v[146:147]
	s_waitcnt vmcnt(3)
	v_fma_f64 v[100:101], -v[140:141], v[196:197], v[100:101]
	s_waitcnt vmcnt(2) lgkmcnt(0)
	v_fma_f64 v[144:145], -v[140:141], v[198:199], v[144:145]
	s_waitcnt vmcnt(1)
	v_fma_f64 v[98:99], -v[140:141], v[200:201], v[98:99]
	s_waitcnt vmcnt(0)
	v_fma_f64 v[188:189], -v[140:141], v[2:3], v[188:189]
.LBB93_21:
	s_or_b64 exec, exec, s[2:3]
	v_cmp_eq_u32_e32 vcc, 4, v218
	s_waitcnt lgkmcnt(0)
	s_barrier
	s_and_saveexec_b64 s[2:3], vcc
	s_cbranch_execz .LBB93_24
; %bb.22:
	ds_write_b64 v216, v[184:185]
	ds_write2_b64 v217, v[138:139], v[182:183] offset0:5 offset1:6
	ds_write2_b64 v217, v[136:137], v[180:181] offset0:7 offset1:8
	;; [unrolled: 1-line block ×4, first 2 shown]
	s_waitcnt vmcnt(62)
	ds_write2_b64 v217, v[130:131], v[174:175] offset0:13 offset1:14
	s_waitcnt vmcnt(56)
	ds_write2_b64 v217, v[128:129], v[172:173] offset0:15 offset1:16
	s_waitcnt vmcnt(50)
	ds_write2_b64 v217, v[126:127], v[170:171] offset0:17 offset1:18
	s_waitcnt vmcnt(44)
	ds_write2_b64 v217, v[124:125], v[168:169] offset0:19 offset1:20
	s_waitcnt vmcnt(38)
	ds_write2_b64 v217, v[122:123], v[166:167] offset0:21 offset1:22
	s_waitcnt vmcnt(32)
	ds_write2_b64 v217, v[120:121], v[164:165] offset0:23 offset1:24
	s_waitcnt vmcnt(26)
	ds_write2_b64 v217, v[118:119], v[162:163] offset0:25 offset1:26
	s_waitcnt vmcnt(20)
	ds_write2_b64 v217, v[116:117], v[160:161] offset0:27 offset1:28
	s_waitcnt vmcnt(16)
	ds_write2_b64 v217, v[114:115], v[158:159] offset0:29 offset1:30
	s_waitcnt vmcnt(14)
	ds_write2_b64 v217, v[112:113], v[156:157] offset0:31 offset1:32
	s_waitcnt vmcnt(12)
	ds_write2_b64 v217, v[110:111], v[154:155] offset0:33 offset1:34
	s_waitcnt vmcnt(10)
	ds_write2_b64 v217, v[108:109], v[152:153] offset0:35 offset1:36
	s_waitcnt vmcnt(8)
	ds_write2_b64 v217, v[106:107], v[150:151] offset0:37 offset1:38
	s_waitcnt vmcnt(6)
	ds_write2_b64 v217, v[104:105], v[148:149] offset0:39 offset1:40
	s_waitcnt vmcnt(4)
	ds_write2_b64 v217, v[102:103], v[146:147] offset0:41 offset1:42
	s_waitcnt vmcnt(2)
	ds_write2_b64 v217, v[100:101], v[144:145] offset0:43 offset1:44
	s_waitcnt vmcnt(0)
	ds_write2_b64 v217, v[98:99], v[188:189] offset0:45 offset1:46
	ds_read_b64 v[190:191], v216
	s_waitcnt lgkmcnt(0)
	v_cmp_neq_f64_e32 vcc, 0, v[190:191]
	s_and_b64 exec, exec, vcc
	s_cbranch_execz .LBB93_24
; %bb.23:
	v_div_scale_f64 v[2:3], s[6:7], v[190:191], v[190:191], 1.0
	v_rcp_f64_e32 v[192:193], v[2:3]
	v_div_scale_f64 v[194:195], vcc, 1.0, v[190:191], 1.0
	v_fma_f64 v[196:197], -v[2:3], v[192:193], 1.0
	v_fmac_f64_e32 v[192:193], v[192:193], v[196:197]
	v_fma_f64 v[196:197], -v[2:3], v[192:193], 1.0
	v_fmac_f64_e32 v[192:193], v[192:193], v[196:197]
	v_mul_f64 v[196:197], v[194:195], v[192:193]
	v_fma_f64 v[2:3], -v[2:3], v[196:197], v[194:195]
	v_div_fmas_f64 v[2:3], v[2:3], v[192:193], v[196:197]
	v_div_fixup_f64 v[2:3], v[2:3], v[190:191], 1.0
	ds_write_b64 v216, v[2:3]
.LBB93_24:
	s_or_b64 exec, exec, s[2:3]
	s_waitcnt lgkmcnt(0)
	s_barrier
	ds_read_b64 v[26:27], v216
	v_cmp_lt_u32_e32 vcc, 4, v218
	s_and_saveexec_b64 s[2:3], vcc
	s_cbranch_execz .LBB93_26
; %bb.25:
	ds_read2_b64 v[190:193], v217 offset0:5 offset1:6
	ds_read2_b64 v[194:197], v217 offset0:7 offset1:8
	;; [unrolled: 1-line block ×3, first 2 shown]
	s_waitcnt lgkmcnt(3)
	v_mul_f64 v[184:185], v[26:27], v[184:185]
	s_waitcnt lgkmcnt(2)
	v_fma_f64 v[138:139], -v[184:185], v[190:191], v[138:139]
	v_fma_f64 v[182:183], -v[184:185], v[192:193], v[182:183]
	ds_read2_b64 v[190:193], v217 offset0:11 offset1:12
	s_waitcnt lgkmcnt(2)
	v_fma_f64 v[136:137], -v[184:185], v[194:195], v[136:137]
	v_fma_f64 v[180:181], -v[184:185], v[196:197], v[180:181]
	s_waitcnt lgkmcnt(1)
	v_fma_f64 v[134:135], -v[184:185], v[198:199], v[134:135]
	ds_read2_b64 v[194:197], v217 offset0:13 offset1:14
	v_fma_f64 v[178:179], -v[184:185], v[200:201], v[178:179]
	ds_read2_b64 v[198:201], v217 offset0:15 offset1:16
	s_waitcnt lgkmcnt(2)
	v_fma_f64 v[132:133], -v[184:185], v[190:191], v[132:133]
	v_fma_f64 v[176:177], -v[184:185], v[192:193], v[176:177]
	s_waitcnt lgkmcnt(1)
	v_fma_f64 v[130:131], -v[184:185], v[194:195], v[130:131]
	ds_read2_b64 v[190:193], v217 offset0:17 offset1:18
	s_waitcnt vmcnt(62)
	v_fma_f64 v[174:175], -v[184:185], v[196:197], v[174:175]
	ds_read2_b64 v[194:197], v217 offset0:19 offset1:20
	s_waitcnt vmcnt(59) lgkmcnt(2)
	v_fma_f64 v[128:129], -v[184:185], v[198:199], v[128:129]
	s_waitcnt vmcnt(56)
	v_fma_f64 v[172:173], -v[184:185], v[200:201], v[172:173]
	ds_read2_b64 v[198:201], v217 offset0:21 offset1:22
	s_waitcnt vmcnt(53) lgkmcnt(2)
	v_fma_f64 v[126:127], -v[184:185], v[190:191], v[126:127]
	;; [unrolled: 5-line block ×3, first 2 shown]
	s_waitcnt vmcnt(44)
	v_fma_f64 v[168:169], -v[184:185], v[196:197], v[168:169]
	s_waitcnt vmcnt(41) lgkmcnt(1)
	v_fma_f64 v[122:123], -v[184:185], v[198:199], v[122:123]
	ds_read2_b64 v[194:197], v217 offset0:25 offset1:26
	s_waitcnt vmcnt(38)
	v_fma_f64 v[166:167], -v[184:185], v[200:201], v[166:167]
	ds_read2_b64 v[198:201], v217 offset0:27 offset1:28
	s_waitcnt vmcnt(35) lgkmcnt(2)
	v_fma_f64 v[120:121], -v[184:185], v[190:191], v[120:121]
	s_waitcnt vmcnt(32)
	v_fma_f64 v[164:165], -v[184:185], v[192:193], v[164:165]
	s_waitcnt vmcnt(29) lgkmcnt(1)
	v_fma_f64 v[118:119], -v[184:185], v[194:195], v[118:119]
	ds_read2_b64 v[190:193], v217 offset0:29 offset1:30
	s_waitcnt vmcnt(26)
	v_fma_f64 v[162:163], -v[184:185], v[196:197], v[162:163]
	ds_read2_b64 v[194:197], v217 offset0:31 offset1:32
	s_waitcnt vmcnt(23) lgkmcnt(2)
	v_fma_f64 v[116:117], -v[184:185], v[198:199], v[116:117]
	s_waitcnt vmcnt(20)
	v_fma_f64 v[160:161], -v[184:185], v[200:201], v[160:161]
	ds_read2_b64 v[198:201], v217 offset0:33 offset1:34
	s_waitcnt vmcnt(17) lgkmcnt(2)
	v_fma_f64 v[114:115], -v[184:185], v[190:191], v[114:115]
	s_waitcnt vmcnt(16)
	v_fma_f64 v[158:159], -v[184:185], v[192:193], v[158:159]
	ds_read2_b64 v[190:193], v217 offset0:35 offset1:36
	s_waitcnt vmcnt(15) lgkmcnt(2)
	v_fma_f64 v[112:113], -v[184:185], v[194:195], v[112:113]
	s_waitcnt vmcnt(14)
	v_fma_f64 v[156:157], -v[184:185], v[196:197], v[156:157]
	s_waitcnt vmcnt(13) lgkmcnt(1)
	v_fma_f64 v[110:111], -v[184:185], v[198:199], v[110:111]
	ds_read2_b64 v[194:197], v217 offset0:37 offset1:38
	s_waitcnt vmcnt(12)
	v_fma_f64 v[154:155], -v[184:185], v[200:201], v[154:155]
	ds_read2_b64 v[198:201], v217 offset0:39 offset1:40
	s_waitcnt vmcnt(11) lgkmcnt(2)
	v_fma_f64 v[108:109], -v[184:185], v[190:191], v[108:109]
	s_waitcnt vmcnt(10)
	v_fma_f64 v[152:153], -v[184:185], v[192:193], v[152:153]
	s_waitcnt vmcnt(9) lgkmcnt(1)
	v_fma_f64 v[106:107], -v[184:185], v[194:195], v[106:107]
	s_waitcnt vmcnt(8)
	v_fma_f64 v[150:151], -v[184:185], v[196:197], v[150:151]
	ds_read2_b64 v[190:193], v217 offset0:41 offset1:42
	ds_read2_b64 v[194:197], v217 offset0:43 offset1:44
	s_waitcnt vmcnt(7) lgkmcnt(2)
	v_fma_f64 v[104:105], -v[184:185], v[198:199], v[104:105]
	s_waitcnt vmcnt(6)
	v_fma_f64 v[148:149], -v[184:185], v[200:201], v[148:149]
	ds_read2_b64 v[198:201], v217 offset0:45 offset1:46
	s_waitcnt vmcnt(5) lgkmcnt(2)
	v_fma_f64 v[102:103], -v[184:185], v[190:191], v[102:103]
	s_waitcnt vmcnt(4)
	v_fma_f64 v[146:147], -v[184:185], v[192:193], v[146:147]
	s_waitcnt vmcnt(3) lgkmcnt(1)
	v_fma_f64 v[100:101], -v[184:185], v[194:195], v[100:101]
	s_waitcnt vmcnt(2)
	v_fma_f64 v[144:145], -v[184:185], v[196:197], v[144:145]
	;; [unrolled: 4-line block ×3, first 2 shown]
.LBB93_26:
	s_or_b64 exec, exec, s[2:3]
	v_cmp_eq_u32_e32 vcc, 5, v218
	s_waitcnt lgkmcnt(0)
	s_barrier
	s_and_saveexec_b64 s[2:3], vcc
	s_cbranch_execz .LBB93_29
; %bb.27:
	v_mov_b32_e32 v2, v182
	v_mov_b32_e32 v3, v183
	v_mov_b32_e32 v190, v136
	v_mov_b32_e32 v191, v137
	ds_write_b64 v216, v[138:139]
	ds_write2_b64 v217, v[2:3], v[190:191] offset0:6 offset1:7
	v_mov_b32_e32 v2, v180
	v_mov_b32_e32 v3, v181
	v_mov_b32_e32 v190, v134
	v_mov_b32_e32 v191, v135
	ds_write2_b64 v217, v[2:3], v[190:191] offset0:8 offset1:9
	v_mov_b32_e32 v2, v178
	v_mov_b32_e32 v3, v179
	v_mov_b32_e32 v190, v132
	v_mov_b32_e32 v191, v133
	;; [unrolled: 5-line block ×3, first 2 shown]
	ds_write2_b64 v217, v[2:3], v[190:191] offset0:12 offset1:13
	s_waitcnt vmcnt(62)
	v_mov_b32_e32 v2, v174
	v_mov_b32_e32 v3, v175
	s_waitcnt vmcnt(59)
	v_mov_b32_e32 v190, v128
	v_mov_b32_e32 v191, v129
	ds_write2_b64 v217, v[2:3], v[190:191] offset0:14 offset1:15
	s_waitcnt vmcnt(56)
	v_mov_b32_e32 v2, v172
	v_mov_b32_e32 v3, v173
	s_waitcnt vmcnt(53)
	v_mov_b32_e32 v190, v126
	v_mov_b32_e32 v191, v127
	;; [unrolled: 7-line block ×16, first 2 shown]
	ds_write2_b64 v217, v[2:3], v[190:191] offset0:44 offset1:45
	s_waitcnt vmcnt(0)
	ds_write_b64 v217, v[188:189] offset:368
	ds_read_b64 v[190:191], v216
	s_waitcnt lgkmcnt(0)
	v_cmp_neq_f64_e32 vcc, 0, v[190:191]
	s_and_b64 exec, exec, vcc
	s_cbranch_execz .LBB93_29
; %bb.28:
	v_div_scale_f64 v[2:3], s[6:7], v[190:191], v[190:191], 1.0
	v_rcp_f64_e32 v[192:193], v[2:3]
	v_div_scale_f64 v[194:195], vcc, 1.0, v[190:191], 1.0
	v_fma_f64 v[196:197], -v[2:3], v[192:193], 1.0
	v_fmac_f64_e32 v[192:193], v[192:193], v[196:197]
	v_fma_f64 v[196:197], -v[2:3], v[192:193], 1.0
	v_fmac_f64_e32 v[192:193], v[192:193], v[196:197]
	v_mul_f64 v[196:197], v[194:195], v[192:193]
	v_fma_f64 v[2:3], -v[2:3], v[196:197], v[194:195]
	v_div_fmas_f64 v[2:3], v[2:3], v[192:193], v[196:197]
	v_div_fixup_f64 v[2:3], v[2:3], v[190:191], 1.0
	ds_write_b64 v216, v[2:3]
.LBB93_29:
	s_or_b64 exec, exec, s[2:3]
	s_waitcnt lgkmcnt(0)
	s_barrier
	ds_read_b64 v[28:29], v216
	v_cmp_lt_u32_e32 vcc, 5, v218
	s_and_saveexec_b64 s[2:3], vcc
	s_cbranch_execz .LBB93_31
; %bb.30:
	ds_read2_b64 v[190:193], v217 offset0:6 offset1:7
	ds_read2_b64 v[194:197], v217 offset0:8 offset1:9
	s_waitcnt lgkmcnt(2)
	v_mul_f64 v[138:139], v[28:29], v[138:139]
	ds_read2_b64 v[198:201], v217 offset0:10 offset1:11
	ds_read_b64 v[2:3], v217 offset:368
	s_waitcnt lgkmcnt(3)
	v_fma_f64 v[182:183], -v[138:139], v[190:191], v[182:183]
	v_fma_f64 v[136:137], -v[138:139], v[192:193], v[136:137]
	ds_read2_b64 v[190:193], v217 offset0:12 offset1:13
	s_waitcnt lgkmcnt(3)
	v_fma_f64 v[180:181], -v[138:139], v[194:195], v[180:181]
	v_fma_f64 v[134:135], -v[138:139], v[196:197], v[134:135]
	ds_read2_b64 v[194:197], v217 offset0:14 offset1:15
	;; [unrolled: 4-line block ×3, first 2 shown]
	s_waitcnt lgkmcnt(2)
	v_fma_f64 v[176:177], -v[138:139], v[190:191], v[176:177]
	v_fma_f64 v[130:131], -v[138:139], v[192:193], v[130:131]
	s_waitcnt vmcnt(62) lgkmcnt(1)
	v_fma_f64 v[174:175], -v[138:139], v[194:195], v[174:175]
	ds_read2_b64 v[190:193], v217 offset0:18 offset1:19
	s_waitcnt vmcnt(59)
	v_fma_f64 v[128:129], -v[138:139], v[196:197], v[128:129]
	ds_read2_b64 v[194:197], v217 offset0:20 offset1:21
	s_waitcnt vmcnt(56) lgkmcnt(2)
	v_fma_f64 v[172:173], -v[138:139], v[198:199], v[172:173]
	s_waitcnt vmcnt(53)
	v_fma_f64 v[126:127], -v[138:139], v[200:201], v[126:127]
	s_waitcnt vmcnt(50) lgkmcnt(1)
	v_fma_f64 v[170:171], -v[138:139], v[190:191], v[170:171]
	ds_read2_b64 v[198:201], v217 offset0:22 offset1:23
	s_waitcnt vmcnt(47)
	v_fma_f64 v[124:125], -v[138:139], v[192:193], v[124:125]
	ds_read2_b64 v[190:193], v217 offset0:24 offset1:25
	s_waitcnt vmcnt(44) lgkmcnt(2)
	v_fma_f64 v[168:169], -v[138:139], v[194:195], v[168:169]
	s_waitcnt vmcnt(41)
	v_fma_f64 v[122:123], -v[138:139], v[196:197], v[122:123]
	ds_read2_b64 v[194:197], v217 offset0:26 offset1:27
	s_waitcnt vmcnt(38) lgkmcnt(2)
	v_fma_f64 v[166:167], -v[138:139], v[198:199], v[166:167]
	;; [unrolled: 5-line block ×3, first 2 shown]
	s_waitcnt vmcnt(29)
	v_fma_f64 v[118:119], -v[138:139], v[192:193], v[118:119]
	s_waitcnt vmcnt(26) lgkmcnt(1)
	v_fma_f64 v[162:163], -v[138:139], v[194:195], v[162:163]
	ds_read2_b64 v[190:193], v217 offset0:30 offset1:31
	s_waitcnt vmcnt(23)
	v_fma_f64 v[116:117], -v[138:139], v[196:197], v[116:117]
	ds_read2_b64 v[194:197], v217 offset0:32 offset1:33
	s_waitcnt vmcnt(20) lgkmcnt(2)
	v_fma_f64 v[160:161], -v[138:139], v[198:199], v[160:161]
	s_waitcnt vmcnt(17)
	v_fma_f64 v[114:115], -v[138:139], v[200:201], v[114:115]
	s_waitcnt vmcnt(16) lgkmcnt(1)
	v_fma_f64 v[158:159], -v[138:139], v[190:191], v[158:159]
	ds_read2_b64 v[198:201], v217 offset0:34 offset1:35
	s_waitcnt vmcnt(15)
	v_fma_f64 v[112:113], -v[138:139], v[192:193], v[112:113]
	ds_read2_b64 v[190:193], v217 offset0:36 offset1:37
	s_waitcnt vmcnt(14) lgkmcnt(2)
	v_fma_f64 v[156:157], -v[138:139], v[194:195], v[156:157]
	s_waitcnt vmcnt(13)
	v_fma_f64 v[110:111], -v[138:139], v[196:197], v[110:111]
	ds_read2_b64 v[194:197], v217 offset0:38 offset1:39
	s_waitcnt vmcnt(12) lgkmcnt(2)
	v_fma_f64 v[154:155], -v[138:139], v[198:199], v[154:155]
	;; [unrolled: 5-line block ×3, first 2 shown]
	s_waitcnt vmcnt(9)
	v_fma_f64 v[106:107], -v[138:139], v[192:193], v[106:107]
	s_waitcnt vmcnt(8) lgkmcnt(1)
	v_fma_f64 v[150:151], -v[138:139], v[194:195], v[150:151]
	s_waitcnt vmcnt(7)
	v_fma_f64 v[104:105], -v[138:139], v[196:197], v[104:105]
	ds_read2_b64 v[190:193], v217 offset0:42 offset1:43
	ds_read2_b64 v[194:197], v217 offset0:44 offset1:45
	s_waitcnt vmcnt(6) lgkmcnt(2)
	v_fma_f64 v[148:149], -v[138:139], v[198:199], v[148:149]
	s_waitcnt vmcnt(5)
	v_fma_f64 v[102:103], -v[138:139], v[200:201], v[102:103]
	s_waitcnt vmcnt(0)
	v_fma_f64 v[188:189], -v[138:139], v[2:3], v[188:189]
	s_waitcnt lgkmcnt(1)
	v_fma_f64 v[146:147], -v[138:139], v[190:191], v[146:147]
	v_fma_f64 v[100:101], -v[138:139], v[192:193], v[100:101]
	s_waitcnt lgkmcnt(0)
	v_fma_f64 v[144:145], -v[138:139], v[194:195], v[144:145]
	v_fma_f64 v[98:99], -v[138:139], v[196:197], v[98:99]
.LBB93_31:
	s_or_b64 exec, exec, s[2:3]
	v_cmp_eq_u32_e32 vcc, 6, v218
	s_waitcnt lgkmcnt(0)
	s_barrier
	s_and_saveexec_b64 s[2:3], vcc
	s_cbranch_execz .LBB93_34
; %bb.32:
	ds_write_b64 v216, v[182:183]
	ds_write2_b64 v217, v[136:137], v[180:181] offset0:7 offset1:8
	ds_write2_b64 v217, v[134:135], v[178:179] offset0:9 offset1:10
	;; [unrolled: 1-line block ×3, first 2 shown]
	s_waitcnt vmcnt(62)
	ds_write2_b64 v217, v[130:131], v[174:175] offset0:13 offset1:14
	s_waitcnt vmcnt(56)
	ds_write2_b64 v217, v[128:129], v[172:173] offset0:15 offset1:16
	;; [unrolled: 2-line block ×17, first 2 shown]
	ds_read_b64 v[190:191], v216
	s_waitcnt lgkmcnt(0)
	v_cmp_neq_f64_e32 vcc, 0, v[190:191]
	s_and_b64 exec, exec, vcc
	s_cbranch_execz .LBB93_34
; %bb.33:
	v_div_scale_f64 v[2:3], s[6:7], v[190:191], v[190:191], 1.0
	v_rcp_f64_e32 v[192:193], v[2:3]
	v_div_scale_f64 v[194:195], vcc, 1.0, v[190:191], 1.0
	v_fma_f64 v[196:197], -v[2:3], v[192:193], 1.0
	v_fmac_f64_e32 v[192:193], v[192:193], v[196:197]
	v_fma_f64 v[196:197], -v[2:3], v[192:193], 1.0
	v_fmac_f64_e32 v[192:193], v[192:193], v[196:197]
	v_mul_f64 v[196:197], v[194:195], v[192:193]
	v_fma_f64 v[2:3], -v[2:3], v[196:197], v[194:195]
	v_div_fmas_f64 v[2:3], v[2:3], v[192:193], v[196:197]
	v_div_fixup_f64 v[2:3], v[2:3], v[190:191], 1.0
	ds_write_b64 v216, v[2:3]
.LBB93_34:
	s_or_b64 exec, exec, s[2:3]
	s_waitcnt lgkmcnt(0)
	s_barrier
	ds_read_b64 v[30:31], v216
	v_cmp_lt_u32_e32 vcc, 6, v218
	s_and_saveexec_b64 s[2:3], vcc
	s_cbranch_execz .LBB93_36
; %bb.35:
	ds_read2_b64 v[190:193], v217 offset0:7 offset1:8
	ds_read2_b64 v[194:197], v217 offset0:9 offset1:10
	s_waitcnt lgkmcnt(2)
	v_mul_f64 v[182:183], v[30:31], v[182:183]
	ds_read2_b64 v[198:201], v217 offset0:11 offset1:12
	s_waitcnt lgkmcnt(2)
	v_fma_f64 v[136:137], -v[182:183], v[190:191], v[136:137]
	v_fma_f64 v[180:181], -v[182:183], v[192:193], v[180:181]
	ds_read2_b64 v[190:193], v217 offset0:13 offset1:14
	s_waitcnt lgkmcnt(2)
	v_fma_f64 v[134:135], -v[182:183], v[194:195], v[134:135]
	v_fma_f64 v[178:179], -v[182:183], v[196:197], v[178:179]
	;; [unrolled: 4-line block ×3, first 2 shown]
	ds_read2_b64 v[198:201], v217 offset0:17 offset1:18
	s_waitcnt lgkmcnt(2)
	v_fma_f64 v[130:131], -v[182:183], v[190:191], v[130:131]
	s_waitcnt vmcnt(62)
	v_fma_f64 v[174:175], -v[182:183], v[192:193], v[174:175]
	s_waitcnt vmcnt(59) lgkmcnt(1)
	v_fma_f64 v[128:129], -v[182:183], v[194:195], v[128:129]
	ds_read2_b64 v[190:193], v217 offset0:19 offset1:20
	s_waitcnt vmcnt(56)
	v_fma_f64 v[172:173], -v[182:183], v[196:197], v[172:173]
	ds_read2_b64 v[194:197], v217 offset0:21 offset1:22
	s_waitcnt vmcnt(53) lgkmcnt(2)
	v_fma_f64 v[126:127], -v[182:183], v[198:199], v[126:127]
	s_waitcnt vmcnt(50)
	v_fma_f64 v[170:171], -v[182:183], v[200:201], v[170:171]
	s_waitcnt vmcnt(47) lgkmcnt(1)
	v_fma_f64 v[124:125], -v[182:183], v[190:191], v[124:125]
	ds_read2_b64 v[198:201], v217 offset0:23 offset1:24
	s_waitcnt vmcnt(44)
	v_fma_f64 v[168:169], -v[182:183], v[192:193], v[168:169]
	ds_read2_b64 v[190:193], v217 offset0:25 offset1:26
	s_waitcnt vmcnt(41) lgkmcnt(2)
	v_fma_f64 v[122:123], -v[182:183], v[194:195], v[122:123]
	s_waitcnt vmcnt(38)
	v_fma_f64 v[166:167], -v[182:183], v[196:197], v[166:167]
	ds_read2_b64 v[194:197], v217 offset0:27 offset1:28
	s_waitcnt vmcnt(35) lgkmcnt(2)
	v_fma_f64 v[120:121], -v[182:183], v[198:199], v[120:121]
	;; [unrolled: 5-line block ×3, first 2 shown]
	s_waitcnt vmcnt(26)
	v_fma_f64 v[162:163], -v[182:183], v[192:193], v[162:163]
	s_waitcnt vmcnt(23) lgkmcnt(1)
	v_fma_f64 v[116:117], -v[182:183], v[194:195], v[116:117]
	ds_read2_b64 v[190:193], v217 offset0:31 offset1:32
	s_waitcnt vmcnt(20)
	v_fma_f64 v[160:161], -v[182:183], v[196:197], v[160:161]
	ds_read2_b64 v[194:197], v217 offset0:33 offset1:34
	s_waitcnt vmcnt(17) lgkmcnt(2)
	v_fma_f64 v[114:115], -v[182:183], v[198:199], v[114:115]
	s_waitcnt vmcnt(16)
	v_fma_f64 v[158:159], -v[182:183], v[200:201], v[158:159]
	s_waitcnt vmcnt(15) lgkmcnt(1)
	v_fma_f64 v[112:113], -v[182:183], v[190:191], v[112:113]
	ds_read2_b64 v[198:201], v217 offset0:35 offset1:36
	s_waitcnt vmcnt(14)
	v_fma_f64 v[156:157], -v[182:183], v[192:193], v[156:157]
	ds_read2_b64 v[190:193], v217 offset0:37 offset1:38
	s_waitcnt vmcnt(13) lgkmcnt(2)
	v_fma_f64 v[110:111], -v[182:183], v[194:195], v[110:111]
	s_waitcnt vmcnt(12)
	v_fma_f64 v[154:155], -v[182:183], v[196:197], v[154:155]
	ds_read2_b64 v[194:197], v217 offset0:39 offset1:40
	s_waitcnt vmcnt(11) lgkmcnt(2)
	v_fma_f64 v[108:109], -v[182:183], v[198:199], v[108:109]
	s_waitcnt vmcnt(10)
	v_fma_f64 v[152:153], -v[182:183], v[200:201], v[152:153]
	s_waitcnt vmcnt(9) lgkmcnt(1)
	v_fma_f64 v[106:107], -v[182:183], v[190:191], v[106:107]
	s_waitcnt vmcnt(8)
	v_fma_f64 v[150:151], -v[182:183], v[192:193], v[150:151]
	ds_read2_b64 v[190:193], v217 offset0:41 offset1:42
	s_waitcnt vmcnt(7) lgkmcnt(1)
	v_fma_f64 v[104:105], -v[182:183], v[194:195], v[104:105]
	ds_read2_b64 v[198:201], v217 offset0:43 offset1:44
	s_waitcnt vmcnt(6)
	v_fma_f64 v[148:149], -v[182:183], v[196:197], v[148:149]
	ds_read2_b64 v[194:197], v217 offset0:45 offset1:46
	s_waitcnt vmcnt(5) lgkmcnt(2)
	v_fma_f64 v[102:103], -v[182:183], v[190:191], v[102:103]
	s_waitcnt vmcnt(4)
	v_fma_f64 v[146:147], -v[182:183], v[192:193], v[146:147]
	s_waitcnt vmcnt(3) lgkmcnt(1)
	v_fma_f64 v[100:101], -v[182:183], v[198:199], v[100:101]
	s_waitcnt vmcnt(2)
	v_fma_f64 v[144:145], -v[182:183], v[200:201], v[144:145]
	;; [unrolled: 4-line block ×3, first 2 shown]
.LBB93_36:
	s_or_b64 exec, exec, s[2:3]
	v_cmp_eq_u32_e32 vcc, 7, v218
	s_waitcnt lgkmcnt(0)
	s_barrier
	s_and_saveexec_b64 s[2:3], vcc
	s_cbranch_execz .LBB93_39
; %bb.37:
	v_mov_b32_e32 v2, v180
	v_mov_b32_e32 v3, v181
	;; [unrolled: 1-line block ×4, first 2 shown]
	ds_write_b64 v216, v[136:137]
	ds_write2_b64 v217, v[2:3], v[190:191] offset0:8 offset1:9
	v_mov_b32_e32 v2, v178
	v_mov_b32_e32 v3, v179
	;; [unrolled: 1-line block ×4, first 2 shown]
	ds_write2_b64 v217, v[2:3], v[190:191] offset0:10 offset1:11
	v_mov_b32_e32 v2, v176
	v_mov_b32_e32 v3, v177
	;; [unrolled: 1-line block ×4, first 2 shown]
	ds_write2_b64 v217, v[2:3], v[190:191] offset0:12 offset1:13
	s_waitcnt vmcnt(62)
	v_mov_b32_e32 v2, v174
	v_mov_b32_e32 v3, v175
	s_waitcnt vmcnt(59)
	v_mov_b32_e32 v190, v128
	v_mov_b32_e32 v191, v129
	ds_write2_b64 v217, v[2:3], v[190:191] offset0:14 offset1:15
	s_waitcnt vmcnt(56)
	v_mov_b32_e32 v2, v172
	v_mov_b32_e32 v3, v173
	s_waitcnt vmcnt(53)
	v_mov_b32_e32 v190, v126
	v_mov_b32_e32 v191, v127
	;; [unrolled: 7-line block ×16, first 2 shown]
	ds_write2_b64 v217, v[2:3], v[190:191] offset0:44 offset1:45
	s_waitcnt vmcnt(0)
	ds_write_b64 v217, v[188:189] offset:368
	ds_read_b64 v[190:191], v216
	s_waitcnt lgkmcnt(0)
	v_cmp_neq_f64_e32 vcc, 0, v[190:191]
	s_and_b64 exec, exec, vcc
	s_cbranch_execz .LBB93_39
; %bb.38:
	v_div_scale_f64 v[2:3], s[6:7], v[190:191], v[190:191], 1.0
	v_rcp_f64_e32 v[192:193], v[2:3]
	v_div_scale_f64 v[194:195], vcc, 1.0, v[190:191], 1.0
	v_fma_f64 v[196:197], -v[2:3], v[192:193], 1.0
	v_fmac_f64_e32 v[192:193], v[192:193], v[196:197]
	v_fma_f64 v[196:197], -v[2:3], v[192:193], 1.0
	v_fmac_f64_e32 v[192:193], v[192:193], v[196:197]
	v_mul_f64 v[196:197], v[194:195], v[192:193]
	v_fma_f64 v[2:3], -v[2:3], v[196:197], v[194:195]
	v_div_fmas_f64 v[2:3], v[2:3], v[192:193], v[196:197]
	v_div_fixup_f64 v[2:3], v[2:3], v[190:191], 1.0
	ds_write_b64 v216, v[2:3]
.LBB93_39:
	s_or_b64 exec, exec, s[2:3]
	s_waitcnt lgkmcnt(0)
	s_barrier
	ds_read_b64 v[32:33], v216
	v_cmp_lt_u32_e32 vcc, 7, v218
	s_and_saveexec_b64 s[2:3], vcc
	s_cbranch_execz .LBB93_41
; %bb.40:
	ds_read2_b64 v[190:193], v217 offset0:8 offset1:9
	ds_read2_b64 v[194:197], v217 offset0:10 offset1:11
	s_waitcnt lgkmcnt(2)
	v_mul_f64 v[136:137], v[32:33], v[136:137]
	ds_read2_b64 v[198:201], v217 offset0:12 offset1:13
	ds_read_b64 v[2:3], v217 offset:368
	s_waitcnt lgkmcnt(3)
	v_fma_f64 v[180:181], -v[136:137], v[190:191], v[180:181]
	v_fma_f64 v[134:135], -v[136:137], v[192:193], v[134:135]
	ds_read2_b64 v[190:193], v217 offset0:14 offset1:15
	s_waitcnt lgkmcnt(3)
	v_fma_f64 v[178:179], -v[136:137], v[194:195], v[178:179]
	v_fma_f64 v[132:133], -v[136:137], v[196:197], v[132:133]
	s_waitcnt lgkmcnt(2)
	v_fma_f64 v[176:177], -v[136:137], v[198:199], v[176:177]
	ds_read2_b64 v[194:197], v217 offset0:16 offset1:17
	v_fma_f64 v[130:131], -v[136:137], v[200:201], v[130:131]
	ds_read2_b64 v[198:201], v217 offset0:18 offset1:19
	s_waitcnt vmcnt(62) lgkmcnt(2)
	v_fma_f64 v[174:175], -v[136:137], v[190:191], v[174:175]
	s_waitcnt vmcnt(59)
	v_fma_f64 v[128:129], -v[136:137], v[192:193], v[128:129]
	ds_read2_b64 v[190:193], v217 offset0:20 offset1:21
	s_waitcnt vmcnt(56) lgkmcnt(2)
	v_fma_f64 v[172:173], -v[136:137], v[194:195], v[172:173]
	s_waitcnt vmcnt(53)
	;; [unrolled: 5-line block ×3, first 2 shown]
	v_fma_f64 v[124:125], -v[136:137], v[200:201], v[124:125]
	s_waitcnt vmcnt(44) lgkmcnt(1)
	v_fma_f64 v[168:169], -v[136:137], v[190:191], v[168:169]
	ds_read2_b64 v[198:201], v217 offset0:24 offset1:25
	s_waitcnt vmcnt(41)
	v_fma_f64 v[122:123], -v[136:137], v[192:193], v[122:123]
	ds_read2_b64 v[190:193], v217 offset0:26 offset1:27
	s_waitcnt vmcnt(38) lgkmcnt(2)
	v_fma_f64 v[166:167], -v[136:137], v[194:195], v[166:167]
	s_waitcnt vmcnt(35)
	v_fma_f64 v[120:121], -v[136:137], v[196:197], v[120:121]
	s_waitcnt vmcnt(32) lgkmcnt(1)
	v_fma_f64 v[164:165], -v[136:137], v[198:199], v[164:165]
	ds_read2_b64 v[194:197], v217 offset0:28 offset1:29
	s_waitcnt vmcnt(29)
	v_fma_f64 v[118:119], -v[136:137], v[200:201], v[118:119]
	ds_read2_b64 v[198:201], v217 offset0:30 offset1:31
	s_waitcnt vmcnt(26) lgkmcnt(2)
	v_fma_f64 v[162:163], -v[136:137], v[190:191], v[162:163]
	s_waitcnt vmcnt(23)
	v_fma_f64 v[116:117], -v[136:137], v[192:193], v[116:117]
	ds_read2_b64 v[190:193], v217 offset0:32 offset1:33
	s_waitcnt vmcnt(20) lgkmcnt(2)
	v_fma_f64 v[160:161], -v[136:137], v[194:195], v[160:161]
	;; [unrolled: 5-line block ×3, first 2 shown]
	s_waitcnt vmcnt(15)
	v_fma_f64 v[112:113], -v[136:137], v[200:201], v[112:113]
	s_waitcnt vmcnt(14) lgkmcnt(1)
	v_fma_f64 v[156:157], -v[136:137], v[190:191], v[156:157]
	ds_read2_b64 v[198:201], v217 offset0:36 offset1:37
	s_waitcnt vmcnt(13)
	v_fma_f64 v[110:111], -v[136:137], v[192:193], v[110:111]
	ds_read2_b64 v[190:193], v217 offset0:38 offset1:39
	s_waitcnt vmcnt(12) lgkmcnt(2)
	v_fma_f64 v[154:155], -v[136:137], v[194:195], v[154:155]
	s_waitcnt vmcnt(11)
	v_fma_f64 v[108:109], -v[136:137], v[196:197], v[108:109]
	s_waitcnt vmcnt(10) lgkmcnt(1)
	v_fma_f64 v[152:153], -v[136:137], v[198:199], v[152:153]
	ds_read2_b64 v[194:197], v217 offset0:40 offset1:41
	s_waitcnt vmcnt(9)
	v_fma_f64 v[106:107], -v[136:137], v[200:201], v[106:107]
	s_waitcnt vmcnt(8) lgkmcnt(1)
	v_fma_f64 v[150:151], -v[136:137], v[190:191], v[150:151]
	s_waitcnt vmcnt(7)
	v_fma_f64 v[104:105], -v[136:137], v[192:193], v[104:105]
	ds_read2_b64 v[190:193], v217 offset0:42 offset1:43
	ds_read2_b64 v[198:201], v217 offset0:44 offset1:45
	s_waitcnt vmcnt(6) lgkmcnt(2)
	v_fma_f64 v[148:149], -v[136:137], v[194:195], v[148:149]
	s_waitcnt vmcnt(5)
	v_fma_f64 v[102:103], -v[136:137], v[196:197], v[102:103]
	s_waitcnt vmcnt(0)
	v_fma_f64 v[188:189], -v[136:137], v[2:3], v[188:189]
	s_waitcnt lgkmcnt(1)
	v_fma_f64 v[146:147], -v[136:137], v[190:191], v[146:147]
	v_fma_f64 v[100:101], -v[136:137], v[192:193], v[100:101]
	s_waitcnt lgkmcnt(0)
	v_fma_f64 v[144:145], -v[136:137], v[198:199], v[144:145]
	v_fma_f64 v[98:99], -v[136:137], v[200:201], v[98:99]
.LBB93_41:
	s_or_b64 exec, exec, s[2:3]
	v_cmp_eq_u32_e32 vcc, 8, v218
	s_waitcnt lgkmcnt(0)
	s_barrier
	s_and_saveexec_b64 s[2:3], vcc
	s_cbranch_execz .LBB93_44
; %bb.42:
	ds_write_b64 v216, v[180:181]
	ds_write2_b64 v217, v[134:135], v[178:179] offset0:9 offset1:10
	ds_write2_b64 v217, v[132:133], v[176:177] offset0:11 offset1:12
	s_waitcnt vmcnt(62)
	ds_write2_b64 v217, v[130:131], v[174:175] offset0:13 offset1:14
	s_waitcnt vmcnt(56)
	;; [unrolled: 2-line block ×17, first 2 shown]
	ds_write2_b64 v217, v[98:99], v[188:189] offset0:45 offset1:46
	ds_read_b64 v[190:191], v216
	s_waitcnt lgkmcnt(0)
	v_cmp_neq_f64_e32 vcc, 0, v[190:191]
	s_and_b64 exec, exec, vcc
	s_cbranch_execz .LBB93_44
; %bb.43:
	v_div_scale_f64 v[2:3], s[6:7], v[190:191], v[190:191], 1.0
	v_rcp_f64_e32 v[192:193], v[2:3]
	v_div_scale_f64 v[194:195], vcc, 1.0, v[190:191], 1.0
	v_fma_f64 v[196:197], -v[2:3], v[192:193], 1.0
	v_fmac_f64_e32 v[192:193], v[192:193], v[196:197]
	v_fma_f64 v[196:197], -v[2:3], v[192:193], 1.0
	v_fmac_f64_e32 v[192:193], v[192:193], v[196:197]
	v_mul_f64 v[196:197], v[194:195], v[192:193]
	v_fma_f64 v[2:3], -v[2:3], v[196:197], v[194:195]
	v_div_fmas_f64 v[2:3], v[2:3], v[192:193], v[196:197]
	v_div_fixup_f64 v[2:3], v[2:3], v[190:191], 1.0
	ds_write_b64 v216, v[2:3]
.LBB93_44:
	s_or_b64 exec, exec, s[2:3]
	s_waitcnt lgkmcnt(0)
	s_barrier
	ds_read_b64 v[34:35], v216
	v_cmp_lt_u32_e32 vcc, 8, v218
	s_and_saveexec_b64 s[2:3], vcc
	s_cbranch_execz .LBB93_46
; %bb.45:
	ds_read2_b64 v[190:193], v217 offset0:9 offset1:10
	ds_read2_b64 v[194:197], v217 offset0:11 offset1:12
	s_waitcnt lgkmcnt(2)
	v_mul_f64 v[180:181], v[34:35], v[180:181]
	ds_read2_b64 v[198:201], v217 offset0:13 offset1:14
	s_waitcnt lgkmcnt(2)
	v_fma_f64 v[134:135], -v[180:181], v[190:191], v[134:135]
	v_fma_f64 v[178:179], -v[180:181], v[192:193], v[178:179]
	ds_read2_b64 v[190:193], v217 offset0:15 offset1:16
	s_waitcnt lgkmcnt(2)
	v_fma_f64 v[132:133], -v[180:181], v[194:195], v[132:133]
	v_fma_f64 v[176:177], -v[180:181], v[196:197], v[176:177]
	s_waitcnt lgkmcnt(1)
	v_fma_f64 v[130:131], -v[180:181], v[198:199], v[130:131]
	ds_read2_b64 v[194:197], v217 offset0:17 offset1:18
	s_waitcnt vmcnt(62)
	v_fma_f64 v[174:175], -v[180:181], v[200:201], v[174:175]
	ds_read2_b64 v[198:201], v217 offset0:19 offset1:20
	s_waitcnt vmcnt(59) lgkmcnt(2)
	v_fma_f64 v[128:129], -v[180:181], v[190:191], v[128:129]
	s_waitcnt vmcnt(56)
	v_fma_f64 v[172:173], -v[180:181], v[192:193], v[172:173]
	ds_read2_b64 v[190:193], v217 offset0:21 offset1:22
	s_waitcnt vmcnt(53) lgkmcnt(2)
	v_fma_f64 v[126:127], -v[180:181], v[194:195], v[126:127]
	;; [unrolled: 5-line block ×3, first 2 shown]
	s_waitcnt vmcnt(44)
	v_fma_f64 v[168:169], -v[180:181], v[200:201], v[168:169]
	s_waitcnt vmcnt(41) lgkmcnt(1)
	v_fma_f64 v[122:123], -v[180:181], v[190:191], v[122:123]
	ds_read2_b64 v[198:201], v217 offset0:25 offset1:26
	s_waitcnt vmcnt(38)
	v_fma_f64 v[166:167], -v[180:181], v[192:193], v[166:167]
	ds_read2_b64 v[190:193], v217 offset0:27 offset1:28
	s_waitcnt vmcnt(35) lgkmcnt(2)
	v_fma_f64 v[120:121], -v[180:181], v[194:195], v[120:121]
	s_waitcnt vmcnt(32)
	v_fma_f64 v[164:165], -v[180:181], v[196:197], v[164:165]
	s_waitcnt vmcnt(29) lgkmcnt(1)
	v_fma_f64 v[118:119], -v[180:181], v[198:199], v[118:119]
	ds_read2_b64 v[194:197], v217 offset0:29 offset1:30
	s_waitcnt vmcnt(26)
	v_fma_f64 v[162:163], -v[180:181], v[200:201], v[162:163]
	ds_read2_b64 v[198:201], v217 offset0:31 offset1:32
	s_waitcnt vmcnt(23) lgkmcnt(2)
	v_fma_f64 v[116:117], -v[180:181], v[190:191], v[116:117]
	s_waitcnt vmcnt(20)
	v_fma_f64 v[160:161], -v[180:181], v[192:193], v[160:161]
	ds_read2_b64 v[190:193], v217 offset0:33 offset1:34
	s_waitcnt vmcnt(17) lgkmcnt(2)
	v_fma_f64 v[114:115], -v[180:181], v[194:195], v[114:115]
	;; [unrolled: 5-line block ×3, first 2 shown]
	s_waitcnt vmcnt(14)
	v_fma_f64 v[156:157], -v[180:181], v[200:201], v[156:157]
	s_waitcnt vmcnt(13) lgkmcnt(1)
	v_fma_f64 v[110:111], -v[180:181], v[190:191], v[110:111]
	ds_read2_b64 v[198:201], v217 offset0:37 offset1:38
	s_waitcnt vmcnt(12)
	v_fma_f64 v[154:155], -v[180:181], v[192:193], v[154:155]
	ds_read2_b64 v[190:193], v217 offset0:39 offset1:40
	s_waitcnt vmcnt(11) lgkmcnt(2)
	v_fma_f64 v[108:109], -v[180:181], v[194:195], v[108:109]
	s_waitcnt vmcnt(10)
	v_fma_f64 v[152:153], -v[180:181], v[196:197], v[152:153]
	s_waitcnt vmcnt(9) lgkmcnt(1)
	v_fma_f64 v[106:107], -v[180:181], v[198:199], v[106:107]
	s_waitcnt vmcnt(8)
	v_fma_f64 v[150:151], -v[180:181], v[200:201], v[150:151]
	ds_read2_b64 v[194:197], v217 offset0:41 offset1:42
	ds_read2_b64 v[198:201], v217 offset0:43 offset1:44
	s_waitcnt vmcnt(7) lgkmcnt(2)
	v_fma_f64 v[104:105], -v[180:181], v[190:191], v[104:105]
	s_waitcnt vmcnt(6)
	v_fma_f64 v[148:149], -v[180:181], v[192:193], v[148:149]
	ds_read2_b64 v[190:193], v217 offset0:45 offset1:46
	s_waitcnt vmcnt(5) lgkmcnt(2)
	v_fma_f64 v[102:103], -v[180:181], v[194:195], v[102:103]
	s_waitcnt vmcnt(4)
	v_fma_f64 v[146:147], -v[180:181], v[196:197], v[146:147]
	s_waitcnt vmcnt(3) lgkmcnt(1)
	v_fma_f64 v[100:101], -v[180:181], v[198:199], v[100:101]
	s_waitcnt vmcnt(2)
	v_fma_f64 v[144:145], -v[180:181], v[200:201], v[144:145]
	;; [unrolled: 4-line block ×3, first 2 shown]
.LBB93_46:
	s_or_b64 exec, exec, s[2:3]
	v_cmp_eq_u32_e32 vcc, 9, v218
	s_waitcnt lgkmcnt(0)
	s_barrier
	s_and_saveexec_b64 s[2:3], vcc
	s_cbranch_execz .LBB93_49
; %bb.47:
	v_mov_b32_e32 v2, v178
	v_mov_b32_e32 v3, v179
	;; [unrolled: 1-line block ×4, first 2 shown]
	ds_write_b64 v216, v[134:135]
	ds_write2_b64 v217, v[2:3], v[190:191] offset0:10 offset1:11
	v_mov_b32_e32 v2, v176
	v_mov_b32_e32 v3, v177
	;; [unrolled: 1-line block ×4, first 2 shown]
	ds_write2_b64 v217, v[2:3], v[190:191] offset0:12 offset1:13
	s_waitcnt vmcnt(62)
	v_mov_b32_e32 v2, v174
	v_mov_b32_e32 v3, v175
	s_waitcnt vmcnt(59)
	v_mov_b32_e32 v190, v128
	v_mov_b32_e32 v191, v129
	ds_write2_b64 v217, v[2:3], v[190:191] offset0:14 offset1:15
	s_waitcnt vmcnt(56)
	v_mov_b32_e32 v2, v172
	v_mov_b32_e32 v3, v173
	s_waitcnt vmcnt(53)
	v_mov_b32_e32 v190, v126
	v_mov_b32_e32 v191, v127
	;; [unrolled: 7-line block ×16, first 2 shown]
	ds_write2_b64 v217, v[2:3], v[190:191] offset0:44 offset1:45
	s_waitcnt vmcnt(0)
	ds_write_b64 v217, v[188:189] offset:368
	ds_read_b64 v[190:191], v216
	s_waitcnt lgkmcnt(0)
	v_cmp_neq_f64_e32 vcc, 0, v[190:191]
	s_and_b64 exec, exec, vcc
	s_cbranch_execz .LBB93_49
; %bb.48:
	v_div_scale_f64 v[2:3], s[6:7], v[190:191], v[190:191], 1.0
	v_rcp_f64_e32 v[192:193], v[2:3]
	v_div_scale_f64 v[194:195], vcc, 1.0, v[190:191], 1.0
	v_fma_f64 v[196:197], -v[2:3], v[192:193], 1.0
	v_fmac_f64_e32 v[192:193], v[192:193], v[196:197]
	v_fma_f64 v[196:197], -v[2:3], v[192:193], 1.0
	v_fmac_f64_e32 v[192:193], v[192:193], v[196:197]
	v_mul_f64 v[196:197], v[194:195], v[192:193]
	v_fma_f64 v[2:3], -v[2:3], v[196:197], v[194:195]
	v_div_fmas_f64 v[2:3], v[2:3], v[192:193], v[196:197]
	v_div_fixup_f64 v[2:3], v[2:3], v[190:191], 1.0
	ds_write_b64 v216, v[2:3]
.LBB93_49:
	s_or_b64 exec, exec, s[2:3]
	s_waitcnt lgkmcnt(0)
	s_barrier
	ds_read_b64 v[36:37], v216
	v_cmp_lt_u32_e32 vcc, 9, v218
	s_and_saveexec_b64 s[2:3], vcc
	s_cbranch_execz .LBB93_51
; %bb.50:
	ds_read2_b64 v[190:193], v217 offset0:10 offset1:11
	ds_read2_b64 v[194:197], v217 offset0:12 offset1:13
	ds_read2_b64 v[198:201], v217 offset0:14 offset1:15
	s_waitcnt lgkmcnt(3)
	v_mul_f64 v[134:135], v[36:37], v[134:135]
	ds_read_b64 v[2:3], v217 offset:368
	s_waitcnt lgkmcnt(3)
	v_fma_f64 v[178:179], -v[134:135], v[190:191], v[178:179]
	v_fma_f64 v[132:133], -v[134:135], v[192:193], v[132:133]
	ds_read2_b64 v[190:193], v217 offset0:16 offset1:17
	s_waitcnt lgkmcnt(3)
	v_fma_f64 v[176:177], -v[134:135], v[194:195], v[176:177]
	v_fma_f64 v[130:131], -v[134:135], v[196:197], v[130:131]
	s_waitcnt vmcnt(62) lgkmcnt(2)
	v_fma_f64 v[174:175], -v[134:135], v[198:199], v[174:175]
	ds_read2_b64 v[194:197], v217 offset0:18 offset1:19
	s_waitcnt vmcnt(59)
	v_fma_f64 v[128:129], -v[134:135], v[200:201], v[128:129]
	ds_read2_b64 v[198:201], v217 offset0:20 offset1:21
	s_waitcnt vmcnt(56) lgkmcnt(2)
	v_fma_f64 v[172:173], -v[134:135], v[190:191], v[172:173]
	s_waitcnt vmcnt(53)
	v_fma_f64 v[126:127], -v[134:135], v[192:193], v[126:127]
	s_waitcnt vmcnt(50) lgkmcnt(1)
	v_fma_f64 v[170:171], -v[134:135], v[194:195], v[170:171]
	ds_read2_b64 v[190:193], v217 offset0:22 offset1:23
	s_waitcnt vmcnt(47)
	v_fma_f64 v[124:125], -v[134:135], v[196:197], v[124:125]
	ds_read2_b64 v[194:197], v217 offset0:24 offset1:25
	s_waitcnt vmcnt(44) lgkmcnt(2)
	v_fma_f64 v[168:169], -v[134:135], v[198:199], v[168:169]
	s_waitcnt vmcnt(41)
	v_fma_f64 v[122:123], -v[134:135], v[200:201], v[122:123]
	ds_read2_b64 v[198:201], v217 offset0:26 offset1:27
	s_waitcnt vmcnt(38) lgkmcnt(2)
	v_fma_f64 v[166:167], -v[134:135], v[190:191], v[166:167]
	;; [unrolled: 5-line block ×3, first 2 shown]
	s_waitcnt vmcnt(29)
	v_fma_f64 v[118:119], -v[134:135], v[196:197], v[118:119]
	s_waitcnt vmcnt(26) lgkmcnt(1)
	v_fma_f64 v[162:163], -v[134:135], v[198:199], v[162:163]
	ds_read2_b64 v[194:197], v217 offset0:30 offset1:31
	s_waitcnt vmcnt(23)
	v_fma_f64 v[116:117], -v[134:135], v[200:201], v[116:117]
	ds_read2_b64 v[198:201], v217 offset0:32 offset1:33
	s_waitcnt vmcnt(20) lgkmcnt(2)
	v_fma_f64 v[160:161], -v[134:135], v[190:191], v[160:161]
	s_waitcnt vmcnt(17)
	v_fma_f64 v[114:115], -v[134:135], v[192:193], v[114:115]
	s_waitcnt vmcnt(16) lgkmcnt(1)
	v_fma_f64 v[158:159], -v[134:135], v[194:195], v[158:159]
	ds_read2_b64 v[190:193], v217 offset0:34 offset1:35
	s_waitcnt vmcnt(15)
	v_fma_f64 v[112:113], -v[134:135], v[196:197], v[112:113]
	ds_read2_b64 v[194:197], v217 offset0:36 offset1:37
	s_waitcnt vmcnt(14) lgkmcnt(2)
	v_fma_f64 v[156:157], -v[134:135], v[198:199], v[156:157]
	s_waitcnt vmcnt(13)
	v_fma_f64 v[110:111], -v[134:135], v[200:201], v[110:111]
	ds_read2_b64 v[198:201], v217 offset0:38 offset1:39
	s_waitcnt vmcnt(12) lgkmcnt(2)
	v_fma_f64 v[154:155], -v[134:135], v[190:191], v[154:155]
	;; [unrolled: 5-line block ×3, first 2 shown]
	s_waitcnt vmcnt(9)
	v_fma_f64 v[106:107], -v[134:135], v[196:197], v[106:107]
	s_waitcnt vmcnt(8) lgkmcnt(1)
	v_fma_f64 v[150:151], -v[134:135], v[198:199], v[150:151]
	s_waitcnt vmcnt(7)
	v_fma_f64 v[104:105], -v[134:135], v[200:201], v[104:105]
	ds_read2_b64 v[194:197], v217 offset0:42 offset1:43
	ds_read2_b64 v[198:201], v217 offset0:44 offset1:45
	s_waitcnt vmcnt(6) lgkmcnt(2)
	v_fma_f64 v[148:149], -v[134:135], v[190:191], v[148:149]
	s_waitcnt vmcnt(5)
	v_fma_f64 v[102:103], -v[134:135], v[192:193], v[102:103]
	s_waitcnt vmcnt(0)
	v_fma_f64 v[188:189], -v[134:135], v[2:3], v[188:189]
	s_waitcnt lgkmcnt(1)
	v_fma_f64 v[146:147], -v[134:135], v[194:195], v[146:147]
	v_fma_f64 v[100:101], -v[134:135], v[196:197], v[100:101]
	s_waitcnt lgkmcnt(0)
	v_fma_f64 v[144:145], -v[134:135], v[198:199], v[144:145]
	v_fma_f64 v[98:99], -v[134:135], v[200:201], v[98:99]
.LBB93_51:
	s_or_b64 exec, exec, s[2:3]
	v_cmp_eq_u32_e32 vcc, 10, v218
	s_waitcnt lgkmcnt(0)
	s_barrier
	s_and_saveexec_b64 s[2:3], vcc
	s_cbranch_execz .LBB93_54
; %bb.52:
	ds_write_b64 v216, v[178:179]
	ds_write2_b64 v217, v[132:133], v[176:177] offset0:11 offset1:12
	s_waitcnt vmcnt(62)
	ds_write2_b64 v217, v[130:131], v[174:175] offset0:13 offset1:14
	s_waitcnt vmcnt(56)
	;; [unrolled: 2-line block ×17, first 2 shown]
	ds_write2_b64 v217, v[98:99], v[188:189] offset0:45 offset1:46
	ds_read_b64 v[190:191], v216
	s_waitcnt lgkmcnt(0)
	v_cmp_neq_f64_e32 vcc, 0, v[190:191]
	s_and_b64 exec, exec, vcc
	s_cbranch_execz .LBB93_54
; %bb.53:
	v_div_scale_f64 v[2:3], s[6:7], v[190:191], v[190:191], 1.0
	v_rcp_f64_e32 v[192:193], v[2:3]
	v_div_scale_f64 v[194:195], vcc, 1.0, v[190:191], 1.0
	v_fma_f64 v[196:197], -v[2:3], v[192:193], 1.0
	v_fmac_f64_e32 v[192:193], v[192:193], v[196:197]
	v_fma_f64 v[196:197], -v[2:3], v[192:193], 1.0
	v_fmac_f64_e32 v[192:193], v[192:193], v[196:197]
	v_mul_f64 v[196:197], v[194:195], v[192:193]
	v_fma_f64 v[2:3], -v[2:3], v[196:197], v[194:195]
	v_div_fmas_f64 v[2:3], v[2:3], v[192:193], v[196:197]
	v_div_fixup_f64 v[2:3], v[2:3], v[190:191], 1.0
	ds_write_b64 v216, v[2:3]
.LBB93_54:
	s_or_b64 exec, exec, s[2:3]
	s_waitcnt lgkmcnt(0)
	s_barrier
	ds_read_b64 v[38:39], v216
	v_cmp_lt_u32_e32 vcc, 10, v218
	s_and_saveexec_b64 s[2:3], vcc
	s_cbranch_execz .LBB93_56
; %bb.55:
	ds_read2_b64 v[190:193], v217 offset0:11 offset1:12
	ds_read2_b64 v[194:197], v217 offset0:13 offset1:14
	;; [unrolled: 1-line block ×3, first 2 shown]
	s_waitcnt lgkmcnt(3)
	v_mul_f64 v[178:179], v[38:39], v[178:179]
	s_waitcnt lgkmcnt(2)
	v_fma_f64 v[132:133], -v[178:179], v[190:191], v[132:133]
	v_fma_f64 v[176:177], -v[178:179], v[192:193], v[176:177]
	ds_read2_b64 v[190:193], v217 offset0:17 offset1:18
	s_waitcnt lgkmcnt(2)
	v_fma_f64 v[130:131], -v[178:179], v[194:195], v[130:131]
	s_waitcnt vmcnt(62)
	v_fma_f64 v[174:175], -v[178:179], v[196:197], v[174:175]
	s_waitcnt vmcnt(59) lgkmcnt(1)
	v_fma_f64 v[128:129], -v[178:179], v[198:199], v[128:129]
	ds_read2_b64 v[194:197], v217 offset0:19 offset1:20
	s_waitcnt vmcnt(56)
	v_fma_f64 v[172:173], -v[178:179], v[200:201], v[172:173]
	ds_read2_b64 v[198:201], v217 offset0:21 offset1:22
	s_waitcnt vmcnt(53) lgkmcnt(2)
	v_fma_f64 v[126:127], -v[178:179], v[190:191], v[126:127]
	s_waitcnt vmcnt(50)
	v_fma_f64 v[170:171], -v[178:179], v[192:193], v[170:171]
	s_waitcnt vmcnt(47) lgkmcnt(1)
	v_fma_f64 v[124:125], -v[178:179], v[194:195], v[124:125]
	ds_read2_b64 v[190:193], v217 offset0:23 offset1:24
	s_waitcnt vmcnt(44)
	v_fma_f64 v[168:169], -v[178:179], v[196:197], v[168:169]
	ds_read2_b64 v[194:197], v217 offset0:25 offset1:26
	s_waitcnt vmcnt(41) lgkmcnt(2)
	v_fma_f64 v[122:123], -v[178:179], v[198:199], v[122:123]
	s_waitcnt vmcnt(38)
	v_fma_f64 v[166:167], -v[178:179], v[200:201], v[166:167]
	ds_read2_b64 v[198:201], v217 offset0:27 offset1:28
	s_waitcnt vmcnt(35) lgkmcnt(2)
	v_fma_f64 v[120:121], -v[178:179], v[190:191], v[120:121]
	;; [unrolled: 5-line block ×3, first 2 shown]
	s_waitcnt vmcnt(26)
	v_fma_f64 v[162:163], -v[178:179], v[196:197], v[162:163]
	s_waitcnt vmcnt(23) lgkmcnt(1)
	v_fma_f64 v[116:117], -v[178:179], v[198:199], v[116:117]
	ds_read2_b64 v[194:197], v217 offset0:31 offset1:32
	s_waitcnt vmcnt(20)
	v_fma_f64 v[160:161], -v[178:179], v[200:201], v[160:161]
	ds_read2_b64 v[198:201], v217 offset0:33 offset1:34
	s_waitcnt vmcnt(17) lgkmcnt(2)
	v_fma_f64 v[114:115], -v[178:179], v[190:191], v[114:115]
	s_waitcnt vmcnt(16)
	v_fma_f64 v[158:159], -v[178:179], v[192:193], v[158:159]
	s_waitcnt vmcnt(15) lgkmcnt(1)
	v_fma_f64 v[112:113], -v[178:179], v[194:195], v[112:113]
	ds_read2_b64 v[190:193], v217 offset0:35 offset1:36
	s_waitcnt vmcnt(14)
	v_fma_f64 v[156:157], -v[178:179], v[196:197], v[156:157]
	ds_read2_b64 v[194:197], v217 offset0:37 offset1:38
	s_waitcnt vmcnt(13) lgkmcnt(2)
	v_fma_f64 v[110:111], -v[178:179], v[198:199], v[110:111]
	s_waitcnt vmcnt(12)
	v_fma_f64 v[154:155], -v[178:179], v[200:201], v[154:155]
	ds_read2_b64 v[198:201], v217 offset0:39 offset1:40
	s_waitcnt vmcnt(11) lgkmcnt(2)
	v_fma_f64 v[108:109], -v[178:179], v[190:191], v[108:109]
	;; [unrolled: 5-line block ×3, first 2 shown]
	s_waitcnt vmcnt(8)
	v_fma_f64 v[150:151], -v[178:179], v[196:197], v[150:151]
	s_waitcnt vmcnt(7) lgkmcnt(1)
	v_fma_f64 v[104:105], -v[178:179], v[198:199], v[104:105]
	ds_read2_b64 v[194:197], v217 offset0:43 offset1:44
	s_waitcnt vmcnt(6)
	v_fma_f64 v[148:149], -v[178:179], v[200:201], v[148:149]
	ds_read2_b64 v[198:201], v217 offset0:45 offset1:46
	s_waitcnt vmcnt(5) lgkmcnt(2)
	v_fma_f64 v[102:103], -v[178:179], v[190:191], v[102:103]
	s_waitcnt vmcnt(4)
	v_fma_f64 v[146:147], -v[178:179], v[192:193], v[146:147]
	s_waitcnt vmcnt(3) lgkmcnt(1)
	v_fma_f64 v[100:101], -v[178:179], v[194:195], v[100:101]
	s_waitcnt vmcnt(2)
	v_fma_f64 v[144:145], -v[178:179], v[196:197], v[144:145]
	;; [unrolled: 4-line block ×3, first 2 shown]
.LBB93_56:
	s_or_b64 exec, exec, s[2:3]
	v_cmp_eq_u32_e32 vcc, 11, v218
	s_waitcnt lgkmcnt(0)
	s_barrier
	s_and_saveexec_b64 s[2:3], vcc
	s_cbranch_execz .LBB93_59
; %bb.57:
	v_mov_b32_e32 v2, v176
	v_mov_b32_e32 v3, v177
	;; [unrolled: 1-line block ×4, first 2 shown]
	ds_write_b64 v216, v[132:133]
	ds_write2_b64 v217, v[2:3], v[190:191] offset0:12 offset1:13
	s_waitcnt vmcnt(62)
	v_mov_b32_e32 v2, v174
	v_mov_b32_e32 v3, v175
	s_waitcnt vmcnt(59)
	v_mov_b32_e32 v190, v128
	v_mov_b32_e32 v191, v129
	ds_write2_b64 v217, v[2:3], v[190:191] offset0:14 offset1:15
	s_waitcnt vmcnt(56)
	v_mov_b32_e32 v2, v172
	v_mov_b32_e32 v3, v173
	s_waitcnt vmcnt(53)
	v_mov_b32_e32 v190, v126
	v_mov_b32_e32 v191, v127
	;; [unrolled: 7-line block ×16, first 2 shown]
	ds_write2_b64 v217, v[2:3], v[190:191] offset0:44 offset1:45
	s_waitcnt vmcnt(0)
	ds_write_b64 v217, v[188:189] offset:368
	ds_read_b64 v[190:191], v216
	s_waitcnt lgkmcnt(0)
	v_cmp_neq_f64_e32 vcc, 0, v[190:191]
	s_and_b64 exec, exec, vcc
	s_cbranch_execz .LBB93_59
; %bb.58:
	v_div_scale_f64 v[2:3], s[6:7], v[190:191], v[190:191], 1.0
	v_rcp_f64_e32 v[192:193], v[2:3]
	v_div_scale_f64 v[194:195], vcc, 1.0, v[190:191], 1.0
	v_fma_f64 v[196:197], -v[2:3], v[192:193], 1.0
	v_fmac_f64_e32 v[192:193], v[192:193], v[196:197]
	v_fma_f64 v[196:197], -v[2:3], v[192:193], 1.0
	v_fmac_f64_e32 v[192:193], v[192:193], v[196:197]
	v_mul_f64 v[196:197], v[194:195], v[192:193]
	v_fma_f64 v[2:3], -v[2:3], v[196:197], v[194:195]
	v_div_fmas_f64 v[2:3], v[2:3], v[192:193], v[196:197]
	v_div_fixup_f64 v[2:3], v[2:3], v[190:191], 1.0
	ds_write_b64 v216, v[2:3]
.LBB93_59:
	s_or_b64 exec, exec, s[2:3]
	s_waitcnt lgkmcnt(0)
	s_barrier
	ds_read_b64 v[40:41], v216
	v_cmp_lt_u32_e32 vcc, 11, v218
	s_and_saveexec_b64 s[2:3], vcc
	s_cbranch_execz .LBB93_61
; %bb.60:
	ds_read2_b64 v[190:193], v217 offset0:12 offset1:13
	ds_read2_b64 v[194:197], v217 offset0:14 offset1:15
	s_waitcnt lgkmcnt(2)
	v_mul_f64 v[132:133], v[40:41], v[132:133]
	ds_read2_b64 v[198:201], v217 offset0:16 offset1:17
	ds_read_b64 v[2:3], v217 offset:368
	s_waitcnt lgkmcnt(3)
	v_fma_f64 v[176:177], -v[132:133], v[190:191], v[176:177]
	v_fma_f64 v[130:131], -v[132:133], v[192:193], v[130:131]
	ds_read2_b64 v[190:193], v217 offset0:18 offset1:19
	s_waitcnt vmcnt(62) lgkmcnt(3)
	v_fma_f64 v[174:175], -v[132:133], v[194:195], v[174:175]
	s_waitcnt vmcnt(59)
	v_fma_f64 v[128:129], -v[132:133], v[196:197], v[128:129]
	ds_read2_b64 v[194:197], v217 offset0:20 offset1:21
	s_waitcnt vmcnt(56) lgkmcnt(3)
	v_fma_f64 v[172:173], -v[132:133], v[198:199], v[172:173]
	s_waitcnt vmcnt(53)
	;; [unrolled: 5-line block ×3, first 2 shown]
	v_fma_f64 v[124:125], -v[132:133], v[192:193], v[124:125]
	s_waitcnt vmcnt(44) lgkmcnt(1)
	v_fma_f64 v[168:169], -v[132:133], v[194:195], v[168:169]
	ds_read2_b64 v[190:193], v217 offset0:24 offset1:25
	s_waitcnt vmcnt(41)
	v_fma_f64 v[122:123], -v[132:133], v[196:197], v[122:123]
	ds_read2_b64 v[194:197], v217 offset0:26 offset1:27
	s_waitcnt vmcnt(38) lgkmcnt(2)
	v_fma_f64 v[166:167], -v[132:133], v[198:199], v[166:167]
	s_waitcnt vmcnt(35)
	v_fma_f64 v[120:121], -v[132:133], v[200:201], v[120:121]
	s_waitcnt vmcnt(32) lgkmcnt(1)
	v_fma_f64 v[164:165], -v[132:133], v[190:191], v[164:165]
	ds_read2_b64 v[198:201], v217 offset0:28 offset1:29
	s_waitcnt vmcnt(29)
	v_fma_f64 v[118:119], -v[132:133], v[192:193], v[118:119]
	ds_read2_b64 v[190:193], v217 offset0:30 offset1:31
	s_waitcnt vmcnt(26) lgkmcnt(2)
	v_fma_f64 v[162:163], -v[132:133], v[194:195], v[162:163]
	s_waitcnt vmcnt(23)
	v_fma_f64 v[116:117], -v[132:133], v[196:197], v[116:117]
	ds_read2_b64 v[194:197], v217 offset0:32 offset1:33
	s_waitcnt vmcnt(20) lgkmcnt(2)
	v_fma_f64 v[160:161], -v[132:133], v[198:199], v[160:161]
	;; [unrolled: 5-line block ×3, first 2 shown]
	s_waitcnt vmcnt(15)
	v_fma_f64 v[112:113], -v[132:133], v[192:193], v[112:113]
	s_waitcnt vmcnt(14) lgkmcnt(1)
	v_fma_f64 v[156:157], -v[132:133], v[194:195], v[156:157]
	ds_read2_b64 v[190:193], v217 offset0:36 offset1:37
	s_waitcnt vmcnt(13)
	v_fma_f64 v[110:111], -v[132:133], v[196:197], v[110:111]
	ds_read2_b64 v[194:197], v217 offset0:38 offset1:39
	s_waitcnt vmcnt(12) lgkmcnt(2)
	v_fma_f64 v[154:155], -v[132:133], v[198:199], v[154:155]
	s_waitcnt vmcnt(11)
	v_fma_f64 v[108:109], -v[132:133], v[200:201], v[108:109]
	s_waitcnt vmcnt(10) lgkmcnt(1)
	v_fma_f64 v[152:153], -v[132:133], v[190:191], v[152:153]
	ds_read2_b64 v[198:201], v217 offset0:40 offset1:41
	s_waitcnt vmcnt(9)
	v_fma_f64 v[106:107], -v[132:133], v[192:193], v[106:107]
	ds_read2_b64 v[190:193], v217 offset0:42 offset1:43
	s_waitcnt vmcnt(8) lgkmcnt(2)
	v_fma_f64 v[150:151], -v[132:133], v[194:195], v[150:151]
	s_waitcnt vmcnt(7)
	v_fma_f64 v[104:105], -v[132:133], v[196:197], v[104:105]
	ds_read2_b64 v[194:197], v217 offset0:44 offset1:45
	s_waitcnt vmcnt(6) lgkmcnt(2)
	v_fma_f64 v[148:149], -v[132:133], v[198:199], v[148:149]
	s_waitcnt vmcnt(5)
	v_fma_f64 v[102:103], -v[132:133], v[200:201], v[102:103]
	s_waitcnt vmcnt(4) lgkmcnt(1)
	v_fma_f64 v[146:147], -v[132:133], v[190:191], v[146:147]
	s_waitcnt vmcnt(3)
	v_fma_f64 v[100:101], -v[132:133], v[192:193], v[100:101]
	s_waitcnt vmcnt(2) lgkmcnt(0)
	v_fma_f64 v[144:145], -v[132:133], v[194:195], v[144:145]
	s_waitcnt vmcnt(1)
	v_fma_f64 v[98:99], -v[132:133], v[196:197], v[98:99]
	s_waitcnt vmcnt(0)
	v_fma_f64 v[188:189], -v[132:133], v[2:3], v[188:189]
.LBB93_61:
	s_or_b64 exec, exec, s[2:3]
	v_cmp_eq_u32_e32 vcc, 12, v218
	s_waitcnt lgkmcnt(0)
	s_barrier
	s_and_saveexec_b64 s[2:3], vcc
	s_cbranch_execz .LBB93_64
; %bb.62:
	ds_write_b64 v216, v[176:177]
	s_waitcnt vmcnt(62)
	ds_write2_b64 v217, v[130:131], v[174:175] offset0:13 offset1:14
	s_waitcnt vmcnt(56)
	ds_write2_b64 v217, v[128:129], v[172:173] offset0:15 offset1:16
	;; [unrolled: 2-line block ×17, first 2 shown]
	ds_read_b64 v[190:191], v216
	s_waitcnt lgkmcnt(0)
	v_cmp_neq_f64_e32 vcc, 0, v[190:191]
	s_and_b64 exec, exec, vcc
	s_cbranch_execz .LBB93_64
; %bb.63:
	v_div_scale_f64 v[2:3], s[6:7], v[190:191], v[190:191], 1.0
	v_rcp_f64_e32 v[192:193], v[2:3]
	v_div_scale_f64 v[194:195], vcc, 1.0, v[190:191], 1.0
	v_fma_f64 v[196:197], -v[2:3], v[192:193], 1.0
	v_fmac_f64_e32 v[192:193], v[192:193], v[196:197]
	v_fma_f64 v[196:197], -v[2:3], v[192:193], 1.0
	v_fmac_f64_e32 v[192:193], v[192:193], v[196:197]
	v_mul_f64 v[196:197], v[194:195], v[192:193]
	v_fma_f64 v[2:3], -v[2:3], v[196:197], v[194:195]
	v_div_fmas_f64 v[2:3], v[2:3], v[192:193], v[196:197]
	v_div_fixup_f64 v[2:3], v[2:3], v[190:191], 1.0
	ds_write_b64 v216, v[2:3]
.LBB93_64:
	s_or_b64 exec, exec, s[2:3]
	s_waitcnt lgkmcnt(0)
	s_barrier
	ds_read_b64 v[42:43], v216
	v_cmp_lt_u32_e32 vcc, 12, v218
	s_and_saveexec_b64 s[2:3], vcc
	s_cbranch_execz .LBB93_66
; %bb.65:
	ds_read2_b64 v[190:193], v217 offset0:13 offset1:14
	ds_read2_b64 v[194:197], v217 offset0:15 offset1:16
	s_waitcnt lgkmcnt(2)
	v_mul_f64 v[176:177], v[42:43], v[176:177]
	ds_read2_b64 v[198:201], v217 offset0:17 offset1:18
	s_waitcnt lgkmcnt(2)
	v_fma_f64 v[130:131], -v[176:177], v[190:191], v[130:131]
	s_waitcnt vmcnt(62)
	v_fma_f64 v[174:175], -v[176:177], v[192:193], v[174:175]
	ds_read2_b64 v[190:193], v217 offset0:19 offset1:20
	s_waitcnt vmcnt(59) lgkmcnt(2)
	v_fma_f64 v[128:129], -v[176:177], v[194:195], v[128:129]
	s_waitcnt vmcnt(56)
	v_fma_f64 v[172:173], -v[176:177], v[196:197], v[172:173]
	ds_read2_b64 v[194:197], v217 offset0:21 offset1:22
	s_waitcnt vmcnt(53) lgkmcnt(2)
	;; [unrolled: 5-line block ×3, first 2 shown]
	v_fma_f64 v[124:125], -v[176:177], v[190:191], v[124:125]
	s_waitcnt vmcnt(44)
	v_fma_f64 v[168:169], -v[176:177], v[192:193], v[168:169]
	s_waitcnt vmcnt(41) lgkmcnt(1)
	v_fma_f64 v[122:123], -v[176:177], v[194:195], v[122:123]
	ds_read2_b64 v[190:193], v217 offset0:25 offset1:26
	s_waitcnt vmcnt(38)
	v_fma_f64 v[166:167], -v[176:177], v[196:197], v[166:167]
	ds_read2_b64 v[194:197], v217 offset0:27 offset1:28
	s_waitcnt vmcnt(35) lgkmcnt(2)
	v_fma_f64 v[120:121], -v[176:177], v[198:199], v[120:121]
	s_waitcnt vmcnt(32)
	v_fma_f64 v[164:165], -v[176:177], v[200:201], v[164:165]
	s_waitcnt vmcnt(29) lgkmcnt(1)
	v_fma_f64 v[118:119], -v[176:177], v[190:191], v[118:119]
	ds_read2_b64 v[198:201], v217 offset0:29 offset1:30
	s_waitcnt vmcnt(26)
	v_fma_f64 v[162:163], -v[176:177], v[192:193], v[162:163]
	ds_read2_b64 v[190:193], v217 offset0:31 offset1:32
	s_waitcnt vmcnt(23) lgkmcnt(2)
	v_fma_f64 v[116:117], -v[176:177], v[194:195], v[116:117]
	s_waitcnt vmcnt(20)
	v_fma_f64 v[160:161], -v[176:177], v[196:197], v[160:161]
	ds_read2_b64 v[194:197], v217 offset0:33 offset1:34
	s_waitcnt vmcnt(17) lgkmcnt(2)
	v_fma_f64 v[114:115], -v[176:177], v[198:199], v[114:115]
	;; [unrolled: 5-line block ×3, first 2 shown]
	s_waitcnt vmcnt(14)
	v_fma_f64 v[156:157], -v[176:177], v[192:193], v[156:157]
	s_waitcnt vmcnt(13) lgkmcnt(1)
	v_fma_f64 v[110:111], -v[176:177], v[194:195], v[110:111]
	ds_read2_b64 v[190:193], v217 offset0:37 offset1:38
	s_waitcnt vmcnt(12)
	v_fma_f64 v[154:155], -v[176:177], v[196:197], v[154:155]
	ds_read2_b64 v[194:197], v217 offset0:39 offset1:40
	s_waitcnt vmcnt(11) lgkmcnt(2)
	v_fma_f64 v[108:109], -v[176:177], v[198:199], v[108:109]
	s_waitcnt vmcnt(10)
	v_fma_f64 v[152:153], -v[176:177], v[200:201], v[152:153]
	s_waitcnt vmcnt(9) lgkmcnt(1)
	v_fma_f64 v[106:107], -v[176:177], v[190:191], v[106:107]
	s_waitcnt vmcnt(8)
	v_fma_f64 v[150:151], -v[176:177], v[192:193], v[150:151]
	ds_read2_b64 v[190:193], v217 offset0:41 offset1:42
	ds_read2_b64 v[198:201], v217 offset0:43 offset1:44
	s_waitcnt vmcnt(7) lgkmcnt(2)
	v_fma_f64 v[104:105], -v[176:177], v[194:195], v[104:105]
	s_waitcnt vmcnt(6)
	v_fma_f64 v[148:149], -v[176:177], v[196:197], v[148:149]
	ds_read2_b64 v[194:197], v217 offset0:45 offset1:46
	s_waitcnt vmcnt(5) lgkmcnt(2)
	v_fma_f64 v[102:103], -v[176:177], v[190:191], v[102:103]
	s_waitcnt vmcnt(4)
	v_fma_f64 v[146:147], -v[176:177], v[192:193], v[146:147]
	s_waitcnt vmcnt(3) lgkmcnt(1)
	v_fma_f64 v[100:101], -v[176:177], v[198:199], v[100:101]
	s_waitcnt vmcnt(2)
	v_fma_f64 v[144:145], -v[176:177], v[200:201], v[144:145]
	;; [unrolled: 4-line block ×3, first 2 shown]
.LBB93_66:
	s_or_b64 exec, exec, s[2:3]
	v_cmp_eq_u32_e32 vcc, 13, v218
	s_waitcnt lgkmcnt(0)
	s_barrier
	s_and_saveexec_b64 s[2:3], vcc
	s_cbranch_execz .LBB93_69
; %bb.67:
	s_waitcnt vmcnt(62)
	v_mov_b32_e32 v2, v174
	v_mov_b32_e32 v3, v175
	s_waitcnt vmcnt(59)
	v_mov_b32_e32 v190, v128
	v_mov_b32_e32 v191, v129
	ds_write_b64 v216, v[130:131]
	ds_write2_b64 v217, v[2:3], v[190:191] offset0:14 offset1:15
	s_waitcnt vmcnt(56)
	v_mov_b32_e32 v2, v172
	v_mov_b32_e32 v3, v173
	s_waitcnt vmcnt(53)
	v_mov_b32_e32 v190, v126
	v_mov_b32_e32 v191, v127
	ds_write2_b64 v217, v[2:3], v[190:191] offset0:16 offset1:17
	s_waitcnt vmcnt(50)
	v_mov_b32_e32 v2, v170
	v_mov_b32_e32 v3, v171
	s_waitcnt vmcnt(47)
	v_mov_b32_e32 v190, v124
	v_mov_b32_e32 v191, v125
	ds_write2_b64 v217, v[2:3], v[190:191] offset0:18 offset1:19
	s_waitcnt vmcnt(44)
	v_mov_b32_e32 v2, v168
	v_mov_b32_e32 v3, v169
	s_waitcnt vmcnt(41)
	v_mov_b32_e32 v190, v122
	v_mov_b32_e32 v191, v123
	ds_write2_b64 v217, v[2:3], v[190:191] offset0:20 offset1:21
	s_waitcnt vmcnt(38)
	v_mov_b32_e32 v2, v166
	v_mov_b32_e32 v3, v167
	s_waitcnt vmcnt(35)
	v_mov_b32_e32 v190, v120
	v_mov_b32_e32 v191, v121
	ds_write2_b64 v217, v[2:3], v[190:191] offset0:22 offset1:23
	s_waitcnt vmcnt(32)
	v_mov_b32_e32 v2, v164
	v_mov_b32_e32 v3, v165
	s_waitcnt vmcnt(29)
	v_mov_b32_e32 v190, v118
	v_mov_b32_e32 v191, v119
	ds_write2_b64 v217, v[2:3], v[190:191] offset0:24 offset1:25
	s_waitcnt vmcnt(26)
	v_mov_b32_e32 v2, v162
	v_mov_b32_e32 v3, v163
	s_waitcnt vmcnt(23)
	v_mov_b32_e32 v190, v116
	v_mov_b32_e32 v191, v117
	ds_write2_b64 v217, v[2:3], v[190:191] offset0:26 offset1:27
	s_waitcnt vmcnt(20)
	v_mov_b32_e32 v2, v160
	v_mov_b32_e32 v3, v161
	s_waitcnt vmcnt(17)
	v_mov_b32_e32 v190, v114
	v_mov_b32_e32 v191, v115
	ds_write2_b64 v217, v[2:3], v[190:191] offset0:28 offset1:29
	s_waitcnt vmcnt(16)
	v_mov_b32_e32 v2, v158
	v_mov_b32_e32 v3, v159
	s_waitcnt vmcnt(15)
	v_mov_b32_e32 v190, v112
	v_mov_b32_e32 v191, v113
	ds_write2_b64 v217, v[2:3], v[190:191] offset0:30 offset1:31
	s_waitcnt vmcnt(14)
	v_mov_b32_e32 v2, v156
	v_mov_b32_e32 v3, v157
	s_waitcnt vmcnt(13)
	v_mov_b32_e32 v190, v110
	v_mov_b32_e32 v191, v111
	ds_write2_b64 v217, v[2:3], v[190:191] offset0:32 offset1:33
	s_waitcnt vmcnt(12)
	v_mov_b32_e32 v2, v154
	v_mov_b32_e32 v3, v155
	s_waitcnt vmcnt(11)
	v_mov_b32_e32 v190, v108
	v_mov_b32_e32 v191, v109
	ds_write2_b64 v217, v[2:3], v[190:191] offset0:34 offset1:35
	s_waitcnt vmcnt(10)
	v_mov_b32_e32 v2, v152
	v_mov_b32_e32 v3, v153
	s_waitcnt vmcnt(9)
	v_mov_b32_e32 v190, v106
	v_mov_b32_e32 v191, v107
	ds_write2_b64 v217, v[2:3], v[190:191] offset0:36 offset1:37
	s_waitcnt vmcnt(8)
	v_mov_b32_e32 v2, v150
	v_mov_b32_e32 v3, v151
	s_waitcnt vmcnt(7)
	v_mov_b32_e32 v190, v104
	v_mov_b32_e32 v191, v105
	ds_write2_b64 v217, v[2:3], v[190:191] offset0:38 offset1:39
	s_waitcnt vmcnt(6)
	v_mov_b32_e32 v2, v148
	v_mov_b32_e32 v3, v149
	s_waitcnt vmcnt(5)
	v_mov_b32_e32 v190, v102
	v_mov_b32_e32 v191, v103
	ds_write2_b64 v217, v[2:3], v[190:191] offset0:40 offset1:41
	s_waitcnt vmcnt(4)
	v_mov_b32_e32 v2, v146
	v_mov_b32_e32 v3, v147
	s_waitcnt vmcnt(3)
	v_mov_b32_e32 v190, v100
	v_mov_b32_e32 v191, v101
	ds_write2_b64 v217, v[2:3], v[190:191] offset0:42 offset1:43
	s_waitcnt vmcnt(2)
	v_mov_b32_e32 v2, v144
	v_mov_b32_e32 v3, v145
	s_waitcnt vmcnt(1)
	v_mov_b32_e32 v190, v98
	v_mov_b32_e32 v191, v99
	ds_write2_b64 v217, v[2:3], v[190:191] offset0:44 offset1:45
	s_waitcnt vmcnt(0)
	ds_write_b64 v217, v[188:189] offset:368
	ds_read_b64 v[190:191], v216
	s_waitcnt lgkmcnt(0)
	v_cmp_neq_f64_e32 vcc, 0, v[190:191]
	s_and_b64 exec, exec, vcc
	s_cbranch_execz .LBB93_69
; %bb.68:
	v_div_scale_f64 v[2:3], s[6:7], v[190:191], v[190:191], 1.0
	v_rcp_f64_e32 v[192:193], v[2:3]
	v_div_scale_f64 v[194:195], vcc, 1.0, v[190:191], 1.0
	v_fma_f64 v[196:197], -v[2:3], v[192:193], 1.0
	v_fmac_f64_e32 v[192:193], v[192:193], v[196:197]
	v_fma_f64 v[196:197], -v[2:3], v[192:193], 1.0
	v_fmac_f64_e32 v[192:193], v[192:193], v[196:197]
	v_mul_f64 v[196:197], v[194:195], v[192:193]
	v_fma_f64 v[2:3], -v[2:3], v[196:197], v[194:195]
	v_div_fmas_f64 v[2:3], v[2:3], v[192:193], v[196:197]
	v_div_fixup_f64 v[2:3], v[2:3], v[190:191], 1.0
	ds_write_b64 v216, v[2:3]
.LBB93_69:
	s_or_b64 exec, exec, s[2:3]
	s_waitcnt lgkmcnt(0)
	s_barrier
	ds_read_b64 v[44:45], v216
	v_cmp_lt_u32_e32 vcc, 13, v218
	s_and_saveexec_b64 s[2:3], vcc
	s_cbranch_execz .LBB93_71
; %bb.70:
	ds_read2_b64 v[190:193], v217 offset0:14 offset1:15
	ds_read2_b64 v[194:197], v217 offset0:16 offset1:17
	s_waitcnt lgkmcnt(2)
	v_mul_f64 v[130:131], v[44:45], v[130:131]
	ds_read2_b64 v[198:201], v217 offset0:18 offset1:19
	ds_read_b64 v[2:3], v217 offset:368
	s_waitcnt vmcnt(62) lgkmcnt(3)
	v_fma_f64 v[174:175], -v[130:131], v[190:191], v[174:175]
	s_waitcnt vmcnt(59)
	v_fma_f64 v[128:129], -v[130:131], v[192:193], v[128:129]
	ds_read2_b64 v[190:193], v217 offset0:20 offset1:21
	s_waitcnt vmcnt(56) lgkmcnt(3)
	v_fma_f64 v[172:173], -v[130:131], v[194:195], v[172:173]
	s_waitcnt vmcnt(53)
	v_fma_f64 v[126:127], -v[130:131], v[196:197], v[126:127]
	s_waitcnt vmcnt(50) lgkmcnt(2)
	v_fma_f64 v[170:171], -v[130:131], v[198:199], v[170:171]
	ds_read2_b64 v[194:197], v217 offset0:22 offset1:23
	s_waitcnt vmcnt(47)
	v_fma_f64 v[124:125], -v[130:131], v[200:201], v[124:125]
	ds_read2_b64 v[198:201], v217 offset0:24 offset1:25
	s_waitcnt vmcnt(44) lgkmcnt(2)
	v_fma_f64 v[168:169], -v[130:131], v[190:191], v[168:169]
	s_waitcnt vmcnt(41)
	v_fma_f64 v[122:123], -v[130:131], v[192:193], v[122:123]
	ds_read2_b64 v[190:193], v217 offset0:26 offset1:27
	s_waitcnt vmcnt(38) lgkmcnt(2)
	v_fma_f64 v[166:167], -v[130:131], v[194:195], v[166:167]
	s_waitcnt vmcnt(35)
	v_fma_f64 v[120:121], -v[130:131], v[196:197], v[120:121]
	ds_read2_b64 v[194:197], v217 offset0:28 offset1:29
	s_waitcnt vmcnt(32) lgkmcnt(2)
	v_fma_f64 v[164:165], -v[130:131], v[198:199], v[164:165]
	s_waitcnt vmcnt(29)
	v_fma_f64 v[118:119], -v[130:131], v[200:201], v[118:119]
	s_waitcnt vmcnt(26) lgkmcnt(1)
	v_fma_f64 v[162:163], -v[130:131], v[190:191], v[162:163]
	ds_read2_b64 v[198:201], v217 offset0:30 offset1:31
	s_waitcnt vmcnt(23)
	v_fma_f64 v[116:117], -v[130:131], v[192:193], v[116:117]
	ds_read2_b64 v[190:193], v217 offset0:32 offset1:33
	s_waitcnt vmcnt(20) lgkmcnt(2)
	v_fma_f64 v[160:161], -v[130:131], v[194:195], v[160:161]
	s_waitcnt vmcnt(17)
	v_fma_f64 v[114:115], -v[130:131], v[196:197], v[114:115]
	s_waitcnt vmcnt(16) lgkmcnt(1)
	v_fma_f64 v[158:159], -v[130:131], v[198:199], v[158:159]
	ds_read2_b64 v[194:197], v217 offset0:34 offset1:35
	s_waitcnt vmcnt(15)
	v_fma_f64 v[112:113], -v[130:131], v[200:201], v[112:113]
	ds_read2_b64 v[198:201], v217 offset0:36 offset1:37
	s_waitcnt vmcnt(14) lgkmcnt(2)
	v_fma_f64 v[156:157], -v[130:131], v[190:191], v[156:157]
	s_waitcnt vmcnt(13)
	v_fma_f64 v[110:111], -v[130:131], v[192:193], v[110:111]
	ds_read2_b64 v[190:193], v217 offset0:38 offset1:39
	s_waitcnt vmcnt(12) lgkmcnt(2)
	v_fma_f64 v[154:155], -v[130:131], v[194:195], v[154:155]
	;; [unrolled: 5-line block ×3, first 2 shown]
	s_waitcnt vmcnt(9)
	v_fma_f64 v[106:107], -v[130:131], v[200:201], v[106:107]
	s_waitcnt vmcnt(8) lgkmcnt(1)
	v_fma_f64 v[150:151], -v[130:131], v[190:191], v[150:151]
	s_waitcnt vmcnt(7)
	v_fma_f64 v[104:105], -v[130:131], v[192:193], v[104:105]
	ds_read2_b64 v[190:193], v217 offset0:42 offset1:43
	ds_read2_b64 v[198:201], v217 offset0:44 offset1:45
	s_waitcnt vmcnt(6) lgkmcnt(2)
	v_fma_f64 v[148:149], -v[130:131], v[194:195], v[148:149]
	s_waitcnt vmcnt(5)
	v_fma_f64 v[102:103], -v[130:131], v[196:197], v[102:103]
	s_waitcnt vmcnt(0)
	v_fma_f64 v[188:189], -v[130:131], v[2:3], v[188:189]
	s_waitcnt lgkmcnt(1)
	v_fma_f64 v[146:147], -v[130:131], v[190:191], v[146:147]
	v_fma_f64 v[100:101], -v[130:131], v[192:193], v[100:101]
	s_waitcnt lgkmcnt(0)
	v_fma_f64 v[144:145], -v[130:131], v[198:199], v[144:145]
	v_fma_f64 v[98:99], -v[130:131], v[200:201], v[98:99]
.LBB93_71:
	s_or_b64 exec, exec, s[2:3]
	v_cmp_eq_u32_e32 vcc, 14, v218
	s_waitcnt lgkmcnt(0)
	s_barrier
	s_and_saveexec_b64 s[2:3], vcc
	s_cbranch_execz .LBB93_74
; %bb.72:
	s_waitcnt vmcnt(62)
	ds_write_b64 v216, v[174:175]
	s_waitcnt vmcnt(56)
	ds_write2_b64 v217, v[128:129], v[172:173] offset0:15 offset1:16
	s_waitcnt vmcnt(50)
	ds_write2_b64 v217, v[126:127], v[170:171] offset0:17 offset1:18
	s_waitcnt vmcnt(44)
	ds_write2_b64 v217, v[124:125], v[168:169] offset0:19 offset1:20
	s_waitcnt vmcnt(38)
	ds_write2_b64 v217, v[122:123], v[166:167] offset0:21 offset1:22
	s_waitcnt vmcnt(32)
	ds_write2_b64 v217, v[120:121], v[164:165] offset0:23 offset1:24
	s_waitcnt vmcnt(26)
	ds_write2_b64 v217, v[118:119], v[162:163] offset0:25 offset1:26
	s_waitcnt vmcnt(20)
	ds_write2_b64 v217, v[116:117], v[160:161] offset0:27 offset1:28
	s_waitcnt vmcnt(16)
	ds_write2_b64 v217, v[114:115], v[158:159] offset0:29 offset1:30
	s_waitcnt vmcnt(14)
	ds_write2_b64 v217, v[112:113], v[156:157] offset0:31 offset1:32
	s_waitcnt vmcnt(12)
	ds_write2_b64 v217, v[110:111], v[154:155] offset0:33 offset1:34
	s_waitcnt vmcnt(10)
	ds_write2_b64 v217, v[108:109], v[152:153] offset0:35 offset1:36
	s_waitcnt vmcnt(8)
	ds_write2_b64 v217, v[106:107], v[150:151] offset0:37 offset1:38
	s_waitcnt vmcnt(6)
	ds_write2_b64 v217, v[104:105], v[148:149] offset0:39 offset1:40
	s_waitcnt vmcnt(4)
	ds_write2_b64 v217, v[102:103], v[146:147] offset0:41 offset1:42
	s_waitcnt vmcnt(2)
	ds_write2_b64 v217, v[100:101], v[144:145] offset0:43 offset1:44
	s_waitcnt vmcnt(0)
	ds_write2_b64 v217, v[98:99], v[188:189] offset0:45 offset1:46
	ds_read_b64 v[190:191], v216
	s_waitcnt lgkmcnt(0)
	v_cmp_neq_f64_e32 vcc, 0, v[190:191]
	s_and_b64 exec, exec, vcc
	s_cbranch_execz .LBB93_74
; %bb.73:
	v_div_scale_f64 v[2:3], s[6:7], v[190:191], v[190:191], 1.0
	v_rcp_f64_e32 v[192:193], v[2:3]
	v_div_scale_f64 v[194:195], vcc, 1.0, v[190:191], 1.0
	v_fma_f64 v[196:197], -v[2:3], v[192:193], 1.0
	v_fmac_f64_e32 v[192:193], v[192:193], v[196:197]
	v_fma_f64 v[196:197], -v[2:3], v[192:193], 1.0
	v_fmac_f64_e32 v[192:193], v[192:193], v[196:197]
	v_mul_f64 v[196:197], v[194:195], v[192:193]
	v_fma_f64 v[2:3], -v[2:3], v[196:197], v[194:195]
	v_div_fmas_f64 v[2:3], v[2:3], v[192:193], v[196:197]
	v_div_fixup_f64 v[2:3], v[2:3], v[190:191], 1.0
	ds_write_b64 v216, v[2:3]
.LBB93_74:
	s_or_b64 exec, exec, s[2:3]
	s_waitcnt lgkmcnt(0)
	s_barrier
	ds_read_b64 v[46:47], v216
	v_cmp_lt_u32_e32 vcc, 14, v218
	s_and_saveexec_b64 s[2:3], vcc
	s_cbranch_execz .LBB93_76
; %bb.75:
	ds_read2_b64 v[190:193], v217 offset0:15 offset1:16
	ds_read2_b64 v[194:197], v217 offset0:17 offset1:18
	s_waitcnt vmcnt(62) lgkmcnt(2)
	v_mul_f64 v[174:175], v[46:47], v[174:175]
	ds_read2_b64 v[198:201], v217 offset0:19 offset1:20
	s_waitcnt vmcnt(59) lgkmcnt(2)
	v_fma_f64 v[128:129], -v[174:175], v[190:191], v[128:129]
	s_waitcnt vmcnt(56)
	v_fma_f64 v[172:173], -v[174:175], v[192:193], v[172:173]
	ds_read2_b64 v[190:193], v217 offset0:21 offset1:22
	s_waitcnt vmcnt(53) lgkmcnt(2)
	v_fma_f64 v[126:127], -v[174:175], v[194:195], v[126:127]
	s_waitcnt vmcnt(50)
	v_fma_f64 v[170:171], -v[174:175], v[196:197], v[170:171]
	s_waitcnt vmcnt(47) lgkmcnt(1)
	v_fma_f64 v[124:125], -v[174:175], v[198:199], v[124:125]
	ds_read2_b64 v[194:197], v217 offset0:23 offset1:24
	s_waitcnt vmcnt(44)
	v_fma_f64 v[168:169], -v[174:175], v[200:201], v[168:169]
	ds_read2_b64 v[198:201], v217 offset0:25 offset1:26
	s_waitcnt vmcnt(41) lgkmcnt(2)
	v_fma_f64 v[122:123], -v[174:175], v[190:191], v[122:123]
	s_waitcnt vmcnt(38)
	v_fma_f64 v[166:167], -v[174:175], v[192:193], v[166:167]
	ds_read2_b64 v[190:193], v217 offset0:27 offset1:28
	s_waitcnt vmcnt(35) lgkmcnt(2)
	v_fma_f64 v[120:121], -v[174:175], v[194:195], v[120:121]
	;; [unrolled: 5-line block ×3, first 2 shown]
	s_waitcnt vmcnt(26)
	v_fma_f64 v[162:163], -v[174:175], v[200:201], v[162:163]
	s_waitcnt vmcnt(23) lgkmcnt(1)
	v_fma_f64 v[116:117], -v[174:175], v[190:191], v[116:117]
	ds_read2_b64 v[198:201], v217 offset0:31 offset1:32
	s_waitcnt vmcnt(20)
	v_fma_f64 v[160:161], -v[174:175], v[192:193], v[160:161]
	ds_read2_b64 v[190:193], v217 offset0:33 offset1:34
	s_waitcnt vmcnt(17) lgkmcnt(2)
	v_fma_f64 v[114:115], -v[174:175], v[194:195], v[114:115]
	s_waitcnt vmcnt(16)
	v_fma_f64 v[158:159], -v[174:175], v[196:197], v[158:159]
	s_waitcnt vmcnt(15) lgkmcnt(1)
	v_fma_f64 v[112:113], -v[174:175], v[198:199], v[112:113]
	ds_read2_b64 v[194:197], v217 offset0:35 offset1:36
	s_waitcnt vmcnt(14)
	v_fma_f64 v[156:157], -v[174:175], v[200:201], v[156:157]
	ds_read2_b64 v[198:201], v217 offset0:37 offset1:38
	s_waitcnt vmcnt(13) lgkmcnt(2)
	v_fma_f64 v[110:111], -v[174:175], v[190:191], v[110:111]
	s_waitcnt vmcnt(12)
	v_fma_f64 v[154:155], -v[174:175], v[192:193], v[154:155]
	ds_read2_b64 v[190:193], v217 offset0:39 offset1:40
	s_waitcnt vmcnt(11) lgkmcnt(2)
	v_fma_f64 v[108:109], -v[174:175], v[194:195], v[108:109]
	;; [unrolled: 5-line block ×3, first 2 shown]
	s_waitcnt vmcnt(8)
	v_fma_f64 v[150:151], -v[174:175], v[200:201], v[150:151]
	s_waitcnt vmcnt(7) lgkmcnt(1)
	v_fma_f64 v[104:105], -v[174:175], v[190:191], v[104:105]
	ds_read2_b64 v[198:201], v217 offset0:43 offset1:44
	s_waitcnt vmcnt(6)
	v_fma_f64 v[148:149], -v[174:175], v[192:193], v[148:149]
	ds_read2_b64 v[190:193], v217 offset0:45 offset1:46
	s_waitcnt vmcnt(5) lgkmcnt(2)
	v_fma_f64 v[102:103], -v[174:175], v[194:195], v[102:103]
	s_waitcnt vmcnt(4)
	v_fma_f64 v[146:147], -v[174:175], v[196:197], v[146:147]
	s_waitcnt vmcnt(3) lgkmcnt(1)
	v_fma_f64 v[100:101], -v[174:175], v[198:199], v[100:101]
	s_waitcnt vmcnt(2)
	v_fma_f64 v[144:145], -v[174:175], v[200:201], v[144:145]
	;; [unrolled: 4-line block ×3, first 2 shown]
.LBB93_76:
	s_or_b64 exec, exec, s[2:3]
	v_cmp_eq_u32_e32 vcc, 15, v218
	s_waitcnt lgkmcnt(0)
	s_barrier
	s_and_saveexec_b64 s[2:3], vcc
	s_cbranch_execz .LBB93_79
; %bb.77:
	s_waitcnt vmcnt(56)
	v_mov_b32_e32 v2, v172
	v_mov_b32_e32 v3, v173
	s_waitcnt vmcnt(53)
	v_mov_b32_e32 v190, v126
	v_mov_b32_e32 v191, v127
	ds_write_b64 v216, v[128:129]
	ds_write2_b64 v217, v[2:3], v[190:191] offset0:16 offset1:17
	s_waitcnt vmcnt(50)
	v_mov_b32_e32 v2, v170
	v_mov_b32_e32 v3, v171
	s_waitcnt vmcnt(47)
	v_mov_b32_e32 v190, v124
	v_mov_b32_e32 v191, v125
	ds_write2_b64 v217, v[2:3], v[190:191] offset0:18 offset1:19
	s_waitcnt vmcnt(44)
	v_mov_b32_e32 v2, v168
	v_mov_b32_e32 v3, v169
	s_waitcnt vmcnt(41)
	v_mov_b32_e32 v190, v122
	v_mov_b32_e32 v191, v123
	ds_write2_b64 v217, v[2:3], v[190:191] offset0:20 offset1:21
	s_waitcnt vmcnt(38)
	v_mov_b32_e32 v2, v166
	v_mov_b32_e32 v3, v167
	s_waitcnt vmcnt(35)
	v_mov_b32_e32 v190, v120
	v_mov_b32_e32 v191, v121
	ds_write2_b64 v217, v[2:3], v[190:191] offset0:22 offset1:23
	s_waitcnt vmcnt(32)
	v_mov_b32_e32 v2, v164
	v_mov_b32_e32 v3, v165
	s_waitcnt vmcnt(29)
	v_mov_b32_e32 v190, v118
	v_mov_b32_e32 v191, v119
	ds_write2_b64 v217, v[2:3], v[190:191] offset0:24 offset1:25
	s_waitcnt vmcnt(26)
	v_mov_b32_e32 v2, v162
	v_mov_b32_e32 v3, v163
	s_waitcnt vmcnt(23)
	v_mov_b32_e32 v190, v116
	v_mov_b32_e32 v191, v117
	ds_write2_b64 v217, v[2:3], v[190:191] offset0:26 offset1:27
	s_waitcnt vmcnt(20)
	v_mov_b32_e32 v2, v160
	v_mov_b32_e32 v3, v161
	s_waitcnt vmcnt(17)
	v_mov_b32_e32 v190, v114
	v_mov_b32_e32 v191, v115
	ds_write2_b64 v217, v[2:3], v[190:191] offset0:28 offset1:29
	s_waitcnt vmcnt(16)
	v_mov_b32_e32 v2, v158
	v_mov_b32_e32 v3, v159
	s_waitcnt vmcnt(15)
	v_mov_b32_e32 v190, v112
	v_mov_b32_e32 v191, v113
	ds_write2_b64 v217, v[2:3], v[190:191] offset0:30 offset1:31
	s_waitcnt vmcnt(14)
	v_mov_b32_e32 v2, v156
	v_mov_b32_e32 v3, v157
	s_waitcnt vmcnt(13)
	v_mov_b32_e32 v190, v110
	v_mov_b32_e32 v191, v111
	ds_write2_b64 v217, v[2:3], v[190:191] offset0:32 offset1:33
	s_waitcnt vmcnt(12)
	v_mov_b32_e32 v2, v154
	v_mov_b32_e32 v3, v155
	s_waitcnt vmcnt(11)
	v_mov_b32_e32 v190, v108
	v_mov_b32_e32 v191, v109
	ds_write2_b64 v217, v[2:3], v[190:191] offset0:34 offset1:35
	s_waitcnt vmcnt(10)
	v_mov_b32_e32 v2, v152
	v_mov_b32_e32 v3, v153
	s_waitcnt vmcnt(9)
	v_mov_b32_e32 v190, v106
	v_mov_b32_e32 v191, v107
	ds_write2_b64 v217, v[2:3], v[190:191] offset0:36 offset1:37
	s_waitcnt vmcnt(8)
	v_mov_b32_e32 v2, v150
	v_mov_b32_e32 v3, v151
	s_waitcnt vmcnt(7)
	v_mov_b32_e32 v190, v104
	v_mov_b32_e32 v191, v105
	ds_write2_b64 v217, v[2:3], v[190:191] offset0:38 offset1:39
	s_waitcnt vmcnt(6)
	v_mov_b32_e32 v2, v148
	v_mov_b32_e32 v3, v149
	s_waitcnt vmcnt(5)
	v_mov_b32_e32 v190, v102
	v_mov_b32_e32 v191, v103
	ds_write2_b64 v217, v[2:3], v[190:191] offset0:40 offset1:41
	s_waitcnt vmcnt(4)
	v_mov_b32_e32 v2, v146
	v_mov_b32_e32 v3, v147
	s_waitcnt vmcnt(3)
	v_mov_b32_e32 v190, v100
	v_mov_b32_e32 v191, v101
	ds_write2_b64 v217, v[2:3], v[190:191] offset0:42 offset1:43
	s_waitcnt vmcnt(2)
	v_mov_b32_e32 v2, v144
	v_mov_b32_e32 v3, v145
	s_waitcnt vmcnt(1)
	v_mov_b32_e32 v190, v98
	v_mov_b32_e32 v191, v99
	ds_write2_b64 v217, v[2:3], v[190:191] offset0:44 offset1:45
	s_waitcnt vmcnt(0)
	ds_write_b64 v217, v[188:189] offset:368
	ds_read_b64 v[190:191], v216
	s_waitcnt lgkmcnt(0)
	v_cmp_neq_f64_e32 vcc, 0, v[190:191]
	s_and_b64 exec, exec, vcc
	s_cbranch_execz .LBB93_79
; %bb.78:
	v_div_scale_f64 v[2:3], s[6:7], v[190:191], v[190:191], 1.0
	v_rcp_f64_e32 v[192:193], v[2:3]
	v_div_scale_f64 v[194:195], vcc, 1.0, v[190:191], 1.0
	v_fma_f64 v[196:197], -v[2:3], v[192:193], 1.0
	v_fmac_f64_e32 v[192:193], v[192:193], v[196:197]
	v_fma_f64 v[196:197], -v[2:3], v[192:193], 1.0
	v_fmac_f64_e32 v[192:193], v[192:193], v[196:197]
	v_mul_f64 v[196:197], v[194:195], v[192:193]
	v_fma_f64 v[2:3], -v[2:3], v[196:197], v[194:195]
	v_div_fmas_f64 v[2:3], v[2:3], v[192:193], v[196:197]
	v_div_fixup_f64 v[2:3], v[2:3], v[190:191], 1.0
	ds_write_b64 v216, v[2:3]
.LBB93_79:
	s_or_b64 exec, exec, s[2:3]
	s_waitcnt lgkmcnt(0)
	s_barrier
	ds_read_b64 v[228:229], v216
	v_cmp_lt_u32_e32 vcc, 15, v218
	s_and_saveexec_b64 s[2:3], vcc
	s_cbranch_execz .LBB93_81
; %bb.80:
	ds_read2_b64 v[190:193], v217 offset0:16 offset1:17
	ds_read2_b64 v[194:197], v217 offset0:18 offset1:19
	s_waitcnt vmcnt(59) lgkmcnt(2)
	v_mul_f64 v[128:129], v[228:229], v[128:129]
	ds_read2_b64 v[198:201], v217 offset0:20 offset1:21
	s_waitcnt vmcnt(56) lgkmcnt(2)
	v_fma_f64 v[172:173], -v[128:129], v[190:191], v[172:173]
	s_waitcnt vmcnt(53)
	v_fma_f64 v[126:127], -v[128:129], v[192:193], v[126:127]
	ds_read2_b64 v[190:193], v217 offset0:22 offset1:23
	s_waitcnt vmcnt(50) lgkmcnt(2)
	v_fma_f64 v[170:171], -v[128:129], v[194:195], v[170:171]
	s_waitcnt vmcnt(47)
	v_fma_f64 v[124:125], -v[128:129], v[196:197], v[124:125]
	s_waitcnt vmcnt(44) lgkmcnt(1)
	v_fma_f64 v[168:169], -v[128:129], v[198:199], v[168:169]
	ds_read2_b64 v[194:197], v217 offset0:24 offset1:25
	s_waitcnt vmcnt(41)
	v_fma_f64 v[122:123], -v[128:129], v[200:201], v[122:123]
	ds_read2_b64 v[198:201], v217 offset0:26 offset1:27
	s_waitcnt vmcnt(38) lgkmcnt(2)
	v_fma_f64 v[166:167], -v[128:129], v[190:191], v[166:167]
	s_waitcnt vmcnt(35)
	v_fma_f64 v[120:121], -v[128:129], v[192:193], v[120:121]
	ds_read2_b64 v[190:193], v217 offset0:28 offset1:29
	s_waitcnt vmcnt(32) lgkmcnt(2)
	v_fma_f64 v[164:165], -v[128:129], v[194:195], v[164:165]
	;; [unrolled: 5-line block ×3, first 2 shown]
	s_waitcnt vmcnt(23)
	v_fma_f64 v[116:117], -v[128:129], v[200:201], v[116:117]
	s_waitcnt vmcnt(20) lgkmcnt(1)
	v_fma_f64 v[160:161], -v[128:129], v[190:191], v[160:161]
	ds_read2_b64 v[198:201], v217 offset0:32 offset1:33
	s_waitcnt vmcnt(17)
	v_fma_f64 v[114:115], -v[128:129], v[192:193], v[114:115]
	ds_read2_b64 v[190:193], v217 offset0:34 offset1:35
	s_waitcnt vmcnt(16) lgkmcnt(2)
	v_fma_f64 v[158:159], -v[128:129], v[194:195], v[158:159]
	s_waitcnt vmcnt(15)
	v_fma_f64 v[112:113], -v[128:129], v[196:197], v[112:113]
	s_waitcnt vmcnt(14) lgkmcnt(1)
	v_fma_f64 v[156:157], -v[128:129], v[198:199], v[156:157]
	ds_read2_b64 v[194:197], v217 offset0:36 offset1:37
	s_waitcnt vmcnt(13)
	v_fma_f64 v[110:111], -v[128:129], v[200:201], v[110:111]
	ds_read2_b64 v[198:201], v217 offset0:38 offset1:39
	s_waitcnt vmcnt(12) lgkmcnt(2)
	v_fma_f64 v[154:155], -v[128:129], v[190:191], v[154:155]
	s_waitcnt vmcnt(11)
	v_fma_f64 v[108:109], -v[128:129], v[192:193], v[108:109]
	ds_read2_b64 v[190:193], v217 offset0:40 offset1:41
	s_waitcnt vmcnt(10) lgkmcnt(2)
	v_fma_f64 v[152:153], -v[128:129], v[194:195], v[152:153]
	s_waitcnt vmcnt(9)
	v_fma_f64 v[106:107], -v[128:129], v[196:197], v[106:107]
	ds_read2_b64 v[194:197], v217 offset0:42 offset1:43
	s_waitcnt vmcnt(8) lgkmcnt(2)
	v_fma_f64 v[150:151], -v[128:129], v[198:199], v[150:151]
	s_waitcnt vmcnt(7)
	v_fma_f64 v[104:105], -v[128:129], v[200:201], v[104:105]
	s_waitcnt vmcnt(6) lgkmcnt(1)
	v_fma_f64 v[148:149], -v[128:129], v[190:191], v[148:149]
	ds_read2_b64 v[198:201], v217 offset0:44 offset1:45
	ds_read_b64 v[190:191], v217 offset:368
	s_waitcnt vmcnt(5)
	v_fma_f64 v[102:103], -v[128:129], v[192:193], v[102:103]
	s_waitcnt vmcnt(4) lgkmcnt(2)
	v_fma_f64 v[146:147], -v[128:129], v[194:195], v[146:147]
	s_waitcnt vmcnt(3)
	v_fma_f64 v[100:101], -v[128:129], v[196:197], v[100:101]
	s_waitcnt vmcnt(2) lgkmcnt(1)
	v_fma_f64 v[144:145], -v[128:129], v[198:199], v[144:145]
	;; [unrolled: 4-line block ×3, first 2 shown]
.LBB93_81:
	s_or_b64 exec, exec, s[2:3]
	v_cmp_eq_u32_e32 vcc, 16, v218
	s_waitcnt lgkmcnt(0)
	s_barrier
	s_and_saveexec_b64 s[2:3], vcc
	s_cbranch_execz .LBB93_84
; %bb.82:
	s_waitcnt vmcnt(56)
	ds_write_b64 v216, v[172:173]
	s_waitcnt vmcnt(50)
	ds_write2_b64 v217, v[126:127], v[170:171] offset0:17 offset1:18
	s_waitcnt vmcnt(44)
	ds_write2_b64 v217, v[124:125], v[168:169] offset0:19 offset1:20
	;; [unrolled: 2-line block ×15, first 2 shown]
	ds_read_b64 v[190:191], v216
	s_waitcnt lgkmcnt(0)
	v_cmp_neq_f64_e32 vcc, 0, v[190:191]
	s_and_b64 exec, exec, vcc
	s_cbranch_execz .LBB93_84
; %bb.83:
	v_div_scale_f64 v[192:193], s[6:7], v[190:191], v[190:191], 1.0
	v_rcp_f64_e32 v[194:195], v[192:193]
	v_div_scale_f64 v[196:197], vcc, 1.0, v[190:191], 1.0
	v_fma_f64 v[198:199], -v[192:193], v[194:195], 1.0
	v_fmac_f64_e32 v[194:195], v[194:195], v[198:199]
	v_fma_f64 v[198:199], -v[192:193], v[194:195], 1.0
	v_fmac_f64_e32 v[194:195], v[194:195], v[198:199]
	v_mul_f64 v[198:199], v[196:197], v[194:195]
	v_fma_f64 v[192:193], -v[192:193], v[198:199], v[196:197]
	v_div_fmas_f64 v[192:193], v[192:193], v[194:195], v[198:199]
	v_div_fixup_f64 v[190:191], v[192:193], v[190:191], 1.0
	ds_write_b64 v216, v[190:191]
.LBB93_84:
	s_or_b64 exec, exec, s[2:3]
	s_waitcnt lgkmcnt(0)
	s_barrier
	ds_read_b64 v[48:49], v216
	v_cmp_lt_u32_e32 vcc, 16, v218
	s_and_saveexec_b64 s[2:3], vcc
	s_cbranch_execz .LBB93_86
; %bb.85:
	ds_read2_b64 v[190:193], v217 offset0:17 offset1:18
	ds_read2_b64 v[194:197], v217 offset0:19 offset1:20
	;; [unrolled: 1-line block ×3, first 2 shown]
	s_waitcnt vmcnt(56) lgkmcnt(3)
	v_mul_f64 v[172:173], v[48:49], v[172:173]
	s_waitcnt vmcnt(53) lgkmcnt(2)
	v_fma_f64 v[126:127], -v[172:173], v[190:191], v[126:127]
	s_waitcnt vmcnt(50)
	v_fma_f64 v[170:171], -v[172:173], v[192:193], v[170:171]
	ds_read2_b64 v[190:193], v217 offset0:23 offset1:24
	s_waitcnt vmcnt(47) lgkmcnt(2)
	v_fma_f64 v[124:125], -v[172:173], v[194:195], v[124:125]
	s_waitcnt vmcnt(44)
	v_fma_f64 v[168:169], -v[172:173], v[196:197], v[168:169]
	s_waitcnt vmcnt(41) lgkmcnt(1)
	v_fma_f64 v[122:123], -v[172:173], v[198:199], v[122:123]
	ds_read2_b64 v[194:197], v217 offset0:25 offset1:26
	s_waitcnt vmcnt(38)
	v_fma_f64 v[166:167], -v[172:173], v[200:201], v[166:167]
	ds_read2_b64 v[198:201], v217 offset0:27 offset1:28
	s_waitcnt vmcnt(35) lgkmcnt(2)
	v_fma_f64 v[120:121], -v[172:173], v[190:191], v[120:121]
	s_waitcnt vmcnt(32)
	v_fma_f64 v[164:165], -v[172:173], v[192:193], v[164:165]
	s_waitcnt vmcnt(29) lgkmcnt(1)
	v_fma_f64 v[118:119], -v[172:173], v[194:195], v[118:119]
	ds_read2_b64 v[190:193], v217 offset0:29 offset1:30
	s_waitcnt vmcnt(26)
	v_fma_f64 v[162:163], -v[172:173], v[196:197], v[162:163]
	ds_read2_b64 v[194:197], v217 offset0:31 offset1:32
	s_waitcnt vmcnt(23) lgkmcnt(2)
	v_fma_f64 v[116:117], -v[172:173], v[198:199], v[116:117]
	s_waitcnt vmcnt(20)
	v_fma_f64 v[160:161], -v[172:173], v[200:201], v[160:161]
	ds_read2_b64 v[198:201], v217 offset0:33 offset1:34
	s_waitcnt vmcnt(17) lgkmcnt(2)
	v_fma_f64 v[114:115], -v[172:173], v[190:191], v[114:115]
	;; [unrolled: 5-line block ×3, first 2 shown]
	s_waitcnt vmcnt(14)
	v_fma_f64 v[156:157], -v[172:173], v[196:197], v[156:157]
	s_waitcnt vmcnt(13) lgkmcnt(1)
	v_fma_f64 v[110:111], -v[172:173], v[198:199], v[110:111]
	ds_read2_b64 v[194:197], v217 offset0:37 offset1:38
	s_waitcnt vmcnt(12)
	v_fma_f64 v[154:155], -v[172:173], v[200:201], v[154:155]
	ds_read2_b64 v[198:201], v217 offset0:39 offset1:40
	s_waitcnt vmcnt(11) lgkmcnt(2)
	v_fma_f64 v[108:109], -v[172:173], v[190:191], v[108:109]
	s_waitcnt vmcnt(10)
	v_fma_f64 v[152:153], -v[172:173], v[192:193], v[152:153]
	s_waitcnt vmcnt(9) lgkmcnt(1)
	v_fma_f64 v[106:107], -v[172:173], v[194:195], v[106:107]
	s_waitcnt vmcnt(8)
	v_fma_f64 v[150:151], -v[172:173], v[196:197], v[150:151]
	ds_read2_b64 v[190:193], v217 offset0:41 offset1:42
	ds_read2_b64 v[194:197], v217 offset0:43 offset1:44
	s_waitcnt vmcnt(7) lgkmcnt(2)
	v_fma_f64 v[104:105], -v[172:173], v[198:199], v[104:105]
	s_waitcnt vmcnt(6)
	v_fma_f64 v[148:149], -v[172:173], v[200:201], v[148:149]
	ds_read2_b64 v[198:201], v217 offset0:45 offset1:46
	s_waitcnt vmcnt(5) lgkmcnt(2)
	v_fma_f64 v[102:103], -v[172:173], v[190:191], v[102:103]
	s_waitcnt vmcnt(4)
	v_fma_f64 v[146:147], -v[172:173], v[192:193], v[146:147]
	s_waitcnt vmcnt(3) lgkmcnt(1)
	v_fma_f64 v[100:101], -v[172:173], v[194:195], v[100:101]
	s_waitcnt vmcnt(2)
	v_fma_f64 v[144:145], -v[172:173], v[196:197], v[144:145]
	;; [unrolled: 4-line block ×3, first 2 shown]
.LBB93_86:
	s_or_b64 exec, exec, s[2:3]
	v_cmp_eq_u32_e32 vcc, 17, v218
	s_waitcnt lgkmcnt(0)
	s_barrier
	s_and_saveexec_b64 s[2:3], vcc
	s_cbranch_execz .LBB93_89
; %bb.87:
	s_waitcnt vmcnt(50)
	v_mov_b32_e32 v190, v170
	v_mov_b32_e32 v191, v171
	s_waitcnt vmcnt(47)
	v_mov_b32_e32 v192, v124
	v_mov_b32_e32 v193, v125
	ds_write_b64 v216, v[126:127]
	ds_write2_b64 v217, v[190:191], v[192:193] offset0:18 offset1:19
	s_waitcnt vmcnt(44)
	v_mov_b32_e32 v190, v168
	v_mov_b32_e32 v191, v169
	s_waitcnt vmcnt(41)
	v_mov_b32_e32 v192, v122
	v_mov_b32_e32 v193, v123
	ds_write2_b64 v217, v[190:191], v[192:193] offset0:20 offset1:21
	s_waitcnt vmcnt(38)
	v_mov_b32_e32 v190, v166
	v_mov_b32_e32 v191, v167
	s_waitcnt vmcnt(35)
	v_mov_b32_e32 v192, v120
	v_mov_b32_e32 v193, v121
	;; [unrolled: 7-line block ×13, first 2 shown]
	ds_write2_b64 v217, v[190:191], v[192:193] offset0:44 offset1:45
	s_waitcnt vmcnt(0)
	ds_write_b64 v217, v[188:189] offset:368
	ds_read_b64 v[190:191], v216
	s_waitcnt lgkmcnt(0)
	v_cmp_neq_f64_e32 vcc, 0, v[190:191]
	s_and_b64 exec, exec, vcc
	s_cbranch_execz .LBB93_89
; %bb.88:
	v_div_scale_f64 v[192:193], s[6:7], v[190:191], v[190:191], 1.0
	v_rcp_f64_e32 v[194:195], v[192:193]
	v_div_scale_f64 v[196:197], vcc, 1.0, v[190:191], 1.0
	v_fma_f64 v[198:199], -v[192:193], v[194:195], 1.0
	v_fmac_f64_e32 v[194:195], v[194:195], v[198:199]
	v_fma_f64 v[198:199], -v[192:193], v[194:195], 1.0
	v_fmac_f64_e32 v[194:195], v[194:195], v[198:199]
	v_mul_f64 v[198:199], v[196:197], v[194:195]
	v_fma_f64 v[192:193], -v[192:193], v[198:199], v[196:197]
	v_div_fmas_f64 v[192:193], v[192:193], v[194:195], v[198:199]
	v_div_fixup_f64 v[190:191], v[192:193], v[190:191], 1.0
	ds_write_b64 v216, v[190:191]
.LBB93_89:
	s_or_b64 exec, exec, s[2:3]
	s_waitcnt lgkmcnt(0)
	s_barrier
	ds_read_b64 v[50:51], v216
	v_cmp_lt_u32_e32 vcc, 17, v218
	s_and_saveexec_b64 s[2:3], vcc
	s_cbranch_execz .LBB93_91
; %bb.90:
	ds_read2_b64 v[190:193], v217 offset0:18 offset1:19
	ds_read2_b64 v[194:197], v217 offset0:20 offset1:21
	;; [unrolled: 1-line block ×3, first 2 shown]
	s_waitcnt vmcnt(53) lgkmcnt(3)
	v_mul_f64 v[126:127], v[50:51], v[126:127]
	s_waitcnt vmcnt(50) lgkmcnt(2)
	v_fma_f64 v[170:171], -v[126:127], v[190:191], v[170:171]
	s_waitcnt vmcnt(47)
	v_fma_f64 v[124:125], -v[126:127], v[192:193], v[124:125]
	ds_read2_b64 v[190:193], v217 offset0:24 offset1:25
	s_waitcnt vmcnt(44) lgkmcnt(2)
	v_fma_f64 v[168:169], -v[126:127], v[194:195], v[168:169]
	s_waitcnt vmcnt(41)
	v_fma_f64 v[122:123], -v[126:127], v[196:197], v[122:123]
	s_waitcnt vmcnt(38) lgkmcnt(1)
	v_fma_f64 v[166:167], -v[126:127], v[198:199], v[166:167]
	ds_read2_b64 v[194:197], v217 offset0:26 offset1:27
	s_waitcnt vmcnt(35)
	v_fma_f64 v[120:121], -v[126:127], v[200:201], v[120:121]
	ds_read2_b64 v[198:201], v217 offset0:28 offset1:29
	s_waitcnt vmcnt(32) lgkmcnt(2)
	v_fma_f64 v[164:165], -v[126:127], v[190:191], v[164:165]
	s_waitcnt vmcnt(29)
	v_fma_f64 v[118:119], -v[126:127], v[192:193], v[118:119]
	s_waitcnt vmcnt(26) lgkmcnt(1)
	v_fma_f64 v[162:163], -v[126:127], v[194:195], v[162:163]
	ds_read2_b64 v[190:193], v217 offset0:30 offset1:31
	s_waitcnt vmcnt(23)
	v_fma_f64 v[116:117], -v[126:127], v[196:197], v[116:117]
	ds_read2_b64 v[194:197], v217 offset0:32 offset1:33
	s_waitcnt vmcnt(20) lgkmcnt(2)
	v_fma_f64 v[160:161], -v[126:127], v[198:199], v[160:161]
	s_waitcnt vmcnt(17)
	v_fma_f64 v[114:115], -v[126:127], v[200:201], v[114:115]
	ds_read2_b64 v[198:201], v217 offset0:34 offset1:35
	s_waitcnt vmcnt(16) lgkmcnt(2)
	v_fma_f64 v[158:159], -v[126:127], v[190:191], v[158:159]
	;; [unrolled: 5-line block ×3, first 2 shown]
	s_waitcnt vmcnt(13)
	v_fma_f64 v[110:111], -v[126:127], v[196:197], v[110:111]
	s_waitcnt vmcnt(12) lgkmcnt(1)
	v_fma_f64 v[154:155], -v[126:127], v[198:199], v[154:155]
	ds_read2_b64 v[194:197], v217 offset0:38 offset1:39
	s_waitcnt vmcnt(11)
	v_fma_f64 v[108:109], -v[126:127], v[200:201], v[108:109]
	ds_read2_b64 v[198:201], v217 offset0:40 offset1:41
	s_waitcnt vmcnt(10) lgkmcnt(2)
	v_fma_f64 v[152:153], -v[126:127], v[190:191], v[152:153]
	s_waitcnt vmcnt(9)
	v_fma_f64 v[106:107], -v[126:127], v[192:193], v[106:107]
	s_waitcnt vmcnt(8) lgkmcnt(1)
	v_fma_f64 v[150:151], -v[126:127], v[194:195], v[150:151]
	s_waitcnt vmcnt(7)
	v_fma_f64 v[104:105], -v[126:127], v[196:197], v[104:105]
	ds_read2_b64 v[190:193], v217 offset0:42 offset1:43
	ds_read2_b64 v[194:197], v217 offset0:44 offset1:45
	s_waitcnt vmcnt(6) lgkmcnt(2)
	v_fma_f64 v[148:149], -v[126:127], v[198:199], v[148:149]
	ds_read_b64 v[198:199], v217 offset:368
	s_waitcnt vmcnt(5)
	v_fma_f64 v[102:103], -v[126:127], v[200:201], v[102:103]
	s_waitcnt vmcnt(4) lgkmcnt(2)
	v_fma_f64 v[146:147], -v[126:127], v[190:191], v[146:147]
	s_waitcnt vmcnt(3)
	v_fma_f64 v[100:101], -v[126:127], v[192:193], v[100:101]
	s_waitcnt vmcnt(2) lgkmcnt(1)
	v_fma_f64 v[144:145], -v[126:127], v[194:195], v[144:145]
	;; [unrolled: 4-line block ×3, first 2 shown]
.LBB93_91:
	s_or_b64 exec, exec, s[2:3]
	v_cmp_eq_u32_e32 vcc, 18, v218
	s_waitcnt lgkmcnt(0)
	s_barrier
	s_and_saveexec_b64 s[2:3], vcc
	s_cbranch_execz .LBB93_94
; %bb.92:
	s_waitcnt vmcnt(50)
	ds_write_b64 v216, v[170:171]
	s_waitcnt vmcnt(44)
	ds_write2_b64 v217, v[124:125], v[168:169] offset0:19 offset1:20
	s_waitcnt vmcnt(38)
	ds_write2_b64 v217, v[122:123], v[166:167] offset0:21 offset1:22
	;; [unrolled: 2-line block ×14, first 2 shown]
	ds_read_b64 v[190:191], v216
	s_waitcnt lgkmcnt(0)
	v_cmp_neq_f64_e32 vcc, 0, v[190:191]
	s_and_b64 exec, exec, vcc
	s_cbranch_execz .LBB93_94
; %bb.93:
	v_div_scale_f64 v[192:193], s[6:7], v[190:191], v[190:191], 1.0
	v_rcp_f64_e32 v[194:195], v[192:193]
	v_div_scale_f64 v[196:197], vcc, 1.0, v[190:191], 1.0
	v_fma_f64 v[198:199], -v[192:193], v[194:195], 1.0
	v_fmac_f64_e32 v[194:195], v[194:195], v[198:199]
	v_fma_f64 v[198:199], -v[192:193], v[194:195], 1.0
	v_fmac_f64_e32 v[194:195], v[194:195], v[198:199]
	v_mul_f64 v[198:199], v[196:197], v[194:195]
	v_fma_f64 v[192:193], -v[192:193], v[198:199], v[196:197]
	v_div_fmas_f64 v[192:193], v[192:193], v[194:195], v[198:199]
	v_div_fixup_f64 v[190:191], v[192:193], v[190:191], 1.0
	ds_write_b64 v216, v[190:191]
.LBB93_94:
	s_or_b64 exec, exec, s[2:3]
	s_waitcnt lgkmcnt(0)
	s_barrier
	ds_read_b64 v[52:53], v216
	v_cmp_lt_u32_e32 vcc, 18, v218
	s_and_saveexec_b64 s[2:3], vcc
	s_cbranch_execz .LBB93_96
; %bb.95:
	ds_read2_b64 v[190:193], v217 offset0:19 offset1:20
	ds_read2_b64 v[194:197], v217 offset0:21 offset1:22
	s_waitcnt vmcnt(50) lgkmcnt(2)
	v_mul_f64 v[170:171], v[52:53], v[170:171]
	ds_read2_b64 v[198:201], v217 offset0:23 offset1:24
	s_waitcnt vmcnt(47) lgkmcnt(2)
	v_fma_f64 v[124:125], -v[170:171], v[190:191], v[124:125]
	s_waitcnt vmcnt(44)
	v_fma_f64 v[168:169], -v[170:171], v[192:193], v[168:169]
	ds_read2_b64 v[190:193], v217 offset0:25 offset1:26
	s_waitcnt vmcnt(41) lgkmcnt(2)
	v_fma_f64 v[122:123], -v[170:171], v[194:195], v[122:123]
	s_waitcnt vmcnt(38)
	v_fma_f64 v[166:167], -v[170:171], v[196:197], v[166:167]
	;; [unrolled: 5-line block ×4, first 2 shown]
	s_waitcnt vmcnt(23) lgkmcnt(1)
	v_fma_f64 v[116:117], -v[170:171], v[194:195], v[116:117]
	ds_read2_b64 v[190:193], v217 offset0:31 offset1:32
	s_waitcnt vmcnt(20)
	v_fma_f64 v[160:161], -v[170:171], v[196:197], v[160:161]
	ds_read2_b64 v[194:197], v217 offset0:33 offset1:34
	s_waitcnt vmcnt(17) lgkmcnt(2)
	v_fma_f64 v[114:115], -v[170:171], v[198:199], v[114:115]
	s_waitcnt vmcnt(16)
	v_fma_f64 v[158:159], -v[170:171], v[200:201], v[158:159]
	s_waitcnt vmcnt(15) lgkmcnt(1)
	v_fma_f64 v[112:113], -v[170:171], v[190:191], v[112:113]
	ds_read2_b64 v[198:201], v217 offset0:35 offset1:36
	s_waitcnt vmcnt(14)
	v_fma_f64 v[156:157], -v[170:171], v[192:193], v[156:157]
	ds_read2_b64 v[190:193], v217 offset0:37 offset1:38
	s_waitcnt vmcnt(13) lgkmcnt(2)
	v_fma_f64 v[110:111], -v[170:171], v[194:195], v[110:111]
	s_waitcnt vmcnt(12)
	v_fma_f64 v[154:155], -v[170:171], v[196:197], v[154:155]
	ds_read2_b64 v[194:197], v217 offset0:39 offset1:40
	s_waitcnt vmcnt(11) lgkmcnt(2)
	v_fma_f64 v[108:109], -v[170:171], v[198:199], v[108:109]
	s_waitcnt vmcnt(10)
	v_fma_f64 v[152:153], -v[170:171], v[200:201], v[152:153]
	s_waitcnt vmcnt(9) lgkmcnt(1)
	v_fma_f64 v[106:107], -v[170:171], v[190:191], v[106:107]
	s_waitcnt vmcnt(8)
	v_fma_f64 v[150:151], -v[170:171], v[192:193], v[150:151]
	ds_read2_b64 v[190:193], v217 offset0:41 offset1:42
	s_waitcnt vmcnt(7) lgkmcnt(1)
	v_fma_f64 v[104:105], -v[170:171], v[194:195], v[104:105]
	ds_read2_b64 v[198:201], v217 offset0:43 offset1:44
	s_waitcnt vmcnt(6)
	v_fma_f64 v[148:149], -v[170:171], v[196:197], v[148:149]
	ds_read2_b64 v[194:197], v217 offset0:45 offset1:46
	s_waitcnt vmcnt(5) lgkmcnt(2)
	v_fma_f64 v[102:103], -v[170:171], v[190:191], v[102:103]
	s_waitcnt vmcnt(4)
	v_fma_f64 v[146:147], -v[170:171], v[192:193], v[146:147]
	s_waitcnt vmcnt(3) lgkmcnt(1)
	v_fma_f64 v[100:101], -v[170:171], v[198:199], v[100:101]
	s_waitcnt vmcnt(2)
	v_fma_f64 v[144:145], -v[170:171], v[200:201], v[144:145]
	;; [unrolled: 4-line block ×3, first 2 shown]
.LBB93_96:
	s_or_b64 exec, exec, s[2:3]
	v_cmp_eq_u32_e32 vcc, 19, v218
	s_waitcnt lgkmcnt(0)
	s_barrier
	s_and_saveexec_b64 s[2:3], vcc
	s_cbranch_execz .LBB93_99
; %bb.97:
	s_waitcnt vmcnt(44)
	v_mov_b32_e32 v190, v168
	v_mov_b32_e32 v191, v169
	s_waitcnt vmcnt(41)
	v_mov_b32_e32 v192, v122
	v_mov_b32_e32 v193, v123
	ds_write_b64 v216, v[124:125]
	ds_write2_b64 v217, v[190:191], v[192:193] offset0:20 offset1:21
	s_waitcnt vmcnt(38)
	v_mov_b32_e32 v190, v166
	v_mov_b32_e32 v191, v167
	s_waitcnt vmcnt(35)
	v_mov_b32_e32 v192, v120
	v_mov_b32_e32 v193, v121
	ds_write2_b64 v217, v[190:191], v[192:193] offset0:22 offset1:23
	s_waitcnt vmcnt(32)
	v_mov_b32_e32 v190, v164
	v_mov_b32_e32 v191, v165
	s_waitcnt vmcnt(29)
	v_mov_b32_e32 v192, v118
	v_mov_b32_e32 v193, v119
	;; [unrolled: 7-line block ×12, first 2 shown]
	ds_write2_b64 v217, v[190:191], v[192:193] offset0:44 offset1:45
	s_waitcnt vmcnt(0)
	ds_write_b64 v217, v[188:189] offset:368
	ds_read_b64 v[190:191], v216
	s_waitcnt lgkmcnt(0)
	v_cmp_neq_f64_e32 vcc, 0, v[190:191]
	s_and_b64 exec, exec, vcc
	s_cbranch_execz .LBB93_99
; %bb.98:
	v_div_scale_f64 v[192:193], s[6:7], v[190:191], v[190:191], 1.0
	v_rcp_f64_e32 v[194:195], v[192:193]
	v_div_scale_f64 v[196:197], vcc, 1.0, v[190:191], 1.0
	v_fma_f64 v[198:199], -v[192:193], v[194:195], 1.0
	v_fmac_f64_e32 v[194:195], v[194:195], v[198:199]
	v_fma_f64 v[198:199], -v[192:193], v[194:195], 1.0
	v_fmac_f64_e32 v[194:195], v[194:195], v[198:199]
	v_mul_f64 v[198:199], v[196:197], v[194:195]
	v_fma_f64 v[192:193], -v[192:193], v[198:199], v[196:197]
	v_div_fmas_f64 v[192:193], v[192:193], v[194:195], v[198:199]
	v_div_fixup_f64 v[190:191], v[192:193], v[190:191], 1.0
	ds_write_b64 v216, v[190:191]
.LBB93_99:
	s_or_b64 exec, exec, s[2:3]
	s_waitcnt lgkmcnt(0)
	s_barrier
	ds_read_b64 v[56:57], v216
	v_cmp_lt_u32_e32 vcc, 19, v218
	s_and_saveexec_b64 s[2:3], vcc
	s_cbranch_execz .LBB93_101
; %bb.100:
	ds_read2_b64 v[190:193], v217 offset0:20 offset1:21
	ds_read2_b64 v[194:197], v217 offset0:22 offset1:23
	s_waitcnt vmcnt(47) lgkmcnt(2)
	v_mul_f64 v[124:125], v[56:57], v[124:125]
	ds_read2_b64 v[198:201], v217 offset0:24 offset1:25
	s_waitcnt vmcnt(44) lgkmcnt(2)
	v_fma_f64 v[168:169], -v[124:125], v[190:191], v[168:169]
	s_waitcnt vmcnt(41)
	v_fma_f64 v[122:123], -v[124:125], v[192:193], v[122:123]
	ds_read2_b64 v[190:193], v217 offset0:26 offset1:27
	s_waitcnt vmcnt(38) lgkmcnt(2)
	v_fma_f64 v[166:167], -v[124:125], v[194:195], v[166:167]
	s_waitcnt vmcnt(35)
	v_fma_f64 v[120:121], -v[124:125], v[196:197], v[120:121]
	;; [unrolled: 5-line block ×4, first 2 shown]
	s_waitcnt vmcnt(20) lgkmcnt(1)
	v_fma_f64 v[160:161], -v[124:125], v[194:195], v[160:161]
	ds_read2_b64 v[190:193], v217 offset0:32 offset1:33
	s_waitcnt vmcnt(17)
	v_fma_f64 v[114:115], -v[124:125], v[196:197], v[114:115]
	ds_read2_b64 v[194:197], v217 offset0:34 offset1:35
	s_waitcnt vmcnt(16) lgkmcnt(2)
	v_fma_f64 v[158:159], -v[124:125], v[198:199], v[158:159]
	s_waitcnt vmcnt(15)
	v_fma_f64 v[112:113], -v[124:125], v[200:201], v[112:113]
	s_waitcnt vmcnt(14) lgkmcnt(1)
	v_fma_f64 v[156:157], -v[124:125], v[190:191], v[156:157]
	ds_read2_b64 v[198:201], v217 offset0:36 offset1:37
	s_waitcnt vmcnt(13)
	v_fma_f64 v[110:111], -v[124:125], v[192:193], v[110:111]
	ds_read2_b64 v[190:193], v217 offset0:38 offset1:39
	s_waitcnt vmcnt(12) lgkmcnt(2)
	v_fma_f64 v[154:155], -v[124:125], v[194:195], v[154:155]
	s_waitcnt vmcnt(11)
	v_fma_f64 v[108:109], -v[124:125], v[196:197], v[108:109]
	ds_read2_b64 v[194:197], v217 offset0:40 offset1:41
	s_waitcnt vmcnt(10) lgkmcnt(2)
	v_fma_f64 v[152:153], -v[124:125], v[198:199], v[152:153]
	s_waitcnt vmcnt(9)
	v_fma_f64 v[106:107], -v[124:125], v[200:201], v[106:107]
	s_waitcnt vmcnt(8) lgkmcnt(1)
	v_fma_f64 v[150:151], -v[124:125], v[190:191], v[150:151]
	s_waitcnt vmcnt(7)
	v_fma_f64 v[104:105], -v[124:125], v[192:193], v[104:105]
	ds_read2_b64 v[190:193], v217 offset0:42 offset1:43
	s_waitcnt vmcnt(6) lgkmcnt(1)
	v_fma_f64 v[148:149], -v[124:125], v[194:195], v[148:149]
	ds_read2_b64 v[198:201], v217 offset0:44 offset1:45
	ds_read_b64 v[194:195], v217 offset:368
	s_waitcnt vmcnt(5)
	v_fma_f64 v[102:103], -v[124:125], v[196:197], v[102:103]
	s_waitcnt vmcnt(4) lgkmcnt(2)
	v_fma_f64 v[146:147], -v[124:125], v[190:191], v[146:147]
	s_waitcnt vmcnt(3)
	v_fma_f64 v[100:101], -v[124:125], v[192:193], v[100:101]
	s_waitcnt vmcnt(2) lgkmcnt(1)
	v_fma_f64 v[144:145], -v[124:125], v[198:199], v[144:145]
	;; [unrolled: 4-line block ×3, first 2 shown]
.LBB93_101:
	s_or_b64 exec, exec, s[2:3]
	v_cmp_eq_u32_e32 vcc, 20, v218
	s_waitcnt lgkmcnt(0)
	s_barrier
	s_and_saveexec_b64 s[2:3], vcc
	s_cbranch_execz .LBB93_104
; %bb.102:
	s_waitcnt vmcnt(44)
	ds_write_b64 v216, v[168:169]
	s_waitcnt vmcnt(38)
	ds_write2_b64 v217, v[122:123], v[166:167] offset0:21 offset1:22
	s_waitcnt vmcnt(32)
	ds_write2_b64 v217, v[120:121], v[164:165] offset0:23 offset1:24
	;; [unrolled: 2-line block ×13, first 2 shown]
	ds_read_b64 v[190:191], v216
	s_waitcnt lgkmcnt(0)
	v_cmp_neq_f64_e32 vcc, 0, v[190:191]
	s_and_b64 exec, exec, vcc
	s_cbranch_execz .LBB93_104
; %bb.103:
	v_div_scale_f64 v[192:193], s[6:7], v[190:191], v[190:191], 1.0
	v_rcp_f64_e32 v[194:195], v[192:193]
	v_div_scale_f64 v[196:197], vcc, 1.0, v[190:191], 1.0
	v_fma_f64 v[198:199], -v[192:193], v[194:195], 1.0
	v_fmac_f64_e32 v[194:195], v[194:195], v[198:199]
	v_fma_f64 v[198:199], -v[192:193], v[194:195], 1.0
	v_fmac_f64_e32 v[194:195], v[194:195], v[198:199]
	v_mul_f64 v[198:199], v[196:197], v[194:195]
	v_fma_f64 v[192:193], -v[192:193], v[198:199], v[196:197]
	v_div_fmas_f64 v[192:193], v[192:193], v[194:195], v[198:199]
	v_div_fixup_f64 v[190:191], v[192:193], v[190:191], 1.0
	ds_write_b64 v216, v[190:191]
.LBB93_104:
	s_or_b64 exec, exec, s[2:3]
	s_waitcnt lgkmcnt(0)
	s_barrier
	ds_read_b64 v[230:231], v216
	v_cmp_lt_u32_e32 vcc, 20, v218
	s_and_saveexec_b64 s[2:3], vcc
	s_cbranch_execz .LBB93_106
; %bb.105:
	ds_read2_b64 v[190:193], v217 offset0:21 offset1:22
	ds_read2_b64 v[194:197], v217 offset0:23 offset1:24
	s_waitcnt vmcnt(44) lgkmcnt(2)
	v_mul_f64 v[168:169], v[230:231], v[168:169]
	ds_read2_b64 v[198:201], v217 offset0:25 offset1:26
	s_waitcnt vmcnt(41) lgkmcnt(2)
	v_fma_f64 v[122:123], -v[168:169], v[190:191], v[122:123]
	s_waitcnt vmcnt(38)
	v_fma_f64 v[166:167], -v[168:169], v[192:193], v[166:167]
	ds_read2_b64 v[190:193], v217 offset0:27 offset1:28
	s_waitcnt vmcnt(35) lgkmcnt(2)
	v_fma_f64 v[120:121], -v[168:169], v[194:195], v[120:121]
	s_waitcnt vmcnt(32)
	v_fma_f64 v[164:165], -v[168:169], v[196:197], v[164:165]
	s_waitcnt vmcnt(29) lgkmcnt(1)
	v_fma_f64 v[118:119], -v[168:169], v[198:199], v[118:119]
	ds_read2_b64 v[194:197], v217 offset0:29 offset1:30
	s_waitcnt vmcnt(26)
	v_fma_f64 v[162:163], -v[168:169], v[200:201], v[162:163]
	ds_read2_b64 v[198:201], v217 offset0:31 offset1:32
	s_waitcnt vmcnt(23) lgkmcnt(2)
	v_fma_f64 v[116:117], -v[168:169], v[190:191], v[116:117]
	s_waitcnt vmcnt(20)
	v_fma_f64 v[160:161], -v[168:169], v[192:193], v[160:161]
	ds_read2_b64 v[190:193], v217 offset0:33 offset1:34
	s_waitcnt vmcnt(17) lgkmcnt(2)
	v_fma_f64 v[114:115], -v[168:169], v[194:195], v[114:115]
	;; [unrolled: 5-line block ×3, first 2 shown]
	s_waitcnt vmcnt(14)
	v_fma_f64 v[156:157], -v[168:169], v[200:201], v[156:157]
	s_waitcnt vmcnt(13) lgkmcnt(1)
	v_fma_f64 v[110:111], -v[168:169], v[190:191], v[110:111]
	ds_read2_b64 v[198:201], v217 offset0:37 offset1:38
	s_waitcnt vmcnt(12)
	v_fma_f64 v[154:155], -v[168:169], v[192:193], v[154:155]
	ds_read2_b64 v[190:193], v217 offset0:39 offset1:40
	s_waitcnt vmcnt(11) lgkmcnt(2)
	v_fma_f64 v[108:109], -v[168:169], v[194:195], v[108:109]
	s_waitcnt vmcnt(10)
	v_fma_f64 v[152:153], -v[168:169], v[196:197], v[152:153]
	s_waitcnt vmcnt(9) lgkmcnt(1)
	v_fma_f64 v[106:107], -v[168:169], v[198:199], v[106:107]
	s_waitcnt vmcnt(8)
	v_fma_f64 v[150:151], -v[168:169], v[200:201], v[150:151]
	ds_read2_b64 v[194:197], v217 offset0:41 offset1:42
	ds_read2_b64 v[198:201], v217 offset0:43 offset1:44
	s_waitcnt vmcnt(7) lgkmcnt(2)
	v_fma_f64 v[104:105], -v[168:169], v[190:191], v[104:105]
	s_waitcnt vmcnt(6)
	v_fma_f64 v[148:149], -v[168:169], v[192:193], v[148:149]
	ds_read2_b64 v[190:193], v217 offset0:45 offset1:46
	s_waitcnt vmcnt(5) lgkmcnt(2)
	v_fma_f64 v[102:103], -v[168:169], v[194:195], v[102:103]
	s_waitcnt vmcnt(4)
	v_fma_f64 v[146:147], -v[168:169], v[196:197], v[146:147]
	s_waitcnt vmcnt(3) lgkmcnt(1)
	v_fma_f64 v[100:101], -v[168:169], v[198:199], v[100:101]
	s_waitcnt vmcnt(2)
	v_fma_f64 v[144:145], -v[168:169], v[200:201], v[144:145]
	;; [unrolled: 4-line block ×3, first 2 shown]
.LBB93_106:
	s_or_b64 exec, exec, s[2:3]
	v_cmp_eq_u32_e32 vcc, 21, v218
	s_waitcnt lgkmcnt(0)
	s_barrier
	s_and_saveexec_b64 s[2:3], vcc
	s_cbranch_execz .LBB93_109
; %bb.107:
	s_waitcnt vmcnt(38)
	v_mov_b32_e32 v190, v166
	v_mov_b32_e32 v191, v167
	s_waitcnt vmcnt(35)
	v_mov_b32_e32 v192, v120
	v_mov_b32_e32 v193, v121
	ds_write_b64 v216, v[122:123]
	ds_write2_b64 v217, v[190:191], v[192:193] offset0:22 offset1:23
	s_waitcnt vmcnt(32)
	v_mov_b32_e32 v190, v164
	v_mov_b32_e32 v191, v165
	s_waitcnt vmcnt(29)
	v_mov_b32_e32 v192, v118
	v_mov_b32_e32 v193, v119
	ds_write2_b64 v217, v[190:191], v[192:193] offset0:24 offset1:25
	s_waitcnt vmcnt(26)
	v_mov_b32_e32 v190, v162
	v_mov_b32_e32 v191, v163
	s_waitcnt vmcnt(23)
	v_mov_b32_e32 v192, v116
	v_mov_b32_e32 v193, v117
	;; [unrolled: 7-line block ×11, first 2 shown]
	ds_write2_b64 v217, v[190:191], v[192:193] offset0:44 offset1:45
	s_waitcnt vmcnt(0)
	ds_write_b64 v217, v[188:189] offset:368
	ds_read_b64 v[190:191], v216
	s_waitcnt lgkmcnt(0)
	v_cmp_neq_f64_e32 vcc, 0, v[190:191]
	s_and_b64 exec, exec, vcc
	s_cbranch_execz .LBB93_109
; %bb.108:
	v_div_scale_f64 v[192:193], s[6:7], v[190:191], v[190:191], 1.0
	v_rcp_f64_e32 v[194:195], v[192:193]
	v_div_scale_f64 v[196:197], vcc, 1.0, v[190:191], 1.0
	v_fma_f64 v[198:199], -v[192:193], v[194:195], 1.0
	v_fmac_f64_e32 v[194:195], v[194:195], v[198:199]
	v_fma_f64 v[198:199], -v[192:193], v[194:195], 1.0
	v_fmac_f64_e32 v[194:195], v[194:195], v[198:199]
	v_mul_f64 v[198:199], v[196:197], v[194:195]
	v_fma_f64 v[192:193], -v[192:193], v[198:199], v[196:197]
	v_div_fmas_f64 v[192:193], v[192:193], v[194:195], v[198:199]
	v_div_fixup_f64 v[190:191], v[192:193], v[190:191], 1.0
	ds_write_b64 v216, v[190:191]
.LBB93_109:
	s_or_b64 exec, exec, s[2:3]
	s_waitcnt lgkmcnt(0)
	s_barrier
	ds_read_b64 v[232:233], v216
	v_cmp_lt_u32_e32 vcc, 21, v218
	s_and_saveexec_b64 s[2:3], vcc
	s_cbranch_execz .LBB93_111
; %bb.110:
	ds_read2_b64 v[190:193], v217 offset0:22 offset1:23
	ds_read2_b64 v[194:197], v217 offset0:24 offset1:25
	s_waitcnt vmcnt(41) lgkmcnt(2)
	v_mul_f64 v[122:123], v[232:233], v[122:123]
	ds_read2_b64 v[198:201], v217 offset0:26 offset1:27
	s_waitcnt vmcnt(38) lgkmcnt(2)
	v_fma_f64 v[166:167], -v[122:123], v[190:191], v[166:167]
	s_waitcnt vmcnt(35)
	v_fma_f64 v[120:121], -v[122:123], v[192:193], v[120:121]
	ds_read2_b64 v[190:193], v217 offset0:28 offset1:29
	s_waitcnt vmcnt(32) lgkmcnt(2)
	v_fma_f64 v[164:165], -v[122:123], v[194:195], v[164:165]
	s_waitcnt vmcnt(29)
	v_fma_f64 v[118:119], -v[122:123], v[196:197], v[118:119]
	s_waitcnt vmcnt(26) lgkmcnt(1)
	v_fma_f64 v[162:163], -v[122:123], v[198:199], v[162:163]
	ds_read2_b64 v[194:197], v217 offset0:30 offset1:31
	s_waitcnt vmcnt(23)
	v_fma_f64 v[116:117], -v[122:123], v[200:201], v[116:117]
	ds_read2_b64 v[198:201], v217 offset0:32 offset1:33
	s_waitcnt vmcnt(20) lgkmcnt(2)
	v_fma_f64 v[160:161], -v[122:123], v[190:191], v[160:161]
	s_waitcnt vmcnt(17)
	v_fma_f64 v[114:115], -v[122:123], v[192:193], v[114:115]
	ds_read2_b64 v[190:193], v217 offset0:34 offset1:35
	s_waitcnt vmcnt(16) lgkmcnt(2)
	v_fma_f64 v[158:159], -v[122:123], v[194:195], v[158:159]
	;; [unrolled: 5-line block ×3, first 2 shown]
	s_waitcnt vmcnt(13)
	v_fma_f64 v[110:111], -v[122:123], v[200:201], v[110:111]
	s_waitcnt vmcnt(12) lgkmcnt(1)
	v_fma_f64 v[154:155], -v[122:123], v[190:191], v[154:155]
	ds_read2_b64 v[198:201], v217 offset0:38 offset1:39
	s_waitcnt vmcnt(11)
	v_fma_f64 v[108:109], -v[122:123], v[192:193], v[108:109]
	ds_read2_b64 v[190:193], v217 offset0:40 offset1:41
	s_waitcnt vmcnt(10) lgkmcnt(2)
	v_fma_f64 v[152:153], -v[122:123], v[194:195], v[152:153]
	s_waitcnt vmcnt(9)
	v_fma_f64 v[106:107], -v[122:123], v[196:197], v[106:107]
	s_waitcnt vmcnt(8) lgkmcnt(1)
	v_fma_f64 v[150:151], -v[122:123], v[198:199], v[150:151]
	s_waitcnt vmcnt(7)
	v_fma_f64 v[104:105], -v[122:123], v[200:201], v[104:105]
	ds_read2_b64 v[194:197], v217 offset0:42 offset1:43
	ds_read2_b64 v[198:201], v217 offset0:44 offset1:45
	s_waitcnt vmcnt(6) lgkmcnt(2)
	v_fma_f64 v[148:149], -v[122:123], v[190:191], v[148:149]
	ds_read_b64 v[190:191], v217 offset:368
	s_waitcnt vmcnt(5)
	v_fma_f64 v[102:103], -v[122:123], v[192:193], v[102:103]
	s_waitcnt vmcnt(4) lgkmcnt(2)
	v_fma_f64 v[146:147], -v[122:123], v[194:195], v[146:147]
	s_waitcnt vmcnt(3)
	v_fma_f64 v[100:101], -v[122:123], v[196:197], v[100:101]
	s_waitcnt vmcnt(2) lgkmcnt(1)
	v_fma_f64 v[144:145], -v[122:123], v[198:199], v[144:145]
	;; [unrolled: 4-line block ×3, first 2 shown]
.LBB93_111:
	s_or_b64 exec, exec, s[2:3]
	v_cmp_eq_u32_e32 vcc, 22, v218
	s_waitcnt lgkmcnt(0)
	s_barrier
	s_and_saveexec_b64 s[2:3], vcc
	s_cbranch_execz .LBB93_114
; %bb.112:
	s_waitcnt vmcnt(38)
	ds_write_b64 v216, v[166:167]
	s_waitcnt vmcnt(32)
	ds_write2_b64 v217, v[120:121], v[164:165] offset0:23 offset1:24
	s_waitcnt vmcnt(26)
	ds_write2_b64 v217, v[118:119], v[162:163] offset0:25 offset1:26
	;; [unrolled: 2-line block ×12, first 2 shown]
	ds_read_b64 v[190:191], v216
	s_waitcnt lgkmcnt(0)
	v_cmp_neq_f64_e32 vcc, 0, v[190:191]
	s_and_b64 exec, exec, vcc
	s_cbranch_execz .LBB93_114
; %bb.113:
	v_div_scale_f64 v[192:193], s[6:7], v[190:191], v[190:191], 1.0
	v_rcp_f64_e32 v[194:195], v[192:193]
	v_div_scale_f64 v[196:197], vcc, 1.0, v[190:191], 1.0
	v_fma_f64 v[198:199], -v[192:193], v[194:195], 1.0
	v_fmac_f64_e32 v[194:195], v[194:195], v[198:199]
	v_fma_f64 v[198:199], -v[192:193], v[194:195], 1.0
	v_fmac_f64_e32 v[194:195], v[194:195], v[198:199]
	v_mul_f64 v[198:199], v[196:197], v[194:195]
	v_fma_f64 v[192:193], -v[192:193], v[198:199], v[196:197]
	v_div_fmas_f64 v[192:193], v[192:193], v[194:195], v[198:199]
	v_div_fixup_f64 v[190:191], v[192:193], v[190:191], 1.0
	ds_write_b64 v216, v[190:191]
.LBB93_114:
	s_or_b64 exec, exec, s[2:3]
	s_waitcnt lgkmcnt(0)
	s_barrier
	ds_read_b64 v[234:235], v216
	v_cmp_lt_u32_e32 vcc, 22, v218
	s_and_saveexec_b64 s[2:3], vcc
	s_cbranch_execz .LBB93_116
; %bb.115:
	ds_read2_b64 v[190:193], v217 offset0:23 offset1:24
	ds_read2_b64 v[194:197], v217 offset0:25 offset1:26
	;; [unrolled: 1-line block ×3, first 2 shown]
	s_waitcnt vmcnt(38) lgkmcnt(3)
	v_mul_f64 v[166:167], v[234:235], v[166:167]
	s_waitcnt vmcnt(35) lgkmcnt(2)
	v_fma_f64 v[120:121], -v[166:167], v[190:191], v[120:121]
	s_waitcnt vmcnt(32)
	v_fma_f64 v[164:165], -v[166:167], v[192:193], v[164:165]
	ds_read2_b64 v[190:193], v217 offset0:29 offset1:30
	s_waitcnt vmcnt(29) lgkmcnt(2)
	v_fma_f64 v[118:119], -v[166:167], v[194:195], v[118:119]
	s_waitcnt vmcnt(26)
	v_fma_f64 v[162:163], -v[166:167], v[196:197], v[162:163]
	s_waitcnt vmcnt(23) lgkmcnt(1)
	v_fma_f64 v[116:117], -v[166:167], v[198:199], v[116:117]
	ds_read2_b64 v[194:197], v217 offset0:31 offset1:32
	s_waitcnt vmcnt(20)
	v_fma_f64 v[160:161], -v[166:167], v[200:201], v[160:161]
	ds_read2_b64 v[198:201], v217 offset0:33 offset1:34
	s_waitcnt vmcnt(17) lgkmcnt(2)
	v_fma_f64 v[114:115], -v[166:167], v[190:191], v[114:115]
	s_waitcnt vmcnt(16)
	v_fma_f64 v[158:159], -v[166:167], v[192:193], v[158:159]
	s_waitcnt vmcnt(15) lgkmcnt(1)
	v_fma_f64 v[112:113], -v[166:167], v[194:195], v[112:113]
	ds_read2_b64 v[190:193], v217 offset0:35 offset1:36
	s_waitcnt vmcnt(14)
	v_fma_f64 v[156:157], -v[166:167], v[196:197], v[156:157]
	ds_read2_b64 v[194:197], v217 offset0:37 offset1:38
	s_waitcnt vmcnt(13) lgkmcnt(2)
	v_fma_f64 v[110:111], -v[166:167], v[198:199], v[110:111]
	s_waitcnt vmcnt(12)
	v_fma_f64 v[154:155], -v[166:167], v[200:201], v[154:155]
	ds_read2_b64 v[198:201], v217 offset0:39 offset1:40
	s_waitcnt vmcnt(11) lgkmcnt(2)
	v_fma_f64 v[108:109], -v[166:167], v[190:191], v[108:109]
	;; [unrolled: 5-line block ×3, first 2 shown]
	s_waitcnt vmcnt(8)
	v_fma_f64 v[150:151], -v[166:167], v[196:197], v[150:151]
	s_waitcnt vmcnt(7) lgkmcnt(1)
	v_fma_f64 v[104:105], -v[166:167], v[198:199], v[104:105]
	ds_read2_b64 v[194:197], v217 offset0:43 offset1:44
	s_waitcnt vmcnt(6)
	v_fma_f64 v[148:149], -v[166:167], v[200:201], v[148:149]
	ds_read2_b64 v[198:201], v217 offset0:45 offset1:46
	s_waitcnt vmcnt(5) lgkmcnt(2)
	v_fma_f64 v[102:103], -v[166:167], v[190:191], v[102:103]
	s_waitcnt vmcnt(4)
	v_fma_f64 v[146:147], -v[166:167], v[192:193], v[146:147]
	s_waitcnt vmcnt(3) lgkmcnt(1)
	v_fma_f64 v[100:101], -v[166:167], v[194:195], v[100:101]
	s_waitcnt vmcnt(2)
	v_fma_f64 v[144:145], -v[166:167], v[196:197], v[144:145]
	;; [unrolled: 4-line block ×3, first 2 shown]
.LBB93_116:
	s_or_b64 exec, exec, s[2:3]
	v_cmp_eq_u32_e32 vcc, 23, v218
	s_waitcnt lgkmcnt(0)
	s_barrier
	s_and_saveexec_b64 s[2:3], vcc
	s_cbranch_execz .LBB93_119
; %bb.117:
	s_waitcnt vmcnt(32)
	v_mov_b32_e32 v190, v164
	v_mov_b32_e32 v191, v165
	s_waitcnt vmcnt(29)
	v_mov_b32_e32 v192, v118
	v_mov_b32_e32 v193, v119
	ds_write_b64 v216, v[120:121]
	ds_write2_b64 v217, v[190:191], v[192:193] offset0:24 offset1:25
	s_waitcnt vmcnt(26)
	v_mov_b32_e32 v190, v162
	v_mov_b32_e32 v191, v163
	s_waitcnt vmcnt(23)
	v_mov_b32_e32 v192, v116
	v_mov_b32_e32 v193, v117
	ds_write2_b64 v217, v[190:191], v[192:193] offset0:26 offset1:27
	s_waitcnt vmcnt(20)
	v_mov_b32_e32 v190, v160
	v_mov_b32_e32 v191, v161
	s_waitcnt vmcnt(17)
	v_mov_b32_e32 v192, v114
	v_mov_b32_e32 v193, v115
	;; [unrolled: 7-line block ×10, first 2 shown]
	ds_write2_b64 v217, v[190:191], v[192:193] offset0:44 offset1:45
	s_waitcnt vmcnt(0)
	ds_write_b64 v217, v[188:189] offset:368
	ds_read_b64 v[190:191], v216
	s_waitcnt lgkmcnt(0)
	v_cmp_neq_f64_e32 vcc, 0, v[190:191]
	s_and_b64 exec, exec, vcc
	s_cbranch_execz .LBB93_119
; %bb.118:
	v_div_scale_f64 v[192:193], s[6:7], v[190:191], v[190:191], 1.0
	v_rcp_f64_e32 v[194:195], v[192:193]
	v_div_scale_f64 v[196:197], vcc, 1.0, v[190:191], 1.0
	v_fma_f64 v[198:199], -v[192:193], v[194:195], 1.0
	v_fmac_f64_e32 v[194:195], v[194:195], v[198:199]
	v_fma_f64 v[198:199], -v[192:193], v[194:195], 1.0
	v_fmac_f64_e32 v[194:195], v[194:195], v[198:199]
	v_mul_f64 v[198:199], v[196:197], v[194:195]
	v_fma_f64 v[192:193], -v[192:193], v[198:199], v[196:197]
	v_div_fmas_f64 v[192:193], v[192:193], v[194:195], v[198:199]
	v_div_fixup_f64 v[190:191], v[192:193], v[190:191], 1.0
	ds_write_b64 v216, v[190:191]
.LBB93_119:
	s_or_b64 exec, exec, s[2:3]
	s_waitcnt lgkmcnt(0)
	s_barrier
	ds_read_b64 v[236:237], v216
	v_cmp_lt_u32_e32 vcc, 23, v218
	s_and_saveexec_b64 s[2:3], vcc
	s_cbranch_execz .LBB93_121
; %bb.120:
	ds_read2_b64 v[190:193], v217 offset0:24 offset1:25
	ds_read2_b64 v[194:197], v217 offset0:26 offset1:27
	;; [unrolled: 1-line block ×3, first 2 shown]
	s_waitcnt vmcnt(35) lgkmcnt(3)
	v_mul_f64 v[120:121], v[236:237], v[120:121]
	s_waitcnt vmcnt(32) lgkmcnt(2)
	v_fma_f64 v[164:165], -v[120:121], v[190:191], v[164:165]
	s_waitcnt vmcnt(29)
	v_fma_f64 v[118:119], -v[120:121], v[192:193], v[118:119]
	ds_read2_b64 v[190:193], v217 offset0:30 offset1:31
	s_waitcnt vmcnt(26) lgkmcnt(2)
	v_fma_f64 v[162:163], -v[120:121], v[194:195], v[162:163]
	s_waitcnt vmcnt(23)
	v_fma_f64 v[116:117], -v[120:121], v[196:197], v[116:117]
	s_waitcnt vmcnt(20) lgkmcnt(1)
	v_fma_f64 v[160:161], -v[120:121], v[198:199], v[160:161]
	ds_read2_b64 v[194:197], v217 offset0:32 offset1:33
	s_waitcnt vmcnt(17)
	v_fma_f64 v[114:115], -v[120:121], v[200:201], v[114:115]
	ds_read2_b64 v[198:201], v217 offset0:34 offset1:35
	s_waitcnt vmcnt(16) lgkmcnt(2)
	v_fma_f64 v[158:159], -v[120:121], v[190:191], v[158:159]
	s_waitcnt vmcnt(15)
	v_fma_f64 v[112:113], -v[120:121], v[192:193], v[112:113]
	s_waitcnt vmcnt(14) lgkmcnt(1)
	v_fma_f64 v[156:157], -v[120:121], v[194:195], v[156:157]
	ds_read2_b64 v[190:193], v217 offset0:36 offset1:37
	s_waitcnt vmcnt(13)
	v_fma_f64 v[110:111], -v[120:121], v[196:197], v[110:111]
	ds_read2_b64 v[194:197], v217 offset0:38 offset1:39
	s_waitcnt vmcnt(12) lgkmcnt(2)
	v_fma_f64 v[154:155], -v[120:121], v[198:199], v[154:155]
	s_waitcnt vmcnt(11)
	v_fma_f64 v[108:109], -v[120:121], v[200:201], v[108:109]
	ds_read2_b64 v[198:201], v217 offset0:40 offset1:41
	s_waitcnt vmcnt(10) lgkmcnt(2)
	v_fma_f64 v[152:153], -v[120:121], v[190:191], v[152:153]
	;; [unrolled: 5-line block ×3, first 2 shown]
	s_waitcnt vmcnt(7)
	v_fma_f64 v[104:105], -v[120:121], v[196:197], v[104:105]
	s_waitcnt vmcnt(6) lgkmcnt(1)
	v_fma_f64 v[148:149], -v[120:121], v[198:199], v[148:149]
	ds_read2_b64 v[194:197], v217 offset0:44 offset1:45
	ds_read_b64 v[198:199], v217 offset:368
	s_waitcnt vmcnt(5)
	v_fma_f64 v[102:103], -v[120:121], v[200:201], v[102:103]
	s_waitcnt vmcnt(4) lgkmcnt(2)
	v_fma_f64 v[146:147], -v[120:121], v[190:191], v[146:147]
	s_waitcnt vmcnt(3)
	v_fma_f64 v[100:101], -v[120:121], v[192:193], v[100:101]
	s_waitcnt vmcnt(2) lgkmcnt(1)
	v_fma_f64 v[144:145], -v[120:121], v[194:195], v[144:145]
	;; [unrolled: 4-line block ×3, first 2 shown]
.LBB93_121:
	s_or_b64 exec, exec, s[2:3]
	v_cmp_eq_u32_e32 vcc, 24, v218
	s_waitcnt lgkmcnt(0)
	s_barrier
	s_and_saveexec_b64 s[2:3], vcc
	s_cbranch_execz .LBB93_124
; %bb.122:
	s_waitcnt vmcnt(32)
	ds_write_b64 v216, v[164:165]
	s_waitcnt vmcnt(26)
	ds_write2_b64 v217, v[118:119], v[162:163] offset0:25 offset1:26
	s_waitcnt vmcnt(20)
	ds_write2_b64 v217, v[116:117], v[160:161] offset0:27 offset1:28
	;; [unrolled: 2-line block ×11, first 2 shown]
	ds_read_b64 v[190:191], v216
	s_waitcnt lgkmcnt(0)
	v_cmp_neq_f64_e32 vcc, 0, v[190:191]
	s_and_b64 exec, exec, vcc
	s_cbranch_execz .LBB93_124
; %bb.123:
	v_div_scale_f64 v[192:193], s[6:7], v[190:191], v[190:191], 1.0
	v_rcp_f64_e32 v[194:195], v[192:193]
	v_div_scale_f64 v[196:197], vcc, 1.0, v[190:191], 1.0
	v_fma_f64 v[198:199], -v[192:193], v[194:195], 1.0
	v_fmac_f64_e32 v[194:195], v[194:195], v[198:199]
	v_fma_f64 v[198:199], -v[192:193], v[194:195], 1.0
	v_fmac_f64_e32 v[194:195], v[194:195], v[198:199]
	v_mul_f64 v[198:199], v[196:197], v[194:195]
	v_fma_f64 v[192:193], -v[192:193], v[198:199], v[196:197]
	v_div_fmas_f64 v[192:193], v[192:193], v[194:195], v[198:199]
	v_div_fixup_f64 v[190:191], v[192:193], v[190:191], 1.0
	ds_write_b64 v216, v[190:191]
.LBB93_124:
	s_or_b64 exec, exec, s[2:3]
	s_waitcnt lgkmcnt(0)
	s_barrier
	ds_read_b64 v[238:239], v216
	v_cmp_lt_u32_e32 vcc, 24, v218
	s_and_saveexec_b64 s[2:3], vcc
	s_cbranch_execz .LBB93_126
; %bb.125:
	ds_read2_b64 v[190:193], v217 offset0:25 offset1:26
	ds_read2_b64 v[194:197], v217 offset0:27 offset1:28
	s_waitcnt vmcnt(32) lgkmcnt(2)
	v_mul_f64 v[164:165], v[238:239], v[164:165]
	ds_read2_b64 v[198:201], v217 offset0:29 offset1:30
	s_waitcnt vmcnt(29) lgkmcnt(2)
	v_fma_f64 v[118:119], -v[164:165], v[190:191], v[118:119]
	s_waitcnt vmcnt(26)
	v_fma_f64 v[162:163], -v[164:165], v[192:193], v[162:163]
	ds_read2_b64 v[190:193], v217 offset0:31 offset1:32
	s_waitcnt vmcnt(23) lgkmcnt(2)
	v_fma_f64 v[116:117], -v[164:165], v[194:195], v[116:117]
	s_waitcnt vmcnt(20)
	v_fma_f64 v[160:161], -v[164:165], v[196:197], v[160:161]
	;; [unrolled: 5-line block ×4, first 2 shown]
	s_waitcnt vmcnt(13) lgkmcnt(1)
	v_fma_f64 v[110:111], -v[164:165], v[194:195], v[110:111]
	ds_read2_b64 v[190:193], v217 offset0:37 offset1:38
	s_waitcnt vmcnt(12)
	v_fma_f64 v[154:155], -v[164:165], v[196:197], v[154:155]
	ds_read2_b64 v[194:197], v217 offset0:39 offset1:40
	s_waitcnt vmcnt(11) lgkmcnt(2)
	v_fma_f64 v[108:109], -v[164:165], v[198:199], v[108:109]
	s_waitcnt vmcnt(10)
	v_fma_f64 v[152:153], -v[164:165], v[200:201], v[152:153]
	s_waitcnt vmcnt(9) lgkmcnt(1)
	v_fma_f64 v[106:107], -v[164:165], v[190:191], v[106:107]
	s_waitcnt vmcnt(8)
	v_fma_f64 v[150:151], -v[164:165], v[192:193], v[150:151]
	ds_read2_b64 v[190:193], v217 offset0:41 offset1:42
	ds_read2_b64 v[198:201], v217 offset0:43 offset1:44
	s_waitcnt vmcnt(7) lgkmcnt(2)
	v_fma_f64 v[104:105], -v[164:165], v[194:195], v[104:105]
	s_waitcnt vmcnt(6)
	v_fma_f64 v[148:149], -v[164:165], v[196:197], v[148:149]
	ds_read2_b64 v[194:197], v217 offset0:45 offset1:46
	s_waitcnt vmcnt(5) lgkmcnt(2)
	v_fma_f64 v[102:103], -v[164:165], v[190:191], v[102:103]
	s_waitcnt vmcnt(4)
	v_fma_f64 v[146:147], -v[164:165], v[192:193], v[146:147]
	s_waitcnt vmcnt(3) lgkmcnt(1)
	v_fma_f64 v[100:101], -v[164:165], v[198:199], v[100:101]
	s_waitcnt vmcnt(2)
	v_fma_f64 v[144:145], -v[164:165], v[200:201], v[144:145]
	;; [unrolled: 4-line block ×3, first 2 shown]
.LBB93_126:
	s_or_b64 exec, exec, s[2:3]
	v_cmp_eq_u32_e32 vcc, 25, v218
	s_waitcnt lgkmcnt(0)
	s_barrier
	s_and_saveexec_b64 s[2:3], vcc
	s_cbranch_execz .LBB93_129
; %bb.127:
	s_waitcnt vmcnt(26)
	v_mov_b32_e32 v190, v162
	v_mov_b32_e32 v191, v163
	s_waitcnt vmcnt(23)
	v_mov_b32_e32 v192, v116
	v_mov_b32_e32 v193, v117
	ds_write_b64 v216, v[118:119]
	ds_write2_b64 v217, v[190:191], v[192:193] offset0:26 offset1:27
	s_waitcnt vmcnt(20)
	v_mov_b32_e32 v190, v160
	v_mov_b32_e32 v191, v161
	s_waitcnt vmcnt(17)
	v_mov_b32_e32 v192, v114
	v_mov_b32_e32 v193, v115
	ds_write2_b64 v217, v[190:191], v[192:193] offset0:28 offset1:29
	s_waitcnt vmcnt(16)
	v_mov_b32_e32 v190, v158
	v_mov_b32_e32 v191, v159
	s_waitcnt vmcnt(15)
	v_mov_b32_e32 v192, v112
	v_mov_b32_e32 v193, v113
	;; [unrolled: 7-line block ×9, first 2 shown]
	ds_write2_b64 v217, v[190:191], v[192:193] offset0:44 offset1:45
	s_waitcnt vmcnt(0)
	ds_write_b64 v217, v[188:189] offset:368
	ds_read_b64 v[190:191], v216
	s_waitcnt lgkmcnt(0)
	v_cmp_neq_f64_e32 vcc, 0, v[190:191]
	s_and_b64 exec, exec, vcc
	s_cbranch_execz .LBB93_129
; %bb.128:
	v_div_scale_f64 v[192:193], s[6:7], v[190:191], v[190:191], 1.0
	v_rcp_f64_e32 v[194:195], v[192:193]
	v_div_scale_f64 v[196:197], vcc, 1.0, v[190:191], 1.0
	v_fma_f64 v[198:199], -v[192:193], v[194:195], 1.0
	v_fmac_f64_e32 v[194:195], v[194:195], v[198:199]
	v_fma_f64 v[198:199], -v[192:193], v[194:195], 1.0
	v_fmac_f64_e32 v[194:195], v[194:195], v[198:199]
	v_mul_f64 v[198:199], v[196:197], v[194:195]
	v_fma_f64 v[192:193], -v[192:193], v[198:199], v[196:197]
	v_div_fmas_f64 v[192:193], v[192:193], v[194:195], v[198:199]
	v_div_fixup_f64 v[190:191], v[192:193], v[190:191], 1.0
	ds_write_b64 v216, v[190:191]
.LBB93_129:
	s_or_b64 exec, exec, s[2:3]
	s_waitcnt lgkmcnt(0)
	s_barrier
	ds_read_b64 v[240:241], v216
	v_cmp_lt_u32_e32 vcc, 25, v218
	s_and_saveexec_b64 s[2:3], vcc
	s_cbranch_execz .LBB93_131
; %bb.130:
	ds_read2_b64 v[190:193], v217 offset0:26 offset1:27
	ds_read2_b64 v[194:197], v217 offset0:28 offset1:29
	s_waitcnt vmcnt(29) lgkmcnt(2)
	v_mul_f64 v[118:119], v[240:241], v[118:119]
	ds_read2_b64 v[198:201], v217 offset0:30 offset1:31
	s_waitcnt vmcnt(26) lgkmcnt(2)
	v_fma_f64 v[162:163], -v[118:119], v[190:191], v[162:163]
	s_waitcnt vmcnt(23)
	v_fma_f64 v[116:117], -v[118:119], v[192:193], v[116:117]
	ds_read2_b64 v[190:193], v217 offset0:32 offset1:33
	s_waitcnt vmcnt(20) lgkmcnt(2)
	v_fma_f64 v[160:161], -v[118:119], v[194:195], v[160:161]
	s_waitcnt vmcnt(17)
	v_fma_f64 v[114:115], -v[118:119], v[196:197], v[114:115]
	;; [unrolled: 5-line block ×4, first 2 shown]
	s_waitcnt vmcnt(12) lgkmcnt(1)
	v_fma_f64 v[154:155], -v[118:119], v[194:195], v[154:155]
	ds_read2_b64 v[190:193], v217 offset0:38 offset1:39
	s_waitcnt vmcnt(11)
	v_fma_f64 v[108:109], -v[118:119], v[196:197], v[108:109]
	ds_read2_b64 v[194:197], v217 offset0:40 offset1:41
	s_waitcnt vmcnt(10) lgkmcnt(2)
	v_fma_f64 v[152:153], -v[118:119], v[198:199], v[152:153]
	s_waitcnt vmcnt(9)
	v_fma_f64 v[106:107], -v[118:119], v[200:201], v[106:107]
	s_waitcnt vmcnt(8) lgkmcnt(1)
	v_fma_f64 v[150:151], -v[118:119], v[190:191], v[150:151]
	s_waitcnt vmcnt(7)
	v_fma_f64 v[104:105], -v[118:119], v[192:193], v[104:105]
	ds_read2_b64 v[190:193], v217 offset0:42 offset1:43
	ds_read2_b64 v[198:201], v217 offset0:44 offset1:45
	s_waitcnt vmcnt(6) lgkmcnt(2)
	v_fma_f64 v[148:149], -v[118:119], v[194:195], v[148:149]
	ds_read_b64 v[194:195], v217 offset:368
	s_waitcnt vmcnt(5)
	v_fma_f64 v[102:103], -v[118:119], v[196:197], v[102:103]
	s_waitcnt vmcnt(4) lgkmcnt(2)
	v_fma_f64 v[146:147], -v[118:119], v[190:191], v[146:147]
	s_waitcnt vmcnt(3)
	v_fma_f64 v[100:101], -v[118:119], v[192:193], v[100:101]
	s_waitcnt vmcnt(2) lgkmcnt(1)
	v_fma_f64 v[144:145], -v[118:119], v[198:199], v[144:145]
	;; [unrolled: 4-line block ×3, first 2 shown]
.LBB93_131:
	s_or_b64 exec, exec, s[2:3]
	v_cmp_eq_u32_e32 vcc, 26, v218
	s_waitcnt lgkmcnt(0)
	s_barrier
	s_and_saveexec_b64 s[2:3], vcc
	s_cbranch_execz .LBB93_134
; %bb.132:
	s_waitcnt vmcnt(26)
	ds_write_b64 v216, v[162:163]
	s_waitcnt vmcnt(20)
	ds_write2_b64 v217, v[116:117], v[160:161] offset0:27 offset1:28
	s_waitcnt vmcnt(16)
	ds_write2_b64 v217, v[114:115], v[158:159] offset0:29 offset1:30
	;; [unrolled: 2-line block ×10, first 2 shown]
	ds_read_b64 v[190:191], v216
	s_waitcnt lgkmcnt(0)
	v_cmp_neq_f64_e32 vcc, 0, v[190:191]
	s_and_b64 exec, exec, vcc
	s_cbranch_execz .LBB93_134
; %bb.133:
	v_div_scale_f64 v[192:193], s[6:7], v[190:191], v[190:191], 1.0
	v_rcp_f64_e32 v[194:195], v[192:193]
	v_div_scale_f64 v[196:197], vcc, 1.0, v[190:191], 1.0
	v_fma_f64 v[198:199], -v[192:193], v[194:195], 1.0
	v_fmac_f64_e32 v[194:195], v[194:195], v[198:199]
	v_fma_f64 v[198:199], -v[192:193], v[194:195], 1.0
	v_fmac_f64_e32 v[194:195], v[194:195], v[198:199]
	v_mul_f64 v[198:199], v[196:197], v[194:195]
	v_fma_f64 v[192:193], -v[192:193], v[198:199], v[196:197]
	v_div_fmas_f64 v[192:193], v[192:193], v[194:195], v[198:199]
	v_div_fixup_f64 v[190:191], v[192:193], v[190:191], 1.0
	ds_write_b64 v216, v[190:191]
.LBB93_134:
	s_or_b64 exec, exec, s[2:3]
	s_waitcnt lgkmcnt(0)
	s_barrier
	ds_read_b64 v[242:243], v216
	v_cmp_lt_u32_e32 vcc, 26, v218
	s_and_saveexec_b64 s[2:3], vcc
	s_cbranch_execz .LBB93_136
; %bb.135:
	ds_read2_b64 v[190:193], v217 offset0:27 offset1:28
	s_waitcnt vmcnt(26) lgkmcnt(1)
	v_mul_f64 v[162:163], v[242:243], v[162:163]
	s_waitcnt vmcnt(23) lgkmcnt(0)
	v_fma_f64 v[116:117], -v[162:163], v[190:191], v[116:117]
	s_waitcnt vmcnt(20)
	v_fma_f64 v[160:161], -v[162:163], v[192:193], v[160:161]
	ds_read2_b64 v[190:193], v217 offset0:29 offset1:30
	s_waitcnt vmcnt(17) lgkmcnt(0)
	v_fma_f64 v[114:115], -v[162:163], v[190:191], v[114:115]
	s_waitcnt vmcnt(16)
	v_fma_f64 v[158:159], -v[162:163], v[192:193], v[158:159]
	ds_read2_b64 v[190:193], v217 offset0:31 offset1:32
	;; [unrolled: 5-line block ×9, first 2 shown]
	s_waitcnt vmcnt(1) lgkmcnt(0)
	v_fma_f64 v[98:99], -v[162:163], v[190:191], v[98:99]
	s_waitcnt vmcnt(0)
	v_fma_f64 v[188:189], -v[162:163], v[192:193], v[188:189]
.LBB93_136:
	s_or_b64 exec, exec, s[2:3]
	v_cmp_eq_u32_e32 vcc, 27, v218
	s_waitcnt lgkmcnt(0)
	s_barrier
	s_and_saveexec_b64 s[2:3], vcc
	s_cbranch_execz .LBB93_139
; %bb.137:
	s_waitcnt vmcnt(20)
	v_mov_b32_e32 v190, v160
	v_mov_b32_e32 v191, v161
	s_waitcnt vmcnt(17)
	v_mov_b32_e32 v192, v114
	v_mov_b32_e32 v193, v115
	ds_write_b64 v216, v[116:117]
	ds_write2_b64 v217, v[190:191], v[192:193] offset0:28 offset1:29
	s_waitcnt vmcnt(16)
	v_mov_b32_e32 v190, v158
	v_mov_b32_e32 v191, v159
	s_waitcnt vmcnt(15)
	v_mov_b32_e32 v192, v112
	v_mov_b32_e32 v193, v113
	ds_write2_b64 v217, v[190:191], v[192:193] offset0:30 offset1:31
	s_waitcnt vmcnt(14)
	v_mov_b32_e32 v190, v156
	v_mov_b32_e32 v191, v157
	s_waitcnt vmcnt(13)
	v_mov_b32_e32 v192, v110
	v_mov_b32_e32 v193, v111
	;; [unrolled: 7-line block ×8, first 2 shown]
	ds_write2_b64 v217, v[190:191], v[192:193] offset0:44 offset1:45
	s_waitcnt vmcnt(0)
	ds_write_b64 v217, v[188:189] offset:368
	ds_read_b64 v[190:191], v216
	s_waitcnt lgkmcnt(0)
	v_cmp_neq_f64_e32 vcc, 0, v[190:191]
	s_and_b64 exec, exec, vcc
	s_cbranch_execz .LBB93_139
; %bb.138:
	v_div_scale_f64 v[192:193], s[6:7], v[190:191], v[190:191], 1.0
	v_rcp_f64_e32 v[194:195], v[192:193]
	v_div_scale_f64 v[196:197], vcc, 1.0, v[190:191], 1.0
	v_fma_f64 v[198:199], -v[192:193], v[194:195], 1.0
	v_fmac_f64_e32 v[194:195], v[194:195], v[198:199]
	v_fma_f64 v[198:199], -v[192:193], v[194:195], 1.0
	v_fmac_f64_e32 v[194:195], v[194:195], v[198:199]
	v_mul_f64 v[198:199], v[196:197], v[194:195]
	v_fma_f64 v[192:193], -v[192:193], v[198:199], v[196:197]
	v_div_fmas_f64 v[192:193], v[192:193], v[194:195], v[198:199]
	v_div_fixup_f64 v[190:191], v[192:193], v[190:191], 1.0
	ds_write_b64 v216, v[190:191]
.LBB93_139:
	s_or_b64 exec, exec, s[2:3]
	s_waitcnt lgkmcnt(0)
	s_barrier
	ds_read_b64 v[244:245], v216
	v_cmp_lt_u32_e32 vcc, 27, v218
	s_and_saveexec_b64 s[2:3], vcc
	s_cbranch_execz .LBB93_141
; %bb.140:
	ds_read2_b64 v[190:193], v217 offset0:28 offset1:29
	s_waitcnt vmcnt(23) lgkmcnt(1)
	v_mul_f64 v[116:117], v[244:245], v[116:117]
	s_waitcnt vmcnt(20) lgkmcnt(0)
	v_fma_f64 v[160:161], -v[116:117], v[190:191], v[160:161]
	s_waitcnt vmcnt(17)
	v_fma_f64 v[114:115], -v[116:117], v[192:193], v[114:115]
	ds_read2_b64 v[190:193], v217 offset0:30 offset1:31
	s_waitcnt vmcnt(16) lgkmcnt(0)
	v_fma_f64 v[158:159], -v[116:117], v[190:191], v[158:159]
	s_waitcnt vmcnt(15)
	v_fma_f64 v[112:113], -v[116:117], v[192:193], v[112:113]
	ds_read2_b64 v[190:193], v217 offset0:32 offset1:33
	;; [unrolled: 5-line block ×8, first 2 shown]
	s_waitcnt vmcnt(2) lgkmcnt(0)
	v_fma_f64 v[144:145], -v[116:117], v[190:191], v[144:145]
	ds_read_b64 v[190:191], v217 offset:368
	s_waitcnt vmcnt(1)
	v_fma_f64 v[98:99], -v[116:117], v[192:193], v[98:99]
	s_waitcnt vmcnt(0) lgkmcnt(0)
	v_fma_f64 v[188:189], -v[116:117], v[190:191], v[188:189]
.LBB93_141:
	s_or_b64 exec, exec, s[2:3]
	v_cmp_eq_u32_e32 vcc, 28, v218
	s_waitcnt lgkmcnt(0)
	s_barrier
	s_and_saveexec_b64 s[2:3], vcc
	s_cbranch_execz .LBB93_144
; %bb.142:
	s_waitcnt vmcnt(20)
	ds_write_b64 v216, v[160:161]
	s_waitcnt vmcnt(16)
	ds_write2_b64 v217, v[114:115], v[158:159] offset0:29 offset1:30
	s_waitcnt vmcnt(14)
	ds_write2_b64 v217, v[112:113], v[156:157] offset0:31 offset1:32
	;; [unrolled: 2-line block ×9, first 2 shown]
	ds_read_b64 v[190:191], v216
	s_waitcnt lgkmcnt(0)
	v_cmp_neq_f64_e32 vcc, 0, v[190:191]
	s_and_b64 exec, exec, vcc
	s_cbranch_execz .LBB93_144
; %bb.143:
	v_div_scale_f64 v[192:193], s[6:7], v[190:191], v[190:191], 1.0
	v_rcp_f64_e32 v[194:195], v[192:193]
	v_div_scale_f64 v[196:197], vcc, 1.0, v[190:191], 1.0
	v_fma_f64 v[198:199], -v[192:193], v[194:195], 1.0
	v_fmac_f64_e32 v[194:195], v[194:195], v[198:199]
	v_fma_f64 v[198:199], -v[192:193], v[194:195], 1.0
	v_fmac_f64_e32 v[194:195], v[194:195], v[198:199]
	v_mul_f64 v[198:199], v[196:197], v[194:195]
	v_fma_f64 v[192:193], -v[192:193], v[198:199], v[196:197]
	v_div_fmas_f64 v[192:193], v[192:193], v[194:195], v[198:199]
	v_div_fixup_f64 v[190:191], v[192:193], v[190:191], 1.0
	ds_write_b64 v216, v[190:191]
.LBB93_144:
	s_or_b64 exec, exec, s[2:3]
	s_waitcnt lgkmcnt(0)
	s_barrier
	ds_read_b64 v[246:247], v216
	v_cmp_lt_u32_e32 vcc, 28, v218
	s_and_saveexec_b64 s[2:3], vcc
	s_cbranch_execz .LBB93_146
; %bb.145:
	ds_read2_b64 v[190:193], v217 offset0:29 offset1:30
	s_waitcnt vmcnt(20) lgkmcnt(1)
	v_mul_f64 v[160:161], v[246:247], v[160:161]
	s_waitcnt vmcnt(17) lgkmcnt(0)
	v_fma_f64 v[114:115], -v[160:161], v[190:191], v[114:115]
	s_waitcnt vmcnt(16)
	v_fma_f64 v[158:159], -v[160:161], v[192:193], v[158:159]
	ds_read2_b64 v[190:193], v217 offset0:31 offset1:32
	s_waitcnt vmcnt(15) lgkmcnt(0)
	v_fma_f64 v[112:113], -v[160:161], v[190:191], v[112:113]
	s_waitcnt vmcnt(14)
	v_fma_f64 v[156:157], -v[160:161], v[192:193], v[156:157]
	ds_read2_b64 v[190:193], v217 offset0:33 offset1:34
	;; [unrolled: 5-line block ×8, first 2 shown]
	s_waitcnt vmcnt(1) lgkmcnt(0)
	v_fma_f64 v[98:99], -v[160:161], v[190:191], v[98:99]
	s_waitcnt vmcnt(0)
	v_fma_f64 v[188:189], -v[160:161], v[192:193], v[188:189]
.LBB93_146:
	s_or_b64 exec, exec, s[2:3]
	v_cmp_eq_u32_e32 vcc, 29, v218
	s_waitcnt lgkmcnt(0)
	s_barrier
	s_and_saveexec_b64 s[2:3], vcc
	s_cbranch_execz .LBB93_149
; %bb.147:
	s_waitcnt vmcnt(16)
	v_mov_b32_e32 v190, v158
	v_mov_b32_e32 v191, v159
	s_waitcnt vmcnt(15)
	v_mov_b32_e32 v192, v112
	v_mov_b32_e32 v193, v113
	ds_write_b64 v216, v[114:115]
	ds_write2_b64 v217, v[190:191], v[192:193] offset0:30 offset1:31
	s_waitcnt vmcnt(14)
	v_mov_b32_e32 v190, v156
	v_mov_b32_e32 v191, v157
	s_waitcnt vmcnt(13)
	v_mov_b32_e32 v192, v110
	v_mov_b32_e32 v193, v111
	ds_write2_b64 v217, v[190:191], v[192:193] offset0:32 offset1:33
	s_waitcnt vmcnt(12)
	v_mov_b32_e32 v190, v154
	v_mov_b32_e32 v191, v155
	s_waitcnt vmcnt(11)
	v_mov_b32_e32 v192, v108
	v_mov_b32_e32 v193, v109
	;; [unrolled: 7-line block ×7, first 2 shown]
	ds_write2_b64 v217, v[190:191], v[192:193] offset0:44 offset1:45
	s_waitcnt vmcnt(0)
	ds_write_b64 v217, v[188:189] offset:368
	ds_read_b64 v[190:191], v216
	s_waitcnt lgkmcnt(0)
	v_cmp_neq_f64_e32 vcc, 0, v[190:191]
	s_and_b64 exec, exec, vcc
	s_cbranch_execz .LBB93_149
; %bb.148:
	v_div_scale_f64 v[192:193], s[6:7], v[190:191], v[190:191], 1.0
	v_rcp_f64_e32 v[194:195], v[192:193]
	v_div_scale_f64 v[196:197], vcc, 1.0, v[190:191], 1.0
	v_fma_f64 v[198:199], -v[192:193], v[194:195], 1.0
	v_fmac_f64_e32 v[194:195], v[194:195], v[198:199]
	v_fma_f64 v[198:199], -v[192:193], v[194:195], 1.0
	v_fmac_f64_e32 v[194:195], v[194:195], v[198:199]
	v_mul_f64 v[198:199], v[196:197], v[194:195]
	v_fma_f64 v[192:193], -v[192:193], v[198:199], v[196:197]
	v_div_fmas_f64 v[192:193], v[192:193], v[194:195], v[198:199]
	v_div_fixup_f64 v[190:191], v[192:193], v[190:191], 1.0
	ds_write_b64 v216, v[190:191]
.LBB93_149:
	s_or_b64 exec, exec, s[2:3]
	s_waitcnt lgkmcnt(0)
	s_barrier
	ds_read_b64 v[248:249], v216
	v_cmp_lt_u32_e32 vcc, 29, v218
	s_and_saveexec_b64 s[2:3], vcc
	s_cbranch_execz .LBB93_151
; %bb.150:
	ds_read2_b64 v[190:193], v217 offset0:30 offset1:31
	s_waitcnt vmcnt(17) lgkmcnt(1)
	v_mul_f64 v[114:115], v[248:249], v[114:115]
	s_waitcnt vmcnt(16) lgkmcnt(0)
	v_fma_f64 v[158:159], -v[114:115], v[190:191], v[158:159]
	s_waitcnt vmcnt(15)
	v_fma_f64 v[112:113], -v[114:115], v[192:193], v[112:113]
	ds_read2_b64 v[190:193], v217 offset0:32 offset1:33
	s_waitcnt vmcnt(14) lgkmcnt(0)
	v_fma_f64 v[156:157], -v[114:115], v[190:191], v[156:157]
	s_waitcnt vmcnt(13)
	v_fma_f64 v[110:111], -v[114:115], v[192:193], v[110:111]
	ds_read2_b64 v[190:193], v217 offset0:34 offset1:35
	;; [unrolled: 5-line block ×7, first 2 shown]
	s_waitcnt vmcnt(2) lgkmcnt(0)
	v_fma_f64 v[144:145], -v[114:115], v[190:191], v[144:145]
	ds_read_b64 v[190:191], v217 offset:368
	s_waitcnt vmcnt(1)
	v_fma_f64 v[98:99], -v[114:115], v[192:193], v[98:99]
	s_waitcnt vmcnt(0) lgkmcnt(0)
	v_fma_f64 v[188:189], -v[114:115], v[190:191], v[188:189]
.LBB93_151:
	s_or_b64 exec, exec, s[2:3]
	v_cmp_eq_u32_e32 vcc, 30, v218
	s_waitcnt lgkmcnt(0)
	s_barrier
	s_and_saveexec_b64 s[2:3], vcc
	s_cbranch_execz .LBB93_154
; %bb.152:
	s_waitcnt vmcnt(16)
	ds_write_b64 v216, v[158:159]
	s_waitcnt vmcnt(14)
	ds_write2_b64 v217, v[112:113], v[156:157] offset0:31 offset1:32
	s_waitcnt vmcnt(12)
	ds_write2_b64 v217, v[110:111], v[154:155] offset0:33 offset1:34
	;; [unrolled: 2-line block ×8, first 2 shown]
	ds_read_b64 v[190:191], v216
	s_waitcnt lgkmcnt(0)
	v_cmp_neq_f64_e32 vcc, 0, v[190:191]
	s_and_b64 exec, exec, vcc
	s_cbranch_execz .LBB93_154
; %bb.153:
	v_div_scale_f64 v[192:193], s[6:7], v[190:191], v[190:191], 1.0
	v_rcp_f64_e32 v[194:195], v[192:193]
	v_div_scale_f64 v[196:197], vcc, 1.0, v[190:191], 1.0
	v_fma_f64 v[198:199], -v[192:193], v[194:195], 1.0
	v_fmac_f64_e32 v[194:195], v[194:195], v[198:199]
	v_fma_f64 v[198:199], -v[192:193], v[194:195], 1.0
	v_fmac_f64_e32 v[194:195], v[194:195], v[198:199]
	v_mul_f64 v[198:199], v[196:197], v[194:195]
	v_fma_f64 v[192:193], -v[192:193], v[198:199], v[196:197]
	v_div_fmas_f64 v[192:193], v[192:193], v[194:195], v[198:199]
	v_div_fixup_f64 v[190:191], v[192:193], v[190:191], 1.0
	ds_write_b64 v216, v[190:191]
.LBB93_154:
	s_or_b64 exec, exec, s[2:3]
	s_waitcnt lgkmcnt(0)
	s_barrier
	ds_read_b64 v[250:251], v216
	v_cmp_lt_u32_e32 vcc, 30, v218
	s_and_saveexec_b64 s[2:3], vcc
	s_cbranch_execz .LBB93_156
; %bb.155:
	ds_read2_b64 v[190:193], v217 offset0:31 offset1:32
	s_waitcnt vmcnt(16) lgkmcnt(1)
	v_mul_f64 v[158:159], v[250:251], v[158:159]
	s_waitcnt vmcnt(15) lgkmcnt(0)
	v_fma_f64 v[112:113], -v[158:159], v[190:191], v[112:113]
	s_waitcnt vmcnt(14)
	v_fma_f64 v[156:157], -v[158:159], v[192:193], v[156:157]
	ds_read2_b64 v[190:193], v217 offset0:33 offset1:34
	s_waitcnt vmcnt(13) lgkmcnt(0)
	v_fma_f64 v[110:111], -v[158:159], v[190:191], v[110:111]
	s_waitcnt vmcnt(12)
	v_fma_f64 v[154:155], -v[158:159], v[192:193], v[154:155]
	ds_read2_b64 v[190:193], v217 offset0:35 offset1:36
	;; [unrolled: 5-line block ×7, first 2 shown]
	s_waitcnt vmcnt(1) lgkmcnt(0)
	v_fma_f64 v[98:99], -v[158:159], v[190:191], v[98:99]
	s_waitcnt vmcnt(0)
	v_fma_f64 v[188:189], -v[158:159], v[192:193], v[188:189]
.LBB93_156:
	s_or_b64 exec, exec, s[2:3]
	v_cmp_eq_u32_e32 vcc, 31, v218
	s_waitcnt lgkmcnt(0)
	s_barrier
	s_and_saveexec_b64 s[2:3], vcc
	s_cbranch_execz .LBB93_159
; %bb.157:
	s_waitcnt vmcnt(14)
	v_mov_b32_e32 v190, v156
	v_mov_b32_e32 v191, v157
	s_waitcnt vmcnt(13)
	v_mov_b32_e32 v192, v110
	v_mov_b32_e32 v193, v111
	ds_write_b64 v216, v[112:113]
	ds_write2_b64 v217, v[190:191], v[192:193] offset0:32 offset1:33
	s_waitcnt vmcnt(12)
	v_mov_b32_e32 v190, v154
	v_mov_b32_e32 v191, v155
	s_waitcnt vmcnt(11)
	v_mov_b32_e32 v192, v108
	v_mov_b32_e32 v193, v109
	ds_write2_b64 v217, v[190:191], v[192:193] offset0:34 offset1:35
	s_waitcnt vmcnt(10)
	v_mov_b32_e32 v190, v152
	v_mov_b32_e32 v191, v153
	s_waitcnt vmcnt(9)
	v_mov_b32_e32 v192, v106
	v_mov_b32_e32 v193, v107
	;; [unrolled: 7-line block ×6, first 2 shown]
	ds_write2_b64 v217, v[190:191], v[192:193] offset0:44 offset1:45
	s_waitcnt vmcnt(0)
	ds_write_b64 v217, v[188:189] offset:368
	ds_read_b64 v[190:191], v216
	s_waitcnt lgkmcnt(0)
	v_cmp_neq_f64_e32 vcc, 0, v[190:191]
	s_and_b64 exec, exec, vcc
	s_cbranch_execz .LBB93_159
; %bb.158:
	v_div_scale_f64 v[192:193], s[6:7], v[190:191], v[190:191], 1.0
	v_rcp_f64_e32 v[194:195], v[192:193]
	v_div_scale_f64 v[196:197], vcc, 1.0, v[190:191], 1.0
	v_fma_f64 v[198:199], -v[192:193], v[194:195], 1.0
	v_fmac_f64_e32 v[194:195], v[194:195], v[198:199]
	v_fma_f64 v[198:199], -v[192:193], v[194:195], 1.0
	v_fmac_f64_e32 v[194:195], v[194:195], v[198:199]
	v_mul_f64 v[198:199], v[196:197], v[194:195]
	v_fma_f64 v[192:193], -v[192:193], v[198:199], v[196:197]
	v_div_fmas_f64 v[192:193], v[192:193], v[194:195], v[198:199]
	v_div_fixup_f64 v[190:191], v[192:193], v[190:191], 1.0
	ds_write_b64 v216, v[190:191]
.LBB93_159:
	s_or_b64 exec, exec, s[2:3]
	s_waitcnt lgkmcnt(0)
	s_barrier
	ds_read_b64 v[252:253], v216
	v_cmp_lt_u32_e32 vcc, 31, v218
	s_and_saveexec_b64 s[2:3], vcc
	s_cbranch_execz .LBB93_161
; %bb.160:
	ds_read2_b64 v[190:193], v217 offset0:32 offset1:33
	s_waitcnt vmcnt(15) lgkmcnt(1)
	v_mul_f64 v[112:113], v[252:253], v[112:113]
	s_waitcnt vmcnt(14) lgkmcnt(0)
	v_fma_f64 v[156:157], -v[112:113], v[190:191], v[156:157]
	s_waitcnt vmcnt(13)
	v_fma_f64 v[110:111], -v[112:113], v[192:193], v[110:111]
	ds_read2_b64 v[190:193], v217 offset0:34 offset1:35
	s_waitcnt vmcnt(12) lgkmcnt(0)
	v_fma_f64 v[154:155], -v[112:113], v[190:191], v[154:155]
	s_waitcnt vmcnt(11)
	v_fma_f64 v[108:109], -v[112:113], v[192:193], v[108:109]
	ds_read2_b64 v[190:193], v217 offset0:36 offset1:37
	;; [unrolled: 5-line block ×6, first 2 shown]
	s_waitcnt vmcnt(2) lgkmcnt(0)
	v_fma_f64 v[144:145], -v[112:113], v[190:191], v[144:145]
	ds_read_b64 v[190:191], v217 offset:368
	s_waitcnt vmcnt(1)
	v_fma_f64 v[98:99], -v[112:113], v[192:193], v[98:99]
	s_waitcnt vmcnt(0) lgkmcnt(0)
	v_fma_f64 v[188:189], -v[112:113], v[190:191], v[188:189]
.LBB93_161:
	s_or_b64 exec, exec, s[2:3]
	v_cmp_eq_u32_e32 vcc, 32, v218
	s_waitcnt lgkmcnt(0)
	s_barrier
	s_and_saveexec_b64 s[2:3], vcc
	s_cbranch_execz .LBB93_164
; %bb.162:
	s_waitcnt vmcnt(14)
	ds_write_b64 v216, v[156:157]
	s_waitcnt vmcnt(12)
	ds_write2_b64 v217, v[110:111], v[154:155] offset0:33 offset1:34
	s_waitcnt vmcnt(10)
	ds_write2_b64 v217, v[108:109], v[152:153] offset0:35 offset1:36
	s_waitcnt vmcnt(8)
	ds_write2_b64 v217, v[106:107], v[150:151] offset0:37 offset1:38
	s_waitcnt vmcnt(6)
	ds_write2_b64 v217, v[104:105], v[148:149] offset0:39 offset1:40
	s_waitcnt vmcnt(4)
	ds_write2_b64 v217, v[102:103], v[146:147] offset0:41 offset1:42
	s_waitcnt vmcnt(2)
	ds_write2_b64 v217, v[100:101], v[144:145] offset0:43 offset1:44
	s_waitcnt vmcnt(0)
	ds_write2_b64 v217, v[98:99], v[188:189] offset0:45 offset1:46
	ds_read_b64 v[190:191], v216
	s_waitcnt lgkmcnt(0)
	v_cmp_neq_f64_e32 vcc, 0, v[190:191]
	s_and_b64 exec, exec, vcc
	s_cbranch_execz .LBB93_164
; %bb.163:
	v_div_scale_f64 v[192:193], s[6:7], v[190:191], v[190:191], 1.0
	v_rcp_f64_e32 v[194:195], v[192:193]
	v_div_scale_f64 v[196:197], vcc, 1.0, v[190:191], 1.0
	v_fma_f64 v[198:199], -v[192:193], v[194:195], 1.0
	v_fmac_f64_e32 v[194:195], v[194:195], v[198:199]
	v_fma_f64 v[198:199], -v[192:193], v[194:195], 1.0
	v_fmac_f64_e32 v[194:195], v[194:195], v[198:199]
	v_mul_f64 v[198:199], v[196:197], v[194:195]
	v_fma_f64 v[192:193], -v[192:193], v[198:199], v[196:197]
	v_div_fmas_f64 v[192:193], v[192:193], v[194:195], v[198:199]
	v_div_fixup_f64 v[190:191], v[192:193], v[190:191], 1.0
	ds_write_b64 v216, v[190:191]
.LBB93_164:
	s_or_b64 exec, exec, s[2:3]
	s_waitcnt lgkmcnt(0)
	s_barrier
	ds_read_b64 v[254:255], v216
	v_cmp_lt_u32_e32 vcc, 32, v218
	s_and_saveexec_b64 s[2:3], vcc
	s_cbranch_execz .LBB93_166
; %bb.165:
	ds_read2_b64 v[190:193], v217 offset0:33 offset1:34
	s_waitcnt vmcnt(14) lgkmcnt(1)
	v_mul_f64 v[156:157], v[254:255], v[156:157]
	s_waitcnt vmcnt(13) lgkmcnt(0)
	v_fma_f64 v[110:111], -v[156:157], v[190:191], v[110:111]
	s_waitcnt vmcnt(12)
	v_fma_f64 v[154:155], -v[156:157], v[192:193], v[154:155]
	ds_read2_b64 v[190:193], v217 offset0:35 offset1:36
	s_waitcnt vmcnt(11) lgkmcnt(0)
	v_fma_f64 v[108:109], -v[156:157], v[190:191], v[108:109]
	s_waitcnt vmcnt(10)
	v_fma_f64 v[152:153], -v[156:157], v[192:193], v[152:153]
	ds_read2_b64 v[190:193], v217 offset0:37 offset1:38
	;; [unrolled: 5-line block ×6, first 2 shown]
	s_waitcnt vmcnt(1) lgkmcnt(0)
	v_fma_f64 v[98:99], -v[156:157], v[190:191], v[98:99]
	s_waitcnt vmcnt(0)
	v_fma_f64 v[188:189], -v[156:157], v[192:193], v[188:189]
.LBB93_166:
	s_or_b64 exec, exec, s[2:3]
	v_cmp_eq_u32_e32 vcc, 33, v218
	s_waitcnt lgkmcnt(0)
	s_barrier
	s_and_saveexec_b64 s[2:3], vcc
	s_cbranch_execz .LBB93_169
; %bb.167:
	s_waitcnt vmcnt(12)
	v_mov_b32_e32 v190, v154
	v_mov_b32_e32 v191, v155
	s_waitcnt vmcnt(11)
	v_mov_b32_e32 v192, v108
	v_mov_b32_e32 v193, v109
	ds_write_b64 v216, v[110:111]
	ds_write2_b64 v217, v[190:191], v[192:193] offset0:34 offset1:35
	s_waitcnt vmcnt(10)
	v_mov_b32_e32 v190, v152
	v_mov_b32_e32 v191, v153
	s_waitcnt vmcnt(9)
	v_mov_b32_e32 v192, v106
	v_mov_b32_e32 v193, v107
	ds_write2_b64 v217, v[190:191], v[192:193] offset0:36 offset1:37
	s_waitcnt vmcnt(8)
	v_mov_b32_e32 v190, v150
	v_mov_b32_e32 v191, v151
	s_waitcnt vmcnt(7)
	v_mov_b32_e32 v192, v104
	v_mov_b32_e32 v193, v105
	;; [unrolled: 7-line block ×5, first 2 shown]
	ds_write2_b64 v217, v[190:191], v[192:193] offset0:44 offset1:45
	s_waitcnt vmcnt(0)
	ds_write_b64 v217, v[188:189] offset:368
	ds_read_b64 v[190:191], v216
	s_waitcnt lgkmcnt(0)
	v_cmp_neq_f64_e32 vcc, 0, v[190:191]
	s_and_b64 exec, exec, vcc
	s_cbranch_execz .LBB93_169
; %bb.168:
	v_div_scale_f64 v[192:193], s[6:7], v[190:191], v[190:191], 1.0
	v_rcp_f64_e32 v[194:195], v[192:193]
	v_div_scale_f64 v[196:197], vcc, 1.0, v[190:191], 1.0
	v_fma_f64 v[198:199], -v[192:193], v[194:195], 1.0
	v_fmac_f64_e32 v[194:195], v[194:195], v[198:199]
	v_fma_f64 v[198:199], -v[192:193], v[194:195], 1.0
	v_fmac_f64_e32 v[194:195], v[194:195], v[198:199]
	v_mul_f64 v[198:199], v[196:197], v[194:195]
	v_fma_f64 v[192:193], -v[192:193], v[198:199], v[196:197]
	v_div_fmas_f64 v[192:193], v[192:193], v[194:195], v[198:199]
	v_div_fixup_f64 v[190:191], v[192:193], v[190:191], 1.0
	ds_write_b64 v216, v[190:191]
.LBB93_169:
	s_or_b64 exec, exec, s[2:3]
	s_waitcnt lgkmcnt(0)
	s_barrier
	ds_read_b64 v[190:191], v216
	v_cmp_lt_u32_e32 vcc, 33, v218
	s_and_saveexec_b64 s[2:3], vcc
	s_cbranch_execz .LBB93_171
; %bb.170:
	ds_read2_b64 v[192:195], v217 offset0:34 offset1:35
	s_waitcnt vmcnt(13) lgkmcnt(1)
	v_mul_f64 v[110:111], v[190:191], v[110:111]
	s_waitcnt vmcnt(12) lgkmcnt(0)
	v_fma_f64 v[154:155], -v[110:111], v[192:193], v[154:155]
	s_waitcnt vmcnt(11)
	v_fma_f64 v[108:109], -v[110:111], v[194:195], v[108:109]
	ds_read2_b64 v[192:195], v217 offset0:36 offset1:37
	s_waitcnt vmcnt(10) lgkmcnt(0)
	v_fma_f64 v[152:153], -v[110:111], v[192:193], v[152:153]
	s_waitcnt vmcnt(9)
	v_fma_f64 v[106:107], -v[110:111], v[194:195], v[106:107]
	ds_read2_b64 v[192:195], v217 offset0:38 offset1:39
	s_waitcnt vmcnt(8) lgkmcnt(0)
	v_fma_f64 v[150:151], -v[110:111], v[192:193], v[150:151]
	s_waitcnt vmcnt(7)
	v_fma_f64 v[104:105], -v[110:111], v[194:195], v[104:105]
	ds_read2_b64 v[192:195], v217 offset0:40 offset1:41
	s_waitcnt vmcnt(6) lgkmcnt(0)
	v_fma_f64 v[148:149], -v[110:111], v[192:193], v[148:149]
	s_waitcnt vmcnt(5)
	v_fma_f64 v[102:103], -v[110:111], v[194:195], v[102:103]
	ds_read2_b64 v[192:195], v217 offset0:42 offset1:43
	s_waitcnt vmcnt(4) lgkmcnt(0)
	v_fma_f64 v[146:147], -v[110:111], v[192:193], v[146:147]
	s_waitcnt vmcnt(3)
	v_fma_f64 v[100:101], -v[110:111], v[194:195], v[100:101]
	ds_read2_b64 v[192:195], v217 offset0:44 offset1:45
	s_waitcnt vmcnt(2) lgkmcnt(0)
	v_fma_f64 v[144:145], -v[110:111], v[192:193], v[144:145]
	ds_read_b64 v[192:193], v217 offset:368
	s_waitcnt vmcnt(1)
	v_fma_f64 v[98:99], -v[110:111], v[194:195], v[98:99]
	s_waitcnt vmcnt(0) lgkmcnt(0)
	v_fma_f64 v[188:189], -v[110:111], v[192:193], v[188:189]
.LBB93_171:
	s_or_b64 exec, exec, s[2:3]
	v_cmp_eq_u32_e32 vcc, 34, v218
	s_waitcnt lgkmcnt(0)
	s_barrier
	s_and_saveexec_b64 s[2:3], vcc
	s_cbranch_execz .LBB93_174
; %bb.172:
	s_waitcnt vmcnt(12)
	ds_write_b64 v216, v[154:155]
	s_waitcnt vmcnt(10)
	ds_write2_b64 v217, v[108:109], v[152:153] offset0:35 offset1:36
	s_waitcnt vmcnt(8)
	ds_write2_b64 v217, v[106:107], v[150:151] offset0:37 offset1:38
	;; [unrolled: 2-line block ×6, first 2 shown]
	ds_read_b64 v[192:193], v216
	s_waitcnt lgkmcnt(0)
	v_cmp_neq_f64_e32 vcc, 0, v[192:193]
	s_and_b64 exec, exec, vcc
	s_cbranch_execz .LBB93_174
; %bb.173:
	v_div_scale_f64 v[194:195], s[6:7], v[192:193], v[192:193], 1.0
	v_rcp_f64_e32 v[196:197], v[194:195]
	v_div_scale_f64 v[198:199], vcc, 1.0, v[192:193], 1.0
	v_fma_f64 v[200:201], -v[194:195], v[196:197], 1.0
	v_fmac_f64_e32 v[196:197], v[196:197], v[200:201]
	v_fma_f64 v[200:201], -v[194:195], v[196:197], 1.0
	v_fmac_f64_e32 v[196:197], v[196:197], v[200:201]
	v_mul_f64 v[200:201], v[198:199], v[196:197]
	v_fma_f64 v[194:195], -v[194:195], v[200:201], v[198:199]
	v_div_fmas_f64 v[194:195], v[194:195], v[196:197], v[200:201]
	v_div_fixup_f64 v[192:193], v[194:195], v[192:193], 1.0
	ds_write_b64 v216, v[192:193]
.LBB93_174:
	s_or_b64 exec, exec, s[2:3]
	s_waitcnt lgkmcnt(0)
	s_barrier
	ds_read_b64 v[192:193], v216
	v_cmp_lt_u32_e32 vcc, 34, v218
	s_and_saveexec_b64 s[2:3], vcc
	s_cbranch_execz .LBB93_176
; %bb.175:
	ds_read2_b64 v[194:197], v217 offset0:35 offset1:36
	s_waitcnt vmcnt(12) lgkmcnt(1)
	v_mul_f64 v[154:155], v[192:193], v[154:155]
	s_waitcnt vmcnt(11) lgkmcnt(0)
	v_fma_f64 v[108:109], -v[154:155], v[194:195], v[108:109]
	s_waitcnt vmcnt(10)
	v_fma_f64 v[152:153], -v[154:155], v[196:197], v[152:153]
	ds_read2_b64 v[194:197], v217 offset0:37 offset1:38
	s_waitcnt vmcnt(9) lgkmcnt(0)
	v_fma_f64 v[106:107], -v[154:155], v[194:195], v[106:107]
	s_waitcnt vmcnt(8)
	v_fma_f64 v[150:151], -v[154:155], v[196:197], v[150:151]
	ds_read2_b64 v[194:197], v217 offset0:39 offset1:40
	;; [unrolled: 5-line block ×5, first 2 shown]
	s_waitcnt vmcnt(1) lgkmcnt(0)
	v_fma_f64 v[98:99], -v[154:155], v[194:195], v[98:99]
	s_waitcnt vmcnt(0)
	v_fma_f64 v[188:189], -v[154:155], v[196:197], v[188:189]
.LBB93_176:
	s_or_b64 exec, exec, s[2:3]
	v_cmp_eq_u32_e32 vcc, 35, v218
	s_waitcnt lgkmcnt(0)
	s_barrier
	s_and_saveexec_b64 s[2:3], vcc
	s_cbranch_execz .LBB93_179
; %bb.177:
	s_waitcnt vmcnt(10)
	v_mov_b32_e32 v194, v152
	v_mov_b32_e32 v195, v153
	s_waitcnt vmcnt(9)
	v_mov_b32_e32 v196, v106
	v_mov_b32_e32 v197, v107
	ds_write_b64 v216, v[108:109]
	ds_write2_b64 v217, v[194:195], v[196:197] offset0:36 offset1:37
	s_waitcnt vmcnt(8)
	v_mov_b32_e32 v194, v150
	v_mov_b32_e32 v195, v151
	s_waitcnt vmcnt(7)
	v_mov_b32_e32 v196, v104
	v_mov_b32_e32 v197, v105
	ds_write2_b64 v217, v[194:195], v[196:197] offset0:38 offset1:39
	s_waitcnt vmcnt(6)
	v_mov_b32_e32 v194, v148
	v_mov_b32_e32 v195, v149
	s_waitcnt vmcnt(5)
	v_mov_b32_e32 v196, v102
	v_mov_b32_e32 v197, v103
	;; [unrolled: 7-line block ×4, first 2 shown]
	ds_write2_b64 v217, v[194:195], v[196:197] offset0:44 offset1:45
	s_waitcnt vmcnt(0)
	ds_write_b64 v217, v[188:189] offset:368
	ds_read_b64 v[194:195], v216
	s_waitcnt lgkmcnt(0)
	v_cmp_neq_f64_e32 vcc, 0, v[194:195]
	s_and_b64 exec, exec, vcc
	s_cbranch_execz .LBB93_179
; %bb.178:
	v_div_scale_f64 v[196:197], s[6:7], v[194:195], v[194:195], 1.0
	v_rcp_f64_e32 v[198:199], v[196:197]
	v_div_scale_f64 v[200:201], vcc, 1.0, v[194:195], 1.0
	v_fma_f64 v[202:203], -v[196:197], v[198:199], 1.0
	v_fmac_f64_e32 v[198:199], v[198:199], v[202:203]
	v_fma_f64 v[202:203], -v[196:197], v[198:199], 1.0
	v_fmac_f64_e32 v[198:199], v[198:199], v[202:203]
	v_mul_f64 v[202:203], v[200:201], v[198:199]
	v_fma_f64 v[196:197], -v[196:197], v[202:203], v[200:201]
	v_div_fmas_f64 v[196:197], v[196:197], v[198:199], v[202:203]
	v_div_fixup_f64 v[194:195], v[196:197], v[194:195], 1.0
	ds_write_b64 v216, v[194:195]
.LBB93_179:
	s_or_b64 exec, exec, s[2:3]
	s_waitcnt lgkmcnt(0)
	s_barrier
	ds_read_b64 v[194:195], v216
	v_cmp_lt_u32_e32 vcc, 35, v218
	s_and_saveexec_b64 s[2:3], vcc
	s_cbranch_execz .LBB93_181
; %bb.180:
	ds_read2_b64 v[196:199], v217 offset0:36 offset1:37
	s_waitcnt vmcnt(11) lgkmcnt(1)
	v_mul_f64 v[108:109], v[194:195], v[108:109]
	s_waitcnt vmcnt(10) lgkmcnt(0)
	v_fma_f64 v[152:153], -v[108:109], v[196:197], v[152:153]
	s_waitcnt vmcnt(9)
	v_fma_f64 v[106:107], -v[108:109], v[198:199], v[106:107]
	ds_read2_b64 v[196:199], v217 offset0:38 offset1:39
	s_waitcnt vmcnt(8) lgkmcnt(0)
	v_fma_f64 v[150:151], -v[108:109], v[196:197], v[150:151]
	s_waitcnt vmcnt(7)
	v_fma_f64 v[104:105], -v[108:109], v[198:199], v[104:105]
	ds_read2_b64 v[196:199], v217 offset0:40 offset1:41
	;; [unrolled: 5-line block ×4, first 2 shown]
	s_waitcnt vmcnt(2) lgkmcnt(0)
	v_fma_f64 v[144:145], -v[108:109], v[196:197], v[144:145]
	ds_read_b64 v[196:197], v217 offset:368
	s_waitcnt vmcnt(1)
	v_fma_f64 v[98:99], -v[108:109], v[198:199], v[98:99]
	s_waitcnt vmcnt(0) lgkmcnt(0)
	v_fma_f64 v[188:189], -v[108:109], v[196:197], v[188:189]
.LBB93_181:
	s_or_b64 exec, exec, s[2:3]
	v_cmp_eq_u32_e32 vcc, 36, v218
	s_waitcnt lgkmcnt(0)
	s_barrier
	s_and_saveexec_b64 s[2:3], vcc
	s_cbranch_execz .LBB93_184
; %bb.182:
	s_waitcnt vmcnt(10)
	ds_write_b64 v216, v[152:153]
	s_waitcnt vmcnt(8)
	ds_write2_b64 v217, v[106:107], v[150:151] offset0:37 offset1:38
	s_waitcnt vmcnt(6)
	ds_write2_b64 v217, v[104:105], v[148:149] offset0:39 offset1:40
	;; [unrolled: 2-line block ×5, first 2 shown]
	ds_read_b64 v[196:197], v216
	s_waitcnt lgkmcnt(0)
	v_cmp_neq_f64_e32 vcc, 0, v[196:197]
	s_and_b64 exec, exec, vcc
	s_cbranch_execz .LBB93_184
; %bb.183:
	v_div_scale_f64 v[198:199], s[6:7], v[196:197], v[196:197], 1.0
	v_rcp_f64_e32 v[200:201], v[198:199]
	v_div_scale_f64 v[202:203], vcc, 1.0, v[196:197], 1.0
	v_fma_f64 v[204:205], -v[198:199], v[200:201], 1.0
	v_fmac_f64_e32 v[200:201], v[200:201], v[204:205]
	v_fma_f64 v[204:205], -v[198:199], v[200:201], 1.0
	v_fmac_f64_e32 v[200:201], v[200:201], v[204:205]
	v_mul_f64 v[204:205], v[202:203], v[200:201]
	v_fma_f64 v[198:199], -v[198:199], v[204:205], v[202:203]
	v_div_fmas_f64 v[198:199], v[198:199], v[200:201], v[204:205]
	v_div_fixup_f64 v[196:197], v[198:199], v[196:197], 1.0
	ds_write_b64 v216, v[196:197]
.LBB93_184:
	s_or_b64 exec, exec, s[2:3]
	s_waitcnt lgkmcnt(0)
	s_barrier
	ds_read_b64 v[196:197], v216
	v_cmp_lt_u32_e32 vcc, 36, v218
	s_and_saveexec_b64 s[2:3], vcc
	s_cbranch_execz .LBB93_186
; %bb.185:
	ds_read2_b64 v[198:201], v217 offset0:37 offset1:38
	s_waitcnt vmcnt(10) lgkmcnt(1)
	v_mul_f64 v[152:153], v[196:197], v[152:153]
	s_waitcnt vmcnt(9) lgkmcnt(0)
	v_fma_f64 v[106:107], -v[152:153], v[198:199], v[106:107]
	s_waitcnt vmcnt(8)
	v_fma_f64 v[150:151], -v[152:153], v[200:201], v[150:151]
	ds_read2_b64 v[198:201], v217 offset0:39 offset1:40
	s_waitcnt vmcnt(7) lgkmcnt(0)
	v_fma_f64 v[104:105], -v[152:153], v[198:199], v[104:105]
	s_waitcnt vmcnt(6)
	v_fma_f64 v[148:149], -v[152:153], v[200:201], v[148:149]
	ds_read2_b64 v[198:201], v217 offset0:41 offset1:42
	;; [unrolled: 5-line block ×4, first 2 shown]
	s_waitcnt vmcnt(1) lgkmcnt(0)
	v_fma_f64 v[98:99], -v[152:153], v[198:199], v[98:99]
	s_waitcnt vmcnt(0)
	v_fma_f64 v[188:189], -v[152:153], v[200:201], v[188:189]
.LBB93_186:
	s_or_b64 exec, exec, s[2:3]
	v_cmp_eq_u32_e32 vcc, 37, v218
	s_waitcnt lgkmcnt(0)
	s_barrier
	s_and_saveexec_b64 s[2:3], vcc
	s_cbranch_execz .LBB93_189
; %bb.187:
	s_waitcnt vmcnt(8)
	v_mov_b32_e32 v198, v150
	v_mov_b32_e32 v199, v151
	s_waitcnt vmcnt(7)
	v_mov_b32_e32 v200, v104
	v_mov_b32_e32 v201, v105
	ds_write_b64 v216, v[106:107]
	ds_write2_b64 v217, v[198:199], v[200:201] offset0:38 offset1:39
	s_waitcnt vmcnt(6)
	v_mov_b32_e32 v198, v148
	v_mov_b32_e32 v199, v149
	s_waitcnt vmcnt(5)
	v_mov_b32_e32 v200, v102
	v_mov_b32_e32 v201, v103
	ds_write2_b64 v217, v[198:199], v[200:201] offset0:40 offset1:41
	s_waitcnt vmcnt(4)
	v_mov_b32_e32 v198, v146
	v_mov_b32_e32 v199, v147
	s_waitcnt vmcnt(3)
	v_mov_b32_e32 v200, v100
	v_mov_b32_e32 v201, v101
	;; [unrolled: 7-line block ×3, first 2 shown]
	ds_write2_b64 v217, v[198:199], v[200:201] offset0:44 offset1:45
	s_waitcnt vmcnt(0)
	ds_write_b64 v217, v[188:189] offset:368
	ds_read_b64 v[198:199], v216
	s_waitcnt lgkmcnt(0)
	v_cmp_neq_f64_e32 vcc, 0, v[198:199]
	s_and_b64 exec, exec, vcc
	s_cbranch_execz .LBB93_189
; %bb.188:
	v_div_scale_f64 v[200:201], s[6:7], v[198:199], v[198:199], 1.0
	v_rcp_f64_e32 v[202:203], v[200:201]
	v_div_scale_f64 v[204:205], vcc, 1.0, v[198:199], 1.0
	v_fma_f64 v[206:207], -v[200:201], v[202:203], 1.0
	v_fmac_f64_e32 v[202:203], v[202:203], v[206:207]
	v_fma_f64 v[206:207], -v[200:201], v[202:203], 1.0
	v_fmac_f64_e32 v[202:203], v[202:203], v[206:207]
	v_mul_f64 v[206:207], v[204:205], v[202:203]
	v_fma_f64 v[200:201], -v[200:201], v[206:207], v[204:205]
	v_div_fmas_f64 v[200:201], v[200:201], v[202:203], v[206:207]
	v_div_fixup_f64 v[198:199], v[200:201], v[198:199], 1.0
	ds_write_b64 v216, v[198:199]
.LBB93_189:
	s_or_b64 exec, exec, s[2:3]
	s_waitcnt lgkmcnt(0)
	s_barrier
	ds_read_b64 v[198:199], v216
	v_cmp_lt_u32_e32 vcc, 37, v218
	s_and_saveexec_b64 s[2:3], vcc
	s_cbranch_execz .LBB93_191
; %bb.190:
	ds_read2_b64 v[200:203], v217 offset0:38 offset1:39
	s_waitcnt vmcnt(9) lgkmcnt(1)
	v_mul_f64 v[106:107], v[198:199], v[106:107]
	s_waitcnt vmcnt(8) lgkmcnt(0)
	v_fma_f64 v[150:151], -v[106:107], v[200:201], v[150:151]
	s_waitcnt vmcnt(7)
	v_fma_f64 v[104:105], -v[106:107], v[202:203], v[104:105]
	ds_read2_b64 v[200:203], v217 offset0:40 offset1:41
	s_waitcnt vmcnt(6) lgkmcnt(0)
	v_fma_f64 v[148:149], -v[106:107], v[200:201], v[148:149]
	s_waitcnt vmcnt(5)
	v_fma_f64 v[102:103], -v[106:107], v[202:203], v[102:103]
	ds_read2_b64 v[200:203], v217 offset0:42 offset1:43
	;; [unrolled: 5-line block ×3, first 2 shown]
	s_waitcnt vmcnt(2) lgkmcnt(0)
	v_fma_f64 v[144:145], -v[106:107], v[200:201], v[144:145]
	ds_read_b64 v[200:201], v217 offset:368
	s_waitcnt vmcnt(1)
	v_fma_f64 v[98:99], -v[106:107], v[202:203], v[98:99]
	s_waitcnt vmcnt(0) lgkmcnt(0)
	v_fma_f64 v[188:189], -v[106:107], v[200:201], v[188:189]
.LBB93_191:
	s_or_b64 exec, exec, s[2:3]
	v_cmp_eq_u32_e32 vcc, 38, v218
	s_waitcnt lgkmcnt(0)
	s_barrier
	s_and_saveexec_b64 s[2:3], vcc
	s_cbranch_execz .LBB93_194
; %bb.192:
	s_waitcnt vmcnt(8)
	ds_write_b64 v216, v[150:151]
	s_waitcnt vmcnt(6)
	ds_write2_b64 v217, v[104:105], v[148:149] offset0:39 offset1:40
	s_waitcnt vmcnt(4)
	ds_write2_b64 v217, v[102:103], v[146:147] offset0:41 offset1:42
	;; [unrolled: 2-line block ×4, first 2 shown]
	ds_read_b64 v[200:201], v216
	s_waitcnt lgkmcnt(0)
	v_cmp_neq_f64_e32 vcc, 0, v[200:201]
	s_and_b64 exec, exec, vcc
	s_cbranch_execz .LBB93_194
; %bb.193:
	v_div_scale_f64 v[202:203], s[6:7], v[200:201], v[200:201], 1.0
	v_rcp_f64_e32 v[204:205], v[202:203]
	v_div_scale_f64 v[206:207], vcc, 1.0, v[200:201], 1.0
	v_fma_f64 v[208:209], -v[202:203], v[204:205], 1.0
	v_fmac_f64_e32 v[204:205], v[204:205], v[208:209]
	v_fma_f64 v[208:209], -v[202:203], v[204:205], 1.0
	v_fmac_f64_e32 v[204:205], v[204:205], v[208:209]
	v_mul_f64 v[208:209], v[206:207], v[204:205]
	v_fma_f64 v[202:203], -v[202:203], v[208:209], v[206:207]
	v_div_fmas_f64 v[202:203], v[202:203], v[204:205], v[208:209]
	v_div_fixup_f64 v[200:201], v[202:203], v[200:201], 1.0
	ds_write_b64 v216, v[200:201]
.LBB93_194:
	s_or_b64 exec, exec, s[2:3]
	s_waitcnt lgkmcnt(0)
	s_barrier
	ds_read_b64 v[200:201], v216
	v_cmp_lt_u32_e32 vcc, 38, v218
	s_and_saveexec_b64 s[2:3], vcc
	s_cbranch_execz .LBB93_196
; %bb.195:
	ds_read2_b64 v[202:205], v217 offset0:39 offset1:40
	s_waitcnt vmcnt(8) lgkmcnt(1)
	v_mul_f64 v[150:151], v[200:201], v[150:151]
	s_waitcnt vmcnt(7) lgkmcnt(0)
	v_fma_f64 v[104:105], -v[150:151], v[202:203], v[104:105]
	s_waitcnt vmcnt(6)
	v_fma_f64 v[148:149], -v[150:151], v[204:205], v[148:149]
	ds_read2_b64 v[202:205], v217 offset0:41 offset1:42
	s_waitcnt vmcnt(5) lgkmcnt(0)
	v_fma_f64 v[102:103], -v[150:151], v[202:203], v[102:103]
	s_waitcnt vmcnt(4)
	v_fma_f64 v[146:147], -v[150:151], v[204:205], v[146:147]
	ds_read2_b64 v[202:205], v217 offset0:43 offset1:44
	s_waitcnt vmcnt(3) lgkmcnt(0)
	v_fma_f64 v[100:101], -v[150:151], v[202:203], v[100:101]
	s_waitcnt vmcnt(2)
	v_fma_f64 v[144:145], -v[150:151], v[204:205], v[144:145]
	ds_read2_b64 v[202:205], v217 offset0:45 offset1:46
	s_waitcnt vmcnt(1) lgkmcnt(0)
	v_fma_f64 v[98:99], -v[150:151], v[202:203], v[98:99]
	s_waitcnt vmcnt(0)
	v_fma_f64 v[188:189], -v[150:151], v[204:205], v[188:189]
.LBB93_196:
	s_or_b64 exec, exec, s[2:3]
	v_cmp_eq_u32_e32 vcc, 39, v218
	s_waitcnt lgkmcnt(0)
	s_barrier
	s_and_saveexec_b64 s[2:3], vcc
	s_cbranch_execz .LBB93_199
; %bb.197:
	s_waitcnt vmcnt(6)
	v_mov_b32_e32 v202, v148
	v_mov_b32_e32 v203, v149
	s_waitcnt vmcnt(5)
	v_mov_b32_e32 v204, v102
	v_mov_b32_e32 v205, v103
	ds_write_b64 v216, v[104:105]
	ds_write2_b64 v217, v[202:203], v[204:205] offset0:40 offset1:41
	s_waitcnt vmcnt(4)
	v_mov_b32_e32 v202, v146
	v_mov_b32_e32 v203, v147
	s_waitcnt vmcnt(3)
	v_mov_b32_e32 v204, v100
	v_mov_b32_e32 v205, v101
	ds_write2_b64 v217, v[202:203], v[204:205] offset0:42 offset1:43
	s_waitcnt vmcnt(2)
	v_mov_b32_e32 v202, v144
	v_mov_b32_e32 v203, v145
	s_waitcnt vmcnt(1)
	v_mov_b32_e32 v204, v98
	v_mov_b32_e32 v205, v99
	ds_write2_b64 v217, v[202:203], v[204:205] offset0:44 offset1:45
	s_waitcnt vmcnt(0)
	ds_write_b64 v217, v[188:189] offset:368
	ds_read_b64 v[202:203], v216
	s_waitcnt lgkmcnt(0)
	v_cmp_neq_f64_e32 vcc, 0, v[202:203]
	s_and_b64 exec, exec, vcc
	s_cbranch_execz .LBB93_199
; %bb.198:
	v_div_scale_f64 v[204:205], s[6:7], v[202:203], v[202:203], 1.0
	v_rcp_f64_e32 v[206:207], v[204:205]
	v_div_scale_f64 v[208:209], vcc, 1.0, v[202:203], 1.0
	v_fma_f64 v[210:211], -v[204:205], v[206:207], 1.0
	v_fmac_f64_e32 v[206:207], v[206:207], v[210:211]
	v_fma_f64 v[210:211], -v[204:205], v[206:207], 1.0
	v_fmac_f64_e32 v[206:207], v[206:207], v[210:211]
	v_mul_f64 v[210:211], v[208:209], v[206:207]
	v_fma_f64 v[204:205], -v[204:205], v[210:211], v[208:209]
	v_div_fmas_f64 v[204:205], v[204:205], v[206:207], v[210:211]
	v_div_fixup_f64 v[202:203], v[204:205], v[202:203], 1.0
	ds_write_b64 v216, v[202:203]
.LBB93_199:
	s_or_b64 exec, exec, s[2:3]
	s_waitcnt lgkmcnt(0)
	s_barrier
	ds_read_b64 v[202:203], v216
	v_cmp_lt_u32_e32 vcc, 39, v218
	s_and_saveexec_b64 s[2:3], vcc
	s_cbranch_execz .LBB93_201
; %bb.200:
	ds_read2_b64 v[204:207], v217 offset0:40 offset1:41
	s_waitcnt vmcnt(7) lgkmcnt(1)
	v_mul_f64 v[104:105], v[202:203], v[104:105]
	s_waitcnt vmcnt(6) lgkmcnt(0)
	v_fma_f64 v[148:149], -v[104:105], v[204:205], v[148:149]
	s_waitcnt vmcnt(5)
	v_fma_f64 v[102:103], -v[104:105], v[206:207], v[102:103]
	ds_read2_b64 v[204:207], v217 offset0:42 offset1:43
	s_waitcnt vmcnt(4) lgkmcnt(0)
	v_fma_f64 v[146:147], -v[104:105], v[204:205], v[146:147]
	s_waitcnt vmcnt(3)
	v_fma_f64 v[100:101], -v[104:105], v[206:207], v[100:101]
	ds_read2_b64 v[204:207], v217 offset0:44 offset1:45
	s_waitcnt vmcnt(2) lgkmcnt(0)
	v_fma_f64 v[144:145], -v[104:105], v[204:205], v[144:145]
	ds_read_b64 v[204:205], v217 offset:368
	s_waitcnt vmcnt(1)
	v_fma_f64 v[98:99], -v[104:105], v[206:207], v[98:99]
	s_waitcnt vmcnt(0) lgkmcnt(0)
	v_fma_f64 v[188:189], -v[104:105], v[204:205], v[188:189]
.LBB93_201:
	s_or_b64 exec, exec, s[2:3]
	v_cmp_eq_u32_e32 vcc, 40, v218
	s_waitcnt lgkmcnt(0)
	s_barrier
	s_and_saveexec_b64 s[2:3], vcc
	s_cbranch_execz .LBB93_204
; %bb.202:
	s_waitcnt vmcnt(6)
	ds_write_b64 v216, v[148:149]
	s_waitcnt vmcnt(4)
	ds_write2_b64 v217, v[102:103], v[146:147] offset0:41 offset1:42
	s_waitcnt vmcnt(2)
	ds_write2_b64 v217, v[100:101], v[144:145] offset0:43 offset1:44
	;; [unrolled: 2-line block ×3, first 2 shown]
	ds_read_b64 v[204:205], v216
	s_waitcnt lgkmcnt(0)
	v_cmp_neq_f64_e32 vcc, 0, v[204:205]
	s_and_b64 exec, exec, vcc
	s_cbranch_execz .LBB93_204
; %bb.203:
	v_div_scale_f64 v[206:207], s[6:7], v[204:205], v[204:205], 1.0
	v_rcp_f64_e32 v[208:209], v[206:207]
	v_div_scale_f64 v[210:211], vcc, 1.0, v[204:205], 1.0
	v_fma_f64 v[212:213], -v[206:207], v[208:209], 1.0
	v_fmac_f64_e32 v[208:209], v[208:209], v[212:213]
	v_fma_f64 v[212:213], -v[206:207], v[208:209], 1.0
	v_fmac_f64_e32 v[208:209], v[208:209], v[212:213]
	v_mul_f64 v[212:213], v[210:211], v[208:209]
	v_fma_f64 v[206:207], -v[206:207], v[212:213], v[210:211]
	v_div_fmas_f64 v[206:207], v[206:207], v[208:209], v[212:213]
	v_div_fixup_f64 v[204:205], v[206:207], v[204:205], 1.0
	ds_write_b64 v216, v[204:205]
.LBB93_204:
	s_or_b64 exec, exec, s[2:3]
	s_waitcnt lgkmcnt(0)
	s_barrier
	ds_read_b64 v[204:205], v216
	v_cmp_lt_u32_e32 vcc, 40, v218
	s_and_saveexec_b64 s[2:3], vcc
	s_cbranch_execz .LBB93_206
; %bb.205:
	ds_read2_b64 v[206:209], v217 offset0:41 offset1:42
	s_waitcnt vmcnt(6) lgkmcnt(1)
	v_mul_f64 v[148:149], v[204:205], v[148:149]
	s_waitcnt vmcnt(5) lgkmcnt(0)
	v_fma_f64 v[102:103], -v[148:149], v[206:207], v[102:103]
	s_waitcnt vmcnt(4)
	v_fma_f64 v[146:147], -v[148:149], v[208:209], v[146:147]
	ds_read2_b64 v[206:209], v217 offset0:43 offset1:44
	s_waitcnt vmcnt(3) lgkmcnt(0)
	v_fma_f64 v[100:101], -v[148:149], v[206:207], v[100:101]
	s_waitcnt vmcnt(2)
	v_fma_f64 v[144:145], -v[148:149], v[208:209], v[144:145]
	ds_read2_b64 v[206:209], v217 offset0:45 offset1:46
	s_waitcnt vmcnt(1) lgkmcnt(0)
	v_fma_f64 v[98:99], -v[148:149], v[206:207], v[98:99]
	s_waitcnt vmcnt(0)
	v_fma_f64 v[188:189], -v[148:149], v[208:209], v[188:189]
.LBB93_206:
	s_or_b64 exec, exec, s[2:3]
	v_cmp_eq_u32_e32 vcc, 41, v218
	s_waitcnt lgkmcnt(0)
	s_barrier
	s_and_saveexec_b64 s[2:3], vcc
	s_cbranch_execz .LBB93_209
; %bb.207:
	s_waitcnt vmcnt(4)
	v_mov_b32_e32 v206, v146
	v_mov_b32_e32 v207, v147
	s_waitcnt vmcnt(3)
	v_mov_b32_e32 v208, v100
	v_mov_b32_e32 v209, v101
	ds_write_b64 v216, v[102:103]
	ds_write2_b64 v217, v[206:207], v[208:209] offset0:42 offset1:43
	s_waitcnt vmcnt(2)
	v_mov_b32_e32 v206, v144
	v_mov_b32_e32 v207, v145
	s_waitcnt vmcnt(1)
	v_mov_b32_e32 v208, v98
	v_mov_b32_e32 v209, v99
	ds_write2_b64 v217, v[206:207], v[208:209] offset0:44 offset1:45
	s_waitcnt vmcnt(0)
	ds_write_b64 v217, v[188:189] offset:368
	ds_read_b64 v[206:207], v216
	s_waitcnt lgkmcnt(0)
	v_cmp_neq_f64_e32 vcc, 0, v[206:207]
	s_and_b64 exec, exec, vcc
	s_cbranch_execz .LBB93_209
; %bb.208:
	v_div_scale_f64 v[208:209], s[6:7], v[206:207], v[206:207], 1.0
	v_rcp_f64_e32 v[210:211], v[208:209]
	v_div_scale_f64 v[212:213], vcc, 1.0, v[206:207], 1.0
	v_fma_f64 v[214:215], -v[208:209], v[210:211], 1.0
	v_fmac_f64_e32 v[210:211], v[210:211], v[214:215]
	v_fma_f64 v[214:215], -v[208:209], v[210:211], 1.0
	v_fmac_f64_e32 v[210:211], v[210:211], v[214:215]
	v_mul_f64 v[214:215], v[212:213], v[210:211]
	v_fma_f64 v[208:209], -v[208:209], v[214:215], v[212:213]
	v_div_fmas_f64 v[208:209], v[208:209], v[210:211], v[214:215]
	v_div_fixup_f64 v[206:207], v[208:209], v[206:207], 1.0
	ds_write_b64 v216, v[206:207]
.LBB93_209:
	s_or_b64 exec, exec, s[2:3]
	s_waitcnt lgkmcnt(0)
	s_barrier
	ds_read_b64 v[206:207], v216
	v_cmp_lt_u32_e32 vcc, 41, v218
	s_and_saveexec_b64 s[2:3], vcc
	s_cbranch_execz .LBB93_211
; %bb.210:
	ds_read2_b64 v[208:211], v217 offset0:42 offset1:43
	s_waitcnt vmcnt(5) lgkmcnt(1)
	v_mul_f64 v[102:103], v[206:207], v[102:103]
	s_waitcnt vmcnt(4) lgkmcnt(0)
	v_fma_f64 v[146:147], -v[102:103], v[208:209], v[146:147]
	s_waitcnt vmcnt(3)
	v_fma_f64 v[100:101], -v[102:103], v[210:211], v[100:101]
	ds_read2_b64 v[208:211], v217 offset0:44 offset1:45
	s_waitcnt vmcnt(2) lgkmcnt(0)
	v_fma_f64 v[144:145], -v[102:103], v[208:209], v[144:145]
	ds_read_b64 v[208:209], v217 offset:368
	s_waitcnt vmcnt(1)
	v_fma_f64 v[98:99], -v[102:103], v[210:211], v[98:99]
	s_waitcnt vmcnt(0) lgkmcnt(0)
	v_fma_f64 v[188:189], -v[102:103], v[208:209], v[188:189]
.LBB93_211:
	s_or_b64 exec, exec, s[2:3]
	v_cmp_eq_u32_e32 vcc, 42, v218
	s_waitcnt lgkmcnt(0)
	s_barrier
	s_and_saveexec_b64 s[2:3], vcc
	s_cbranch_execz .LBB93_214
; %bb.212:
	s_waitcnt vmcnt(4)
	ds_write_b64 v216, v[146:147]
	s_waitcnt vmcnt(2)
	ds_write2_b64 v217, v[100:101], v[144:145] offset0:43 offset1:44
	s_waitcnt vmcnt(0)
	ds_write2_b64 v217, v[98:99], v[188:189] offset0:45 offset1:46
	ds_read_b64 v[208:209], v216
	s_waitcnt lgkmcnt(0)
	v_cmp_neq_f64_e32 vcc, 0, v[208:209]
	s_and_b64 exec, exec, vcc
	s_cbranch_execz .LBB93_214
; %bb.213:
	v_div_scale_f64 v[210:211], s[6:7], v[208:209], v[208:209], 1.0
	v_rcp_f64_e32 v[212:213], v[210:211]
	v_div_scale_f64 v[214:215], vcc, 1.0, v[208:209], 1.0
	v_fma_f64 v[220:221], -v[210:211], v[212:213], 1.0
	v_fmac_f64_e32 v[212:213], v[212:213], v[220:221]
	v_fma_f64 v[220:221], -v[210:211], v[212:213], 1.0
	v_fmac_f64_e32 v[212:213], v[212:213], v[220:221]
	v_mul_f64 v[220:221], v[214:215], v[212:213]
	v_fma_f64 v[210:211], -v[210:211], v[220:221], v[214:215]
	v_div_fmas_f64 v[210:211], v[210:211], v[212:213], v[220:221]
	v_div_fixup_f64 v[208:209], v[210:211], v[208:209], 1.0
	ds_write_b64 v216, v[208:209]
.LBB93_214:
	s_or_b64 exec, exec, s[2:3]
	s_waitcnt lgkmcnt(0)
	s_barrier
	ds_read_b64 v[208:209], v216
	v_cmp_lt_u32_e32 vcc, 42, v218
	s_and_saveexec_b64 s[2:3], vcc
	s_cbranch_execz .LBB93_216
; %bb.215:
	ds_read2_b64 v[210:213], v217 offset0:43 offset1:44
	s_waitcnt vmcnt(4) lgkmcnt(1)
	v_mul_f64 v[146:147], v[208:209], v[146:147]
	s_waitcnt vmcnt(3) lgkmcnt(0)
	v_fma_f64 v[100:101], -v[146:147], v[210:211], v[100:101]
	s_waitcnt vmcnt(2)
	v_fma_f64 v[144:145], -v[146:147], v[212:213], v[144:145]
	ds_read2_b64 v[210:213], v217 offset0:45 offset1:46
	s_waitcnt vmcnt(1) lgkmcnt(0)
	v_fma_f64 v[98:99], -v[146:147], v[210:211], v[98:99]
	s_waitcnt vmcnt(0)
	v_fma_f64 v[188:189], -v[146:147], v[212:213], v[188:189]
.LBB93_216:
	s_or_b64 exec, exec, s[2:3]
	v_cmp_eq_u32_e32 vcc, 43, v218
	s_waitcnt lgkmcnt(0)
	s_barrier
	s_and_saveexec_b64 s[2:3], vcc
	s_cbranch_execz .LBB93_219
; %bb.217:
	s_waitcnt vmcnt(2)
	v_mov_b32_e32 v210, v144
	v_mov_b32_e32 v211, v145
	s_waitcnt vmcnt(1)
	v_mov_b32_e32 v212, v98
	v_mov_b32_e32 v213, v99
	ds_write_b64 v216, v[100:101]
	ds_write2_b64 v217, v[210:211], v[212:213] offset0:44 offset1:45
	s_waitcnt vmcnt(0)
	ds_write_b64 v217, v[188:189] offset:368
	ds_read_b64 v[210:211], v216
	s_waitcnt lgkmcnt(0)
	v_cmp_neq_f64_e32 vcc, 0, v[210:211]
	s_and_b64 exec, exec, vcc
	s_cbranch_execz .LBB93_219
; %bb.218:
	v_div_scale_f64 v[212:213], s[6:7], v[210:211], v[210:211], 1.0
	v_rcp_f64_e32 v[214:215], v[212:213]
	v_div_scale_f64 v[220:221], vcc, 1.0, v[210:211], 1.0
	v_fma_f64 v[222:223], -v[212:213], v[214:215], 1.0
	v_fmac_f64_e32 v[214:215], v[214:215], v[222:223]
	v_fma_f64 v[222:223], -v[212:213], v[214:215], 1.0
	v_fmac_f64_e32 v[214:215], v[214:215], v[222:223]
	v_mul_f64 v[222:223], v[220:221], v[214:215]
	v_fma_f64 v[212:213], -v[212:213], v[222:223], v[220:221]
	v_div_fmas_f64 v[212:213], v[212:213], v[214:215], v[222:223]
	v_div_fixup_f64 v[210:211], v[212:213], v[210:211], 1.0
	ds_write_b64 v216, v[210:211]
.LBB93_219:
	s_or_b64 exec, exec, s[2:3]
	s_waitcnt lgkmcnt(0)
	s_barrier
	ds_read_b64 v[210:211], v216
	v_cmp_lt_u32_e32 vcc, 43, v218
	s_and_saveexec_b64 s[2:3], vcc
	s_cbranch_execz .LBB93_221
; %bb.220:
	ds_read2_b64 v[212:215], v217 offset0:44 offset1:45
	s_waitcnt vmcnt(3) lgkmcnt(1)
	v_mul_f64 v[100:101], v[210:211], v[100:101]
	s_waitcnt vmcnt(2) lgkmcnt(0)
	v_fma_f64 v[144:145], -v[100:101], v[212:213], v[144:145]
	ds_read_b64 v[212:213], v217 offset:368
	s_waitcnt vmcnt(1)
	v_fma_f64 v[98:99], -v[100:101], v[214:215], v[98:99]
	s_waitcnt vmcnt(0) lgkmcnt(0)
	v_fma_f64 v[188:189], -v[100:101], v[212:213], v[188:189]
.LBB93_221:
	s_or_b64 exec, exec, s[2:3]
	v_cmp_eq_u32_e32 vcc, 44, v218
	s_waitcnt lgkmcnt(0)
	s_barrier
	s_and_saveexec_b64 s[2:3], vcc
	s_cbranch_execz .LBB93_224
; %bb.222:
	s_waitcnt vmcnt(2)
	ds_write_b64 v216, v[144:145]
	s_waitcnt vmcnt(0)
	ds_write2_b64 v217, v[98:99], v[188:189] offset0:45 offset1:46
	ds_read_b64 v[212:213], v216
	s_waitcnt lgkmcnt(0)
	v_cmp_neq_f64_e32 vcc, 0, v[212:213]
	s_and_b64 exec, exec, vcc
	s_cbranch_execz .LBB93_224
; %bb.223:
	v_div_scale_f64 v[214:215], s[6:7], v[212:213], v[212:213], 1.0
	v_rcp_f64_e32 v[220:221], v[214:215]
	v_div_scale_f64 v[222:223], vcc, 1.0, v[212:213], 1.0
	v_fma_f64 v[2:3], -v[214:215], v[220:221], 1.0
	v_fmac_f64_e32 v[220:221], v[220:221], v[2:3]
	v_fma_f64 v[2:3], -v[214:215], v[220:221], 1.0
	v_fmac_f64_e32 v[220:221], v[220:221], v[2:3]
	v_mul_f64 v[2:3], v[222:223], v[220:221]
	v_fma_f64 v[214:215], -v[214:215], v[2:3], v[222:223]
	v_div_fmas_f64 v[2:3], v[214:215], v[220:221], v[2:3]
	v_div_fixup_f64 v[2:3], v[2:3], v[212:213], 1.0
	ds_write_b64 v216, v[2:3]
.LBB93_224:
	s_or_b64 exec, exec, s[2:3]
	s_waitcnt lgkmcnt(0)
	s_barrier
	ds_read_b64 v[212:213], v216
	v_cmp_lt_u32_e32 vcc, 44, v218
	s_and_saveexec_b64 s[2:3], vcc
	s_cbranch_execz .LBB93_226
; %bb.225:
	ds_read2_b64 v[220:223], v217 offset0:45 offset1:46
	s_waitcnt vmcnt(2) lgkmcnt(1)
	v_mul_f64 v[144:145], v[212:213], v[144:145]
	s_waitcnt vmcnt(1) lgkmcnt(0)
	v_fma_f64 v[98:99], -v[144:145], v[220:221], v[98:99]
	s_waitcnt vmcnt(0)
	v_fma_f64 v[188:189], -v[144:145], v[222:223], v[188:189]
.LBB93_226:
	s_or_b64 exec, exec, s[2:3]
	v_cmp_eq_u32_e32 vcc, 45, v218
	s_waitcnt lgkmcnt(0)
	s_barrier
	s_and_saveexec_b64 s[2:3], vcc
	s_cbranch_execz .LBB93_229
; %bb.227:
	s_waitcnt vmcnt(1)
	ds_write_b64 v216, v[98:99]
	s_waitcnt vmcnt(0)
	ds_write_b64 v217, v[188:189] offset:368
	ds_read_b64 v[214:215], v216
	s_waitcnt lgkmcnt(0)
	v_cmp_neq_f64_e32 vcc, 0, v[214:215]
	s_and_b64 exec, exec, vcc
	s_cbranch_execz .LBB93_229
; %bb.228:
	v_div_scale_f64 v[2:3], s[6:7], v[214:215], v[214:215], 1.0
	v_rcp_f64_e32 v[220:221], v[2:3]
	v_pk_mov_b32 v[54:55], v[52:53], v[52:53] op_sel:[0,1]
	v_pk_mov_b32 v[52:53], v[50:51], v[50:51] op_sel:[0,1]
	;; [unrolled: 1-line block ×28, first 2 shown]
	v_fma_f64 v[224:225], -v[2:3], v[220:221], 1.0
	v_fmac_f64_e32 v[220:221], v[220:221], v[224:225]
	v_fma_f64 v[224:225], -v[2:3], v[220:221], 1.0
	v_div_scale_f64 v[222:223], vcc, 1.0, v[214:215], 1.0
	v_fmac_f64_e32 v[220:221], v[220:221], v[224:225]
	v_mul_f64 v[224:225], v[222:223], v[220:221]
	v_fma_f64 v[2:3], -v[2:3], v[224:225], v[222:223]
	s_nop 0
	v_div_fmas_f64 v[2:3], v[2:3], v[220:221], v[224:225]
	v_pk_mov_b32 v[224:225], v[0:1], v[0:1] op_sel:[0,1]
	v_pk_mov_b32 v[0:1], v[4:5], v[4:5] op_sel:[0,1]
	;; [unrolled: 1-line block ×28, first 2 shown]
	v_div_fixup_f64 v[2:3], v[2:3], v[214:215], 1.0
	ds_write_b64 v216, v[2:3]
.LBB93_229:
	s_or_b64 exec, exec, s[2:3]
	s_waitcnt lgkmcnt(0)
	s_barrier
	ds_read_b64 v[214:215], v216
	v_cmp_lt_u32_e32 vcc, 45, v218
	s_and_saveexec_b64 s[2:3], vcc
	s_cbranch_execz .LBB93_231
; %bb.230:
	ds_read_b64 v[2:3], v217 offset:368
	s_waitcnt vmcnt(1) lgkmcnt(1)
	v_mul_f64 v[98:99], v[214:215], v[98:99]
	s_waitcnt vmcnt(0) lgkmcnt(0)
	v_fma_f64 v[188:189], -v[98:99], v[2:3], v[188:189]
.LBB93_231:
	s_or_b64 exec, exec, s[2:3]
	v_cmp_eq_u32_e32 vcc, 46, v218
	s_waitcnt lgkmcnt(0)
	s_barrier
	s_and_saveexec_b64 s[2:3], vcc
	s_cbranch_execz .LBB93_234
; %bb.232:
	s_waitcnt vmcnt(0)
	v_cmp_neq_f64_e32 vcc, 0, v[188:189]
	ds_write_b64 v216, v[188:189]
	s_and_b64 exec, exec, vcc
	s_cbranch_execz .LBB93_234
; %bb.233:
	v_div_scale_f64 v[2:3], s[6:7], v[188:189], v[188:189], 1.0
	v_rcp_f64_e32 v[220:221], v[2:3]
	v_pk_mov_b32 v[54:55], v[52:53], v[52:53] op_sel:[0,1]
	v_pk_mov_b32 v[52:53], v[50:51], v[50:51] op_sel:[0,1]
	;; [unrolled: 1-line block ×29, first 2 shown]
	v_fma_f64 v[224:225], -v[2:3], v[220:221], 1.0
	v_fmac_f64_e32 v[220:221], v[220:221], v[224:225]
	v_fma_f64 v[224:225], -v[2:3], v[220:221], 1.0
	v_div_scale_f64 v[222:223], vcc, 1.0, v[188:189], 1.0
	v_fmac_f64_e32 v[220:221], v[220:221], v[224:225]
	v_mul_f64 v[224:225], v[222:223], v[220:221]
	v_fma_f64 v[2:3], -v[2:3], v[224:225], v[222:223]
	s_nop 0
	v_div_fmas_f64 v[2:3], v[2:3], v[220:221], v[224:225]
	v_pk_mov_b32 v[224:225], v[226:227], v[226:227] op_sel:[0,1]
	v_pk_mov_b32 v[226:227], v[0:1], v[0:1] op_sel:[0,1]
	;; [unrolled: 1-line block ×29, first 2 shown]
	v_div_fixup_f64 v[2:3], v[2:3], v[188:189], 1.0
	ds_write_b64 v216, v[2:3]
.LBB93_234:
	s_or_b64 exec, exec, s[2:3]
	s_waitcnt lgkmcnt(0)
	s_barrier
	ds_read_b64 v[216:217], v216
	s_waitcnt lgkmcnt(0)
	s_barrier
	s_and_saveexec_b64 s[2:3], s[0:1]
	s_cbranch_execz .LBB93_237
; %bb.235:
	v_cmp_eq_f64_e32 vcc, 0, v[226:227]
	v_cmp_neq_f64_e64 s[0:1], 0, v[0:1]
	v_cndmask_b32_e64 v2, 0, 1, vcc
	s_or_b64 vcc, s[0:1], vcc
	v_cndmask_b32_e32 v2, 2, v2, vcc
	v_cmp_eq_f64_e32 vcc, 0, v[22:23]
	v_cmp_eq_u32_e64 s[0:1], 0, v2
	s_and_b64 s[0:1], vcc, s[0:1]
	v_cndmask_b32_e64 v2, v2, 3, s[0:1]
	v_cmp_eq_f64_e32 vcc, 0, v[24:25]
	v_cmp_eq_u32_e64 s[0:1], 0, v2
	s_and_b64 s[0:1], vcc, s[0:1]
	v_cndmask_b32_e64 v2, v2, 4, s[0:1]
	;; [unrolled: 4-line block ×23, first 2 shown]
	v_cmp_eq_f64_e32 vcc, 0, v[240:241]
	v_cmp_eq_u32_e64 s[0:1], 0, v2
	s_and_b64 s[0:1], vcc, s[0:1]
	s_load_dwordx2 s[4:5], s[4:5], 0x28
	v_cndmask_b32_e64 v2, v2, 26, s[0:1]
	v_cmp_eq_f64_e32 vcc, 0, v[242:243]
	v_cmp_eq_u32_e64 s[0:1], 0, v2
	s_and_b64 s[0:1], vcc, s[0:1]
	v_cndmask_b32_e64 v219, v2, 27, s[0:1]
	v_lshlrev_b64 v[2:3], 2, v[224:225]
	s_waitcnt lgkmcnt(0)
	v_mov_b32_e32 v220, s5
	v_add_co_u32_e64 v2, s[0:1], s4, v2
	v_addc_co_u32_e64 v3, s[0:1], v220, v3, s[0:1]
	global_load_dword v220, v[2:3], off
	v_cmp_eq_f64_e32 vcc, 0, v[244:245]
	v_cmp_eq_u32_e64 s[0:1], 0, v219
	s_and_b64 s[0:1], vcc, s[0:1]
	v_cndmask_b32_e64 v219, v219, 28, s[0:1]
	v_cmp_eq_f64_e32 vcc, 0, v[246:247]
	v_cmp_eq_u32_e64 s[0:1], 0, v219
	s_and_b64 s[0:1], vcc, s[0:1]
	v_cndmask_b32_e64 v219, v219, 29, s[0:1]
	v_cmp_eq_f64_e32 vcc, 0, v[248:249]
	v_cmp_eq_u32_e64 s[0:1], 0, v219
	s_and_b64 s[0:1], vcc, s[0:1]
	v_cndmask_b32_e64 v219, v219, 30, s[0:1]
	v_cmp_eq_f64_e32 vcc, 0, v[250:251]
	v_cmp_eq_u32_e64 s[0:1], 0, v219
	s_and_b64 s[0:1], vcc, s[0:1]
	v_cndmask_b32_e64 v219, v219, 31, s[0:1]
	v_cmp_eq_f64_e32 vcc, 0, v[252:253]
	v_cmp_eq_u32_e64 s[0:1], 0, v219
	s_and_b64 s[0:1], vcc, s[0:1]
	v_cndmask_b32_e64 v219, v219, 32, s[0:1]
	v_cmp_eq_f64_e32 vcc, 0, v[254:255]
	v_cmp_eq_u32_e64 s[0:1], 0, v219
	s_and_b64 s[0:1], vcc, s[0:1]
	v_cndmask_b32_e64 v219, v219, 33, s[0:1]
	v_cmp_eq_f64_e32 vcc, 0, v[190:191]
	v_cmp_eq_u32_e64 s[0:1], 0, v219
	s_and_b64 s[0:1], vcc, s[0:1]
	v_cndmask_b32_e64 v190, v219, 34, s[0:1]
	v_cmp_eq_f64_e32 vcc, 0, v[192:193]
	v_cmp_eq_u32_e64 s[0:1], 0, v190
	s_and_b64 s[0:1], vcc, s[0:1]
	v_cndmask_b32_e64 v190, v190, 35, s[0:1]
	v_cmp_eq_f64_e32 vcc, 0, v[194:195]
	v_cmp_eq_u32_e64 s[0:1], 0, v190
	s_and_b64 s[0:1], vcc, s[0:1]
	v_cndmask_b32_e64 v190, v190, 36, s[0:1]
	v_cmp_eq_f64_e32 vcc, 0, v[196:197]
	v_cmp_eq_u32_e64 s[0:1], 0, v190
	s_and_b64 s[0:1], vcc, s[0:1]
	v_cndmask_b32_e64 v190, v190, 37, s[0:1]
	v_cmp_eq_f64_e32 vcc, 0, v[198:199]
	v_cmp_eq_u32_e64 s[0:1], 0, v190
	s_and_b64 s[0:1], vcc, s[0:1]
	v_cndmask_b32_e64 v190, v190, 38, s[0:1]
	v_cmp_eq_f64_e32 vcc, 0, v[200:201]
	v_cmp_eq_u32_e64 s[0:1], 0, v190
	s_and_b64 s[0:1], vcc, s[0:1]
	v_cndmask_b32_e64 v190, v190, 39, s[0:1]
	v_cmp_eq_f64_e32 vcc, 0, v[202:203]
	v_cmp_eq_u32_e64 s[0:1], 0, v190
	s_and_b64 s[0:1], vcc, s[0:1]
	v_cndmask_b32_e64 v190, v190, 40, s[0:1]
	v_cmp_eq_f64_e32 vcc, 0, v[204:205]
	v_cmp_eq_u32_e64 s[0:1], 0, v190
	s_and_b64 s[0:1], vcc, s[0:1]
	v_cndmask_b32_e64 v190, v190, 41, s[0:1]
	v_cmp_eq_f64_e32 vcc, 0, v[206:207]
	v_cmp_eq_u32_e64 s[0:1], 0, v190
	s_and_b64 s[0:1], vcc, s[0:1]
	v_cndmask_b32_e64 v190, v190, 42, s[0:1]
	v_cmp_eq_f64_e32 vcc, 0, v[208:209]
	v_cmp_eq_u32_e64 s[0:1], 0, v190
	s_and_b64 s[0:1], vcc, s[0:1]
	v_cndmask_b32_e64 v190, v190, 43, s[0:1]
	v_cmp_eq_f64_e32 vcc, 0, v[210:211]
	v_cmp_eq_u32_e64 s[0:1], 0, v190
	s_and_b64 s[0:1], vcc, s[0:1]
	v_cndmask_b32_e64 v190, v190, 44, s[0:1]
	v_cmp_eq_f64_e32 vcc, 0, v[212:213]
	v_cmp_eq_u32_e64 s[0:1], 0, v190
	s_and_b64 s[0:1], vcc, s[0:1]
	v_cndmask_b32_e64 v190, v190, 45, s[0:1]
	v_cmp_eq_f64_e32 vcc, 0, v[214:215]
	v_cmp_eq_u32_e64 s[0:1], 0, v190
	s_and_b64 s[0:1], vcc, s[0:1]
	v_cndmask_b32_e64 v190, v190, 46, s[0:1]
	v_cmp_eq_f64_e32 vcc, 0, v[216:217]
	v_cmp_eq_u32_e64 s[0:1], 0, v190
	s_and_b64 s[0:1], vcc, s[0:1]
	v_cndmask_b32_e64 v190, v190, 47, s[0:1]
	s_waitcnt vmcnt(0)
	v_cmp_eq_u32_e32 vcc, 0, v220
	v_cmp_ne_u32_e64 s[0:1], 0, v190
	s_and_b64 s[0:1], vcc, s[0:1]
	s_and_b64 exec, exec, s[0:1]
	s_cbranch_execz .LBB93_237
; %bb.236:
	v_add_u32_e32 v190, s9, v190
	global_store_dword v[2:3], v190, off
.LBB93_237:
	s_or_b64 exec, exec, s[2:3]
	global_store_dwordx2 v[92:93], v[96:97], off
	global_store_dwordx2 v[94:95], v[142:143], off
	buffer_load_dword v0, off, s[16:19], 0  ; 4-byte Folded Reload
	buffer_load_dword v1, off, s[16:19], 0 offset:4 ; 4-byte Folded Reload
	s_waitcnt vmcnt(4)
	v_mul_f64 v[2:3], v[216:217], v[188:189]
	v_cmp_lt_u32_e32 vcc, 46, v218
	v_cndmask_b32_e32 v3, v189, v3, vcc
	v_cndmask_b32_e32 v2, v188, v2, vcc
	s_waitcnt vmcnt(0)
	global_store_dwordx2 v[0:1], v[186:187], off
	global_store_dwordx2 v[4:5], v[140:141], off
	;; [unrolled: 1-line block ×10, first 2 shown]
	buffer_load_dword v0, off, s[16:19], 0 offset:8 ; 4-byte Folded Reload
	buffer_load_dword v1, off, s[16:19], 0 offset:12 ; 4-byte Folded Reload
	s_waitcnt vmcnt(0)
	global_store_dwordx2 v[0:1], v[176:177], off
	buffer_load_dword v0, off, s[16:19], 0 offset:16 ; 4-byte Folded Reload
	s_nop 0
	buffer_load_dword v1, off, s[16:19], 0 offset:20 ; 4-byte Folded Reload
	s_waitcnt vmcnt(0)
	global_store_dwordx2 v[0:1], v[130:131], off
	buffer_load_dword v0, off, s[16:19], 0 offset:24 ; 4-byte Folded Reload
	s_nop 0
	;; [unrolled: 5-line block ×17, first 2 shown]
	buffer_load_dword v1, off, s[16:19], 0 offset:148 ; 4-byte Folded Reload
	s_waitcnt vmcnt(0)
	global_store_dwordx2 v[0:1], v[114:115], off
	global_store_dwordx2 v[58:59], v[158:159], off
	;; [unrolled: 1-line block ×18, first 2 shown]
.LBB93_238:
	s_endpgm
	.section	.rodata,"a",@progbits
	.p2align	6, 0x0
	.amdhsa_kernel _ZN9rocsolver6v33100L23getf2_npvt_small_kernelILi47EdiiPKPdEEvT1_T3_lS5_lPT2_S5_S5_
		.amdhsa_group_segment_fixed_size 0
		.amdhsa_private_segment_fixed_size 156
		.amdhsa_kernarg_size 312
		.amdhsa_user_sgpr_count 6
		.amdhsa_user_sgpr_private_segment_buffer 1
		.amdhsa_user_sgpr_dispatch_ptr 0
		.amdhsa_user_sgpr_queue_ptr 0
		.amdhsa_user_sgpr_kernarg_segment_ptr 1
		.amdhsa_user_sgpr_dispatch_id 0
		.amdhsa_user_sgpr_flat_scratch_init 0
		.amdhsa_user_sgpr_kernarg_preload_length 0
		.amdhsa_user_sgpr_kernarg_preload_offset 0
		.amdhsa_user_sgpr_private_segment_size 0
		.amdhsa_uses_dynamic_stack 0
		.amdhsa_system_sgpr_private_segment_wavefront_offset 1
		.amdhsa_system_sgpr_workgroup_id_x 1
		.amdhsa_system_sgpr_workgroup_id_y 1
		.amdhsa_system_sgpr_workgroup_id_z 0
		.amdhsa_system_sgpr_workgroup_info 0
		.amdhsa_system_vgpr_workitem_id 1
		.amdhsa_next_free_vgpr 256
		.amdhsa_next_free_sgpr 20
		.amdhsa_accum_offset 256
		.amdhsa_reserve_vcc 1
		.amdhsa_reserve_flat_scratch 0
		.amdhsa_float_round_mode_32 0
		.amdhsa_float_round_mode_16_64 0
		.amdhsa_float_denorm_mode_32 3
		.amdhsa_float_denorm_mode_16_64 3
		.amdhsa_dx10_clamp 1
		.amdhsa_ieee_mode 1
		.amdhsa_fp16_overflow 0
		.amdhsa_tg_split 0
		.amdhsa_exception_fp_ieee_invalid_op 0
		.amdhsa_exception_fp_denorm_src 0
		.amdhsa_exception_fp_ieee_div_zero 0
		.amdhsa_exception_fp_ieee_overflow 0
		.amdhsa_exception_fp_ieee_underflow 0
		.amdhsa_exception_fp_ieee_inexact 0
		.amdhsa_exception_int_div_zero 0
	.end_amdhsa_kernel
	.section	.text._ZN9rocsolver6v33100L23getf2_npvt_small_kernelILi47EdiiPKPdEEvT1_T3_lS5_lPT2_S5_S5_,"axG",@progbits,_ZN9rocsolver6v33100L23getf2_npvt_small_kernelILi47EdiiPKPdEEvT1_T3_lS5_lPT2_S5_S5_,comdat
.Lfunc_end93:
	.size	_ZN9rocsolver6v33100L23getf2_npvt_small_kernelILi47EdiiPKPdEEvT1_T3_lS5_lPT2_S5_S5_, .Lfunc_end93-_ZN9rocsolver6v33100L23getf2_npvt_small_kernelILi47EdiiPKPdEEvT1_T3_lS5_lPT2_S5_S5_
                                        ; -- End function
	.section	.AMDGPU.csdata,"",@progbits
; Kernel info:
; codeLenInByte = 42404
; NumSgprs: 24
; NumVgprs: 256
; NumAgprs: 0
; TotalNumVgprs: 256
; ScratchSize: 156
; MemoryBound: 0
; FloatMode: 240
; IeeeMode: 1
; LDSByteSize: 0 bytes/workgroup (compile time only)
; SGPRBlocks: 2
; VGPRBlocks: 31
; NumSGPRsForWavesPerEU: 24
; NumVGPRsForWavesPerEU: 256
; AccumOffset: 256
; Occupancy: 2
; WaveLimiterHint : 1
; COMPUTE_PGM_RSRC2:SCRATCH_EN: 1
; COMPUTE_PGM_RSRC2:USER_SGPR: 6
; COMPUTE_PGM_RSRC2:TRAP_HANDLER: 0
; COMPUTE_PGM_RSRC2:TGID_X_EN: 1
; COMPUTE_PGM_RSRC2:TGID_Y_EN: 1
; COMPUTE_PGM_RSRC2:TGID_Z_EN: 0
; COMPUTE_PGM_RSRC2:TIDIG_COMP_CNT: 1
; COMPUTE_PGM_RSRC3_GFX90A:ACCUM_OFFSET: 63
; COMPUTE_PGM_RSRC3_GFX90A:TG_SPLIT: 0
	.section	.text._ZN9rocsolver6v33100L18getf2_small_kernelILi48EdiiPKPdEEvT1_T3_lS5_lPS5_llPT2_S5_S5_S7_l,"axG",@progbits,_ZN9rocsolver6v33100L18getf2_small_kernelILi48EdiiPKPdEEvT1_T3_lS5_lPS5_llPT2_S5_S5_S7_l,comdat
	.globl	_ZN9rocsolver6v33100L18getf2_small_kernelILi48EdiiPKPdEEvT1_T3_lS5_lPS5_llPT2_S5_S5_S7_l ; -- Begin function _ZN9rocsolver6v33100L18getf2_small_kernelILi48EdiiPKPdEEvT1_T3_lS5_lPS5_llPT2_S5_S5_S7_l
	.p2align	8
	.type	_ZN9rocsolver6v33100L18getf2_small_kernelILi48EdiiPKPdEEvT1_T3_lS5_lPS5_llPT2_S5_S5_S7_l,@function
_ZN9rocsolver6v33100L18getf2_small_kernelILi48EdiiPKPdEEvT1_T3_lS5_lPS5_llPT2_S5_S5_S7_l: ; @_ZN9rocsolver6v33100L18getf2_small_kernelILi48EdiiPKPdEEvT1_T3_lS5_lPS5_llPT2_S5_S5_S7_l
; %bb.0:
	s_load_dword s0, s[4:5], 0x6c
	s_load_dwordx2 s[12:13], s[4:5], 0x48
	v_bfe_u32 v100, v0, 10, 10
	s_waitcnt lgkmcnt(0)
	s_lshr_b32 s0, s0, 16
	s_mul_i32 s7, s7, s0
	v_add_u32_e32 v2, s7, v100
	v_cmp_gt_i32_e32 vcc, s12, v2
	s_and_saveexec_b64 s[0:1], vcc
	s_cbranch_execz .LBB94_813
; %bb.1:
	s_load_dwordx4 s[0:3], s[4:5], 0x8
	s_load_dwordx4 s[8:11], s[4:5], 0x50
	v_ashrrev_i32_e32 v3, 31, v2
	v_lshlrev_b64 v[4:5], 3, v[2:3]
	s_waitcnt lgkmcnt(0)
	v_mov_b32_e32 v1, s1
	v_add_co_u32_e32 v4, vcc, s0, v4
	v_addc_co_u32_e32 v5, vcc, v1, v5, vcc
	global_load_dwordx2 v[6:7], v[4:5], off
	s_cmp_eq_u64 s[8:9], 0
	s_cselect_b64 s[6:7], -1, 0
	s_and_b64 vcc, exec, s[6:7]
	v_pk_mov_b32 v[4:5], 0, 0
	s_cbranch_vccnz .LBB94_3
; %bb.2:
	v_mul_lo_u32 v1, v3, s10
	v_mul_lo_u32 v8, v2, s11
	v_mad_u64_u32 v[4:5], s[0:1], v2, s10, 0
	v_add3_u32 v5, v5, v8, v1
	v_lshlrev_b64 v[4:5], 2, v[4:5]
	v_mov_b32_e32 v1, s9
	v_add_co_u32_e32 v4, vcc, s8, v4
	v_addc_co_u32_e32 v5, vcc, v1, v5, vcc
.LBB94_3:
	s_load_dword s8, s[4:5], 0x18
	s_load_dword s18, s[4:5], 0x0
	s_lshl_b64 s[0:1], s[2:3], 3
	v_and_b32_e32 v108, 0x3ff, v0
	v_mov_b32_e32 v1, s1
	s_waitcnt lgkmcnt(0)
	s_add_i32 s12, s8, s8
	s_waitcnt vmcnt(0)
	v_add_co_u32_e32 v106, vcc, s0, v6
	v_add_u32_e32 v6, s12, v108
	v_addc_co_u32_e32 v107, vcc, v7, v1, vcc
	v_ashrrev_i32_e32 v7, 31, v6
	v_lshlrev_b64 v[0:1], 3, v[6:7]
	v_add_u32_e32 v6, s8, v6
	v_add_co_u32_e32 v0, vcc, v106, v0
	v_ashrrev_i32_e32 v7, 31, v6
	v_addc_co_u32_e32 v1, vcc, v107, v1, vcc
	v_lshlrev_b64 v[8:9], 3, v[6:7]
	v_add_u32_e32 v6, s8, v6
	v_add_co_u32_e32 v8, vcc, v106, v8
	v_ashrrev_i32_e32 v7, 31, v6
	v_addc_co_u32_e32 v9, vcc, v107, v9, vcc
	;; [unrolled: 5-line block ×45, first 2 shown]
	v_lshlrev_b64 v[6:7], 3, v[6:7]
	v_add_co_u32_e32 v154, vcc, v106, v6
	v_addc_co_u32_e32 v155, vcc, v107, v7, vcc
	v_lshlrev_b32_e32 v101, 3, v108
	v_add_co_u32_e32 v6, vcc, v106, v101
	s_ashr_i32 s9, s8, 31
	v_addc_co_u32_e32 v7, vcc, 0, v107, vcc
	s_lshl_b64 s[10:11], s[8:9], 3
	v_mov_b32_e32 v47, s11
	v_add_co_u32_e32 v46, vcc, s10, v6
	v_addc_co_u32_e32 v47, vcc, v7, v47, vcc
	s_max_i32 s0, s18, 48
	global_load_dwordx2 v[94:95], v[6:7], off
	global_load_dwordx2 v[96:97], v[46:47], off
	;; [unrolled: 1-line block ×11, first 2 shown]
                                        ; kill: killed $vgpr22 killed $vgpr23
                                        ; kill: killed $vgpr8 killed $vgpr9
                                        ; kill: killed $vgpr12 killed $vgpr13
                                        ; kill: killed $vgpr16 killed $vgpr17
                                        ; kill: killed $vgpr20 killed $vgpr21
                                        ; kill: killed $vgpr6 killed $vgpr7
                                        ; kill: killed $vgpr0 killed $vgpr1
                                        ; kill: killed $vgpr46 killed $vgpr47
                                        ; kill: killed $vgpr10 killed $vgpr11
                                        ; kill: killed $vgpr14 killed $vgpr15
                                        ; kill: killed $vgpr18 killed $vgpr19
	global_load_dwordx2 v[76:77], v[24:25], off
	global_load_dwordx2 v[72:73], v[26:27], off
	;; [unrolled: 1-line block ×11, first 2 shown]
                                        ; kill: killed $vgpr26 killed $vgpr27
                                        ; kill: killed $vgpr30 killed $vgpr31
                                        ; kill: killed $vgpr34 killed $vgpr35
                                        ; kill: killed $vgpr38 killed $vgpr39
                                        ; kill: killed $vgpr42 killed $vgpr43
                                        ; kill: killed $vgpr24 killed $vgpr25
                                        ; kill: killed $vgpr28 killed $vgpr29
                                        ; kill: killed $vgpr32 killed $vgpr33
                                        ; kill: killed $vgpr36 killed $vgpr37
                                        ; kill: killed $vgpr40 killed $vgpr41
                                        ; kill: killed $vgpr44 killed $vgpr45
	global_load_dwordx2 v[54:55], v[98:99], off
	global_load_dwordx2 v[50:51], v[102:103], off
	;; [unrolled: 1-line block ×4, first 2 shown]
	s_nop 0
	global_load_dwordx2 v[44:45], v[112:113], off
	global_load_dwordx2 v[42:43], v[114:115], off
	;; [unrolled: 1-line block ×7, first 2 shown]
                                        ; kill: killed $vgpr110 killed $vgpr111
                                        ; kill: killed $vgpr114 killed $vgpr115
                                        ; kill: killed $vgpr118 killed $vgpr119
                                        ; kill: killed $vgpr122 killed $vgpr123
                                        ; kill: killed $vgpr98 killed $vgpr99
                                        ; kill: killed $vgpr104 killed $vgpr105
                                        ; kill: killed $vgpr112 killed $vgpr113
                                        ; kill: killed $vgpr116 killed $vgpr117
                                        ; kill: killed $vgpr120 killed $vgpr121
                                        ; kill: killed $vgpr124 killed $vgpr125
                                        ; kill: killed $vgpr102 killed $vgpr103
	global_load_dwordx2 v[32:33], v[126:127], off
	global_load_dwordx2 v[28:29], v[128:129], off
	;; [unrolled: 1-line block ×11, first 2 shown]
                                        ; kill: killed $vgpr144 killed $vgpr145
                                        ; kill: killed $vgpr126 killed $vgpr127
                                        ; kill: killed $vgpr130 killed $vgpr131
                                        ; kill: killed $vgpr134 killed $vgpr135
                                        ; kill: killed $vgpr138 killed $vgpr139
                                        ; kill: killed $vgpr142 killed $vgpr143
                                        ; kill: killed $vgpr146 killed $vgpr147
                                        ; kill: killed $vgpr128 killed $vgpr129
                                        ; kill: killed $vgpr132 killed $vgpr133
                                        ; kill: killed $vgpr136 killed $vgpr137
                                        ; kill: killed $vgpr140 killed $vgpr141
	global_load_dwordx2 v[10:11], v[148:149], off
	global_load_dwordx2 v[6:7], v[150:151], off
	;; [unrolled: 1-line block ×4, first 2 shown]
	v_mul_lo_u32 v102, s0, v100
	v_lshl_add_u32 v104, v102, 3, 0
	v_add_u32_e32 v100, v104, v101
	s_waitcnt vmcnt(47)
	ds_write_b64 v100, v[94:95]
	s_waitcnt lgkmcnt(0)
	s_barrier
	ds_read_b64 v[100:101], v104
	s_cmp_lt_i32 s18, 2
	v_lshlrev_b32_e32 v109, 3, v102
	v_mov_b32_e32 v102, 0
	s_cbranch_scc1 .LBB94_6
; %bb.4:
	v_add3_u32 v103, v109, 0, 8
	s_mov_b32 s0, 1
	v_mov_b32_e32 v102, 0
.LBB94_5:                               ; =>This Inner Loop Header: Depth=1
	ds_read_b64 v[110:111], v103
	v_mov_b32_e32 v105, s0
	s_add_i32 s0, s0, 1
	v_add_u32_e32 v103, 8, v103
	s_cmp_eq_u32 s18, s0
	s_waitcnt lgkmcnt(0)
	v_cmp_lt_f64_e64 vcc, |v[100:101]|, |v[110:111]|
	v_cndmask_b32_e32 v101, v101, v111, vcc
	v_cndmask_b32_e32 v100, v100, v110, vcc
	;; [unrolled: 1-line block ×3, first 2 shown]
	s_cbranch_scc0 .LBB94_5
.LBB94_6:
	v_cmp_ne_u32_e32 vcc, v108, v102
                                        ; implicit-def: $vgpr105
	s_and_saveexec_b64 s[0:1], vcc
	s_xor_b64 s[0:1], exec, s[0:1]
	s_cbranch_execz .LBB94_12
; %bb.7:
	v_cmp_eq_u32_e32 vcc, 0, v108
	s_and_saveexec_b64 s[2:3], vcc
	s_cbranch_execz .LBB94_11
; %bb.8:
	v_cmp_ne_u32_e32 vcc, 0, v102
	s_xor_b64 s[14:15], s[6:7], -1
	s_and_b64 s[16:17], s[14:15], vcc
	s_and_saveexec_b64 s[14:15], s[16:17]
	s_cbranch_execz .LBB94_10
; %bb.9:
	v_ashrrev_i32_e32 v103, 31, v102
	v_lshlrev_b64 v[110:111], 2, v[102:103]
	v_add_co_u32_e32 v110, vcc, v4, v110
	v_addc_co_u32_e32 v111, vcc, v5, v111, vcc
	flat_load_dword v103, v[110:111]
	flat_load_dword v105, v[4:5]
	s_waitcnt vmcnt(0) lgkmcnt(0)
	flat_store_dword v[4:5], v103
	flat_store_dword v[110:111], v105
.LBB94_10:
	s_or_b64 exec, exec, s[14:15]
	v_mov_b32_e32 v108, v102
.LBB94_11:
	s_or_b64 exec, exec, s[2:3]
	v_mov_b32_e32 v105, v108
                                        ; implicit-def: $vgpr108
.LBB94_12:
	s_or_saveexec_b64 s[0:1], s[0:1]
	v_mov_b32_e32 v103, v105
	s_xor_b64 exec, exec, s[0:1]
	s_cbranch_execz .LBB94_14
; %bb.13:
	v_mov_b32_e32 v105, 0
	v_mov_b32_e32 v103, v108
	s_waitcnt vmcnt(0)
	ds_write2_b64 v104, v[96:97], v[92:93] offset0:1 offset1:2
	ds_write2_b64 v104, v[90:91], v[88:89] offset0:3 offset1:4
	;; [unrolled: 1-line block ×23, first 2 shown]
	ds_write_b64 v104, v[98:99] offset:376
.LBB94_14:
	s_or_b64 exec, exec, s[0:1]
	s_waitcnt lgkmcnt(0)
	v_cmp_eq_f64_e64 s[0:1], 0, v[100:101]
	v_cmp_lt_i32_e32 vcc, 0, v105
	s_barrier
	s_and_saveexec_b64 s[2:3], vcc
	s_cbranch_execz .LBB94_16
; %bb.15:
	v_div_scale_f64 v[110:111], s[14:15], v[100:101], v[100:101], 1.0
	v_rcp_f64_e32 v[112:113], v[110:111]
	v_div_scale_f64 v[114:115], vcc, 1.0, v[100:101], 1.0
	ds_read2_b64 v[118:121], v104 offset0:5 offset1:6
	v_fma_f64 v[116:117], -v[110:111], v[112:113], 1.0
	v_fmac_f64_e32 v[112:113], v[112:113], v[116:117]
	v_fma_f64 v[116:117], -v[110:111], v[112:113], 1.0
	v_fmac_f64_e32 v[112:113], v[112:113], v[116:117]
	v_mul_f64 v[116:117], v[114:115], v[112:113]
	v_fma_f64 v[110:111], -v[110:111], v[116:117], v[114:115]
	v_div_fmas_f64 v[110:111], v[110:111], v[112:113], v[116:117]
	v_div_fixup_f64 v[114:115], v[110:111], v[100:101], 1.0
	ds_read2_b64 v[110:113], v104 offset0:1 offset1:2
	v_cndmask_b32_e64 v101, v115, v101, s[0:1]
	v_cndmask_b32_e64 v100, v114, v100, s[0:1]
	ds_read2_b64 v[114:117], v104 offset0:3 offset1:4
	v_mul_f64 v[94:95], v[100:101], v[94:95]
	s_waitcnt vmcnt(0) lgkmcnt(0)
	v_fma_f64 v[96:97], -v[94:95], v[110:111], v[96:97]
	v_fma_f64 v[92:93], -v[94:95], v[112:113], v[92:93]
	ds_read2_b64 v[110:113], v104 offset0:7 offset1:8
	v_fma_f64 v[90:91], -v[94:95], v[114:115], v[90:91]
	v_fma_f64 v[88:89], -v[94:95], v[116:117], v[88:89]
	ds_read2_b64 v[114:117], v104 offset0:9 offset1:10
	;; [unrolled: 3-line block ×3, first 2 shown]
	s_waitcnt lgkmcnt(2)
	v_fma_f64 v[82:83], -v[94:95], v[110:111], v[82:83]
	v_fma_f64 v[80:81], -v[94:95], v[112:113], v[80:81]
	s_waitcnt lgkmcnt(1)
	v_fma_f64 v[78:79], -v[94:95], v[114:115], v[78:79]
	ds_read2_b64 v[110:113], v104 offset0:13 offset1:14
	v_fma_f64 v[74:75], -v[94:95], v[116:117], v[74:75]
	ds_read2_b64 v[114:117], v104 offset0:15 offset1:16
	s_waitcnt lgkmcnt(2)
	v_fma_f64 v[76:77], -v[94:95], v[118:119], v[76:77]
	v_fma_f64 v[72:73], -v[94:95], v[120:121], v[72:73]
	s_waitcnt lgkmcnt(1)
	v_fma_f64 v[70:71], -v[94:95], v[110:111], v[70:71]
	ds_read2_b64 v[118:121], v104 offset0:17 offset1:18
	v_fma_f64 v[68:69], -v[94:95], v[112:113], v[68:69]
	ds_read2_b64 v[110:113], v104 offset0:19 offset1:20
	s_waitcnt lgkmcnt(2)
	v_fma_f64 v[66:67], -v[94:95], v[114:115], v[66:67]
	v_fma_f64 v[64:65], -v[94:95], v[116:117], v[64:65]
	ds_read2_b64 v[114:117], v104 offset0:21 offset1:22
	s_waitcnt lgkmcnt(2)
	v_fma_f64 v[62:63], -v[94:95], v[118:119], v[62:63]
	;; [unrolled: 4-line block ×3, first 2 shown]
	v_fma_f64 v[56:57], -v[94:95], v[112:113], v[56:57]
	s_waitcnt lgkmcnt(1)
	v_fma_f64 v[52:53], -v[94:95], v[114:115], v[52:53]
	ds_read2_b64 v[110:113], v104 offset0:25 offset1:26
	v_fma_f64 v[54:55], -v[94:95], v[116:117], v[54:55]
	ds_read2_b64 v[114:117], v104 offset0:27 offset1:28
	s_waitcnt lgkmcnt(2)
	v_fma_f64 v[50:51], -v[94:95], v[118:119], v[50:51]
	v_fma_f64 v[48:49], -v[94:95], v[120:121], v[48:49]
	s_waitcnt lgkmcnt(1)
	v_fma_f64 v[46:47], -v[94:95], v[110:111], v[46:47]
	ds_read2_b64 v[118:121], v104 offset0:29 offset1:30
	v_fma_f64 v[44:45], -v[94:95], v[112:113], v[44:45]
	ds_read2_b64 v[110:113], v104 offset0:31 offset1:32
	s_waitcnt lgkmcnt(2)
	v_fma_f64 v[42:43], -v[94:95], v[114:115], v[42:43]
	v_fma_f64 v[40:41], -v[94:95], v[116:117], v[40:41]
	ds_read2_b64 v[114:117], v104 offset0:33 offset1:34
	s_waitcnt lgkmcnt(2)
	v_fma_f64 v[38:39], -v[94:95], v[118:119], v[38:39]
	v_fma_f64 v[36:37], -v[94:95], v[120:121], v[36:37]
	ds_read2_b64 v[118:121], v104 offset0:35 offset1:36
	s_waitcnt lgkmcnt(2)
	v_fma_f64 v[34:35], -v[94:95], v[110:111], v[34:35]
	v_fma_f64 v[30:31], -v[94:95], v[112:113], v[30:31]
	s_waitcnt lgkmcnt(1)
	v_fma_f64 v[32:33], -v[94:95], v[114:115], v[32:33]
	ds_read2_b64 v[110:113], v104 offset0:37 offset1:38
	v_fma_f64 v[28:29], -v[94:95], v[116:117], v[28:29]
	ds_read2_b64 v[114:117], v104 offset0:39 offset1:40
	s_waitcnt lgkmcnt(2)
	v_fma_f64 v[26:27], -v[94:95], v[118:119], v[26:27]
	v_fma_f64 v[24:25], -v[94:95], v[120:121], v[24:25]
	s_waitcnt lgkmcnt(1)
	v_fma_f64 v[22:23], -v[94:95], v[110:111], v[22:23]
	ds_read2_b64 v[118:121], v104 offset0:41 offset1:42
	v_fma_f64 v[20:21], -v[94:95], v[112:113], v[20:21]
	ds_read2_b64 v[110:113], v104 offset0:43 offset1:44
	s_waitcnt lgkmcnt(2)
	v_fma_f64 v[18:19], -v[94:95], v[114:115], v[18:19]
	v_fma_f64 v[16:17], -v[94:95], v[116:117], v[16:17]
	ds_read2_b64 v[114:117], v104 offset0:45 offset1:46
	ds_read_b64 v[100:101], v104 offset:376
	s_waitcnt lgkmcnt(3)
	v_fma_f64 v[14:15], -v[94:95], v[118:119], v[14:15]
	v_fma_f64 v[12:13], -v[94:95], v[120:121], v[12:13]
	s_waitcnt lgkmcnt(2)
	v_fma_f64 v[8:9], -v[94:95], v[110:111], v[8:9]
	v_fma_f64 v[10:11], -v[94:95], v[112:113], v[10:11]
	;; [unrolled: 3-line block ×3, first 2 shown]
	s_waitcnt lgkmcnt(0)
	v_fma_f64 v[98:99], -v[94:95], v[100:101], v[98:99]
.LBB94_16:
	s_or_b64 exec, exec, s[2:3]
	v_lshl_add_u32 v100, v105, 3, v104
	s_barrier
	s_waitcnt vmcnt(0)
	ds_write_b64 v100, v[96:97]
	s_waitcnt lgkmcnt(0)
	s_barrier
	ds_read_b64 v[100:101], v104 offset:8
	s_cmp_lt_i32 s18, 3
	v_mov_b32_e32 v102, 1
	s_cbranch_scc1 .LBB94_19
; %bb.17:
	v_add3_u32 v108, v109, 0, 16
	s_mov_b32 s2, 2
	v_mov_b32_e32 v102, 1
.LBB94_18:                              ; =>This Inner Loop Header: Depth=1
	ds_read_b64 v[110:111], v108
	v_mov_b32_e32 v112, s2
	s_add_i32 s2, s2, 1
	v_add_u32_e32 v108, 8, v108
	s_cmp_lg_u32 s18, s2
	s_waitcnt lgkmcnt(0)
	v_cmp_lt_f64_e64 vcc, |v[100:101]|, |v[110:111]|
	v_cndmask_b32_e32 v101, v101, v111, vcc
	v_cndmask_b32_e32 v100, v100, v110, vcc
	;; [unrolled: 1-line block ×3, first 2 shown]
	s_cbranch_scc1 .LBB94_18
.LBB94_19:
	v_cmp_ne_u32_e32 vcc, v105, v102
	s_and_saveexec_b64 s[2:3], vcc
	s_xor_b64 s[2:3], exec, s[2:3]
	s_cbranch_execz .LBB94_25
; %bb.20:
	v_cmp_eq_u32_e32 vcc, 1, v105
	s_and_saveexec_b64 s[14:15], vcc
	s_cbranch_execz .LBB94_24
; %bb.21:
	v_cmp_ne_u32_e32 vcc, 1, v102
	s_xor_b64 s[16:17], s[6:7], -1
	s_and_b64 s[20:21], s[16:17], vcc
	s_and_saveexec_b64 s[16:17], s[20:21]
	s_cbranch_execz .LBB94_23
; %bb.22:
	v_ashrrev_i32_e32 v103, 31, v102
	v_lshlrev_b64 v[110:111], 2, v[102:103]
	v_add_co_u32_e32 v110, vcc, v4, v110
	v_addc_co_u32_e32 v111, vcc, v5, v111, vcc
	flat_load_dword v103, v[110:111]
	flat_load_dword v105, v[4:5] offset:4
	s_waitcnt vmcnt(0) lgkmcnt(0)
	flat_store_dword v[4:5], v103 offset:4
	flat_store_dword v[110:111], v105
.LBB94_23:
	s_or_b64 exec, exec, s[16:17]
	v_mov_b32_e32 v103, v102
	v_mov_b32_e32 v105, v102
.LBB94_24:
	s_or_b64 exec, exec, s[14:15]
.LBB94_25:
	s_andn2_saveexec_b64 s[2:3], s[2:3]
	s_cbranch_execz .LBB94_27
; %bb.26:
	v_mov_b32_e32 v110, v92
	v_mov_b32_e32 v111, v93
	v_mov_b32_e32 v112, v90
	v_mov_b32_e32 v113, v91
	ds_write2_b64 v104, v[110:111], v[112:113] offset0:2 offset1:3
	v_mov_b32_e32 v110, v88
	v_mov_b32_e32 v111, v89
	v_mov_b32_e32 v112, v86
	v_mov_b32_e32 v113, v87
	ds_write2_b64 v104, v[110:111], v[112:113] offset0:4 offset1:5
	;; [unrolled: 5-line block ×22, first 2 shown]
	v_mov_b32_e32 v110, v0
	v_mov_b32_e32 v111, v1
	;; [unrolled: 1-line block ×3, first 2 shown]
	ds_write2_b64 v104, v[110:111], v[98:99] offset0:46 offset1:47
.LBB94_27:
	s_or_b64 exec, exec, s[2:3]
	s_waitcnt lgkmcnt(0)
	v_cmp_neq_f64_e64 s[2:3], 0, v[100:101]
	v_cmp_lt_i32_e32 vcc, 1, v105
	s_barrier
	s_and_saveexec_b64 s[14:15], vcc
	s_cbranch_execz .LBB94_29
; %bb.28:
	v_div_scale_f64 v[110:111], s[16:17], v[100:101], v[100:101], 1.0
	v_rcp_f64_e32 v[112:113], v[110:111]
	v_div_scale_f64 v[114:115], vcc, 1.0, v[100:101], 1.0
	ds_read2_b64 v[118:121], v104 offset0:6 offset1:7
	v_fma_f64 v[116:117], -v[110:111], v[112:113], 1.0
	v_fmac_f64_e32 v[112:113], v[112:113], v[116:117]
	v_fma_f64 v[116:117], -v[110:111], v[112:113], 1.0
	v_fmac_f64_e32 v[112:113], v[112:113], v[116:117]
	v_mul_f64 v[116:117], v[114:115], v[112:113]
	v_fma_f64 v[110:111], -v[110:111], v[116:117], v[114:115]
	v_div_fmas_f64 v[110:111], v[110:111], v[112:113], v[116:117]
	v_div_fixup_f64 v[114:115], v[110:111], v[100:101], 1.0
	ds_read2_b64 v[110:113], v104 offset0:2 offset1:3
	v_cndmask_b32_e64 v101, v101, v115, s[2:3]
	v_cndmask_b32_e64 v100, v100, v114, s[2:3]
	ds_read2_b64 v[114:117], v104 offset0:4 offset1:5
	v_mul_f64 v[96:97], v[100:101], v[96:97]
	s_waitcnt lgkmcnt(0)
	v_fma_f64 v[92:93], -v[96:97], v[110:111], v[92:93]
	v_fma_f64 v[90:91], -v[96:97], v[112:113], v[90:91]
	ds_read2_b64 v[110:113], v104 offset0:8 offset1:9
	v_fma_f64 v[88:89], -v[96:97], v[114:115], v[88:89]
	v_fma_f64 v[86:87], -v[96:97], v[116:117], v[86:87]
	ds_read2_b64 v[114:117], v104 offset0:10 offset1:11
	;; [unrolled: 3-line block ×3, first 2 shown]
	s_waitcnt lgkmcnt(0)
	v_fma_f64 v[80:81], -v[96:97], v[110:111], v[80:81]
	v_fma_f64 v[78:79], -v[96:97], v[112:113], v[78:79]
	;; [unrolled: 1-line block ×3, first 2 shown]
	ds_read2_b64 v[110:113], v104 offset0:14 offset1:15
	v_fma_f64 v[76:77], -v[96:97], v[116:117], v[76:77]
	ds_read2_b64 v[114:117], v104 offset0:16 offset1:17
	v_fma_f64 v[72:73], -v[96:97], v[118:119], v[72:73]
	v_fma_f64 v[70:71], -v[96:97], v[120:121], v[70:71]
	s_waitcnt lgkmcnt(0)
	v_fma_f64 v[68:69], -v[96:97], v[110:111], v[68:69]
	ds_read2_b64 v[118:121], v104 offset0:18 offset1:19
	v_fma_f64 v[66:67], -v[96:97], v[112:113], v[66:67]
	ds_read2_b64 v[110:113], v104 offset0:20 offset1:21
	v_fma_f64 v[64:65], -v[96:97], v[114:115], v[64:65]
	v_fma_f64 v[62:63], -v[96:97], v[116:117], v[62:63]
	ds_read2_b64 v[114:117], v104 offset0:22 offset1:23
	s_waitcnt lgkmcnt(0)
	v_fma_f64 v[60:61], -v[96:97], v[118:119], v[60:61]
	v_fma_f64 v[58:59], -v[96:97], v[120:121], v[58:59]
	ds_read2_b64 v[118:121], v104 offset0:24 offset1:25
	v_fma_f64 v[56:57], -v[96:97], v[110:111], v[56:57]
	v_fma_f64 v[52:53], -v[96:97], v[112:113], v[52:53]
	;; [unrolled: 1-line block ×3, first 2 shown]
	ds_read2_b64 v[110:113], v104 offset0:26 offset1:27
	v_fma_f64 v[50:51], -v[96:97], v[116:117], v[50:51]
	ds_read2_b64 v[114:117], v104 offset0:28 offset1:29
	s_waitcnt lgkmcnt(0)
	v_fma_f64 v[48:49], -v[96:97], v[118:119], v[48:49]
	v_fma_f64 v[46:47], -v[96:97], v[120:121], v[46:47]
	;; [unrolled: 1-line block ×3, first 2 shown]
	ds_read2_b64 v[118:121], v104 offset0:30 offset1:31
	v_fma_f64 v[42:43], -v[96:97], v[112:113], v[42:43]
	ds_read2_b64 v[110:113], v104 offset0:32 offset1:33
	v_fma_f64 v[40:41], -v[96:97], v[114:115], v[40:41]
	v_fma_f64 v[38:39], -v[96:97], v[116:117], v[38:39]
	ds_read2_b64 v[114:117], v104 offset0:34 offset1:35
	s_waitcnt lgkmcnt(0)
	v_fma_f64 v[36:37], -v[96:97], v[118:119], v[36:37]
	v_fma_f64 v[34:35], -v[96:97], v[120:121], v[34:35]
	ds_read2_b64 v[118:121], v104 offset0:36 offset1:37
	v_fma_f64 v[30:31], -v[96:97], v[110:111], v[30:31]
	v_fma_f64 v[32:33], -v[96:97], v[112:113], v[32:33]
	;; [unrolled: 1-line block ×3, first 2 shown]
	ds_read2_b64 v[110:113], v104 offset0:38 offset1:39
	v_fma_f64 v[26:27], -v[96:97], v[116:117], v[26:27]
	ds_read2_b64 v[114:117], v104 offset0:40 offset1:41
	s_waitcnt lgkmcnt(0)
	v_fma_f64 v[24:25], -v[96:97], v[118:119], v[24:25]
	v_fma_f64 v[22:23], -v[96:97], v[120:121], v[22:23]
	;; [unrolled: 1-line block ×4, first 2 shown]
	ds_read2_b64 v[110:113], v104 offset0:42 offset1:43
	ds_read2_b64 v[118:121], v104 offset0:44 offset1:45
	v_fma_f64 v[16:17], -v[96:97], v[114:115], v[16:17]
	v_fma_f64 v[14:15], -v[96:97], v[116:117], v[14:15]
	ds_read2_b64 v[114:117], v104 offset0:46 offset1:47
	s_waitcnt lgkmcnt(0)
	v_fma_f64 v[12:13], -v[96:97], v[110:111], v[12:13]
	v_fma_f64 v[8:9], -v[96:97], v[112:113], v[8:9]
	;; [unrolled: 1-line block ×6, first 2 shown]
.LBB94_29:
	s_or_b64 exec, exec, s[14:15]
	v_lshl_add_u32 v100, v105, 3, v104
	s_barrier
	ds_write_b64 v100, v[92:93]
	s_waitcnt lgkmcnt(0)
	s_barrier
	ds_read_b64 v[100:101], v104 offset:16
	s_mov_b32 s9, 3
	s_cmp_lt_i32 s18, 4
	v_mov_b32_e32 v102, 2
	s_cbranch_scc1 .LBB94_32
; %bb.30:
	v_add3_u32 v108, v109, 0, 24
	v_mov_b32_e32 v102, 2
.LBB94_31:                              ; =>This Inner Loop Header: Depth=1
	ds_read_b64 v[110:111], v108
	v_mov_b32_e32 v112, s9
	s_add_i32 s9, s9, 1
	v_add_u32_e32 v108, 8, v108
	s_cmp_lg_u32 s18, s9
	s_waitcnt lgkmcnt(0)
	v_cmp_lt_f64_e64 vcc, |v[100:101]|, |v[110:111]|
	v_cndmask_b32_e32 v101, v101, v111, vcc
	v_cndmask_b32_e32 v100, v100, v110, vcc
	;; [unrolled: 1-line block ×3, first 2 shown]
	s_cbranch_scc1 .LBB94_31
.LBB94_32:
	v_cndmask_b32_e64 v108, 2, 1, s[0:1]
	v_cndmask_b32_e64 v110, 0, 1, s[0:1]
	;; [unrolled: 1-line block ×3, first 2 shown]
	s_waitcnt lgkmcnt(0)
	v_cmp_eq_f64_e32 vcc, 0, v[100:101]
	s_and_saveexec_b64 s[0:1], vcc
	s_xor_b64 s[0:1], exec, s[0:1]
; %bb.33:
	v_cmp_ne_u32_e32 vcc, 0, v108
	v_cndmask_b32_e32 v108, 3, v108, vcc
; %bb.34:
	s_andn2_saveexec_b64 s[0:1], s[0:1]
; %bb.35:
	v_div_scale_f64 v[110:111], s[2:3], v[100:101], v[100:101], 1.0
	v_rcp_f64_e32 v[112:113], v[110:111]
	v_div_scale_f64 v[114:115], vcc, 1.0, v[100:101], 1.0
	v_fma_f64 v[116:117], -v[110:111], v[112:113], 1.0
	v_fmac_f64_e32 v[112:113], v[112:113], v[116:117]
	v_fma_f64 v[116:117], -v[110:111], v[112:113], 1.0
	v_fmac_f64_e32 v[112:113], v[112:113], v[116:117]
	v_mul_f64 v[116:117], v[114:115], v[112:113]
	v_fma_f64 v[110:111], -v[110:111], v[116:117], v[114:115]
	v_div_fmas_f64 v[110:111], v[110:111], v[112:113], v[116:117]
	v_div_fixup_f64 v[100:101], v[110:111], v[100:101], 1.0
; %bb.36:
	s_or_b64 exec, exec, s[0:1]
	v_cmp_ne_u32_e32 vcc, v105, v102
	s_and_saveexec_b64 s[0:1], vcc
	s_xor_b64 s[0:1], exec, s[0:1]
	s_cbranch_execz .LBB94_42
; %bb.37:
	v_cmp_eq_u32_e32 vcc, 2, v105
	s_and_saveexec_b64 s[2:3], vcc
	s_cbranch_execz .LBB94_41
; %bb.38:
	v_cmp_ne_u32_e32 vcc, 2, v102
	s_xor_b64 s[14:15], s[6:7], -1
	s_and_b64 s[16:17], s[14:15], vcc
	s_and_saveexec_b64 s[14:15], s[16:17]
	s_cbranch_execz .LBB94_40
; %bb.39:
	v_ashrrev_i32_e32 v103, 31, v102
	v_lshlrev_b64 v[110:111], 2, v[102:103]
	v_add_co_u32_e32 v110, vcc, v4, v110
	v_addc_co_u32_e32 v111, vcc, v5, v111, vcc
	flat_load_dword v103, v[110:111]
	flat_load_dword v105, v[4:5] offset:8
	s_waitcnt vmcnt(0) lgkmcnt(0)
	flat_store_dword v[4:5], v103 offset:8
	flat_store_dword v[110:111], v105
.LBB94_40:
	s_or_b64 exec, exec, s[14:15]
	v_mov_b32_e32 v103, v102
	v_mov_b32_e32 v105, v102
.LBB94_41:
	s_or_b64 exec, exec, s[2:3]
.LBB94_42:
	s_andn2_saveexec_b64 s[0:1], s[0:1]
	s_cbranch_execz .LBB94_44
; %bb.43:
	v_mov_b32_e32 v105, 2
	ds_write2_b64 v104, v[90:91], v[88:89] offset0:3 offset1:4
	ds_write2_b64 v104, v[86:87], v[84:85] offset0:5 offset1:6
	;; [unrolled: 1-line block ×22, first 2 shown]
	ds_write_b64 v104, v[98:99] offset:376
.LBB94_44:
	s_or_b64 exec, exec, s[0:1]
	v_cmp_lt_i32_e32 vcc, 2, v105
	s_waitcnt lgkmcnt(0)
	s_barrier
	s_and_saveexec_b64 s[0:1], vcc
	s_cbranch_execz .LBB94_46
; %bb.45:
	ds_read2_b64 v[110:113], v104 offset0:3 offset1:4
	ds_read2_b64 v[114:117], v104 offset0:5 offset1:6
	v_mul_f64 v[92:93], v[100:101], v[92:93]
	ds_read2_b64 v[118:121], v104 offset0:7 offset1:8
	ds_read_b64 v[100:101], v104 offset:376
	s_waitcnt lgkmcnt(0)
	v_fma_f64 v[90:91], -v[92:93], v[110:111], v[90:91]
	v_fma_f64 v[88:89], -v[92:93], v[112:113], v[88:89]
	ds_read2_b64 v[110:113], v104 offset0:9 offset1:10
	v_fma_f64 v[86:87], -v[92:93], v[114:115], v[86:87]
	v_fma_f64 v[84:85], -v[92:93], v[116:117], v[84:85]
	;; [unrolled: 1-line block ×3, first 2 shown]
	ds_read2_b64 v[114:117], v104 offset0:11 offset1:12
	v_fma_f64 v[80:81], -v[92:93], v[120:121], v[80:81]
	ds_read2_b64 v[118:121], v104 offset0:13 offset1:14
	s_waitcnt lgkmcnt(0)
	v_fma_f64 v[78:79], -v[92:93], v[110:111], v[78:79]
	v_fma_f64 v[74:75], -v[92:93], v[112:113], v[74:75]
	ds_read2_b64 v[110:113], v104 offset0:15 offset1:16
	v_fma_f64 v[76:77], -v[92:93], v[114:115], v[76:77]
	v_fma_f64 v[72:73], -v[92:93], v[116:117], v[72:73]
	ds_read2_b64 v[114:117], v104 offset0:17 offset1:18
	v_fma_f64 v[70:71], -v[92:93], v[118:119], v[70:71]
	v_fma_f64 v[68:69], -v[92:93], v[120:121], v[68:69]
	s_waitcnt lgkmcnt(0)
	v_fma_f64 v[66:67], -v[92:93], v[110:111], v[66:67]
	ds_read2_b64 v[118:121], v104 offset0:19 offset1:20
	v_fma_f64 v[64:65], -v[92:93], v[112:113], v[64:65]
	ds_read2_b64 v[110:113], v104 offset0:21 offset1:22
	v_fma_f64 v[62:63], -v[92:93], v[114:115], v[62:63]
	v_fma_f64 v[60:61], -v[92:93], v[116:117], v[60:61]
	s_waitcnt lgkmcnt(0)
	v_fma_f64 v[58:59], -v[92:93], v[118:119], v[58:59]
	ds_read2_b64 v[114:117], v104 offset0:23 offset1:24
	v_fma_f64 v[56:57], -v[92:93], v[120:121], v[56:57]
	ds_read2_b64 v[118:121], v104 offset0:25 offset1:26
	v_fma_f64 v[52:53], -v[92:93], v[110:111], v[52:53]
	v_fma_f64 v[54:55], -v[92:93], v[112:113], v[54:55]
	ds_read2_b64 v[110:113], v104 offset0:27 offset1:28
	s_waitcnt lgkmcnt(0)
	v_fma_f64 v[50:51], -v[92:93], v[114:115], v[50:51]
	v_fma_f64 v[48:49], -v[92:93], v[116:117], v[48:49]
	ds_read2_b64 v[114:117], v104 offset0:29 offset1:30
	v_fma_f64 v[46:47], -v[92:93], v[118:119], v[46:47]
	v_fma_f64 v[44:45], -v[92:93], v[120:121], v[44:45]
	;; [unrolled: 1-line block ×3, first 2 shown]
	ds_read2_b64 v[118:121], v104 offset0:31 offset1:32
	v_fma_f64 v[40:41], -v[92:93], v[112:113], v[40:41]
	ds_read2_b64 v[110:113], v104 offset0:33 offset1:34
	s_waitcnt lgkmcnt(0)
	v_fma_f64 v[38:39], -v[92:93], v[114:115], v[38:39]
	v_fma_f64 v[36:37], -v[92:93], v[116:117], v[36:37]
	;; [unrolled: 1-line block ×3, first 2 shown]
	ds_read2_b64 v[114:117], v104 offset0:35 offset1:36
	v_fma_f64 v[30:31], -v[92:93], v[120:121], v[30:31]
	ds_read2_b64 v[118:121], v104 offset0:37 offset1:38
	v_fma_f64 v[32:33], -v[92:93], v[110:111], v[32:33]
	v_fma_f64 v[28:29], -v[92:93], v[112:113], v[28:29]
	ds_read2_b64 v[110:113], v104 offset0:39 offset1:40
	s_waitcnt lgkmcnt(0)
	v_fma_f64 v[26:27], -v[92:93], v[114:115], v[26:27]
	v_fma_f64 v[24:25], -v[92:93], v[116:117], v[24:25]
	ds_read2_b64 v[114:117], v104 offset0:41 offset1:42
	v_fma_f64 v[22:23], -v[92:93], v[118:119], v[22:23]
	v_fma_f64 v[20:21], -v[92:93], v[120:121], v[20:21]
	;; [unrolled: 1-line block ×4, first 2 shown]
	ds_read2_b64 v[110:113], v104 offset0:43 offset1:44
	ds_read2_b64 v[118:121], v104 offset0:45 offset1:46
	s_waitcnt lgkmcnt(0)
	v_fma_f64 v[14:15], -v[92:93], v[114:115], v[14:15]
	v_fma_f64 v[12:13], -v[92:93], v[116:117], v[12:13]
	;; [unrolled: 1-line block ×7, first 2 shown]
.LBB94_46:
	s_or_b64 exec, exec, s[0:1]
	v_lshl_add_u32 v100, v105, 3, v104
	s_barrier
	ds_write_b64 v100, v[90:91]
	s_waitcnt lgkmcnt(0)
	s_barrier
	ds_read_b64 v[100:101], v104 offset:24
	s_cmp_lt_i32 s18, 5
	v_mov_b32_e32 v102, 3
	s_cbranch_scc1 .LBB94_49
; %bb.47:
	v_add3_u32 v110, v109, 0, 32
	s_mov_b32 s0, 4
	v_mov_b32_e32 v102, 3
.LBB94_48:                              ; =>This Inner Loop Header: Depth=1
	ds_read_b64 v[112:113], v110
	v_mov_b32_e32 v111, s0
	s_add_i32 s0, s0, 1
	v_add_u32_e32 v110, 8, v110
	s_cmp_lg_u32 s18, s0
	s_waitcnt lgkmcnt(0)
	v_cmp_lt_f64_e64 vcc, |v[100:101]|, |v[112:113]|
	v_cndmask_b32_e32 v101, v101, v113, vcc
	v_cndmask_b32_e32 v100, v100, v112, vcc
	v_cndmask_b32_e32 v102, v102, v111, vcc
	s_cbranch_scc1 .LBB94_48
.LBB94_49:
	s_waitcnt lgkmcnt(0)
	v_cmp_eq_f64_e32 vcc, 0, v[100:101]
	s_and_saveexec_b64 s[0:1], vcc
	s_xor_b64 s[0:1], exec, s[0:1]
; %bb.50:
	v_cmp_ne_u32_e32 vcc, 0, v108
	v_cndmask_b32_e32 v108, 4, v108, vcc
; %bb.51:
	s_andn2_saveexec_b64 s[0:1], s[0:1]
; %bb.52:
	v_div_scale_f64 v[110:111], s[2:3], v[100:101], v[100:101], 1.0
	v_rcp_f64_e32 v[112:113], v[110:111]
	v_div_scale_f64 v[114:115], vcc, 1.0, v[100:101], 1.0
	v_fma_f64 v[116:117], -v[110:111], v[112:113], 1.0
	v_fmac_f64_e32 v[112:113], v[112:113], v[116:117]
	v_fma_f64 v[116:117], -v[110:111], v[112:113], 1.0
	v_fmac_f64_e32 v[112:113], v[112:113], v[116:117]
	v_mul_f64 v[116:117], v[114:115], v[112:113]
	v_fma_f64 v[110:111], -v[110:111], v[116:117], v[114:115]
	v_div_fmas_f64 v[110:111], v[110:111], v[112:113], v[116:117]
	v_div_fixup_f64 v[100:101], v[110:111], v[100:101], 1.0
; %bb.53:
	s_or_b64 exec, exec, s[0:1]
	v_cmp_ne_u32_e32 vcc, v105, v102
	s_and_saveexec_b64 s[0:1], vcc
	s_xor_b64 s[0:1], exec, s[0:1]
	s_cbranch_execz .LBB94_59
; %bb.54:
	v_cmp_eq_u32_e32 vcc, 3, v105
	s_and_saveexec_b64 s[2:3], vcc
	s_cbranch_execz .LBB94_58
; %bb.55:
	v_cmp_ne_u32_e32 vcc, 3, v102
	s_xor_b64 s[14:15], s[6:7], -1
	s_and_b64 s[16:17], s[14:15], vcc
	s_and_saveexec_b64 s[14:15], s[16:17]
	s_cbranch_execz .LBB94_57
; %bb.56:
	v_ashrrev_i32_e32 v103, 31, v102
	v_lshlrev_b64 v[110:111], 2, v[102:103]
	v_add_co_u32_e32 v110, vcc, v4, v110
	v_addc_co_u32_e32 v111, vcc, v5, v111, vcc
	flat_load_dword v103, v[110:111]
	flat_load_dword v105, v[4:5] offset:12
	s_waitcnt vmcnt(0) lgkmcnt(0)
	flat_store_dword v[4:5], v103 offset:12
	flat_store_dword v[110:111], v105
.LBB94_57:
	s_or_b64 exec, exec, s[14:15]
	v_mov_b32_e32 v103, v102
	v_mov_b32_e32 v105, v102
.LBB94_58:
	s_or_b64 exec, exec, s[2:3]
.LBB94_59:
	s_andn2_saveexec_b64 s[0:1], s[0:1]
	s_cbranch_execz .LBB94_61
; %bb.60:
	v_mov_b32_e32 v110, v88
	v_mov_b32_e32 v111, v89
	v_mov_b32_e32 v112, v86
	v_mov_b32_e32 v113, v87
	ds_write2_b64 v104, v[110:111], v[112:113] offset0:4 offset1:5
	v_mov_b32_e32 v110, v84
	v_mov_b32_e32 v111, v85
	v_mov_b32_e32 v112, v82
	v_mov_b32_e32 v113, v83
	ds_write2_b64 v104, v[110:111], v[112:113] offset0:6 offset1:7
	v_mov_b32_e32 v110, v80
	v_mov_b32_e32 v111, v81
	v_mov_b32_e32 v112, v78
	v_mov_b32_e32 v113, v79
	ds_write2_b64 v104, v[110:111], v[112:113] offset0:8 offset1:9
	v_mov_b32_e32 v110, v74
	v_mov_b32_e32 v111, v75
	v_mov_b32_e32 v112, v76
	v_mov_b32_e32 v113, v77
	ds_write2_b64 v104, v[110:111], v[112:113] offset0:10 offset1:11
	v_mov_b32_e32 v110, v72
	v_mov_b32_e32 v111, v73
	v_mov_b32_e32 v112, v70
	v_mov_b32_e32 v113, v71
	ds_write2_b64 v104, v[110:111], v[112:113] offset0:12 offset1:13
	v_mov_b32_e32 v110, v68
	v_mov_b32_e32 v111, v69
	v_mov_b32_e32 v112, v66
	v_mov_b32_e32 v113, v67
	ds_write2_b64 v104, v[110:111], v[112:113] offset0:14 offset1:15
	v_mov_b32_e32 v110, v64
	v_mov_b32_e32 v111, v65
	v_mov_b32_e32 v112, v62
	v_mov_b32_e32 v113, v63
	ds_write2_b64 v104, v[110:111], v[112:113] offset0:16 offset1:17
	v_mov_b32_e32 v110, v60
	v_mov_b32_e32 v111, v61
	v_mov_b32_e32 v112, v58
	v_mov_b32_e32 v113, v59
	ds_write2_b64 v104, v[110:111], v[112:113] offset0:18 offset1:19
	v_mov_b32_e32 v110, v56
	v_mov_b32_e32 v111, v57
	v_mov_b32_e32 v112, v52
	v_mov_b32_e32 v113, v53
	ds_write2_b64 v104, v[110:111], v[112:113] offset0:20 offset1:21
	v_mov_b32_e32 v110, v54
	v_mov_b32_e32 v111, v55
	v_mov_b32_e32 v112, v50
	v_mov_b32_e32 v113, v51
	ds_write2_b64 v104, v[110:111], v[112:113] offset0:22 offset1:23
	v_mov_b32_e32 v110, v48
	v_mov_b32_e32 v111, v49
	v_mov_b32_e32 v112, v46
	v_mov_b32_e32 v113, v47
	ds_write2_b64 v104, v[110:111], v[112:113] offset0:24 offset1:25
	v_mov_b32_e32 v110, v44
	v_mov_b32_e32 v111, v45
	v_mov_b32_e32 v112, v42
	v_mov_b32_e32 v113, v43
	ds_write2_b64 v104, v[110:111], v[112:113] offset0:26 offset1:27
	v_mov_b32_e32 v110, v40
	v_mov_b32_e32 v111, v41
	v_mov_b32_e32 v112, v38
	v_mov_b32_e32 v113, v39
	ds_write2_b64 v104, v[110:111], v[112:113] offset0:28 offset1:29
	v_mov_b32_e32 v110, v36
	v_mov_b32_e32 v111, v37
	v_mov_b32_e32 v112, v34
	v_mov_b32_e32 v113, v35
	ds_write2_b64 v104, v[110:111], v[112:113] offset0:30 offset1:31
	v_mov_b32_e32 v110, v30
	v_mov_b32_e32 v111, v31
	v_mov_b32_e32 v112, v32
	v_mov_b32_e32 v113, v33
	ds_write2_b64 v104, v[110:111], v[112:113] offset0:32 offset1:33
	v_mov_b32_e32 v110, v28
	v_mov_b32_e32 v111, v29
	v_mov_b32_e32 v112, v26
	v_mov_b32_e32 v113, v27
	ds_write2_b64 v104, v[110:111], v[112:113] offset0:34 offset1:35
	v_mov_b32_e32 v110, v24
	v_mov_b32_e32 v111, v25
	v_mov_b32_e32 v112, v22
	v_mov_b32_e32 v113, v23
	ds_write2_b64 v104, v[110:111], v[112:113] offset0:36 offset1:37
	v_mov_b32_e32 v110, v20
	v_mov_b32_e32 v111, v21
	v_mov_b32_e32 v112, v18
	v_mov_b32_e32 v113, v19
	ds_write2_b64 v104, v[110:111], v[112:113] offset0:38 offset1:39
	v_mov_b32_e32 v110, v16
	v_mov_b32_e32 v111, v17
	v_mov_b32_e32 v112, v14
	v_mov_b32_e32 v113, v15
	ds_write2_b64 v104, v[110:111], v[112:113] offset0:40 offset1:41
	v_mov_b32_e32 v110, v12
	v_mov_b32_e32 v111, v13
	v_mov_b32_e32 v112, v8
	v_mov_b32_e32 v113, v9
	ds_write2_b64 v104, v[110:111], v[112:113] offset0:42 offset1:43
	v_mov_b32_e32 v110, v10
	v_mov_b32_e32 v111, v11
	v_mov_b32_e32 v112, v6
	v_mov_b32_e32 v113, v7
	ds_write2_b64 v104, v[110:111], v[112:113] offset0:44 offset1:45
	v_mov_b32_e32 v110, v0
	v_mov_b32_e32 v111, v1
	;; [unrolled: 1-line block ×3, first 2 shown]
	ds_write2_b64 v104, v[110:111], v[98:99] offset0:46 offset1:47
.LBB94_61:
	s_or_b64 exec, exec, s[0:1]
	v_cmp_lt_i32_e32 vcc, 3, v105
	s_waitcnt lgkmcnt(0)
	s_barrier
	s_and_saveexec_b64 s[0:1], vcc
	s_cbranch_execz .LBB94_63
; %bb.62:
	ds_read2_b64 v[110:113], v104 offset0:4 offset1:5
	ds_read2_b64 v[114:117], v104 offset0:6 offset1:7
	v_mul_f64 v[90:91], v[100:101], v[90:91]
	ds_read2_b64 v[118:121], v104 offset0:8 offset1:9
	s_waitcnt lgkmcnt(0)
	v_fma_f64 v[88:89], -v[90:91], v[110:111], v[88:89]
	v_fma_f64 v[86:87], -v[90:91], v[112:113], v[86:87]
	ds_read2_b64 v[110:113], v104 offset0:10 offset1:11
	v_fma_f64 v[84:85], -v[90:91], v[114:115], v[84:85]
	v_fma_f64 v[82:83], -v[90:91], v[116:117], v[82:83]
	;; [unrolled: 1-line block ×3, first 2 shown]
	ds_read2_b64 v[114:117], v104 offset0:12 offset1:13
	v_fma_f64 v[78:79], -v[90:91], v[120:121], v[78:79]
	ds_read2_b64 v[118:121], v104 offset0:14 offset1:15
	s_waitcnt lgkmcnt(0)
	v_fma_f64 v[74:75], -v[90:91], v[110:111], v[74:75]
	v_fma_f64 v[76:77], -v[90:91], v[112:113], v[76:77]
	ds_read2_b64 v[110:113], v104 offset0:16 offset1:17
	v_fma_f64 v[72:73], -v[90:91], v[114:115], v[72:73]
	v_fma_f64 v[70:71], -v[90:91], v[116:117], v[70:71]
	ds_read2_b64 v[114:117], v104 offset0:18 offset1:19
	v_fma_f64 v[68:69], -v[90:91], v[118:119], v[68:69]
	v_fma_f64 v[66:67], -v[90:91], v[120:121], v[66:67]
	s_waitcnt lgkmcnt(0)
	v_fma_f64 v[64:65], -v[90:91], v[110:111], v[64:65]
	ds_read2_b64 v[118:121], v104 offset0:20 offset1:21
	v_fma_f64 v[62:63], -v[90:91], v[112:113], v[62:63]
	ds_read2_b64 v[110:113], v104 offset0:22 offset1:23
	v_fma_f64 v[60:61], -v[90:91], v[114:115], v[60:61]
	v_fma_f64 v[58:59], -v[90:91], v[116:117], v[58:59]
	s_waitcnt lgkmcnt(0)
	v_fma_f64 v[56:57], -v[90:91], v[118:119], v[56:57]
	ds_read2_b64 v[114:117], v104 offset0:24 offset1:25
	v_fma_f64 v[52:53], -v[90:91], v[120:121], v[52:53]
	ds_read2_b64 v[118:121], v104 offset0:26 offset1:27
	v_fma_f64 v[54:55], -v[90:91], v[110:111], v[54:55]
	v_fma_f64 v[50:51], -v[90:91], v[112:113], v[50:51]
	ds_read2_b64 v[110:113], v104 offset0:28 offset1:29
	s_waitcnt lgkmcnt(0)
	v_fma_f64 v[48:49], -v[90:91], v[114:115], v[48:49]
	v_fma_f64 v[46:47], -v[90:91], v[116:117], v[46:47]
	ds_read2_b64 v[114:117], v104 offset0:30 offset1:31
	v_fma_f64 v[44:45], -v[90:91], v[118:119], v[44:45]
	v_fma_f64 v[42:43], -v[90:91], v[120:121], v[42:43]
	;; [unrolled: 1-line block ×3, first 2 shown]
	ds_read2_b64 v[118:121], v104 offset0:32 offset1:33
	v_fma_f64 v[38:39], -v[90:91], v[112:113], v[38:39]
	ds_read2_b64 v[110:113], v104 offset0:34 offset1:35
	s_waitcnt lgkmcnt(0)
	v_fma_f64 v[36:37], -v[90:91], v[114:115], v[36:37]
	v_fma_f64 v[34:35], -v[90:91], v[116:117], v[34:35]
	;; [unrolled: 1-line block ×3, first 2 shown]
	ds_read2_b64 v[114:117], v104 offset0:36 offset1:37
	v_fma_f64 v[32:33], -v[90:91], v[120:121], v[32:33]
	ds_read2_b64 v[118:121], v104 offset0:38 offset1:39
	v_fma_f64 v[28:29], -v[90:91], v[110:111], v[28:29]
	v_fma_f64 v[26:27], -v[90:91], v[112:113], v[26:27]
	ds_read2_b64 v[110:113], v104 offset0:40 offset1:41
	s_waitcnt lgkmcnt(0)
	v_fma_f64 v[24:25], -v[90:91], v[114:115], v[24:25]
	v_fma_f64 v[22:23], -v[90:91], v[116:117], v[22:23]
	ds_read2_b64 v[114:117], v104 offset0:42 offset1:43
	v_fma_f64 v[20:21], -v[90:91], v[118:119], v[20:21]
	v_fma_f64 v[18:19], -v[90:91], v[120:121], v[18:19]
	v_fma_f64 v[16:17], -v[90:91], v[110:111], v[16:17]
	ds_read2_b64 v[118:121], v104 offset0:44 offset1:45
	v_fma_f64 v[14:15], -v[90:91], v[112:113], v[14:15]
	ds_read2_b64 v[110:113], v104 offset0:46 offset1:47
	s_waitcnt lgkmcnt(0)
	v_fma_f64 v[12:13], -v[90:91], v[114:115], v[12:13]
	v_fma_f64 v[8:9], -v[90:91], v[116:117], v[8:9]
	;; [unrolled: 1-line block ×6, first 2 shown]
.LBB94_63:
	s_or_b64 exec, exec, s[0:1]
	v_lshl_add_u32 v100, v105, 3, v104
	s_barrier
	ds_write_b64 v100, v[88:89]
	s_waitcnt lgkmcnt(0)
	s_barrier
	ds_read_b64 v[100:101], v104 offset:32
	s_cmp_lt_i32 s18, 6
	v_mov_b32_e32 v102, 4
	s_cbranch_scc1 .LBB94_66
; %bb.64:
	v_add3_u32 v110, v109, 0, 40
	s_mov_b32 s0, 5
	v_mov_b32_e32 v102, 4
.LBB94_65:                              ; =>This Inner Loop Header: Depth=1
	ds_read_b64 v[112:113], v110
	v_mov_b32_e32 v111, s0
	s_add_i32 s0, s0, 1
	v_add_u32_e32 v110, 8, v110
	s_cmp_lg_u32 s18, s0
	s_waitcnt lgkmcnt(0)
	v_cmp_lt_f64_e64 vcc, |v[100:101]|, |v[112:113]|
	v_cndmask_b32_e32 v101, v101, v113, vcc
	v_cndmask_b32_e32 v100, v100, v112, vcc
	;; [unrolled: 1-line block ×3, first 2 shown]
	s_cbranch_scc1 .LBB94_65
.LBB94_66:
	s_waitcnt lgkmcnt(0)
	v_cmp_eq_f64_e32 vcc, 0, v[100:101]
	s_and_saveexec_b64 s[0:1], vcc
	s_xor_b64 s[0:1], exec, s[0:1]
; %bb.67:
	v_cmp_ne_u32_e32 vcc, 0, v108
	v_cndmask_b32_e32 v108, 5, v108, vcc
; %bb.68:
	s_andn2_saveexec_b64 s[0:1], s[0:1]
; %bb.69:
	v_div_scale_f64 v[110:111], s[2:3], v[100:101], v[100:101], 1.0
	v_rcp_f64_e32 v[112:113], v[110:111]
	v_div_scale_f64 v[114:115], vcc, 1.0, v[100:101], 1.0
	v_fma_f64 v[116:117], -v[110:111], v[112:113], 1.0
	v_fmac_f64_e32 v[112:113], v[112:113], v[116:117]
	v_fma_f64 v[116:117], -v[110:111], v[112:113], 1.0
	v_fmac_f64_e32 v[112:113], v[112:113], v[116:117]
	v_mul_f64 v[116:117], v[114:115], v[112:113]
	v_fma_f64 v[110:111], -v[110:111], v[116:117], v[114:115]
	v_div_fmas_f64 v[110:111], v[110:111], v[112:113], v[116:117]
	v_div_fixup_f64 v[100:101], v[110:111], v[100:101], 1.0
; %bb.70:
	s_or_b64 exec, exec, s[0:1]
	v_cmp_ne_u32_e32 vcc, v105, v102
	s_and_saveexec_b64 s[0:1], vcc
	s_xor_b64 s[0:1], exec, s[0:1]
	s_cbranch_execz .LBB94_76
; %bb.71:
	v_cmp_eq_u32_e32 vcc, 4, v105
	s_and_saveexec_b64 s[2:3], vcc
	s_cbranch_execz .LBB94_75
; %bb.72:
	v_cmp_ne_u32_e32 vcc, 4, v102
	s_xor_b64 s[14:15], s[6:7], -1
	s_and_b64 s[16:17], s[14:15], vcc
	s_and_saveexec_b64 s[14:15], s[16:17]
	s_cbranch_execz .LBB94_74
; %bb.73:
	v_ashrrev_i32_e32 v103, 31, v102
	v_lshlrev_b64 v[110:111], 2, v[102:103]
	v_add_co_u32_e32 v110, vcc, v4, v110
	v_addc_co_u32_e32 v111, vcc, v5, v111, vcc
	flat_load_dword v103, v[110:111]
	flat_load_dword v105, v[4:5] offset:16
	s_waitcnt vmcnt(0) lgkmcnt(0)
	flat_store_dword v[4:5], v103 offset:16
	flat_store_dword v[110:111], v105
.LBB94_74:
	s_or_b64 exec, exec, s[14:15]
	v_mov_b32_e32 v103, v102
	v_mov_b32_e32 v105, v102
.LBB94_75:
	s_or_b64 exec, exec, s[2:3]
.LBB94_76:
	s_andn2_saveexec_b64 s[0:1], s[0:1]
	s_cbranch_execz .LBB94_78
; %bb.77:
	v_mov_b32_e32 v105, 4
	ds_write2_b64 v104, v[86:87], v[84:85] offset0:5 offset1:6
	ds_write2_b64 v104, v[82:83], v[80:81] offset0:7 offset1:8
	;; [unrolled: 1-line block ×21, first 2 shown]
	ds_write_b64 v104, v[98:99] offset:376
.LBB94_78:
	s_or_b64 exec, exec, s[0:1]
	v_cmp_lt_i32_e32 vcc, 4, v105
	s_waitcnt lgkmcnt(0)
	s_barrier
	s_and_saveexec_b64 s[0:1], vcc
	s_cbranch_execz .LBB94_80
; %bb.79:
	ds_read2_b64 v[110:113], v104 offset0:5 offset1:6
	ds_read2_b64 v[114:117], v104 offset0:7 offset1:8
	;; [unrolled: 1-line block ×3, first 2 shown]
	v_mul_f64 v[88:89], v[100:101], v[88:89]
	ds_read_b64 v[100:101], v104 offset:376
	s_waitcnt lgkmcnt(0)
	v_fma_f64 v[86:87], -v[88:89], v[110:111], v[86:87]
	v_fma_f64 v[84:85], -v[88:89], v[112:113], v[84:85]
	ds_read2_b64 v[110:113], v104 offset0:11 offset1:12
	v_fma_f64 v[82:83], -v[88:89], v[114:115], v[82:83]
	v_fma_f64 v[80:81], -v[88:89], v[116:117], v[80:81]
	v_fma_f64 v[78:79], -v[88:89], v[118:119], v[78:79]
	ds_read2_b64 v[114:117], v104 offset0:13 offset1:14
	v_fma_f64 v[74:75], -v[88:89], v[120:121], v[74:75]
	ds_read2_b64 v[118:121], v104 offset0:15 offset1:16
	s_waitcnt lgkmcnt(0)
	v_fma_f64 v[76:77], -v[88:89], v[110:111], v[76:77]
	v_fma_f64 v[72:73], -v[88:89], v[112:113], v[72:73]
	v_fma_f64 v[70:71], -v[88:89], v[114:115], v[70:71]
	ds_read2_b64 v[110:113], v104 offset0:17 offset1:18
	v_fma_f64 v[68:69], -v[88:89], v[116:117], v[68:69]
	ds_read2_b64 v[114:117], v104 offset0:19 offset1:20
	v_fma_f64 v[66:67], -v[88:89], v[118:119], v[66:67]
	v_fma_f64 v[64:65], -v[88:89], v[120:121], v[64:65]
	ds_read2_b64 v[118:121], v104 offset0:21 offset1:22
	s_waitcnt lgkmcnt(0)
	v_fma_f64 v[62:63], -v[88:89], v[110:111], v[62:63]
	v_fma_f64 v[60:61], -v[88:89], v[112:113], v[60:61]
	ds_read2_b64 v[110:113], v104 offset0:23 offset1:24
	v_fma_f64 v[58:59], -v[88:89], v[114:115], v[58:59]
	v_fma_f64 v[56:57], -v[88:89], v[116:117], v[56:57]
	v_fma_f64 v[52:53], -v[88:89], v[118:119], v[52:53]
	ds_read2_b64 v[114:117], v104 offset0:25 offset1:26
	v_fma_f64 v[54:55], -v[88:89], v[120:121], v[54:55]
	ds_read2_b64 v[118:121], v104 offset0:27 offset1:28
	s_waitcnt lgkmcnt(0)
	v_fma_f64 v[50:51], -v[88:89], v[110:111], v[50:51]
	v_fma_f64 v[48:49], -v[88:89], v[112:113], v[48:49]
	v_fma_f64 v[46:47], -v[88:89], v[114:115], v[46:47]
	ds_read2_b64 v[110:113], v104 offset0:29 offset1:30
	v_fma_f64 v[44:45], -v[88:89], v[116:117], v[44:45]
	ds_read2_b64 v[114:117], v104 offset0:31 offset1:32
	v_fma_f64 v[42:43], -v[88:89], v[118:119], v[42:43]
	v_fma_f64 v[40:41], -v[88:89], v[120:121], v[40:41]
	ds_read2_b64 v[118:121], v104 offset0:33 offset1:34
	;; [unrolled: 20-line block ×3, first 2 shown]
	s_waitcnt lgkmcnt(0)
	v_fma_f64 v[14:15], -v[88:89], v[110:111], v[14:15]
	v_fma_f64 v[12:13], -v[88:89], v[112:113], v[12:13]
	;; [unrolled: 1-line block ×7, first 2 shown]
.LBB94_80:
	s_or_b64 exec, exec, s[0:1]
	v_lshl_add_u32 v100, v105, 3, v104
	s_barrier
	ds_write_b64 v100, v[86:87]
	s_waitcnt lgkmcnt(0)
	s_barrier
	ds_read_b64 v[100:101], v104 offset:40
	s_cmp_lt_i32 s18, 7
	v_mov_b32_e32 v102, 5
	s_cbranch_scc1 .LBB94_83
; %bb.81:
	v_add3_u32 v110, v109, 0, 48
	s_mov_b32 s0, 6
	v_mov_b32_e32 v102, 5
.LBB94_82:                              ; =>This Inner Loop Header: Depth=1
	ds_read_b64 v[112:113], v110
	v_mov_b32_e32 v111, s0
	s_add_i32 s0, s0, 1
	v_add_u32_e32 v110, 8, v110
	s_cmp_lg_u32 s18, s0
	s_waitcnt lgkmcnt(0)
	v_cmp_lt_f64_e64 vcc, |v[100:101]|, |v[112:113]|
	v_cndmask_b32_e32 v101, v101, v113, vcc
	v_cndmask_b32_e32 v100, v100, v112, vcc
	;; [unrolled: 1-line block ×3, first 2 shown]
	s_cbranch_scc1 .LBB94_82
.LBB94_83:
	s_waitcnt lgkmcnt(0)
	v_cmp_eq_f64_e32 vcc, 0, v[100:101]
	s_and_saveexec_b64 s[0:1], vcc
	s_xor_b64 s[0:1], exec, s[0:1]
; %bb.84:
	v_cmp_ne_u32_e32 vcc, 0, v108
	v_cndmask_b32_e32 v108, 6, v108, vcc
; %bb.85:
	s_andn2_saveexec_b64 s[0:1], s[0:1]
; %bb.86:
	v_div_scale_f64 v[110:111], s[2:3], v[100:101], v[100:101], 1.0
	v_rcp_f64_e32 v[112:113], v[110:111]
	v_div_scale_f64 v[114:115], vcc, 1.0, v[100:101], 1.0
	v_fma_f64 v[116:117], -v[110:111], v[112:113], 1.0
	v_fmac_f64_e32 v[112:113], v[112:113], v[116:117]
	v_fma_f64 v[116:117], -v[110:111], v[112:113], 1.0
	v_fmac_f64_e32 v[112:113], v[112:113], v[116:117]
	v_mul_f64 v[116:117], v[114:115], v[112:113]
	v_fma_f64 v[110:111], -v[110:111], v[116:117], v[114:115]
	v_div_fmas_f64 v[110:111], v[110:111], v[112:113], v[116:117]
	v_div_fixup_f64 v[100:101], v[110:111], v[100:101], 1.0
; %bb.87:
	s_or_b64 exec, exec, s[0:1]
	v_cmp_ne_u32_e32 vcc, v105, v102
	s_and_saveexec_b64 s[0:1], vcc
	s_xor_b64 s[0:1], exec, s[0:1]
	s_cbranch_execz .LBB94_93
; %bb.88:
	v_cmp_eq_u32_e32 vcc, 5, v105
	s_and_saveexec_b64 s[2:3], vcc
	s_cbranch_execz .LBB94_92
; %bb.89:
	v_cmp_ne_u32_e32 vcc, 5, v102
	s_xor_b64 s[14:15], s[6:7], -1
	s_and_b64 s[16:17], s[14:15], vcc
	s_and_saveexec_b64 s[14:15], s[16:17]
	s_cbranch_execz .LBB94_91
; %bb.90:
	v_ashrrev_i32_e32 v103, 31, v102
	v_lshlrev_b64 v[110:111], 2, v[102:103]
	v_add_co_u32_e32 v110, vcc, v4, v110
	v_addc_co_u32_e32 v111, vcc, v5, v111, vcc
	flat_load_dword v103, v[110:111]
	flat_load_dword v105, v[4:5] offset:20
	s_waitcnt vmcnt(0) lgkmcnt(0)
	flat_store_dword v[4:5], v103 offset:20
	flat_store_dword v[110:111], v105
.LBB94_91:
	s_or_b64 exec, exec, s[14:15]
	v_mov_b32_e32 v103, v102
	v_mov_b32_e32 v105, v102
.LBB94_92:
	s_or_b64 exec, exec, s[2:3]
.LBB94_93:
	s_andn2_saveexec_b64 s[0:1], s[0:1]
	s_cbranch_execz .LBB94_95
; %bb.94:
	v_mov_b32_e32 v110, v84
	v_mov_b32_e32 v111, v85
	v_mov_b32_e32 v112, v82
	v_mov_b32_e32 v113, v83
	ds_write2_b64 v104, v[110:111], v[112:113] offset0:6 offset1:7
	v_mov_b32_e32 v110, v80
	v_mov_b32_e32 v111, v81
	v_mov_b32_e32 v112, v78
	v_mov_b32_e32 v113, v79
	ds_write2_b64 v104, v[110:111], v[112:113] offset0:8 offset1:9
	;; [unrolled: 5-line block ×20, first 2 shown]
	v_mov_b32_e32 v110, v0
	v_mov_b32_e32 v111, v1
	;; [unrolled: 1-line block ×3, first 2 shown]
	ds_write2_b64 v104, v[110:111], v[98:99] offset0:46 offset1:47
.LBB94_95:
	s_or_b64 exec, exec, s[0:1]
	v_cmp_lt_i32_e32 vcc, 5, v105
	s_waitcnt lgkmcnt(0)
	s_barrier
	s_and_saveexec_b64 s[0:1], vcc
	s_cbranch_execz .LBB94_97
; %bb.96:
	ds_read2_b64 v[110:113], v104 offset0:6 offset1:7
	ds_read2_b64 v[114:117], v104 offset0:8 offset1:9
	;; [unrolled: 1-line block ×3, first 2 shown]
	v_mul_f64 v[86:87], v[100:101], v[86:87]
	s_waitcnt lgkmcnt(0)
	v_fma_f64 v[84:85], -v[86:87], v[110:111], v[84:85]
	v_fma_f64 v[82:83], -v[86:87], v[112:113], v[82:83]
	ds_read2_b64 v[110:113], v104 offset0:12 offset1:13
	v_fma_f64 v[80:81], -v[86:87], v[114:115], v[80:81]
	v_fma_f64 v[78:79], -v[86:87], v[116:117], v[78:79]
	;; [unrolled: 1-line block ×3, first 2 shown]
	ds_read2_b64 v[114:117], v104 offset0:14 offset1:15
	v_fma_f64 v[76:77], -v[86:87], v[120:121], v[76:77]
	ds_read2_b64 v[118:121], v104 offset0:16 offset1:17
	s_waitcnt lgkmcnt(0)
	v_fma_f64 v[72:73], -v[86:87], v[110:111], v[72:73]
	v_fma_f64 v[70:71], -v[86:87], v[112:113], v[70:71]
	;; [unrolled: 1-line block ×3, first 2 shown]
	ds_read2_b64 v[110:113], v104 offset0:18 offset1:19
	v_fma_f64 v[66:67], -v[86:87], v[116:117], v[66:67]
	ds_read2_b64 v[114:117], v104 offset0:20 offset1:21
	v_fma_f64 v[64:65], -v[86:87], v[118:119], v[64:65]
	v_fma_f64 v[62:63], -v[86:87], v[120:121], v[62:63]
	ds_read2_b64 v[118:121], v104 offset0:22 offset1:23
	s_waitcnt lgkmcnt(0)
	v_fma_f64 v[60:61], -v[86:87], v[110:111], v[60:61]
	v_fma_f64 v[58:59], -v[86:87], v[112:113], v[58:59]
	ds_read2_b64 v[110:113], v104 offset0:24 offset1:25
	v_fma_f64 v[56:57], -v[86:87], v[114:115], v[56:57]
	v_fma_f64 v[52:53], -v[86:87], v[116:117], v[52:53]
	v_fma_f64 v[54:55], -v[86:87], v[118:119], v[54:55]
	ds_read2_b64 v[114:117], v104 offset0:26 offset1:27
	v_fma_f64 v[50:51], -v[86:87], v[120:121], v[50:51]
	ds_read2_b64 v[118:121], v104 offset0:28 offset1:29
	s_waitcnt lgkmcnt(0)
	v_fma_f64 v[48:49], -v[86:87], v[110:111], v[48:49]
	v_fma_f64 v[46:47], -v[86:87], v[112:113], v[46:47]
	;; [unrolled: 1-line block ×3, first 2 shown]
	ds_read2_b64 v[110:113], v104 offset0:30 offset1:31
	v_fma_f64 v[42:43], -v[86:87], v[116:117], v[42:43]
	ds_read2_b64 v[114:117], v104 offset0:32 offset1:33
	v_fma_f64 v[40:41], -v[86:87], v[118:119], v[40:41]
	v_fma_f64 v[38:39], -v[86:87], v[120:121], v[38:39]
	ds_read2_b64 v[118:121], v104 offset0:34 offset1:35
	s_waitcnt lgkmcnt(0)
	v_fma_f64 v[36:37], -v[86:87], v[110:111], v[36:37]
	v_fma_f64 v[34:35], -v[86:87], v[112:113], v[34:35]
	ds_read2_b64 v[110:113], v104 offset0:36 offset1:37
	v_fma_f64 v[30:31], -v[86:87], v[114:115], v[30:31]
	v_fma_f64 v[32:33], -v[86:87], v[116:117], v[32:33]
	;; [unrolled: 1-line block ×3, first 2 shown]
	ds_read2_b64 v[114:117], v104 offset0:38 offset1:39
	v_fma_f64 v[26:27], -v[86:87], v[120:121], v[26:27]
	ds_read2_b64 v[118:121], v104 offset0:40 offset1:41
	s_waitcnt lgkmcnt(0)
	v_fma_f64 v[24:25], -v[86:87], v[110:111], v[24:25]
	v_fma_f64 v[22:23], -v[86:87], v[112:113], v[22:23]
	;; [unrolled: 1-line block ×4, first 2 shown]
	ds_read2_b64 v[110:113], v104 offset0:42 offset1:43
	ds_read2_b64 v[114:117], v104 offset0:44 offset1:45
	v_fma_f64 v[16:17], -v[86:87], v[118:119], v[16:17]
	v_fma_f64 v[14:15], -v[86:87], v[120:121], v[14:15]
	ds_read2_b64 v[118:121], v104 offset0:46 offset1:47
	s_waitcnt lgkmcnt(0)
	v_fma_f64 v[12:13], -v[86:87], v[110:111], v[12:13]
	v_fma_f64 v[8:9], -v[86:87], v[112:113], v[8:9]
	;; [unrolled: 1-line block ×6, first 2 shown]
.LBB94_97:
	s_or_b64 exec, exec, s[0:1]
	v_lshl_add_u32 v100, v105, 3, v104
	s_barrier
	ds_write_b64 v100, v[84:85]
	s_waitcnt lgkmcnt(0)
	s_barrier
	ds_read_b64 v[100:101], v104 offset:48
	s_cmp_lt_i32 s18, 8
	v_mov_b32_e32 v102, 6
	s_cbranch_scc1 .LBB94_100
; %bb.98:
	v_add3_u32 v110, v109, 0, 56
	s_mov_b32 s0, 7
	v_mov_b32_e32 v102, 6
.LBB94_99:                              ; =>This Inner Loop Header: Depth=1
	ds_read_b64 v[112:113], v110
	v_mov_b32_e32 v111, s0
	s_add_i32 s0, s0, 1
	v_add_u32_e32 v110, 8, v110
	s_cmp_lg_u32 s18, s0
	s_waitcnt lgkmcnt(0)
	v_cmp_lt_f64_e64 vcc, |v[100:101]|, |v[112:113]|
	v_cndmask_b32_e32 v101, v101, v113, vcc
	v_cndmask_b32_e32 v100, v100, v112, vcc
	;; [unrolled: 1-line block ×3, first 2 shown]
	s_cbranch_scc1 .LBB94_99
.LBB94_100:
	s_waitcnt lgkmcnt(0)
	v_cmp_eq_f64_e32 vcc, 0, v[100:101]
	s_and_saveexec_b64 s[0:1], vcc
	s_xor_b64 s[0:1], exec, s[0:1]
; %bb.101:
	v_cmp_ne_u32_e32 vcc, 0, v108
	v_cndmask_b32_e32 v108, 7, v108, vcc
; %bb.102:
	s_andn2_saveexec_b64 s[0:1], s[0:1]
; %bb.103:
	v_div_scale_f64 v[110:111], s[2:3], v[100:101], v[100:101], 1.0
	v_rcp_f64_e32 v[112:113], v[110:111]
	v_div_scale_f64 v[114:115], vcc, 1.0, v[100:101], 1.0
	v_fma_f64 v[116:117], -v[110:111], v[112:113], 1.0
	v_fmac_f64_e32 v[112:113], v[112:113], v[116:117]
	v_fma_f64 v[116:117], -v[110:111], v[112:113], 1.0
	v_fmac_f64_e32 v[112:113], v[112:113], v[116:117]
	v_mul_f64 v[116:117], v[114:115], v[112:113]
	v_fma_f64 v[110:111], -v[110:111], v[116:117], v[114:115]
	v_div_fmas_f64 v[110:111], v[110:111], v[112:113], v[116:117]
	v_div_fixup_f64 v[100:101], v[110:111], v[100:101], 1.0
; %bb.104:
	s_or_b64 exec, exec, s[0:1]
	v_cmp_ne_u32_e32 vcc, v105, v102
	s_and_saveexec_b64 s[0:1], vcc
	s_xor_b64 s[0:1], exec, s[0:1]
	s_cbranch_execz .LBB94_110
; %bb.105:
	v_cmp_eq_u32_e32 vcc, 6, v105
	s_and_saveexec_b64 s[2:3], vcc
	s_cbranch_execz .LBB94_109
; %bb.106:
	v_cmp_ne_u32_e32 vcc, 6, v102
	s_xor_b64 s[14:15], s[6:7], -1
	s_and_b64 s[16:17], s[14:15], vcc
	s_and_saveexec_b64 s[14:15], s[16:17]
	s_cbranch_execz .LBB94_108
; %bb.107:
	v_ashrrev_i32_e32 v103, 31, v102
	v_lshlrev_b64 v[110:111], 2, v[102:103]
	v_add_co_u32_e32 v110, vcc, v4, v110
	v_addc_co_u32_e32 v111, vcc, v5, v111, vcc
	flat_load_dword v103, v[110:111]
	flat_load_dword v105, v[4:5] offset:24
	s_waitcnt vmcnt(0) lgkmcnt(0)
	flat_store_dword v[4:5], v103 offset:24
	flat_store_dword v[110:111], v105
.LBB94_108:
	s_or_b64 exec, exec, s[14:15]
	v_mov_b32_e32 v103, v102
	v_mov_b32_e32 v105, v102
.LBB94_109:
	s_or_b64 exec, exec, s[2:3]
.LBB94_110:
	s_andn2_saveexec_b64 s[0:1], s[0:1]
	s_cbranch_execz .LBB94_112
; %bb.111:
	v_mov_b32_e32 v105, 6
	ds_write2_b64 v104, v[82:83], v[80:81] offset0:7 offset1:8
	ds_write2_b64 v104, v[78:79], v[74:75] offset0:9 offset1:10
	;; [unrolled: 1-line block ×20, first 2 shown]
	ds_write_b64 v104, v[98:99] offset:376
.LBB94_112:
	s_or_b64 exec, exec, s[0:1]
	v_cmp_lt_i32_e32 vcc, 6, v105
	s_waitcnt lgkmcnt(0)
	s_barrier
	s_and_saveexec_b64 s[0:1], vcc
	s_cbranch_execz .LBB94_114
; %bb.113:
	ds_read2_b64 v[110:113], v104 offset0:7 offset1:8
	ds_read2_b64 v[114:117], v104 offset0:9 offset1:10
	v_mul_f64 v[84:85], v[100:101], v[84:85]
	ds_read2_b64 v[118:121], v104 offset0:11 offset1:12
	ds_read_b64 v[100:101], v104 offset:376
	s_waitcnt lgkmcnt(0)
	v_fma_f64 v[82:83], -v[84:85], v[110:111], v[82:83]
	v_fma_f64 v[80:81], -v[84:85], v[112:113], v[80:81]
	ds_read2_b64 v[110:113], v104 offset0:13 offset1:14
	v_fma_f64 v[78:79], -v[84:85], v[114:115], v[78:79]
	v_fma_f64 v[74:75], -v[84:85], v[116:117], v[74:75]
	ds_read2_b64 v[114:117], v104 offset0:15 offset1:16
	;; [unrolled: 3-line block ×3, first 2 shown]
	s_waitcnt lgkmcnt(0)
	v_fma_f64 v[70:71], -v[84:85], v[110:111], v[70:71]
	v_fma_f64 v[68:69], -v[84:85], v[112:113], v[68:69]
	;; [unrolled: 1-line block ×3, first 2 shown]
	ds_read2_b64 v[110:113], v104 offset0:19 offset1:20
	v_fma_f64 v[64:65], -v[84:85], v[116:117], v[64:65]
	ds_read2_b64 v[114:117], v104 offset0:21 offset1:22
	v_fma_f64 v[62:63], -v[84:85], v[118:119], v[62:63]
	v_fma_f64 v[60:61], -v[84:85], v[120:121], v[60:61]
	s_waitcnt lgkmcnt(0)
	v_fma_f64 v[58:59], -v[84:85], v[110:111], v[58:59]
	ds_read2_b64 v[118:121], v104 offset0:23 offset1:24
	v_fma_f64 v[56:57], -v[84:85], v[112:113], v[56:57]
	ds_read2_b64 v[110:113], v104 offset0:25 offset1:26
	v_fma_f64 v[52:53], -v[84:85], v[114:115], v[52:53]
	v_fma_f64 v[54:55], -v[84:85], v[116:117], v[54:55]
	ds_read2_b64 v[114:117], v104 offset0:27 offset1:28
	s_waitcnt lgkmcnt(0)
	v_fma_f64 v[50:51], -v[84:85], v[118:119], v[50:51]
	v_fma_f64 v[48:49], -v[84:85], v[120:121], v[48:49]
	ds_read2_b64 v[118:121], v104 offset0:29 offset1:30
	v_fma_f64 v[46:47], -v[84:85], v[110:111], v[46:47]
	v_fma_f64 v[44:45], -v[84:85], v[112:113], v[44:45]
	;; [unrolled: 1-line block ×3, first 2 shown]
	ds_read2_b64 v[110:113], v104 offset0:31 offset1:32
	v_fma_f64 v[40:41], -v[84:85], v[116:117], v[40:41]
	ds_read2_b64 v[114:117], v104 offset0:33 offset1:34
	s_waitcnt lgkmcnt(0)
	v_fma_f64 v[38:39], -v[84:85], v[118:119], v[38:39]
	v_fma_f64 v[36:37], -v[84:85], v[120:121], v[36:37]
	;; [unrolled: 1-line block ×3, first 2 shown]
	ds_read2_b64 v[118:121], v104 offset0:35 offset1:36
	v_fma_f64 v[30:31], -v[84:85], v[112:113], v[30:31]
	ds_read2_b64 v[110:113], v104 offset0:37 offset1:38
	v_fma_f64 v[32:33], -v[84:85], v[114:115], v[32:33]
	v_fma_f64 v[28:29], -v[84:85], v[116:117], v[28:29]
	ds_read2_b64 v[114:117], v104 offset0:39 offset1:40
	s_waitcnt lgkmcnt(0)
	v_fma_f64 v[26:27], -v[84:85], v[118:119], v[26:27]
	v_fma_f64 v[24:25], -v[84:85], v[120:121], v[24:25]
	ds_read2_b64 v[118:121], v104 offset0:41 offset1:42
	v_fma_f64 v[22:23], -v[84:85], v[110:111], v[22:23]
	v_fma_f64 v[20:21], -v[84:85], v[112:113], v[20:21]
	;; [unrolled: 1-line block ×4, first 2 shown]
	ds_read2_b64 v[110:113], v104 offset0:43 offset1:44
	ds_read2_b64 v[114:117], v104 offset0:45 offset1:46
	s_waitcnt lgkmcnt(0)
	v_fma_f64 v[14:15], -v[84:85], v[118:119], v[14:15]
	v_fma_f64 v[12:13], -v[84:85], v[120:121], v[12:13]
	;; [unrolled: 1-line block ×7, first 2 shown]
.LBB94_114:
	s_or_b64 exec, exec, s[0:1]
	v_lshl_add_u32 v100, v105, 3, v104
	s_barrier
	ds_write_b64 v100, v[82:83]
	s_waitcnt lgkmcnt(0)
	s_barrier
	ds_read_b64 v[100:101], v104 offset:56
	s_cmp_lt_i32 s18, 9
	v_mov_b32_e32 v102, 7
	s_cbranch_scc1 .LBB94_117
; %bb.115:
	v_add3_u32 v109, v109, 0, 64
	s_mov_b32 s0, 8
	v_mov_b32_e32 v102, 7
.LBB94_116:                             ; =>This Inner Loop Header: Depth=1
	ds_read_b64 v[110:111], v109
	v_mov_b32_e32 v112, s0
	s_add_i32 s0, s0, 1
	v_add_u32_e32 v109, 8, v109
	s_cmp_lg_u32 s18, s0
	s_waitcnt lgkmcnt(0)
	v_cmp_lt_f64_e64 vcc, |v[100:101]|, |v[110:111]|
	v_cndmask_b32_e32 v101, v101, v111, vcc
	v_cndmask_b32_e32 v100, v100, v110, vcc
	;; [unrolled: 1-line block ×3, first 2 shown]
	s_cbranch_scc1 .LBB94_116
.LBB94_117:
	s_waitcnt lgkmcnt(0)
	v_cmp_eq_f64_e32 vcc, 0, v[100:101]
	s_and_saveexec_b64 s[0:1], vcc
	s_xor_b64 s[0:1], exec, s[0:1]
; %bb.118:
	v_cmp_ne_u32_e32 vcc, 0, v108
	v_cndmask_b32_e32 v108, 8, v108, vcc
; %bb.119:
	s_andn2_saveexec_b64 s[0:1], s[0:1]
; %bb.120:
	v_div_scale_f64 v[110:111], s[2:3], v[100:101], v[100:101], 1.0
	v_rcp_f64_e32 v[112:113], v[110:111]
	v_div_scale_f64 v[114:115], vcc, 1.0, v[100:101], 1.0
	v_fma_f64 v[116:117], -v[110:111], v[112:113], 1.0
	v_fmac_f64_e32 v[112:113], v[112:113], v[116:117]
	v_fma_f64 v[116:117], -v[110:111], v[112:113], 1.0
	v_fmac_f64_e32 v[112:113], v[112:113], v[116:117]
	v_mul_f64 v[116:117], v[114:115], v[112:113]
	v_fma_f64 v[110:111], -v[110:111], v[116:117], v[114:115]
	v_div_fmas_f64 v[110:111], v[110:111], v[112:113], v[116:117]
	v_div_fixup_f64 v[100:101], v[110:111], v[100:101], 1.0
; %bb.121:
	s_or_b64 exec, exec, s[0:1]
	v_cmp_ne_u32_e32 vcc, v105, v102
	s_and_saveexec_b64 s[0:1], vcc
	s_xor_b64 s[0:1], exec, s[0:1]
	s_cbranch_execz .LBB94_127
; %bb.122:
	v_cmp_eq_u32_e32 vcc, 7, v105
	s_and_saveexec_b64 s[2:3], vcc
	s_cbranch_execz .LBB94_126
; %bb.123:
	v_cmp_ne_u32_e32 vcc, 7, v102
	s_xor_b64 s[14:15], s[6:7], -1
	s_and_b64 s[16:17], s[14:15], vcc
	s_and_saveexec_b64 s[14:15], s[16:17]
	s_cbranch_execz .LBB94_125
; %bb.124:
	v_ashrrev_i32_e32 v103, 31, v102
	v_lshlrev_b64 v[110:111], 2, v[102:103]
	v_add_co_u32_e32 v110, vcc, v4, v110
	v_addc_co_u32_e32 v111, vcc, v5, v111, vcc
	flat_load_dword v103, v[110:111]
	flat_load_dword v105, v[4:5] offset:28
	s_waitcnt vmcnt(0) lgkmcnt(0)
	flat_store_dword v[4:5], v103 offset:28
	flat_store_dword v[110:111], v105
.LBB94_125:
	s_or_b64 exec, exec, s[14:15]
	v_mov_b32_e32 v103, v102
	v_mov_b32_e32 v105, v102
.LBB94_126:
	s_or_b64 exec, exec, s[2:3]
.LBB94_127:
	s_andn2_saveexec_b64 s[0:1], s[0:1]
	s_cbranch_execz .LBB94_129
; %bb.128:
	v_mov_b32_e32 v110, v80
	v_mov_b32_e32 v111, v81
	v_mov_b32_e32 v112, v78
	v_mov_b32_e32 v113, v79
	ds_write2_b64 v104, v[110:111], v[112:113] offset0:8 offset1:9
	v_mov_b32_e32 v110, v74
	v_mov_b32_e32 v111, v75
	v_mov_b32_e32 v112, v76
	v_mov_b32_e32 v113, v77
	ds_write2_b64 v104, v[110:111], v[112:113] offset0:10 offset1:11
	;; [unrolled: 5-line block ×19, first 2 shown]
	v_mov_b32_e32 v110, v0
	v_mov_b32_e32 v111, v1
	;; [unrolled: 1-line block ×3, first 2 shown]
	ds_write2_b64 v104, v[110:111], v[98:99] offset0:46 offset1:47
.LBB94_129:
	s_or_b64 exec, exec, s[0:1]
	v_cmp_lt_i32_e32 vcc, 7, v105
	s_waitcnt lgkmcnt(0)
	s_barrier
	s_and_saveexec_b64 s[0:1], vcc
	s_cbranch_execz .LBB94_131
; %bb.130:
	ds_read2_b64 v[110:113], v104 offset0:8 offset1:9
	ds_read2_b64 v[114:117], v104 offset0:10 offset1:11
	v_mul_f64 v[82:83], v[100:101], v[82:83]
	ds_read2_b64 v[118:121], v104 offset0:12 offset1:13
	s_waitcnt lgkmcnt(0)
	v_fma_f64 v[80:81], -v[82:83], v[110:111], v[80:81]
	v_fma_f64 v[78:79], -v[82:83], v[112:113], v[78:79]
	ds_read2_b64 v[110:113], v104 offset0:14 offset1:15
	v_fma_f64 v[74:75], -v[82:83], v[114:115], v[74:75]
	v_fma_f64 v[76:77], -v[82:83], v[116:117], v[76:77]
	ds_read2_b64 v[114:117], v104 offset0:16 offset1:17
	;; [unrolled: 3-line block ×3, first 2 shown]
	s_waitcnt lgkmcnt(0)
	v_fma_f64 v[68:69], -v[82:83], v[110:111], v[68:69]
	v_fma_f64 v[66:67], -v[82:83], v[112:113], v[66:67]
	;; [unrolled: 1-line block ×3, first 2 shown]
	ds_read2_b64 v[110:113], v104 offset0:20 offset1:21
	v_fma_f64 v[62:63], -v[82:83], v[116:117], v[62:63]
	ds_read2_b64 v[114:117], v104 offset0:22 offset1:23
	v_fma_f64 v[60:61], -v[82:83], v[118:119], v[60:61]
	v_fma_f64 v[58:59], -v[82:83], v[120:121], v[58:59]
	s_waitcnt lgkmcnt(0)
	v_fma_f64 v[56:57], -v[82:83], v[110:111], v[56:57]
	ds_read2_b64 v[118:121], v104 offset0:24 offset1:25
	v_fma_f64 v[52:53], -v[82:83], v[112:113], v[52:53]
	ds_read2_b64 v[110:113], v104 offset0:26 offset1:27
	v_fma_f64 v[54:55], -v[82:83], v[114:115], v[54:55]
	v_fma_f64 v[50:51], -v[82:83], v[116:117], v[50:51]
	ds_read2_b64 v[114:117], v104 offset0:28 offset1:29
	s_waitcnt lgkmcnt(0)
	v_fma_f64 v[48:49], -v[82:83], v[118:119], v[48:49]
	v_fma_f64 v[46:47], -v[82:83], v[120:121], v[46:47]
	ds_read2_b64 v[118:121], v104 offset0:30 offset1:31
	v_fma_f64 v[44:45], -v[82:83], v[110:111], v[44:45]
	v_fma_f64 v[42:43], -v[82:83], v[112:113], v[42:43]
	;; [unrolled: 1-line block ×3, first 2 shown]
	ds_read2_b64 v[110:113], v104 offset0:32 offset1:33
	v_fma_f64 v[38:39], -v[82:83], v[116:117], v[38:39]
	ds_read2_b64 v[114:117], v104 offset0:34 offset1:35
	s_waitcnt lgkmcnt(0)
	v_fma_f64 v[36:37], -v[82:83], v[118:119], v[36:37]
	v_fma_f64 v[34:35], -v[82:83], v[120:121], v[34:35]
	;; [unrolled: 1-line block ×3, first 2 shown]
	ds_read2_b64 v[118:121], v104 offset0:36 offset1:37
	v_fma_f64 v[32:33], -v[82:83], v[112:113], v[32:33]
	ds_read2_b64 v[110:113], v104 offset0:38 offset1:39
	v_fma_f64 v[28:29], -v[82:83], v[114:115], v[28:29]
	v_fma_f64 v[26:27], -v[82:83], v[116:117], v[26:27]
	ds_read2_b64 v[114:117], v104 offset0:40 offset1:41
	s_waitcnt lgkmcnt(0)
	v_fma_f64 v[24:25], -v[82:83], v[118:119], v[24:25]
	v_fma_f64 v[22:23], -v[82:83], v[120:121], v[22:23]
	;; [unrolled: 1-line block ×4, first 2 shown]
	ds_read2_b64 v[110:113], v104 offset0:42 offset1:43
	v_fma_f64 v[16:17], -v[82:83], v[114:115], v[16:17]
	ds_read2_b64 v[118:121], v104 offset0:44 offset1:45
	v_fma_f64 v[14:15], -v[82:83], v[116:117], v[14:15]
	ds_read2_b64 v[114:117], v104 offset0:46 offset1:47
	s_waitcnt lgkmcnt(0)
	v_fma_f64 v[12:13], -v[82:83], v[110:111], v[12:13]
	v_fma_f64 v[8:9], -v[82:83], v[112:113], v[8:9]
	;; [unrolled: 1-line block ×6, first 2 shown]
.LBB94_131:
	s_or_b64 exec, exec, s[0:1]
	v_lshl_add_u32 v100, v105, 3, v104
	s_barrier
	ds_write_b64 v100, v[80:81]
	s_waitcnt lgkmcnt(0)
	s_barrier
	ds_read_b64 v[100:101], v104 offset:64
	s_cmp_lt_i32 s18, 10
	v_mov_b32_e32 v102, 8
	s_cbranch_scc1 .LBB94_134
; %bb.132:
	v_add_u32_e32 v109, 0x48, v104
	s_mov_b32 s0, 9
	v_mov_b32_e32 v102, 8
.LBB94_133:                             ; =>This Inner Loop Header: Depth=1
	ds_read_b64 v[110:111], v109
	v_mov_b32_e32 v112, s0
	s_add_i32 s0, s0, 1
	v_add_u32_e32 v109, 8, v109
	s_cmp_lg_u32 s18, s0
	s_waitcnt lgkmcnt(0)
	v_cmp_lt_f64_e64 vcc, |v[100:101]|, |v[110:111]|
	v_cndmask_b32_e32 v101, v101, v111, vcc
	v_cndmask_b32_e32 v100, v100, v110, vcc
	;; [unrolled: 1-line block ×3, first 2 shown]
	s_cbranch_scc1 .LBB94_133
.LBB94_134:
	s_waitcnt lgkmcnt(0)
	v_cmp_eq_f64_e32 vcc, 0, v[100:101]
	s_and_saveexec_b64 s[0:1], vcc
	s_xor_b64 s[0:1], exec, s[0:1]
; %bb.135:
	v_cmp_ne_u32_e32 vcc, 0, v108
	v_cndmask_b32_e32 v108, 9, v108, vcc
; %bb.136:
	s_andn2_saveexec_b64 s[0:1], s[0:1]
; %bb.137:
	v_div_scale_f64 v[110:111], s[2:3], v[100:101], v[100:101], 1.0
	v_rcp_f64_e32 v[112:113], v[110:111]
	v_div_scale_f64 v[114:115], vcc, 1.0, v[100:101], 1.0
	v_fma_f64 v[116:117], -v[110:111], v[112:113], 1.0
	v_fmac_f64_e32 v[112:113], v[112:113], v[116:117]
	v_fma_f64 v[116:117], -v[110:111], v[112:113], 1.0
	v_fmac_f64_e32 v[112:113], v[112:113], v[116:117]
	v_mul_f64 v[116:117], v[114:115], v[112:113]
	v_fma_f64 v[110:111], -v[110:111], v[116:117], v[114:115]
	v_div_fmas_f64 v[110:111], v[110:111], v[112:113], v[116:117]
	v_div_fixup_f64 v[100:101], v[110:111], v[100:101], 1.0
; %bb.138:
	s_or_b64 exec, exec, s[0:1]
	v_cmp_ne_u32_e32 vcc, v105, v102
	s_and_saveexec_b64 s[0:1], vcc
	s_xor_b64 s[0:1], exec, s[0:1]
	s_cbranch_execz .LBB94_144
; %bb.139:
	v_cmp_eq_u32_e32 vcc, 8, v105
	s_and_saveexec_b64 s[2:3], vcc
	s_cbranch_execz .LBB94_143
; %bb.140:
	v_cmp_ne_u32_e32 vcc, 8, v102
	s_xor_b64 s[14:15], s[6:7], -1
	s_and_b64 s[16:17], s[14:15], vcc
	s_and_saveexec_b64 s[14:15], s[16:17]
	s_cbranch_execz .LBB94_142
; %bb.141:
	v_ashrrev_i32_e32 v103, 31, v102
	v_lshlrev_b64 v[110:111], 2, v[102:103]
	v_add_co_u32_e32 v110, vcc, v4, v110
	v_addc_co_u32_e32 v111, vcc, v5, v111, vcc
	flat_load_dword v103, v[110:111]
	flat_load_dword v105, v[4:5] offset:32
	s_waitcnt vmcnt(0) lgkmcnt(0)
	flat_store_dword v[4:5], v103 offset:32
	flat_store_dword v[110:111], v105
.LBB94_142:
	s_or_b64 exec, exec, s[14:15]
	v_mov_b32_e32 v103, v102
	v_mov_b32_e32 v105, v102
.LBB94_143:
	s_or_b64 exec, exec, s[2:3]
.LBB94_144:
	s_andn2_saveexec_b64 s[0:1], s[0:1]
	s_cbranch_execz .LBB94_146
; %bb.145:
	v_mov_b32_e32 v105, 8
	ds_write2_b64 v104, v[78:79], v[74:75] offset0:9 offset1:10
	ds_write2_b64 v104, v[76:77], v[72:73] offset0:11 offset1:12
	;; [unrolled: 1-line block ×19, first 2 shown]
	ds_write_b64 v104, v[98:99] offset:376
.LBB94_146:
	s_or_b64 exec, exec, s[0:1]
	v_cmp_lt_i32_e32 vcc, 8, v105
	s_waitcnt lgkmcnt(0)
	s_barrier
	s_and_saveexec_b64 s[0:1], vcc
	s_cbranch_execz .LBB94_148
; %bb.147:
	ds_read2_b64 v[110:113], v104 offset0:9 offset1:10
	ds_read2_b64 v[114:117], v104 offset0:11 offset1:12
	v_mul_f64 v[80:81], v[100:101], v[80:81]
	ds_read2_b64 v[118:121], v104 offset0:13 offset1:14
	ds_read_b64 v[100:101], v104 offset:376
	s_waitcnt lgkmcnt(0)
	v_fma_f64 v[78:79], -v[80:81], v[110:111], v[78:79]
	v_fma_f64 v[74:75], -v[80:81], v[112:113], v[74:75]
	ds_read2_b64 v[110:113], v104 offset0:15 offset1:16
	v_fma_f64 v[76:77], -v[80:81], v[114:115], v[76:77]
	v_fma_f64 v[72:73], -v[80:81], v[116:117], v[72:73]
	;; [unrolled: 1-line block ×3, first 2 shown]
	ds_read2_b64 v[114:117], v104 offset0:17 offset1:18
	v_fma_f64 v[68:69], -v[80:81], v[120:121], v[68:69]
	ds_read2_b64 v[118:121], v104 offset0:19 offset1:20
	s_waitcnt lgkmcnt(0)
	v_fma_f64 v[66:67], -v[80:81], v[110:111], v[66:67]
	v_fma_f64 v[64:65], -v[80:81], v[112:113], v[64:65]
	ds_read2_b64 v[110:113], v104 offset0:21 offset1:22
	v_fma_f64 v[62:63], -v[80:81], v[114:115], v[62:63]
	v_fma_f64 v[60:61], -v[80:81], v[116:117], v[60:61]
	ds_read2_b64 v[114:117], v104 offset0:23 offset1:24
	v_fma_f64 v[58:59], -v[80:81], v[118:119], v[58:59]
	v_fma_f64 v[56:57], -v[80:81], v[120:121], v[56:57]
	s_waitcnt lgkmcnt(0)
	v_fma_f64 v[52:53], -v[80:81], v[110:111], v[52:53]
	ds_read2_b64 v[118:121], v104 offset0:25 offset1:26
	v_fma_f64 v[54:55], -v[80:81], v[112:113], v[54:55]
	ds_read2_b64 v[110:113], v104 offset0:27 offset1:28
	v_fma_f64 v[50:51], -v[80:81], v[114:115], v[50:51]
	v_fma_f64 v[48:49], -v[80:81], v[116:117], v[48:49]
	s_waitcnt lgkmcnt(0)
	v_fma_f64 v[46:47], -v[80:81], v[118:119], v[46:47]
	ds_read2_b64 v[114:117], v104 offset0:29 offset1:30
	v_fma_f64 v[44:45], -v[80:81], v[120:121], v[44:45]
	ds_read2_b64 v[118:121], v104 offset0:31 offset1:32
	v_fma_f64 v[42:43], -v[80:81], v[110:111], v[42:43]
	v_fma_f64 v[40:41], -v[80:81], v[112:113], v[40:41]
	ds_read2_b64 v[110:113], v104 offset0:33 offset1:34
	s_waitcnt lgkmcnt(0)
	v_fma_f64 v[38:39], -v[80:81], v[114:115], v[38:39]
	v_fma_f64 v[36:37], -v[80:81], v[116:117], v[36:37]
	ds_read2_b64 v[114:117], v104 offset0:35 offset1:36
	v_fma_f64 v[34:35], -v[80:81], v[118:119], v[34:35]
	v_fma_f64 v[30:31], -v[80:81], v[120:121], v[30:31]
	;; [unrolled: 1-line block ×3, first 2 shown]
	ds_read2_b64 v[118:121], v104 offset0:37 offset1:38
	v_fma_f64 v[28:29], -v[80:81], v[112:113], v[28:29]
	ds_read2_b64 v[110:113], v104 offset0:39 offset1:40
	s_waitcnt lgkmcnt(0)
	v_fma_f64 v[26:27], -v[80:81], v[114:115], v[26:27]
	v_fma_f64 v[24:25], -v[80:81], v[116:117], v[24:25]
	;; [unrolled: 1-line block ×3, first 2 shown]
	ds_read2_b64 v[114:117], v104 offset0:41 offset1:42
	v_fma_f64 v[20:21], -v[80:81], v[120:121], v[20:21]
	v_fma_f64 v[18:19], -v[80:81], v[110:111], v[18:19]
	;; [unrolled: 1-line block ×3, first 2 shown]
	ds_read2_b64 v[110:113], v104 offset0:43 offset1:44
	ds_read2_b64 v[118:121], v104 offset0:45 offset1:46
	s_waitcnt lgkmcnt(0)
	v_fma_f64 v[14:15], -v[80:81], v[114:115], v[14:15]
	v_fma_f64 v[12:13], -v[80:81], v[116:117], v[12:13]
	;; [unrolled: 1-line block ×7, first 2 shown]
.LBB94_148:
	s_or_b64 exec, exec, s[0:1]
	v_lshl_add_u32 v100, v105, 3, v104
	s_barrier
	ds_write_b64 v100, v[78:79]
	s_waitcnt lgkmcnt(0)
	s_barrier
	ds_read_b64 v[100:101], v104 offset:72
	s_cmp_lt_i32 s18, 11
	v_mov_b32_e32 v102, 9
	s_cbranch_scc1 .LBB94_151
; %bb.149:
	v_add_u32_e32 v109, 0x50, v104
	s_mov_b32 s0, 10
	v_mov_b32_e32 v102, 9
.LBB94_150:                             ; =>This Inner Loop Header: Depth=1
	ds_read_b64 v[110:111], v109
	v_mov_b32_e32 v112, s0
	s_add_i32 s0, s0, 1
	v_add_u32_e32 v109, 8, v109
	s_cmp_lg_u32 s18, s0
	s_waitcnt lgkmcnt(0)
	v_cmp_lt_f64_e64 vcc, |v[100:101]|, |v[110:111]|
	v_cndmask_b32_e32 v101, v101, v111, vcc
	v_cndmask_b32_e32 v100, v100, v110, vcc
	v_cndmask_b32_e32 v102, v102, v112, vcc
	s_cbranch_scc1 .LBB94_150
.LBB94_151:
	s_waitcnt lgkmcnt(0)
	v_cmp_eq_f64_e32 vcc, 0, v[100:101]
	s_and_saveexec_b64 s[0:1], vcc
	s_xor_b64 s[0:1], exec, s[0:1]
; %bb.152:
	v_cmp_ne_u32_e32 vcc, 0, v108
	v_cndmask_b32_e32 v108, 10, v108, vcc
; %bb.153:
	s_andn2_saveexec_b64 s[0:1], s[0:1]
; %bb.154:
	v_div_scale_f64 v[110:111], s[2:3], v[100:101], v[100:101], 1.0
	v_rcp_f64_e32 v[112:113], v[110:111]
	v_div_scale_f64 v[114:115], vcc, 1.0, v[100:101], 1.0
	v_fma_f64 v[116:117], -v[110:111], v[112:113], 1.0
	v_fmac_f64_e32 v[112:113], v[112:113], v[116:117]
	v_fma_f64 v[116:117], -v[110:111], v[112:113], 1.0
	v_fmac_f64_e32 v[112:113], v[112:113], v[116:117]
	v_mul_f64 v[116:117], v[114:115], v[112:113]
	v_fma_f64 v[110:111], -v[110:111], v[116:117], v[114:115]
	v_div_fmas_f64 v[110:111], v[110:111], v[112:113], v[116:117]
	v_div_fixup_f64 v[100:101], v[110:111], v[100:101], 1.0
; %bb.155:
	s_or_b64 exec, exec, s[0:1]
	v_cmp_ne_u32_e32 vcc, v105, v102
	s_and_saveexec_b64 s[0:1], vcc
	s_xor_b64 s[0:1], exec, s[0:1]
	s_cbranch_execz .LBB94_161
; %bb.156:
	v_cmp_eq_u32_e32 vcc, 9, v105
	s_and_saveexec_b64 s[2:3], vcc
	s_cbranch_execz .LBB94_160
; %bb.157:
	v_cmp_ne_u32_e32 vcc, 9, v102
	s_xor_b64 s[14:15], s[6:7], -1
	s_and_b64 s[16:17], s[14:15], vcc
	s_and_saveexec_b64 s[14:15], s[16:17]
	s_cbranch_execz .LBB94_159
; %bb.158:
	v_ashrrev_i32_e32 v103, 31, v102
	v_lshlrev_b64 v[110:111], 2, v[102:103]
	v_add_co_u32_e32 v110, vcc, v4, v110
	v_addc_co_u32_e32 v111, vcc, v5, v111, vcc
	flat_load_dword v103, v[110:111]
	flat_load_dword v105, v[4:5] offset:36
	s_waitcnt vmcnt(0) lgkmcnt(0)
	flat_store_dword v[4:5], v103 offset:36
	flat_store_dword v[110:111], v105
.LBB94_159:
	s_or_b64 exec, exec, s[14:15]
	v_mov_b32_e32 v103, v102
	v_mov_b32_e32 v105, v102
.LBB94_160:
	s_or_b64 exec, exec, s[2:3]
.LBB94_161:
	s_andn2_saveexec_b64 s[0:1], s[0:1]
	s_cbranch_execz .LBB94_163
; %bb.162:
	v_mov_b32_e32 v110, v74
	v_mov_b32_e32 v111, v75
	v_mov_b32_e32 v112, v76
	v_mov_b32_e32 v113, v77
	ds_write2_b64 v104, v[110:111], v[112:113] offset0:10 offset1:11
	v_mov_b32_e32 v110, v72
	v_mov_b32_e32 v111, v73
	v_mov_b32_e32 v112, v70
	v_mov_b32_e32 v113, v71
	ds_write2_b64 v104, v[110:111], v[112:113] offset0:12 offset1:13
	;; [unrolled: 5-line block ×18, first 2 shown]
	v_mov_b32_e32 v110, v0
	v_mov_b32_e32 v111, v1
	;; [unrolled: 1-line block ×3, first 2 shown]
	ds_write2_b64 v104, v[110:111], v[98:99] offset0:46 offset1:47
.LBB94_163:
	s_or_b64 exec, exec, s[0:1]
	v_cmp_lt_i32_e32 vcc, 9, v105
	s_waitcnt lgkmcnt(0)
	s_barrier
	s_and_saveexec_b64 s[0:1], vcc
	s_cbranch_execz .LBB94_165
; %bb.164:
	ds_read2_b64 v[110:113], v104 offset0:10 offset1:11
	ds_read2_b64 v[114:117], v104 offset0:12 offset1:13
	v_mul_f64 v[78:79], v[100:101], v[78:79]
	ds_read2_b64 v[118:121], v104 offset0:14 offset1:15
	s_waitcnt lgkmcnt(0)
	v_fma_f64 v[74:75], -v[78:79], v[110:111], v[74:75]
	v_fma_f64 v[76:77], -v[78:79], v[112:113], v[76:77]
	ds_read2_b64 v[110:113], v104 offset0:16 offset1:17
	v_fma_f64 v[72:73], -v[78:79], v[114:115], v[72:73]
	v_fma_f64 v[70:71], -v[78:79], v[116:117], v[70:71]
	;; [unrolled: 1-line block ×3, first 2 shown]
	ds_read2_b64 v[114:117], v104 offset0:18 offset1:19
	v_fma_f64 v[66:67], -v[78:79], v[120:121], v[66:67]
	ds_read2_b64 v[118:121], v104 offset0:20 offset1:21
	s_waitcnt lgkmcnt(0)
	v_fma_f64 v[64:65], -v[78:79], v[110:111], v[64:65]
	v_fma_f64 v[62:63], -v[78:79], v[112:113], v[62:63]
	ds_read2_b64 v[110:113], v104 offset0:22 offset1:23
	v_fma_f64 v[60:61], -v[78:79], v[114:115], v[60:61]
	v_fma_f64 v[58:59], -v[78:79], v[116:117], v[58:59]
	ds_read2_b64 v[114:117], v104 offset0:24 offset1:25
	v_fma_f64 v[56:57], -v[78:79], v[118:119], v[56:57]
	v_fma_f64 v[52:53], -v[78:79], v[120:121], v[52:53]
	s_waitcnt lgkmcnt(0)
	v_fma_f64 v[54:55], -v[78:79], v[110:111], v[54:55]
	ds_read2_b64 v[118:121], v104 offset0:26 offset1:27
	v_fma_f64 v[50:51], -v[78:79], v[112:113], v[50:51]
	ds_read2_b64 v[110:113], v104 offset0:28 offset1:29
	v_fma_f64 v[48:49], -v[78:79], v[114:115], v[48:49]
	v_fma_f64 v[46:47], -v[78:79], v[116:117], v[46:47]
	s_waitcnt lgkmcnt(0)
	v_fma_f64 v[44:45], -v[78:79], v[118:119], v[44:45]
	ds_read2_b64 v[114:117], v104 offset0:30 offset1:31
	v_fma_f64 v[42:43], -v[78:79], v[120:121], v[42:43]
	ds_read2_b64 v[118:121], v104 offset0:32 offset1:33
	v_fma_f64 v[40:41], -v[78:79], v[110:111], v[40:41]
	v_fma_f64 v[38:39], -v[78:79], v[112:113], v[38:39]
	ds_read2_b64 v[110:113], v104 offset0:34 offset1:35
	s_waitcnt lgkmcnt(0)
	v_fma_f64 v[36:37], -v[78:79], v[114:115], v[36:37]
	v_fma_f64 v[34:35], -v[78:79], v[116:117], v[34:35]
	ds_read2_b64 v[114:117], v104 offset0:36 offset1:37
	v_fma_f64 v[30:31], -v[78:79], v[118:119], v[30:31]
	v_fma_f64 v[32:33], -v[78:79], v[120:121], v[32:33]
	;; [unrolled: 1-line block ×3, first 2 shown]
	ds_read2_b64 v[118:121], v104 offset0:38 offset1:39
	v_fma_f64 v[26:27], -v[78:79], v[112:113], v[26:27]
	ds_read2_b64 v[110:113], v104 offset0:40 offset1:41
	s_waitcnt lgkmcnt(0)
	v_fma_f64 v[24:25], -v[78:79], v[114:115], v[24:25]
	v_fma_f64 v[22:23], -v[78:79], v[116:117], v[22:23]
	;; [unrolled: 1-line block ×4, first 2 shown]
	ds_read2_b64 v[114:117], v104 offset0:42 offset1:43
	ds_read2_b64 v[118:121], v104 offset0:44 offset1:45
	v_fma_f64 v[16:17], -v[78:79], v[110:111], v[16:17]
	v_fma_f64 v[14:15], -v[78:79], v[112:113], v[14:15]
	ds_read2_b64 v[110:113], v104 offset0:46 offset1:47
	s_waitcnt lgkmcnt(0)
	v_fma_f64 v[12:13], -v[78:79], v[114:115], v[12:13]
	v_fma_f64 v[8:9], -v[78:79], v[116:117], v[8:9]
	;; [unrolled: 1-line block ×6, first 2 shown]
.LBB94_165:
	s_or_b64 exec, exec, s[0:1]
	v_lshl_add_u32 v100, v105, 3, v104
	s_barrier
	ds_write_b64 v100, v[74:75]
	s_waitcnt lgkmcnt(0)
	s_barrier
	ds_read_b64 v[100:101], v104 offset:80
	s_cmp_lt_i32 s18, 12
	v_mov_b32_e32 v102, 10
	s_cbranch_scc1 .LBB94_168
; %bb.166:
	v_add_u32_e32 v109, 0x58, v104
	s_mov_b32 s0, 11
	v_mov_b32_e32 v102, 10
.LBB94_167:                             ; =>This Inner Loop Header: Depth=1
	ds_read_b64 v[110:111], v109
	v_mov_b32_e32 v112, s0
	s_add_i32 s0, s0, 1
	v_add_u32_e32 v109, 8, v109
	s_cmp_lg_u32 s18, s0
	s_waitcnt lgkmcnt(0)
	v_cmp_lt_f64_e64 vcc, |v[100:101]|, |v[110:111]|
	v_cndmask_b32_e32 v101, v101, v111, vcc
	v_cndmask_b32_e32 v100, v100, v110, vcc
	;; [unrolled: 1-line block ×3, first 2 shown]
	s_cbranch_scc1 .LBB94_167
.LBB94_168:
	s_waitcnt lgkmcnt(0)
	v_cmp_eq_f64_e32 vcc, 0, v[100:101]
	s_and_saveexec_b64 s[0:1], vcc
	s_xor_b64 s[0:1], exec, s[0:1]
; %bb.169:
	v_cmp_ne_u32_e32 vcc, 0, v108
	v_cndmask_b32_e32 v108, 11, v108, vcc
; %bb.170:
	s_andn2_saveexec_b64 s[0:1], s[0:1]
; %bb.171:
	v_div_scale_f64 v[110:111], s[2:3], v[100:101], v[100:101], 1.0
	v_rcp_f64_e32 v[112:113], v[110:111]
	v_div_scale_f64 v[114:115], vcc, 1.0, v[100:101], 1.0
	v_fma_f64 v[116:117], -v[110:111], v[112:113], 1.0
	v_fmac_f64_e32 v[112:113], v[112:113], v[116:117]
	v_fma_f64 v[116:117], -v[110:111], v[112:113], 1.0
	v_fmac_f64_e32 v[112:113], v[112:113], v[116:117]
	v_mul_f64 v[116:117], v[114:115], v[112:113]
	v_fma_f64 v[110:111], -v[110:111], v[116:117], v[114:115]
	v_div_fmas_f64 v[110:111], v[110:111], v[112:113], v[116:117]
	v_div_fixup_f64 v[100:101], v[110:111], v[100:101], 1.0
; %bb.172:
	s_or_b64 exec, exec, s[0:1]
	v_cmp_ne_u32_e32 vcc, v105, v102
	s_and_saveexec_b64 s[0:1], vcc
	s_xor_b64 s[0:1], exec, s[0:1]
	s_cbranch_execz .LBB94_178
; %bb.173:
	v_cmp_eq_u32_e32 vcc, 10, v105
	s_and_saveexec_b64 s[2:3], vcc
	s_cbranch_execz .LBB94_177
; %bb.174:
	v_cmp_ne_u32_e32 vcc, 10, v102
	s_xor_b64 s[14:15], s[6:7], -1
	s_and_b64 s[16:17], s[14:15], vcc
	s_and_saveexec_b64 s[14:15], s[16:17]
	s_cbranch_execz .LBB94_176
; %bb.175:
	v_ashrrev_i32_e32 v103, 31, v102
	v_lshlrev_b64 v[110:111], 2, v[102:103]
	v_add_co_u32_e32 v110, vcc, v4, v110
	v_addc_co_u32_e32 v111, vcc, v5, v111, vcc
	flat_load_dword v103, v[110:111]
	flat_load_dword v105, v[4:5] offset:40
	s_waitcnt vmcnt(0) lgkmcnt(0)
	flat_store_dword v[4:5], v103 offset:40
	flat_store_dword v[110:111], v105
.LBB94_176:
	s_or_b64 exec, exec, s[14:15]
	v_mov_b32_e32 v103, v102
	v_mov_b32_e32 v105, v102
.LBB94_177:
	s_or_b64 exec, exec, s[2:3]
.LBB94_178:
	s_andn2_saveexec_b64 s[0:1], s[0:1]
	s_cbranch_execz .LBB94_180
; %bb.179:
	v_mov_b32_e32 v105, 10
	ds_write2_b64 v104, v[76:77], v[72:73] offset0:11 offset1:12
	ds_write2_b64 v104, v[70:71], v[68:69] offset0:13 offset1:14
	;; [unrolled: 1-line block ×18, first 2 shown]
	ds_write_b64 v104, v[98:99] offset:376
.LBB94_180:
	s_or_b64 exec, exec, s[0:1]
	v_cmp_lt_i32_e32 vcc, 10, v105
	s_waitcnt lgkmcnt(0)
	s_barrier
	s_and_saveexec_b64 s[0:1], vcc
	s_cbranch_execz .LBB94_182
; %bb.181:
	ds_read2_b64 v[110:113], v104 offset0:11 offset1:12
	ds_read2_b64 v[114:117], v104 offset0:13 offset1:14
	;; [unrolled: 1-line block ×3, first 2 shown]
	v_mul_f64 v[74:75], v[100:101], v[74:75]
	ds_read_b64 v[100:101], v104 offset:376
	s_waitcnt lgkmcnt(0)
	v_fma_f64 v[76:77], -v[74:75], v[110:111], v[76:77]
	v_fma_f64 v[72:73], -v[74:75], v[112:113], v[72:73]
	ds_read2_b64 v[110:113], v104 offset0:17 offset1:18
	v_fma_f64 v[70:71], -v[74:75], v[114:115], v[70:71]
	v_fma_f64 v[68:69], -v[74:75], v[116:117], v[68:69]
	;; [unrolled: 1-line block ×3, first 2 shown]
	ds_read2_b64 v[114:117], v104 offset0:19 offset1:20
	v_fma_f64 v[64:65], -v[74:75], v[120:121], v[64:65]
	ds_read2_b64 v[118:121], v104 offset0:21 offset1:22
	s_waitcnt lgkmcnt(0)
	v_fma_f64 v[62:63], -v[74:75], v[110:111], v[62:63]
	v_fma_f64 v[60:61], -v[74:75], v[112:113], v[60:61]
	;; [unrolled: 1-line block ×3, first 2 shown]
	ds_read2_b64 v[110:113], v104 offset0:23 offset1:24
	v_fma_f64 v[56:57], -v[74:75], v[116:117], v[56:57]
	ds_read2_b64 v[114:117], v104 offset0:25 offset1:26
	v_fma_f64 v[52:53], -v[74:75], v[118:119], v[52:53]
	v_fma_f64 v[54:55], -v[74:75], v[120:121], v[54:55]
	ds_read2_b64 v[118:121], v104 offset0:27 offset1:28
	s_waitcnt lgkmcnt(0)
	v_fma_f64 v[50:51], -v[74:75], v[110:111], v[50:51]
	v_fma_f64 v[48:49], -v[74:75], v[112:113], v[48:49]
	ds_read2_b64 v[110:113], v104 offset0:29 offset1:30
	v_fma_f64 v[46:47], -v[74:75], v[114:115], v[46:47]
	v_fma_f64 v[44:45], -v[74:75], v[116:117], v[44:45]
	;; [unrolled: 1-line block ×3, first 2 shown]
	ds_read2_b64 v[114:117], v104 offset0:31 offset1:32
	v_fma_f64 v[40:41], -v[74:75], v[120:121], v[40:41]
	ds_read2_b64 v[118:121], v104 offset0:33 offset1:34
	s_waitcnt lgkmcnt(0)
	v_fma_f64 v[38:39], -v[74:75], v[110:111], v[38:39]
	v_fma_f64 v[36:37], -v[74:75], v[112:113], v[36:37]
	;; [unrolled: 1-line block ×3, first 2 shown]
	ds_read2_b64 v[110:113], v104 offset0:35 offset1:36
	v_fma_f64 v[30:31], -v[74:75], v[116:117], v[30:31]
	ds_read2_b64 v[114:117], v104 offset0:37 offset1:38
	v_fma_f64 v[32:33], -v[74:75], v[118:119], v[32:33]
	v_fma_f64 v[28:29], -v[74:75], v[120:121], v[28:29]
	ds_read2_b64 v[118:121], v104 offset0:39 offset1:40
	s_waitcnt lgkmcnt(0)
	v_fma_f64 v[26:27], -v[74:75], v[110:111], v[26:27]
	v_fma_f64 v[24:25], -v[74:75], v[112:113], v[24:25]
	ds_read2_b64 v[110:113], v104 offset0:41 offset1:42
	v_fma_f64 v[22:23], -v[74:75], v[114:115], v[22:23]
	v_fma_f64 v[20:21], -v[74:75], v[116:117], v[20:21]
	;; [unrolled: 1-line block ×4, first 2 shown]
	ds_read2_b64 v[114:117], v104 offset0:43 offset1:44
	ds_read2_b64 v[118:121], v104 offset0:45 offset1:46
	s_waitcnt lgkmcnt(0)
	v_fma_f64 v[14:15], -v[74:75], v[110:111], v[14:15]
	v_fma_f64 v[12:13], -v[74:75], v[112:113], v[12:13]
	;; [unrolled: 1-line block ×7, first 2 shown]
.LBB94_182:
	s_or_b64 exec, exec, s[0:1]
	v_lshl_add_u32 v100, v105, 3, v104
	s_barrier
	ds_write_b64 v100, v[76:77]
	s_waitcnt lgkmcnt(0)
	s_barrier
	ds_read_b64 v[100:101], v104 offset:88
	s_cmp_lt_i32 s18, 13
	v_mov_b32_e32 v102, 11
	s_cbranch_scc1 .LBB94_185
; %bb.183:
	v_add_u32_e32 v109, 0x60, v104
	s_mov_b32 s0, 12
	v_mov_b32_e32 v102, 11
.LBB94_184:                             ; =>This Inner Loop Header: Depth=1
	ds_read_b64 v[110:111], v109
	v_mov_b32_e32 v112, s0
	s_add_i32 s0, s0, 1
	v_add_u32_e32 v109, 8, v109
	s_cmp_lg_u32 s18, s0
	s_waitcnt lgkmcnt(0)
	v_cmp_lt_f64_e64 vcc, |v[100:101]|, |v[110:111]|
	v_cndmask_b32_e32 v101, v101, v111, vcc
	v_cndmask_b32_e32 v100, v100, v110, vcc
	;; [unrolled: 1-line block ×3, first 2 shown]
	s_cbranch_scc1 .LBB94_184
.LBB94_185:
	s_waitcnt lgkmcnt(0)
	v_cmp_eq_f64_e32 vcc, 0, v[100:101]
	s_and_saveexec_b64 s[0:1], vcc
	s_xor_b64 s[0:1], exec, s[0:1]
; %bb.186:
	v_cmp_ne_u32_e32 vcc, 0, v108
	v_cndmask_b32_e32 v108, 12, v108, vcc
; %bb.187:
	s_andn2_saveexec_b64 s[0:1], s[0:1]
; %bb.188:
	v_div_scale_f64 v[110:111], s[2:3], v[100:101], v[100:101], 1.0
	v_rcp_f64_e32 v[112:113], v[110:111]
	v_div_scale_f64 v[114:115], vcc, 1.0, v[100:101], 1.0
	v_fma_f64 v[116:117], -v[110:111], v[112:113], 1.0
	v_fmac_f64_e32 v[112:113], v[112:113], v[116:117]
	v_fma_f64 v[116:117], -v[110:111], v[112:113], 1.0
	v_fmac_f64_e32 v[112:113], v[112:113], v[116:117]
	v_mul_f64 v[116:117], v[114:115], v[112:113]
	v_fma_f64 v[110:111], -v[110:111], v[116:117], v[114:115]
	v_div_fmas_f64 v[110:111], v[110:111], v[112:113], v[116:117]
	v_div_fixup_f64 v[100:101], v[110:111], v[100:101], 1.0
; %bb.189:
	s_or_b64 exec, exec, s[0:1]
	v_cmp_ne_u32_e32 vcc, v105, v102
	s_and_saveexec_b64 s[0:1], vcc
	s_xor_b64 s[0:1], exec, s[0:1]
	s_cbranch_execz .LBB94_195
; %bb.190:
	v_cmp_eq_u32_e32 vcc, 11, v105
	s_and_saveexec_b64 s[2:3], vcc
	s_cbranch_execz .LBB94_194
; %bb.191:
	v_cmp_ne_u32_e32 vcc, 11, v102
	s_xor_b64 s[14:15], s[6:7], -1
	s_and_b64 s[16:17], s[14:15], vcc
	s_and_saveexec_b64 s[14:15], s[16:17]
	s_cbranch_execz .LBB94_193
; %bb.192:
	v_ashrrev_i32_e32 v103, 31, v102
	v_lshlrev_b64 v[110:111], 2, v[102:103]
	v_add_co_u32_e32 v110, vcc, v4, v110
	v_addc_co_u32_e32 v111, vcc, v5, v111, vcc
	flat_load_dword v103, v[110:111]
	flat_load_dword v105, v[4:5] offset:44
	s_waitcnt vmcnt(0) lgkmcnt(0)
	flat_store_dword v[4:5], v103 offset:44
	flat_store_dword v[110:111], v105
.LBB94_193:
	s_or_b64 exec, exec, s[14:15]
	v_mov_b32_e32 v103, v102
	v_mov_b32_e32 v105, v102
.LBB94_194:
	s_or_b64 exec, exec, s[2:3]
.LBB94_195:
	s_andn2_saveexec_b64 s[0:1], s[0:1]
	s_cbranch_execz .LBB94_197
; %bb.196:
	v_mov_b32_e32 v110, v72
	v_mov_b32_e32 v111, v73
	v_mov_b32_e32 v112, v70
	v_mov_b32_e32 v113, v71
	ds_write2_b64 v104, v[110:111], v[112:113] offset0:12 offset1:13
	v_mov_b32_e32 v110, v68
	v_mov_b32_e32 v111, v69
	v_mov_b32_e32 v112, v66
	v_mov_b32_e32 v113, v67
	ds_write2_b64 v104, v[110:111], v[112:113] offset0:14 offset1:15
	;; [unrolled: 5-line block ×17, first 2 shown]
	v_mov_b32_e32 v110, v0
	v_mov_b32_e32 v111, v1
	;; [unrolled: 1-line block ×3, first 2 shown]
	ds_write2_b64 v104, v[110:111], v[98:99] offset0:46 offset1:47
.LBB94_197:
	s_or_b64 exec, exec, s[0:1]
	v_cmp_lt_i32_e32 vcc, 11, v105
	s_waitcnt lgkmcnt(0)
	s_barrier
	s_and_saveexec_b64 s[0:1], vcc
	s_cbranch_execz .LBB94_199
; %bb.198:
	ds_read2_b64 v[110:113], v104 offset0:12 offset1:13
	ds_read2_b64 v[114:117], v104 offset0:14 offset1:15
	;; [unrolled: 1-line block ×3, first 2 shown]
	v_mul_f64 v[76:77], v[100:101], v[76:77]
	s_waitcnt lgkmcnt(0)
	v_fma_f64 v[72:73], -v[76:77], v[110:111], v[72:73]
	v_fma_f64 v[70:71], -v[76:77], v[112:113], v[70:71]
	ds_read2_b64 v[110:113], v104 offset0:18 offset1:19
	v_fma_f64 v[68:69], -v[76:77], v[114:115], v[68:69]
	v_fma_f64 v[66:67], -v[76:77], v[116:117], v[66:67]
	;; [unrolled: 1-line block ×3, first 2 shown]
	ds_read2_b64 v[114:117], v104 offset0:20 offset1:21
	v_fma_f64 v[62:63], -v[76:77], v[120:121], v[62:63]
	ds_read2_b64 v[118:121], v104 offset0:22 offset1:23
	s_waitcnt lgkmcnt(0)
	v_fma_f64 v[60:61], -v[76:77], v[110:111], v[60:61]
	v_fma_f64 v[58:59], -v[76:77], v[112:113], v[58:59]
	;; [unrolled: 1-line block ×3, first 2 shown]
	ds_read2_b64 v[110:113], v104 offset0:24 offset1:25
	v_fma_f64 v[52:53], -v[76:77], v[116:117], v[52:53]
	ds_read2_b64 v[114:117], v104 offset0:26 offset1:27
	v_fma_f64 v[54:55], -v[76:77], v[118:119], v[54:55]
	v_fma_f64 v[50:51], -v[76:77], v[120:121], v[50:51]
	ds_read2_b64 v[118:121], v104 offset0:28 offset1:29
	s_waitcnt lgkmcnt(0)
	v_fma_f64 v[48:49], -v[76:77], v[110:111], v[48:49]
	v_fma_f64 v[46:47], -v[76:77], v[112:113], v[46:47]
	ds_read2_b64 v[110:113], v104 offset0:30 offset1:31
	v_fma_f64 v[44:45], -v[76:77], v[114:115], v[44:45]
	v_fma_f64 v[42:43], -v[76:77], v[116:117], v[42:43]
	;; [unrolled: 1-line block ×3, first 2 shown]
	ds_read2_b64 v[114:117], v104 offset0:32 offset1:33
	v_fma_f64 v[38:39], -v[76:77], v[120:121], v[38:39]
	ds_read2_b64 v[118:121], v104 offset0:34 offset1:35
	s_waitcnt lgkmcnt(0)
	v_fma_f64 v[36:37], -v[76:77], v[110:111], v[36:37]
	v_fma_f64 v[34:35], -v[76:77], v[112:113], v[34:35]
	;; [unrolled: 1-line block ×3, first 2 shown]
	ds_read2_b64 v[110:113], v104 offset0:36 offset1:37
	v_fma_f64 v[32:33], -v[76:77], v[116:117], v[32:33]
	ds_read2_b64 v[114:117], v104 offset0:38 offset1:39
	v_fma_f64 v[28:29], -v[76:77], v[118:119], v[28:29]
	v_fma_f64 v[26:27], -v[76:77], v[120:121], v[26:27]
	ds_read2_b64 v[118:121], v104 offset0:40 offset1:41
	s_waitcnt lgkmcnt(0)
	v_fma_f64 v[24:25], -v[76:77], v[110:111], v[24:25]
	v_fma_f64 v[22:23], -v[76:77], v[112:113], v[22:23]
	ds_read2_b64 v[110:113], v104 offset0:42 offset1:43
	v_fma_f64 v[20:21], -v[76:77], v[114:115], v[20:21]
	v_fma_f64 v[18:19], -v[76:77], v[116:117], v[18:19]
	;; [unrolled: 1-line block ×3, first 2 shown]
	ds_read2_b64 v[114:117], v104 offset0:44 offset1:45
	v_fma_f64 v[14:15], -v[76:77], v[120:121], v[14:15]
	ds_read2_b64 v[118:121], v104 offset0:46 offset1:47
	s_waitcnt lgkmcnt(0)
	v_fma_f64 v[12:13], -v[76:77], v[110:111], v[12:13]
	v_fma_f64 v[8:9], -v[76:77], v[112:113], v[8:9]
	;; [unrolled: 1-line block ×6, first 2 shown]
.LBB94_199:
	s_or_b64 exec, exec, s[0:1]
	v_lshl_add_u32 v100, v105, 3, v104
	s_barrier
	ds_write_b64 v100, v[72:73]
	s_waitcnt lgkmcnt(0)
	s_barrier
	ds_read_b64 v[100:101], v104 offset:96
	s_cmp_lt_i32 s18, 14
	v_mov_b32_e32 v102, 12
	s_cbranch_scc1 .LBB94_202
; %bb.200:
	v_add_u32_e32 v109, 0x68, v104
	s_mov_b32 s0, 13
	v_mov_b32_e32 v102, 12
.LBB94_201:                             ; =>This Inner Loop Header: Depth=1
	ds_read_b64 v[110:111], v109
	v_mov_b32_e32 v112, s0
	s_add_i32 s0, s0, 1
	v_add_u32_e32 v109, 8, v109
	s_cmp_lg_u32 s18, s0
	s_waitcnt lgkmcnt(0)
	v_cmp_lt_f64_e64 vcc, |v[100:101]|, |v[110:111]|
	v_cndmask_b32_e32 v101, v101, v111, vcc
	v_cndmask_b32_e32 v100, v100, v110, vcc
	;; [unrolled: 1-line block ×3, first 2 shown]
	s_cbranch_scc1 .LBB94_201
.LBB94_202:
	s_waitcnt lgkmcnt(0)
	v_cmp_eq_f64_e32 vcc, 0, v[100:101]
	s_and_saveexec_b64 s[0:1], vcc
	s_xor_b64 s[0:1], exec, s[0:1]
; %bb.203:
	v_cmp_ne_u32_e32 vcc, 0, v108
	v_cndmask_b32_e32 v108, 13, v108, vcc
; %bb.204:
	s_andn2_saveexec_b64 s[0:1], s[0:1]
; %bb.205:
	v_div_scale_f64 v[110:111], s[2:3], v[100:101], v[100:101], 1.0
	v_rcp_f64_e32 v[112:113], v[110:111]
	v_div_scale_f64 v[114:115], vcc, 1.0, v[100:101], 1.0
	v_fma_f64 v[116:117], -v[110:111], v[112:113], 1.0
	v_fmac_f64_e32 v[112:113], v[112:113], v[116:117]
	v_fma_f64 v[116:117], -v[110:111], v[112:113], 1.0
	v_fmac_f64_e32 v[112:113], v[112:113], v[116:117]
	v_mul_f64 v[116:117], v[114:115], v[112:113]
	v_fma_f64 v[110:111], -v[110:111], v[116:117], v[114:115]
	v_div_fmas_f64 v[110:111], v[110:111], v[112:113], v[116:117]
	v_div_fixup_f64 v[100:101], v[110:111], v[100:101], 1.0
; %bb.206:
	s_or_b64 exec, exec, s[0:1]
	v_cmp_ne_u32_e32 vcc, v105, v102
	s_and_saveexec_b64 s[0:1], vcc
	s_xor_b64 s[0:1], exec, s[0:1]
	s_cbranch_execz .LBB94_212
; %bb.207:
	v_cmp_eq_u32_e32 vcc, 12, v105
	s_and_saveexec_b64 s[2:3], vcc
	s_cbranch_execz .LBB94_211
; %bb.208:
	v_cmp_ne_u32_e32 vcc, 12, v102
	s_xor_b64 s[14:15], s[6:7], -1
	s_and_b64 s[16:17], s[14:15], vcc
	s_and_saveexec_b64 s[14:15], s[16:17]
	s_cbranch_execz .LBB94_210
; %bb.209:
	v_ashrrev_i32_e32 v103, 31, v102
	v_lshlrev_b64 v[110:111], 2, v[102:103]
	v_add_co_u32_e32 v110, vcc, v4, v110
	v_addc_co_u32_e32 v111, vcc, v5, v111, vcc
	flat_load_dword v103, v[110:111]
	flat_load_dword v105, v[4:5] offset:48
	s_waitcnt vmcnt(0) lgkmcnt(0)
	flat_store_dword v[4:5], v103 offset:48
	flat_store_dword v[110:111], v105
.LBB94_210:
	s_or_b64 exec, exec, s[14:15]
	v_mov_b32_e32 v103, v102
	v_mov_b32_e32 v105, v102
.LBB94_211:
	s_or_b64 exec, exec, s[2:3]
.LBB94_212:
	s_andn2_saveexec_b64 s[0:1], s[0:1]
	s_cbranch_execz .LBB94_214
; %bb.213:
	v_mov_b32_e32 v105, 12
	ds_write2_b64 v104, v[70:71], v[68:69] offset0:13 offset1:14
	ds_write2_b64 v104, v[66:67], v[64:65] offset0:15 offset1:16
	;; [unrolled: 1-line block ×17, first 2 shown]
	ds_write_b64 v104, v[98:99] offset:376
.LBB94_214:
	s_or_b64 exec, exec, s[0:1]
	v_cmp_lt_i32_e32 vcc, 12, v105
	s_waitcnt lgkmcnt(0)
	s_barrier
	s_and_saveexec_b64 s[0:1], vcc
	s_cbranch_execz .LBB94_216
; %bb.215:
	ds_read2_b64 v[110:113], v104 offset0:13 offset1:14
	ds_read2_b64 v[114:117], v104 offset0:15 offset1:16
	v_mul_f64 v[72:73], v[100:101], v[72:73]
	ds_read2_b64 v[118:121], v104 offset0:17 offset1:18
	ds_read_b64 v[100:101], v104 offset:376
	s_waitcnt lgkmcnt(0)
	v_fma_f64 v[70:71], -v[72:73], v[110:111], v[70:71]
	v_fma_f64 v[68:69], -v[72:73], v[112:113], v[68:69]
	ds_read2_b64 v[110:113], v104 offset0:19 offset1:20
	v_fma_f64 v[66:67], -v[72:73], v[114:115], v[66:67]
	v_fma_f64 v[64:65], -v[72:73], v[116:117], v[64:65]
	ds_read2_b64 v[114:117], v104 offset0:21 offset1:22
	;; [unrolled: 3-line block ×3, first 2 shown]
	s_waitcnt lgkmcnt(0)
	v_fma_f64 v[58:59], -v[72:73], v[110:111], v[58:59]
	v_fma_f64 v[56:57], -v[72:73], v[112:113], v[56:57]
	;; [unrolled: 1-line block ×3, first 2 shown]
	ds_read2_b64 v[110:113], v104 offset0:25 offset1:26
	v_fma_f64 v[54:55], -v[72:73], v[116:117], v[54:55]
	ds_read2_b64 v[114:117], v104 offset0:27 offset1:28
	v_fma_f64 v[50:51], -v[72:73], v[118:119], v[50:51]
	v_fma_f64 v[48:49], -v[72:73], v[120:121], v[48:49]
	s_waitcnt lgkmcnt(0)
	v_fma_f64 v[46:47], -v[72:73], v[110:111], v[46:47]
	ds_read2_b64 v[118:121], v104 offset0:29 offset1:30
	v_fma_f64 v[44:45], -v[72:73], v[112:113], v[44:45]
	ds_read2_b64 v[110:113], v104 offset0:31 offset1:32
	v_fma_f64 v[42:43], -v[72:73], v[114:115], v[42:43]
	v_fma_f64 v[40:41], -v[72:73], v[116:117], v[40:41]
	ds_read2_b64 v[114:117], v104 offset0:33 offset1:34
	s_waitcnt lgkmcnt(0)
	v_fma_f64 v[38:39], -v[72:73], v[118:119], v[38:39]
	v_fma_f64 v[36:37], -v[72:73], v[120:121], v[36:37]
	ds_read2_b64 v[118:121], v104 offset0:35 offset1:36
	v_fma_f64 v[34:35], -v[72:73], v[110:111], v[34:35]
	v_fma_f64 v[30:31], -v[72:73], v[112:113], v[30:31]
	v_fma_f64 v[32:33], -v[72:73], v[114:115], v[32:33]
	ds_read2_b64 v[110:113], v104 offset0:37 offset1:38
	v_fma_f64 v[28:29], -v[72:73], v[116:117], v[28:29]
	ds_read2_b64 v[114:117], v104 offset0:39 offset1:40
	s_waitcnt lgkmcnt(0)
	v_fma_f64 v[26:27], -v[72:73], v[118:119], v[26:27]
	v_fma_f64 v[24:25], -v[72:73], v[120:121], v[24:25]
	;; [unrolled: 1-line block ×3, first 2 shown]
	ds_read2_b64 v[118:121], v104 offset0:41 offset1:42
	v_fma_f64 v[20:21], -v[72:73], v[112:113], v[20:21]
	ds_read2_b64 v[110:113], v104 offset0:43 offset1:44
	v_fma_f64 v[18:19], -v[72:73], v[114:115], v[18:19]
	v_fma_f64 v[16:17], -v[72:73], v[116:117], v[16:17]
	ds_read2_b64 v[114:117], v104 offset0:45 offset1:46
	s_waitcnt lgkmcnt(0)
	v_fma_f64 v[14:15], -v[72:73], v[118:119], v[14:15]
	v_fma_f64 v[12:13], -v[72:73], v[120:121], v[12:13]
	;; [unrolled: 1-line block ×7, first 2 shown]
.LBB94_216:
	s_or_b64 exec, exec, s[0:1]
	v_lshl_add_u32 v100, v105, 3, v104
	s_barrier
	ds_write_b64 v100, v[70:71]
	s_waitcnt lgkmcnt(0)
	s_barrier
	ds_read_b64 v[100:101], v104 offset:104
	s_cmp_lt_i32 s18, 15
	v_mov_b32_e32 v102, 13
	s_cbranch_scc1 .LBB94_219
; %bb.217:
	v_add_u32_e32 v109, 0x70, v104
	s_mov_b32 s0, 14
	v_mov_b32_e32 v102, 13
.LBB94_218:                             ; =>This Inner Loop Header: Depth=1
	ds_read_b64 v[110:111], v109
	v_mov_b32_e32 v112, s0
	s_add_i32 s0, s0, 1
	v_add_u32_e32 v109, 8, v109
	s_cmp_lg_u32 s18, s0
	s_waitcnt lgkmcnt(0)
	v_cmp_lt_f64_e64 vcc, |v[100:101]|, |v[110:111]|
	v_cndmask_b32_e32 v101, v101, v111, vcc
	v_cndmask_b32_e32 v100, v100, v110, vcc
	;; [unrolled: 1-line block ×3, first 2 shown]
	s_cbranch_scc1 .LBB94_218
.LBB94_219:
	s_waitcnt lgkmcnt(0)
	v_cmp_eq_f64_e32 vcc, 0, v[100:101]
	s_and_saveexec_b64 s[0:1], vcc
	s_xor_b64 s[0:1], exec, s[0:1]
; %bb.220:
	v_cmp_ne_u32_e32 vcc, 0, v108
	v_cndmask_b32_e32 v108, 14, v108, vcc
; %bb.221:
	s_andn2_saveexec_b64 s[0:1], s[0:1]
; %bb.222:
	v_div_scale_f64 v[110:111], s[2:3], v[100:101], v[100:101], 1.0
	v_rcp_f64_e32 v[112:113], v[110:111]
	v_div_scale_f64 v[114:115], vcc, 1.0, v[100:101], 1.0
	v_fma_f64 v[116:117], -v[110:111], v[112:113], 1.0
	v_fmac_f64_e32 v[112:113], v[112:113], v[116:117]
	v_fma_f64 v[116:117], -v[110:111], v[112:113], 1.0
	v_fmac_f64_e32 v[112:113], v[112:113], v[116:117]
	v_mul_f64 v[116:117], v[114:115], v[112:113]
	v_fma_f64 v[110:111], -v[110:111], v[116:117], v[114:115]
	v_div_fmas_f64 v[110:111], v[110:111], v[112:113], v[116:117]
	v_div_fixup_f64 v[100:101], v[110:111], v[100:101], 1.0
; %bb.223:
	s_or_b64 exec, exec, s[0:1]
	v_cmp_ne_u32_e32 vcc, v105, v102
	s_and_saveexec_b64 s[0:1], vcc
	s_xor_b64 s[0:1], exec, s[0:1]
	s_cbranch_execz .LBB94_229
; %bb.224:
	v_cmp_eq_u32_e32 vcc, 13, v105
	s_and_saveexec_b64 s[2:3], vcc
	s_cbranch_execz .LBB94_228
; %bb.225:
	v_cmp_ne_u32_e32 vcc, 13, v102
	s_xor_b64 s[14:15], s[6:7], -1
	s_and_b64 s[16:17], s[14:15], vcc
	s_and_saveexec_b64 s[14:15], s[16:17]
	s_cbranch_execz .LBB94_227
; %bb.226:
	v_ashrrev_i32_e32 v103, 31, v102
	v_lshlrev_b64 v[110:111], 2, v[102:103]
	v_add_co_u32_e32 v110, vcc, v4, v110
	v_addc_co_u32_e32 v111, vcc, v5, v111, vcc
	flat_load_dword v103, v[110:111]
	flat_load_dword v105, v[4:5] offset:52
	s_waitcnt vmcnt(0) lgkmcnt(0)
	flat_store_dword v[4:5], v103 offset:52
	flat_store_dword v[110:111], v105
.LBB94_227:
	s_or_b64 exec, exec, s[14:15]
	v_mov_b32_e32 v103, v102
	v_mov_b32_e32 v105, v102
.LBB94_228:
	s_or_b64 exec, exec, s[2:3]
.LBB94_229:
	s_andn2_saveexec_b64 s[0:1], s[0:1]
	s_cbranch_execz .LBB94_231
; %bb.230:
	v_mov_b32_e32 v110, v68
	v_mov_b32_e32 v111, v69
	v_mov_b32_e32 v112, v66
	v_mov_b32_e32 v113, v67
	ds_write2_b64 v104, v[110:111], v[112:113] offset0:14 offset1:15
	v_mov_b32_e32 v110, v64
	v_mov_b32_e32 v111, v65
	v_mov_b32_e32 v112, v62
	v_mov_b32_e32 v113, v63
	ds_write2_b64 v104, v[110:111], v[112:113] offset0:16 offset1:17
	;; [unrolled: 5-line block ×16, first 2 shown]
	v_mov_b32_e32 v110, v0
	v_mov_b32_e32 v111, v1
	v_mov_b32_e32 v105, 13
	ds_write2_b64 v104, v[110:111], v[98:99] offset0:46 offset1:47
.LBB94_231:
	s_or_b64 exec, exec, s[0:1]
	v_cmp_lt_i32_e32 vcc, 13, v105
	s_waitcnt lgkmcnt(0)
	s_barrier
	s_and_saveexec_b64 s[0:1], vcc
	s_cbranch_execz .LBB94_233
; %bb.232:
	ds_read2_b64 v[110:113], v104 offset0:14 offset1:15
	ds_read2_b64 v[114:117], v104 offset0:16 offset1:17
	v_mul_f64 v[70:71], v[100:101], v[70:71]
	ds_read2_b64 v[118:121], v104 offset0:18 offset1:19
	s_waitcnt lgkmcnt(0)
	v_fma_f64 v[68:69], -v[70:71], v[110:111], v[68:69]
	v_fma_f64 v[66:67], -v[70:71], v[112:113], v[66:67]
	ds_read2_b64 v[110:113], v104 offset0:20 offset1:21
	v_fma_f64 v[64:65], -v[70:71], v[114:115], v[64:65]
	v_fma_f64 v[62:63], -v[70:71], v[116:117], v[62:63]
	ds_read2_b64 v[114:117], v104 offset0:22 offset1:23
	;; [unrolled: 3-line block ×3, first 2 shown]
	s_waitcnt lgkmcnt(0)
	v_fma_f64 v[56:57], -v[70:71], v[110:111], v[56:57]
	v_fma_f64 v[52:53], -v[70:71], v[112:113], v[52:53]
	;; [unrolled: 1-line block ×3, first 2 shown]
	ds_read2_b64 v[110:113], v104 offset0:26 offset1:27
	v_fma_f64 v[50:51], -v[70:71], v[116:117], v[50:51]
	ds_read2_b64 v[114:117], v104 offset0:28 offset1:29
	v_fma_f64 v[48:49], -v[70:71], v[118:119], v[48:49]
	v_fma_f64 v[46:47], -v[70:71], v[120:121], v[46:47]
	s_waitcnt lgkmcnt(0)
	v_fma_f64 v[44:45], -v[70:71], v[110:111], v[44:45]
	ds_read2_b64 v[118:121], v104 offset0:30 offset1:31
	v_fma_f64 v[42:43], -v[70:71], v[112:113], v[42:43]
	ds_read2_b64 v[110:113], v104 offset0:32 offset1:33
	v_fma_f64 v[40:41], -v[70:71], v[114:115], v[40:41]
	v_fma_f64 v[38:39], -v[70:71], v[116:117], v[38:39]
	ds_read2_b64 v[114:117], v104 offset0:34 offset1:35
	s_waitcnt lgkmcnt(0)
	v_fma_f64 v[36:37], -v[70:71], v[118:119], v[36:37]
	v_fma_f64 v[34:35], -v[70:71], v[120:121], v[34:35]
	ds_read2_b64 v[118:121], v104 offset0:36 offset1:37
	v_fma_f64 v[30:31], -v[70:71], v[110:111], v[30:31]
	v_fma_f64 v[32:33], -v[70:71], v[112:113], v[32:33]
	;; [unrolled: 1-line block ×3, first 2 shown]
	ds_read2_b64 v[110:113], v104 offset0:38 offset1:39
	v_fma_f64 v[26:27], -v[70:71], v[116:117], v[26:27]
	ds_read2_b64 v[114:117], v104 offset0:40 offset1:41
	s_waitcnt lgkmcnt(0)
	v_fma_f64 v[24:25], -v[70:71], v[118:119], v[24:25]
	v_fma_f64 v[22:23], -v[70:71], v[120:121], v[22:23]
	;; [unrolled: 1-line block ×4, first 2 shown]
	ds_read2_b64 v[110:113], v104 offset0:42 offset1:43
	ds_read2_b64 v[118:121], v104 offset0:44 offset1:45
	v_fma_f64 v[16:17], -v[70:71], v[114:115], v[16:17]
	v_fma_f64 v[14:15], -v[70:71], v[116:117], v[14:15]
	ds_read2_b64 v[114:117], v104 offset0:46 offset1:47
	s_waitcnt lgkmcnt(0)
	v_fma_f64 v[12:13], -v[70:71], v[110:111], v[12:13]
	v_fma_f64 v[8:9], -v[70:71], v[112:113], v[8:9]
	;; [unrolled: 1-line block ×6, first 2 shown]
.LBB94_233:
	s_or_b64 exec, exec, s[0:1]
	v_lshl_add_u32 v100, v105, 3, v104
	s_barrier
	ds_write_b64 v100, v[68:69]
	s_waitcnt lgkmcnt(0)
	s_barrier
	ds_read_b64 v[100:101], v104 offset:112
	s_cmp_lt_i32 s18, 16
	v_mov_b32_e32 v102, 14
	s_cbranch_scc1 .LBB94_236
; %bb.234:
	v_add_u32_e32 v109, 0x78, v104
	s_mov_b32 s0, 15
	v_mov_b32_e32 v102, 14
.LBB94_235:                             ; =>This Inner Loop Header: Depth=1
	ds_read_b64 v[110:111], v109
	v_mov_b32_e32 v112, s0
	s_add_i32 s0, s0, 1
	v_add_u32_e32 v109, 8, v109
	s_cmp_lg_u32 s18, s0
	s_waitcnt lgkmcnt(0)
	v_cmp_lt_f64_e64 vcc, |v[100:101]|, |v[110:111]|
	v_cndmask_b32_e32 v101, v101, v111, vcc
	v_cndmask_b32_e32 v100, v100, v110, vcc
	;; [unrolled: 1-line block ×3, first 2 shown]
	s_cbranch_scc1 .LBB94_235
.LBB94_236:
	s_waitcnt lgkmcnt(0)
	v_cmp_eq_f64_e32 vcc, 0, v[100:101]
	s_and_saveexec_b64 s[0:1], vcc
	s_xor_b64 s[0:1], exec, s[0:1]
; %bb.237:
	v_cmp_ne_u32_e32 vcc, 0, v108
	v_cndmask_b32_e32 v108, 15, v108, vcc
; %bb.238:
	s_andn2_saveexec_b64 s[0:1], s[0:1]
; %bb.239:
	v_div_scale_f64 v[110:111], s[2:3], v[100:101], v[100:101], 1.0
	v_rcp_f64_e32 v[112:113], v[110:111]
	v_div_scale_f64 v[114:115], vcc, 1.0, v[100:101], 1.0
	v_fma_f64 v[116:117], -v[110:111], v[112:113], 1.0
	v_fmac_f64_e32 v[112:113], v[112:113], v[116:117]
	v_fma_f64 v[116:117], -v[110:111], v[112:113], 1.0
	v_fmac_f64_e32 v[112:113], v[112:113], v[116:117]
	v_mul_f64 v[116:117], v[114:115], v[112:113]
	v_fma_f64 v[110:111], -v[110:111], v[116:117], v[114:115]
	v_div_fmas_f64 v[110:111], v[110:111], v[112:113], v[116:117]
	v_div_fixup_f64 v[100:101], v[110:111], v[100:101], 1.0
; %bb.240:
	s_or_b64 exec, exec, s[0:1]
	v_cmp_ne_u32_e32 vcc, v105, v102
	s_and_saveexec_b64 s[0:1], vcc
	s_xor_b64 s[0:1], exec, s[0:1]
	s_cbranch_execz .LBB94_246
; %bb.241:
	v_cmp_eq_u32_e32 vcc, 14, v105
	s_and_saveexec_b64 s[2:3], vcc
	s_cbranch_execz .LBB94_245
; %bb.242:
	v_cmp_ne_u32_e32 vcc, 14, v102
	s_xor_b64 s[14:15], s[6:7], -1
	s_and_b64 s[16:17], s[14:15], vcc
	s_and_saveexec_b64 s[14:15], s[16:17]
	s_cbranch_execz .LBB94_244
; %bb.243:
	v_ashrrev_i32_e32 v103, 31, v102
	v_lshlrev_b64 v[110:111], 2, v[102:103]
	v_add_co_u32_e32 v110, vcc, v4, v110
	v_addc_co_u32_e32 v111, vcc, v5, v111, vcc
	flat_load_dword v103, v[110:111]
	flat_load_dword v105, v[4:5] offset:56
	s_waitcnt vmcnt(0) lgkmcnt(0)
	flat_store_dword v[4:5], v103 offset:56
	flat_store_dword v[110:111], v105
.LBB94_244:
	s_or_b64 exec, exec, s[14:15]
	v_mov_b32_e32 v103, v102
	v_mov_b32_e32 v105, v102
.LBB94_245:
	s_or_b64 exec, exec, s[2:3]
.LBB94_246:
	s_andn2_saveexec_b64 s[0:1], s[0:1]
	s_cbranch_execz .LBB94_248
; %bb.247:
	v_mov_b32_e32 v105, 14
	ds_write2_b64 v104, v[66:67], v[64:65] offset0:15 offset1:16
	ds_write2_b64 v104, v[62:63], v[60:61] offset0:17 offset1:18
	;; [unrolled: 1-line block ×16, first 2 shown]
	ds_write_b64 v104, v[98:99] offset:376
.LBB94_248:
	s_or_b64 exec, exec, s[0:1]
	v_cmp_lt_i32_e32 vcc, 14, v105
	s_waitcnt lgkmcnt(0)
	s_barrier
	s_and_saveexec_b64 s[0:1], vcc
	s_cbranch_execz .LBB94_250
; %bb.249:
	ds_read2_b64 v[110:113], v104 offset0:15 offset1:16
	ds_read2_b64 v[114:117], v104 offset0:17 offset1:18
	v_mul_f64 v[68:69], v[100:101], v[68:69]
	ds_read2_b64 v[118:121], v104 offset0:19 offset1:20
	ds_read_b64 v[100:101], v104 offset:376
	s_waitcnt lgkmcnt(0)
	v_fma_f64 v[66:67], -v[68:69], v[110:111], v[66:67]
	v_fma_f64 v[64:65], -v[68:69], v[112:113], v[64:65]
	ds_read2_b64 v[110:113], v104 offset0:21 offset1:22
	v_fma_f64 v[62:63], -v[68:69], v[114:115], v[62:63]
	v_fma_f64 v[60:61], -v[68:69], v[116:117], v[60:61]
	;; [unrolled: 1-line block ×3, first 2 shown]
	ds_read2_b64 v[114:117], v104 offset0:23 offset1:24
	v_fma_f64 v[56:57], -v[68:69], v[120:121], v[56:57]
	ds_read2_b64 v[118:121], v104 offset0:25 offset1:26
	s_waitcnt lgkmcnt(0)
	v_fma_f64 v[52:53], -v[68:69], v[110:111], v[52:53]
	v_fma_f64 v[54:55], -v[68:69], v[112:113], v[54:55]
	ds_read2_b64 v[110:113], v104 offset0:27 offset1:28
	v_fma_f64 v[50:51], -v[68:69], v[114:115], v[50:51]
	v_fma_f64 v[48:49], -v[68:69], v[116:117], v[48:49]
	ds_read2_b64 v[114:117], v104 offset0:29 offset1:30
	v_fma_f64 v[46:47], -v[68:69], v[118:119], v[46:47]
	v_fma_f64 v[44:45], -v[68:69], v[120:121], v[44:45]
	s_waitcnt lgkmcnt(0)
	v_fma_f64 v[42:43], -v[68:69], v[110:111], v[42:43]
	ds_read2_b64 v[118:121], v104 offset0:31 offset1:32
	v_fma_f64 v[40:41], -v[68:69], v[112:113], v[40:41]
	ds_read2_b64 v[110:113], v104 offset0:33 offset1:34
	v_fma_f64 v[38:39], -v[68:69], v[114:115], v[38:39]
	v_fma_f64 v[36:37], -v[68:69], v[116:117], v[36:37]
	s_waitcnt lgkmcnt(0)
	v_fma_f64 v[34:35], -v[68:69], v[118:119], v[34:35]
	ds_read2_b64 v[114:117], v104 offset0:35 offset1:36
	v_fma_f64 v[30:31], -v[68:69], v[120:121], v[30:31]
	ds_read2_b64 v[118:121], v104 offset0:37 offset1:38
	v_fma_f64 v[32:33], -v[68:69], v[110:111], v[32:33]
	v_fma_f64 v[28:29], -v[68:69], v[112:113], v[28:29]
	ds_read2_b64 v[110:113], v104 offset0:39 offset1:40
	s_waitcnt lgkmcnt(0)
	v_fma_f64 v[26:27], -v[68:69], v[114:115], v[26:27]
	v_fma_f64 v[24:25], -v[68:69], v[116:117], v[24:25]
	ds_read2_b64 v[114:117], v104 offset0:41 offset1:42
	v_fma_f64 v[22:23], -v[68:69], v[118:119], v[22:23]
	v_fma_f64 v[20:21], -v[68:69], v[120:121], v[20:21]
	;; [unrolled: 1-line block ×4, first 2 shown]
	ds_read2_b64 v[110:113], v104 offset0:43 offset1:44
	ds_read2_b64 v[118:121], v104 offset0:45 offset1:46
	s_waitcnt lgkmcnt(0)
	v_fma_f64 v[14:15], -v[68:69], v[114:115], v[14:15]
	v_fma_f64 v[12:13], -v[68:69], v[116:117], v[12:13]
	;; [unrolled: 1-line block ×7, first 2 shown]
.LBB94_250:
	s_or_b64 exec, exec, s[0:1]
	v_lshl_add_u32 v100, v105, 3, v104
	s_barrier
	ds_write_b64 v100, v[66:67]
	s_waitcnt lgkmcnt(0)
	s_barrier
	ds_read_b64 v[100:101], v104 offset:120
	s_cmp_lt_i32 s18, 17
	v_mov_b32_e32 v102, 15
	s_cbranch_scc1 .LBB94_253
; %bb.251:
	v_add_u32_e32 v109, 0x80, v104
	s_mov_b32 s0, 16
	v_mov_b32_e32 v102, 15
.LBB94_252:                             ; =>This Inner Loop Header: Depth=1
	ds_read_b64 v[110:111], v109
	v_mov_b32_e32 v112, s0
	s_add_i32 s0, s0, 1
	v_add_u32_e32 v109, 8, v109
	s_cmp_lg_u32 s18, s0
	s_waitcnt lgkmcnt(0)
	v_cmp_lt_f64_e64 vcc, |v[100:101]|, |v[110:111]|
	v_cndmask_b32_e32 v101, v101, v111, vcc
	v_cndmask_b32_e32 v100, v100, v110, vcc
	;; [unrolled: 1-line block ×3, first 2 shown]
	s_cbranch_scc1 .LBB94_252
.LBB94_253:
	s_waitcnt lgkmcnt(0)
	v_cmp_eq_f64_e32 vcc, 0, v[100:101]
	s_and_saveexec_b64 s[0:1], vcc
	s_xor_b64 s[0:1], exec, s[0:1]
; %bb.254:
	v_cmp_ne_u32_e32 vcc, 0, v108
	v_cndmask_b32_e32 v108, 16, v108, vcc
; %bb.255:
	s_andn2_saveexec_b64 s[0:1], s[0:1]
; %bb.256:
	v_div_scale_f64 v[110:111], s[2:3], v[100:101], v[100:101], 1.0
	v_rcp_f64_e32 v[112:113], v[110:111]
	v_div_scale_f64 v[114:115], vcc, 1.0, v[100:101], 1.0
	v_fma_f64 v[116:117], -v[110:111], v[112:113], 1.0
	v_fmac_f64_e32 v[112:113], v[112:113], v[116:117]
	v_fma_f64 v[116:117], -v[110:111], v[112:113], 1.0
	v_fmac_f64_e32 v[112:113], v[112:113], v[116:117]
	v_mul_f64 v[116:117], v[114:115], v[112:113]
	v_fma_f64 v[110:111], -v[110:111], v[116:117], v[114:115]
	v_div_fmas_f64 v[110:111], v[110:111], v[112:113], v[116:117]
	v_div_fixup_f64 v[100:101], v[110:111], v[100:101], 1.0
; %bb.257:
	s_or_b64 exec, exec, s[0:1]
	v_cmp_ne_u32_e32 vcc, v105, v102
	s_and_saveexec_b64 s[0:1], vcc
	s_xor_b64 s[0:1], exec, s[0:1]
	s_cbranch_execz .LBB94_263
; %bb.258:
	v_cmp_eq_u32_e32 vcc, 15, v105
	s_and_saveexec_b64 s[2:3], vcc
	s_cbranch_execz .LBB94_262
; %bb.259:
	v_cmp_ne_u32_e32 vcc, 15, v102
	s_xor_b64 s[14:15], s[6:7], -1
	s_and_b64 s[16:17], s[14:15], vcc
	s_and_saveexec_b64 s[14:15], s[16:17]
	s_cbranch_execz .LBB94_261
; %bb.260:
	v_ashrrev_i32_e32 v103, 31, v102
	v_lshlrev_b64 v[110:111], 2, v[102:103]
	v_add_co_u32_e32 v110, vcc, v4, v110
	v_addc_co_u32_e32 v111, vcc, v5, v111, vcc
	flat_load_dword v103, v[110:111]
	flat_load_dword v105, v[4:5] offset:60
	s_waitcnt vmcnt(0) lgkmcnt(0)
	flat_store_dword v[4:5], v103 offset:60
	flat_store_dword v[110:111], v105
.LBB94_261:
	s_or_b64 exec, exec, s[14:15]
	v_mov_b32_e32 v103, v102
	v_mov_b32_e32 v105, v102
.LBB94_262:
	s_or_b64 exec, exec, s[2:3]
.LBB94_263:
	s_andn2_saveexec_b64 s[0:1], s[0:1]
	s_cbranch_execz .LBB94_265
; %bb.264:
	v_mov_b32_e32 v110, v64
	v_mov_b32_e32 v111, v65
	v_mov_b32_e32 v112, v62
	v_mov_b32_e32 v113, v63
	ds_write2_b64 v104, v[110:111], v[112:113] offset0:16 offset1:17
	v_mov_b32_e32 v110, v60
	v_mov_b32_e32 v111, v61
	v_mov_b32_e32 v112, v58
	v_mov_b32_e32 v113, v59
	ds_write2_b64 v104, v[110:111], v[112:113] offset0:18 offset1:19
	;; [unrolled: 5-line block ×15, first 2 shown]
	v_mov_b32_e32 v110, v0
	v_mov_b32_e32 v111, v1
	;; [unrolled: 1-line block ×3, first 2 shown]
	ds_write2_b64 v104, v[110:111], v[98:99] offset0:46 offset1:47
.LBB94_265:
	s_or_b64 exec, exec, s[0:1]
	v_cmp_lt_i32_e32 vcc, 15, v105
	s_waitcnt lgkmcnt(0)
	s_barrier
	s_and_saveexec_b64 s[0:1], vcc
	s_cbranch_execz .LBB94_267
; %bb.266:
	ds_read2_b64 v[110:113], v104 offset0:16 offset1:17
	ds_read2_b64 v[114:117], v104 offset0:18 offset1:19
	v_mul_f64 v[66:67], v[100:101], v[66:67]
	ds_read2_b64 v[118:121], v104 offset0:20 offset1:21
	s_waitcnt lgkmcnt(0)
	v_fma_f64 v[64:65], -v[66:67], v[110:111], v[64:65]
	v_fma_f64 v[62:63], -v[66:67], v[112:113], v[62:63]
	ds_read2_b64 v[110:113], v104 offset0:22 offset1:23
	v_fma_f64 v[60:61], -v[66:67], v[114:115], v[60:61]
	v_fma_f64 v[58:59], -v[66:67], v[116:117], v[58:59]
	;; [unrolled: 1-line block ×3, first 2 shown]
	ds_read2_b64 v[114:117], v104 offset0:24 offset1:25
	v_fma_f64 v[52:53], -v[66:67], v[120:121], v[52:53]
	ds_read2_b64 v[118:121], v104 offset0:26 offset1:27
	s_waitcnt lgkmcnt(0)
	v_fma_f64 v[54:55], -v[66:67], v[110:111], v[54:55]
	v_fma_f64 v[50:51], -v[66:67], v[112:113], v[50:51]
	ds_read2_b64 v[110:113], v104 offset0:28 offset1:29
	v_fma_f64 v[48:49], -v[66:67], v[114:115], v[48:49]
	v_fma_f64 v[46:47], -v[66:67], v[116:117], v[46:47]
	ds_read2_b64 v[114:117], v104 offset0:30 offset1:31
	v_fma_f64 v[44:45], -v[66:67], v[118:119], v[44:45]
	v_fma_f64 v[42:43], -v[66:67], v[120:121], v[42:43]
	s_waitcnt lgkmcnt(0)
	v_fma_f64 v[40:41], -v[66:67], v[110:111], v[40:41]
	ds_read2_b64 v[118:121], v104 offset0:32 offset1:33
	v_fma_f64 v[38:39], -v[66:67], v[112:113], v[38:39]
	ds_read2_b64 v[110:113], v104 offset0:34 offset1:35
	v_fma_f64 v[36:37], -v[66:67], v[114:115], v[36:37]
	v_fma_f64 v[34:35], -v[66:67], v[116:117], v[34:35]
	s_waitcnt lgkmcnt(0)
	v_fma_f64 v[30:31], -v[66:67], v[118:119], v[30:31]
	ds_read2_b64 v[114:117], v104 offset0:36 offset1:37
	v_fma_f64 v[32:33], -v[66:67], v[120:121], v[32:33]
	ds_read2_b64 v[118:121], v104 offset0:38 offset1:39
	v_fma_f64 v[28:29], -v[66:67], v[110:111], v[28:29]
	v_fma_f64 v[26:27], -v[66:67], v[112:113], v[26:27]
	ds_read2_b64 v[110:113], v104 offset0:40 offset1:41
	s_waitcnt lgkmcnt(0)
	v_fma_f64 v[24:25], -v[66:67], v[114:115], v[24:25]
	v_fma_f64 v[22:23], -v[66:67], v[116:117], v[22:23]
	ds_read2_b64 v[114:117], v104 offset0:42 offset1:43
	v_fma_f64 v[20:21], -v[66:67], v[118:119], v[20:21]
	v_fma_f64 v[18:19], -v[66:67], v[120:121], v[18:19]
	;; [unrolled: 1-line block ×3, first 2 shown]
	ds_read2_b64 v[118:121], v104 offset0:44 offset1:45
	v_fma_f64 v[14:15], -v[66:67], v[112:113], v[14:15]
	ds_read2_b64 v[110:113], v104 offset0:46 offset1:47
	s_waitcnt lgkmcnt(0)
	v_fma_f64 v[12:13], -v[66:67], v[114:115], v[12:13]
	v_fma_f64 v[8:9], -v[66:67], v[116:117], v[8:9]
	;; [unrolled: 1-line block ×6, first 2 shown]
.LBB94_267:
	s_or_b64 exec, exec, s[0:1]
	v_lshl_add_u32 v100, v105, 3, v104
	s_barrier
	ds_write_b64 v100, v[64:65]
	s_waitcnt lgkmcnt(0)
	s_barrier
	ds_read_b64 v[100:101], v104 offset:128
	s_cmp_lt_i32 s18, 18
	v_mov_b32_e32 v102, 16
	s_cbranch_scc1 .LBB94_270
; %bb.268:
	v_add_u32_e32 v109, 0x88, v104
	s_mov_b32 s0, 17
	v_mov_b32_e32 v102, 16
.LBB94_269:                             ; =>This Inner Loop Header: Depth=1
	ds_read_b64 v[110:111], v109
	v_mov_b32_e32 v112, s0
	s_add_i32 s0, s0, 1
	v_add_u32_e32 v109, 8, v109
	s_cmp_lg_u32 s18, s0
	s_waitcnt lgkmcnt(0)
	v_cmp_lt_f64_e64 vcc, |v[100:101]|, |v[110:111]|
	v_cndmask_b32_e32 v101, v101, v111, vcc
	v_cndmask_b32_e32 v100, v100, v110, vcc
	v_cndmask_b32_e32 v102, v102, v112, vcc
	s_cbranch_scc1 .LBB94_269
.LBB94_270:
	s_waitcnt lgkmcnt(0)
	v_cmp_eq_f64_e32 vcc, 0, v[100:101]
	s_and_saveexec_b64 s[0:1], vcc
	s_xor_b64 s[0:1], exec, s[0:1]
; %bb.271:
	v_cmp_ne_u32_e32 vcc, 0, v108
	v_cndmask_b32_e32 v108, 17, v108, vcc
; %bb.272:
	s_andn2_saveexec_b64 s[0:1], s[0:1]
; %bb.273:
	v_div_scale_f64 v[110:111], s[2:3], v[100:101], v[100:101], 1.0
	v_rcp_f64_e32 v[112:113], v[110:111]
	v_div_scale_f64 v[114:115], vcc, 1.0, v[100:101], 1.0
	v_fma_f64 v[116:117], -v[110:111], v[112:113], 1.0
	v_fmac_f64_e32 v[112:113], v[112:113], v[116:117]
	v_fma_f64 v[116:117], -v[110:111], v[112:113], 1.0
	v_fmac_f64_e32 v[112:113], v[112:113], v[116:117]
	v_mul_f64 v[116:117], v[114:115], v[112:113]
	v_fma_f64 v[110:111], -v[110:111], v[116:117], v[114:115]
	v_div_fmas_f64 v[110:111], v[110:111], v[112:113], v[116:117]
	v_div_fixup_f64 v[100:101], v[110:111], v[100:101], 1.0
; %bb.274:
	s_or_b64 exec, exec, s[0:1]
	v_cmp_ne_u32_e32 vcc, v105, v102
	s_and_saveexec_b64 s[0:1], vcc
	s_xor_b64 s[0:1], exec, s[0:1]
	s_cbranch_execz .LBB94_280
; %bb.275:
	v_cmp_eq_u32_e32 vcc, 16, v105
	s_and_saveexec_b64 s[2:3], vcc
	s_cbranch_execz .LBB94_279
; %bb.276:
	v_cmp_ne_u32_e32 vcc, 16, v102
	s_xor_b64 s[14:15], s[6:7], -1
	s_and_b64 s[16:17], s[14:15], vcc
	s_and_saveexec_b64 s[14:15], s[16:17]
	s_cbranch_execz .LBB94_278
; %bb.277:
	v_ashrrev_i32_e32 v103, 31, v102
	v_lshlrev_b64 v[110:111], 2, v[102:103]
	v_add_co_u32_e32 v110, vcc, v4, v110
	v_addc_co_u32_e32 v111, vcc, v5, v111, vcc
	flat_load_dword v103, v[110:111]
	flat_load_dword v105, v[4:5] offset:64
	s_waitcnt vmcnt(0) lgkmcnt(0)
	flat_store_dword v[4:5], v103 offset:64
	flat_store_dword v[110:111], v105
.LBB94_278:
	s_or_b64 exec, exec, s[14:15]
	v_mov_b32_e32 v103, v102
	v_mov_b32_e32 v105, v102
.LBB94_279:
	s_or_b64 exec, exec, s[2:3]
.LBB94_280:
	s_andn2_saveexec_b64 s[0:1], s[0:1]
	s_cbranch_execz .LBB94_282
; %bb.281:
	v_mov_b32_e32 v105, 16
	ds_write2_b64 v104, v[62:63], v[60:61] offset0:17 offset1:18
	ds_write2_b64 v104, v[58:59], v[56:57] offset0:19 offset1:20
	;; [unrolled: 1-line block ×15, first 2 shown]
	ds_write_b64 v104, v[98:99] offset:376
.LBB94_282:
	s_or_b64 exec, exec, s[0:1]
	v_cmp_lt_i32_e32 vcc, 16, v105
	s_waitcnt lgkmcnt(0)
	s_barrier
	s_and_saveexec_b64 s[0:1], vcc
	s_cbranch_execz .LBB94_284
; %bb.283:
	ds_read2_b64 v[110:113], v104 offset0:17 offset1:18
	ds_read2_b64 v[114:117], v104 offset0:19 offset1:20
	;; [unrolled: 1-line block ×3, first 2 shown]
	v_mul_f64 v[64:65], v[100:101], v[64:65]
	ds_read_b64 v[100:101], v104 offset:376
	s_waitcnt lgkmcnt(0)
	v_fma_f64 v[62:63], -v[64:65], v[110:111], v[62:63]
	v_fma_f64 v[60:61], -v[64:65], v[112:113], v[60:61]
	ds_read2_b64 v[110:113], v104 offset0:23 offset1:24
	v_fma_f64 v[58:59], -v[64:65], v[114:115], v[58:59]
	v_fma_f64 v[56:57], -v[64:65], v[116:117], v[56:57]
	;; [unrolled: 1-line block ×3, first 2 shown]
	ds_read2_b64 v[114:117], v104 offset0:25 offset1:26
	v_fma_f64 v[54:55], -v[64:65], v[120:121], v[54:55]
	ds_read2_b64 v[118:121], v104 offset0:27 offset1:28
	s_waitcnt lgkmcnt(0)
	v_fma_f64 v[50:51], -v[64:65], v[110:111], v[50:51]
	v_fma_f64 v[48:49], -v[64:65], v[112:113], v[48:49]
	;; [unrolled: 1-line block ×3, first 2 shown]
	ds_read2_b64 v[110:113], v104 offset0:29 offset1:30
	v_fma_f64 v[44:45], -v[64:65], v[116:117], v[44:45]
	ds_read2_b64 v[114:117], v104 offset0:31 offset1:32
	v_fma_f64 v[42:43], -v[64:65], v[118:119], v[42:43]
	v_fma_f64 v[40:41], -v[64:65], v[120:121], v[40:41]
	ds_read2_b64 v[118:121], v104 offset0:33 offset1:34
	s_waitcnt lgkmcnt(0)
	v_fma_f64 v[38:39], -v[64:65], v[110:111], v[38:39]
	v_fma_f64 v[36:37], -v[64:65], v[112:113], v[36:37]
	ds_read2_b64 v[110:113], v104 offset0:35 offset1:36
	v_fma_f64 v[34:35], -v[64:65], v[114:115], v[34:35]
	v_fma_f64 v[30:31], -v[64:65], v[116:117], v[30:31]
	;; [unrolled: 1-line block ×3, first 2 shown]
	ds_read2_b64 v[114:117], v104 offset0:37 offset1:38
	v_fma_f64 v[28:29], -v[64:65], v[120:121], v[28:29]
	ds_read2_b64 v[118:121], v104 offset0:39 offset1:40
	s_waitcnt lgkmcnt(0)
	v_fma_f64 v[26:27], -v[64:65], v[110:111], v[26:27]
	v_fma_f64 v[24:25], -v[64:65], v[112:113], v[24:25]
	;; [unrolled: 1-line block ×3, first 2 shown]
	ds_read2_b64 v[110:113], v104 offset0:41 offset1:42
	v_fma_f64 v[20:21], -v[64:65], v[116:117], v[20:21]
	ds_read2_b64 v[114:117], v104 offset0:43 offset1:44
	v_fma_f64 v[18:19], -v[64:65], v[118:119], v[18:19]
	v_fma_f64 v[16:17], -v[64:65], v[120:121], v[16:17]
	ds_read2_b64 v[118:121], v104 offset0:45 offset1:46
	s_waitcnt lgkmcnt(0)
	v_fma_f64 v[14:15], -v[64:65], v[110:111], v[14:15]
	v_fma_f64 v[12:13], -v[64:65], v[112:113], v[12:13]
	;; [unrolled: 1-line block ×7, first 2 shown]
.LBB94_284:
	s_or_b64 exec, exec, s[0:1]
	v_lshl_add_u32 v100, v105, 3, v104
	s_barrier
	ds_write_b64 v100, v[62:63]
	s_waitcnt lgkmcnt(0)
	s_barrier
	ds_read_b64 v[100:101], v104 offset:136
	s_cmp_lt_i32 s18, 19
	v_mov_b32_e32 v102, 17
	s_cbranch_scc1 .LBB94_287
; %bb.285:
	v_add_u32_e32 v109, 0x90, v104
	s_mov_b32 s0, 18
	v_mov_b32_e32 v102, 17
.LBB94_286:                             ; =>This Inner Loop Header: Depth=1
	ds_read_b64 v[110:111], v109
	v_mov_b32_e32 v112, s0
	s_add_i32 s0, s0, 1
	v_add_u32_e32 v109, 8, v109
	s_cmp_lg_u32 s18, s0
	s_waitcnt lgkmcnt(0)
	v_cmp_lt_f64_e64 vcc, |v[100:101]|, |v[110:111]|
	v_cndmask_b32_e32 v101, v101, v111, vcc
	v_cndmask_b32_e32 v100, v100, v110, vcc
	;; [unrolled: 1-line block ×3, first 2 shown]
	s_cbranch_scc1 .LBB94_286
.LBB94_287:
	s_waitcnt lgkmcnt(0)
	v_cmp_eq_f64_e32 vcc, 0, v[100:101]
	s_and_saveexec_b64 s[0:1], vcc
	s_xor_b64 s[0:1], exec, s[0:1]
; %bb.288:
	v_cmp_ne_u32_e32 vcc, 0, v108
	v_cndmask_b32_e32 v108, 18, v108, vcc
; %bb.289:
	s_andn2_saveexec_b64 s[0:1], s[0:1]
; %bb.290:
	v_div_scale_f64 v[110:111], s[2:3], v[100:101], v[100:101], 1.0
	v_rcp_f64_e32 v[112:113], v[110:111]
	v_div_scale_f64 v[114:115], vcc, 1.0, v[100:101], 1.0
	v_fma_f64 v[116:117], -v[110:111], v[112:113], 1.0
	v_fmac_f64_e32 v[112:113], v[112:113], v[116:117]
	v_fma_f64 v[116:117], -v[110:111], v[112:113], 1.0
	v_fmac_f64_e32 v[112:113], v[112:113], v[116:117]
	v_mul_f64 v[116:117], v[114:115], v[112:113]
	v_fma_f64 v[110:111], -v[110:111], v[116:117], v[114:115]
	v_div_fmas_f64 v[110:111], v[110:111], v[112:113], v[116:117]
	v_div_fixup_f64 v[100:101], v[110:111], v[100:101], 1.0
; %bb.291:
	s_or_b64 exec, exec, s[0:1]
	v_cmp_ne_u32_e32 vcc, v105, v102
	s_and_saveexec_b64 s[0:1], vcc
	s_xor_b64 s[0:1], exec, s[0:1]
	s_cbranch_execz .LBB94_297
; %bb.292:
	v_cmp_eq_u32_e32 vcc, 17, v105
	s_and_saveexec_b64 s[2:3], vcc
	s_cbranch_execz .LBB94_296
; %bb.293:
	v_cmp_ne_u32_e32 vcc, 17, v102
	s_xor_b64 s[14:15], s[6:7], -1
	s_and_b64 s[16:17], s[14:15], vcc
	s_and_saveexec_b64 s[14:15], s[16:17]
	s_cbranch_execz .LBB94_295
; %bb.294:
	v_ashrrev_i32_e32 v103, 31, v102
	v_lshlrev_b64 v[110:111], 2, v[102:103]
	v_add_co_u32_e32 v110, vcc, v4, v110
	v_addc_co_u32_e32 v111, vcc, v5, v111, vcc
	flat_load_dword v103, v[110:111]
	flat_load_dword v105, v[4:5] offset:68
	s_waitcnt vmcnt(0) lgkmcnt(0)
	flat_store_dword v[4:5], v103 offset:68
	flat_store_dword v[110:111], v105
.LBB94_295:
	s_or_b64 exec, exec, s[14:15]
	v_mov_b32_e32 v103, v102
	v_mov_b32_e32 v105, v102
.LBB94_296:
	s_or_b64 exec, exec, s[2:3]
.LBB94_297:
	s_andn2_saveexec_b64 s[0:1], s[0:1]
	s_cbranch_execz .LBB94_299
; %bb.298:
	v_mov_b32_e32 v110, v60
	v_mov_b32_e32 v111, v61
	v_mov_b32_e32 v112, v58
	v_mov_b32_e32 v113, v59
	ds_write2_b64 v104, v[110:111], v[112:113] offset0:18 offset1:19
	v_mov_b32_e32 v110, v56
	v_mov_b32_e32 v111, v57
	v_mov_b32_e32 v112, v52
	v_mov_b32_e32 v113, v53
	ds_write2_b64 v104, v[110:111], v[112:113] offset0:20 offset1:21
	;; [unrolled: 5-line block ×14, first 2 shown]
	v_mov_b32_e32 v110, v0
	v_mov_b32_e32 v111, v1
	;; [unrolled: 1-line block ×3, first 2 shown]
	ds_write2_b64 v104, v[110:111], v[98:99] offset0:46 offset1:47
.LBB94_299:
	s_or_b64 exec, exec, s[0:1]
	v_cmp_lt_i32_e32 vcc, 17, v105
	s_waitcnt lgkmcnt(0)
	s_barrier
	s_and_saveexec_b64 s[0:1], vcc
	s_cbranch_execz .LBB94_301
; %bb.300:
	ds_read2_b64 v[110:113], v104 offset0:18 offset1:19
	ds_read2_b64 v[114:117], v104 offset0:20 offset1:21
	;; [unrolled: 1-line block ×3, first 2 shown]
	v_mul_f64 v[62:63], v[100:101], v[62:63]
	s_waitcnt lgkmcnt(0)
	v_fma_f64 v[60:61], -v[62:63], v[110:111], v[60:61]
	v_fma_f64 v[58:59], -v[62:63], v[112:113], v[58:59]
	ds_read2_b64 v[110:113], v104 offset0:24 offset1:25
	v_fma_f64 v[56:57], -v[62:63], v[114:115], v[56:57]
	v_fma_f64 v[52:53], -v[62:63], v[116:117], v[52:53]
	;; [unrolled: 1-line block ×3, first 2 shown]
	ds_read2_b64 v[114:117], v104 offset0:26 offset1:27
	v_fma_f64 v[50:51], -v[62:63], v[120:121], v[50:51]
	ds_read2_b64 v[118:121], v104 offset0:28 offset1:29
	s_waitcnt lgkmcnt(0)
	v_fma_f64 v[48:49], -v[62:63], v[110:111], v[48:49]
	v_fma_f64 v[46:47], -v[62:63], v[112:113], v[46:47]
	v_fma_f64 v[44:45], -v[62:63], v[114:115], v[44:45]
	ds_read2_b64 v[110:113], v104 offset0:30 offset1:31
	v_fma_f64 v[42:43], -v[62:63], v[116:117], v[42:43]
	ds_read2_b64 v[114:117], v104 offset0:32 offset1:33
	v_fma_f64 v[40:41], -v[62:63], v[118:119], v[40:41]
	v_fma_f64 v[38:39], -v[62:63], v[120:121], v[38:39]
	ds_read2_b64 v[118:121], v104 offset0:34 offset1:35
	s_waitcnt lgkmcnt(0)
	v_fma_f64 v[36:37], -v[62:63], v[110:111], v[36:37]
	v_fma_f64 v[34:35], -v[62:63], v[112:113], v[34:35]
	ds_read2_b64 v[110:113], v104 offset0:36 offset1:37
	v_fma_f64 v[30:31], -v[62:63], v[114:115], v[30:31]
	v_fma_f64 v[32:33], -v[62:63], v[116:117], v[32:33]
	;; [unrolled: 1-line block ×3, first 2 shown]
	ds_read2_b64 v[114:117], v104 offset0:38 offset1:39
	v_fma_f64 v[26:27], -v[62:63], v[120:121], v[26:27]
	ds_read2_b64 v[118:121], v104 offset0:40 offset1:41
	s_waitcnt lgkmcnt(0)
	v_fma_f64 v[24:25], -v[62:63], v[110:111], v[24:25]
	v_fma_f64 v[22:23], -v[62:63], v[112:113], v[22:23]
	;; [unrolled: 1-line block ×4, first 2 shown]
	ds_read2_b64 v[110:113], v104 offset0:42 offset1:43
	ds_read2_b64 v[114:117], v104 offset0:44 offset1:45
	v_fma_f64 v[16:17], -v[62:63], v[118:119], v[16:17]
	v_fma_f64 v[14:15], -v[62:63], v[120:121], v[14:15]
	ds_read2_b64 v[118:121], v104 offset0:46 offset1:47
	s_waitcnt lgkmcnt(0)
	v_fma_f64 v[12:13], -v[62:63], v[110:111], v[12:13]
	v_fma_f64 v[8:9], -v[62:63], v[112:113], v[8:9]
	;; [unrolled: 1-line block ×6, first 2 shown]
.LBB94_301:
	s_or_b64 exec, exec, s[0:1]
	v_lshl_add_u32 v100, v105, 3, v104
	s_barrier
	ds_write_b64 v100, v[60:61]
	s_waitcnt lgkmcnt(0)
	s_barrier
	ds_read_b64 v[100:101], v104 offset:144
	s_cmp_lt_i32 s18, 20
	v_mov_b32_e32 v102, 18
	s_cbranch_scc1 .LBB94_304
; %bb.302:
	v_add_u32_e32 v109, 0x98, v104
	s_mov_b32 s0, 19
	v_mov_b32_e32 v102, 18
.LBB94_303:                             ; =>This Inner Loop Header: Depth=1
	ds_read_b64 v[110:111], v109
	v_mov_b32_e32 v112, s0
	s_add_i32 s0, s0, 1
	v_add_u32_e32 v109, 8, v109
	s_cmp_lg_u32 s18, s0
	s_waitcnt lgkmcnt(0)
	v_cmp_lt_f64_e64 vcc, |v[100:101]|, |v[110:111]|
	v_cndmask_b32_e32 v101, v101, v111, vcc
	v_cndmask_b32_e32 v100, v100, v110, vcc
	;; [unrolled: 1-line block ×3, first 2 shown]
	s_cbranch_scc1 .LBB94_303
.LBB94_304:
	s_waitcnt lgkmcnt(0)
	v_cmp_eq_f64_e32 vcc, 0, v[100:101]
	s_and_saveexec_b64 s[0:1], vcc
	s_xor_b64 s[0:1], exec, s[0:1]
; %bb.305:
	v_cmp_ne_u32_e32 vcc, 0, v108
	v_cndmask_b32_e32 v108, 19, v108, vcc
; %bb.306:
	s_andn2_saveexec_b64 s[0:1], s[0:1]
; %bb.307:
	v_div_scale_f64 v[110:111], s[2:3], v[100:101], v[100:101], 1.0
	v_rcp_f64_e32 v[112:113], v[110:111]
	v_div_scale_f64 v[114:115], vcc, 1.0, v[100:101], 1.0
	v_fma_f64 v[116:117], -v[110:111], v[112:113], 1.0
	v_fmac_f64_e32 v[112:113], v[112:113], v[116:117]
	v_fma_f64 v[116:117], -v[110:111], v[112:113], 1.0
	v_fmac_f64_e32 v[112:113], v[112:113], v[116:117]
	v_mul_f64 v[116:117], v[114:115], v[112:113]
	v_fma_f64 v[110:111], -v[110:111], v[116:117], v[114:115]
	v_div_fmas_f64 v[110:111], v[110:111], v[112:113], v[116:117]
	v_div_fixup_f64 v[100:101], v[110:111], v[100:101], 1.0
; %bb.308:
	s_or_b64 exec, exec, s[0:1]
	v_cmp_ne_u32_e32 vcc, v105, v102
	s_and_saveexec_b64 s[0:1], vcc
	s_xor_b64 s[0:1], exec, s[0:1]
	s_cbranch_execz .LBB94_314
; %bb.309:
	v_cmp_eq_u32_e32 vcc, 18, v105
	s_and_saveexec_b64 s[2:3], vcc
	s_cbranch_execz .LBB94_313
; %bb.310:
	v_cmp_ne_u32_e32 vcc, 18, v102
	s_xor_b64 s[14:15], s[6:7], -1
	s_and_b64 s[16:17], s[14:15], vcc
	s_and_saveexec_b64 s[14:15], s[16:17]
	s_cbranch_execz .LBB94_312
; %bb.311:
	v_ashrrev_i32_e32 v103, 31, v102
	v_lshlrev_b64 v[110:111], 2, v[102:103]
	v_add_co_u32_e32 v110, vcc, v4, v110
	v_addc_co_u32_e32 v111, vcc, v5, v111, vcc
	flat_load_dword v103, v[110:111]
	flat_load_dword v105, v[4:5] offset:72
	s_waitcnt vmcnt(0) lgkmcnt(0)
	flat_store_dword v[4:5], v103 offset:72
	flat_store_dword v[110:111], v105
.LBB94_312:
	s_or_b64 exec, exec, s[14:15]
	v_mov_b32_e32 v103, v102
	v_mov_b32_e32 v105, v102
.LBB94_313:
	s_or_b64 exec, exec, s[2:3]
.LBB94_314:
	s_andn2_saveexec_b64 s[0:1], s[0:1]
	s_cbranch_execz .LBB94_316
; %bb.315:
	v_mov_b32_e32 v105, 18
	ds_write2_b64 v104, v[58:59], v[56:57] offset0:19 offset1:20
	ds_write2_b64 v104, v[52:53], v[54:55] offset0:21 offset1:22
	;; [unrolled: 1-line block ×14, first 2 shown]
	ds_write_b64 v104, v[98:99] offset:376
.LBB94_316:
	s_or_b64 exec, exec, s[0:1]
	v_cmp_lt_i32_e32 vcc, 18, v105
	s_waitcnt lgkmcnt(0)
	s_barrier
	s_and_saveexec_b64 s[0:1], vcc
	s_cbranch_execz .LBB94_318
; %bb.317:
	ds_read2_b64 v[110:113], v104 offset0:19 offset1:20
	ds_read2_b64 v[114:117], v104 offset0:21 offset1:22
	v_mul_f64 v[60:61], v[100:101], v[60:61]
	ds_read2_b64 v[118:121], v104 offset0:23 offset1:24
	ds_read_b64 v[100:101], v104 offset:376
	s_waitcnt lgkmcnt(0)
	v_fma_f64 v[58:59], -v[60:61], v[110:111], v[58:59]
	v_fma_f64 v[56:57], -v[60:61], v[112:113], v[56:57]
	ds_read2_b64 v[110:113], v104 offset0:25 offset1:26
	v_fma_f64 v[52:53], -v[60:61], v[114:115], v[52:53]
	v_fma_f64 v[54:55], -v[60:61], v[116:117], v[54:55]
	ds_read2_b64 v[114:117], v104 offset0:27 offset1:28
	;; [unrolled: 3-line block ×3, first 2 shown]
	s_waitcnt lgkmcnt(0)
	v_fma_f64 v[46:47], -v[60:61], v[110:111], v[46:47]
	v_fma_f64 v[44:45], -v[60:61], v[112:113], v[44:45]
	;; [unrolled: 1-line block ×3, first 2 shown]
	ds_read2_b64 v[110:113], v104 offset0:31 offset1:32
	v_fma_f64 v[40:41], -v[60:61], v[116:117], v[40:41]
	ds_read2_b64 v[114:117], v104 offset0:33 offset1:34
	v_fma_f64 v[38:39], -v[60:61], v[118:119], v[38:39]
	v_fma_f64 v[36:37], -v[60:61], v[120:121], v[36:37]
	s_waitcnt lgkmcnt(0)
	v_fma_f64 v[34:35], -v[60:61], v[110:111], v[34:35]
	ds_read2_b64 v[118:121], v104 offset0:35 offset1:36
	v_fma_f64 v[30:31], -v[60:61], v[112:113], v[30:31]
	ds_read2_b64 v[110:113], v104 offset0:37 offset1:38
	v_fma_f64 v[32:33], -v[60:61], v[114:115], v[32:33]
	v_fma_f64 v[28:29], -v[60:61], v[116:117], v[28:29]
	ds_read2_b64 v[114:117], v104 offset0:39 offset1:40
	s_waitcnt lgkmcnt(0)
	v_fma_f64 v[26:27], -v[60:61], v[118:119], v[26:27]
	v_fma_f64 v[24:25], -v[60:61], v[120:121], v[24:25]
	ds_read2_b64 v[118:121], v104 offset0:41 offset1:42
	v_fma_f64 v[22:23], -v[60:61], v[110:111], v[22:23]
	v_fma_f64 v[20:21], -v[60:61], v[112:113], v[20:21]
	v_fma_f64 v[18:19], -v[60:61], v[114:115], v[18:19]
	v_fma_f64 v[16:17], -v[60:61], v[116:117], v[16:17]
	ds_read2_b64 v[110:113], v104 offset0:43 offset1:44
	ds_read2_b64 v[114:117], v104 offset0:45 offset1:46
	s_waitcnt lgkmcnt(0)
	v_fma_f64 v[14:15], -v[60:61], v[118:119], v[14:15]
	v_fma_f64 v[12:13], -v[60:61], v[120:121], v[12:13]
	v_fma_f64 v[98:99], -v[60:61], v[100:101], v[98:99]
	v_fma_f64 v[8:9], -v[60:61], v[110:111], v[8:9]
	v_fma_f64 v[10:11], -v[60:61], v[112:113], v[10:11]
	v_fma_f64 v[6:7], -v[60:61], v[114:115], v[6:7]
	v_fma_f64 v[0:1], -v[60:61], v[116:117], v[0:1]
.LBB94_318:
	s_or_b64 exec, exec, s[0:1]
	v_lshl_add_u32 v100, v105, 3, v104
	s_barrier
	ds_write_b64 v100, v[58:59]
	s_waitcnt lgkmcnt(0)
	s_barrier
	ds_read_b64 v[100:101], v104 offset:152
	s_cmp_lt_i32 s18, 21
	v_mov_b32_e32 v102, 19
	s_cbranch_scc1 .LBB94_321
; %bb.319:
	v_add_u32_e32 v109, 0xa0, v104
	s_mov_b32 s0, 20
	v_mov_b32_e32 v102, 19
.LBB94_320:                             ; =>This Inner Loop Header: Depth=1
	ds_read_b64 v[110:111], v109
	v_mov_b32_e32 v112, s0
	s_add_i32 s0, s0, 1
	v_add_u32_e32 v109, 8, v109
	s_cmp_lg_u32 s18, s0
	s_waitcnt lgkmcnt(0)
	v_cmp_lt_f64_e64 vcc, |v[100:101]|, |v[110:111]|
	v_cndmask_b32_e32 v101, v101, v111, vcc
	v_cndmask_b32_e32 v100, v100, v110, vcc
	;; [unrolled: 1-line block ×3, first 2 shown]
	s_cbranch_scc1 .LBB94_320
.LBB94_321:
	s_waitcnt lgkmcnt(0)
	v_cmp_eq_f64_e32 vcc, 0, v[100:101]
	s_and_saveexec_b64 s[0:1], vcc
	s_xor_b64 s[0:1], exec, s[0:1]
; %bb.322:
	v_cmp_ne_u32_e32 vcc, 0, v108
	v_cndmask_b32_e32 v108, 20, v108, vcc
; %bb.323:
	s_andn2_saveexec_b64 s[0:1], s[0:1]
; %bb.324:
	v_div_scale_f64 v[110:111], s[2:3], v[100:101], v[100:101], 1.0
	v_rcp_f64_e32 v[112:113], v[110:111]
	v_div_scale_f64 v[114:115], vcc, 1.0, v[100:101], 1.0
	v_fma_f64 v[116:117], -v[110:111], v[112:113], 1.0
	v_fmac_f64_e32 v[112:113], v[112:113], v[116:117]
	v_fma_f64 v[116:117], -v[110:111], v[112:113], 1.0
	v_fmac_f64_e32 v[112:113], v[112:113], v[116:117]
	v_mul_f64 v[116:117], v[114:115], v[112:113]
	v_fma_f64 v[110:111], -v[110:111], v[116:117], v[114:115]
	v_div_fmas_f64 v[110:111], v[110:111], v[112:113], v[116:117]
	v_div_fixup_f64 v[100:101], v[110:111], v[100:101], 1.0
; %bb.325:
	s_or_b64 exec, exec, s[0:1]
	v_cmp_ne_u32_e32 vcc, v105, v102
	s_and_saveexec_b64 s[0:1], vcc
	s_xor_b64 s[0:1], exec, s[0:1]
	s_cbranch_execz .LBB94_331
; %bb.326:
	v_cmp_eq_u32_e32 vcc, 19, v105
	s_and_saveexec_b64 s[2:3], vcc
	s_cbranch_execz .LBB94_330
; %bb.327:
	v_cmp_ne_u32_e32 vcc, 19, v102
	s_xor_b64 s[14:15], s[6:7], -1
	s_and_b64 s[16:17], s[14:15], vcc
	s_and_saveexec_b64 s[14:15], s[16:17]
	s_cbranch_execz .LBB94_329
; %bb.328:
	v_ashrrev_i32_e32 v103, 31, v102
	v_lshlrev_b64 v[110:111], 2, v[102:103]
	v_add_co_u32_e32 v110, vcc, v4, v110
	v_addc_co_u32_e32 v111, vcc, v5, v111, vcc
	flat_load_dword v103, v[110:111]
	flat_load_dword v105, v[4:5] offset:76
	s_waitcnt vmcnt(0) lgkmcnt(0)
	flat_store_dword v[4:5], v103 offset:76
	flat_store_dword v[110:111], v105
.LBB94_329:
	s_or_b64 exec, exec, s[14:15]
	v_mov_b32_e32 v103, v102
	v_mov_b32_e32 v105, v102
.LBB94_330:
	s_or_b64 exec, exec, s[2:3]
.LBB94_331:
	s_andn2_saveexec_b64 s[0:1], s[0:1]
	s_cbranch_execz .LBB94_333
; %bb.332:
	v_mov_b32_e32 v110, v56
	v_mov_b32_e32 v111, v57
	v_mov_b32_e32 v112, v52
	v_mov_b32_e32 v113, v53
	ds_write2_b64 v104, v[110:111], v[112:113] offset0:20 offset1:21
	v_mov_b32_e32 v110, v54
	v_mov_b32_e32 v111, v55
	v_mov_b32_e32 v112, v50
	v_mov_b32_e32 v113, v51
	ds_write2_b64 v104, v[110:111], v[112:113] offset0:22 offset1:23
	;; [unrolled: 5-line block ×13, first 2 shown]
	v_mov_b32_e32 v110, v0
	v_mov_b32_e32 v111, v1
	;; [unrolled: 1-line block ×3, first 2 shown]
	ds_write2_b64 v104, v[110:111], v[98:99] offset0:46 offset1:47
.LBB94_333:
	s_or_b64 exec, exec, s[0:1]
	v_cmp_lt_i32_e32 vcc, 19, v105
	s_waitcnt lgkmcnt(0)
	s_barrier
	s_and_saveexec_b64 s[0:1], vcc
	s_cbranch_execz .LBB94_335
; %bb.334:
	ds_read2_b64 v[110:113], v104 offset0:20 offset1:21
	ds_read2_b64 v[114:117], v104 offset0:22 offset1:23
	v_mul_f64 v[58:59], v[100:101], v[58:59]
	ds_read2_b64 v[118:121], v104 offset0:24 offset1:25
	s_waitcnt lgkmcnt(0)
	v_fma_f64 v[56:57], -v[58:59], v[110:111], v[56:57]
	v_fma_f64 v[52:53], -v[58:59], v[112:113], v[52:53]
	ds_read2_b64 v[110:113], v104 offset0:26 offset1:27
	v_fma_f64 v[54:55], -v[58:59], v[114:115], v[54:55]
	v_fma_f64 v[50:51], -v[58:59], v[116:117], v[50:51]
	ds_read2_b64 v[114:117], v104 offset0:28 offset1:29
	;; [unrolled: 3-line block ×3, first 2 shown]
	s_waitcnt lgkmcnt(0)
	v_fma_f64 v[44:45], -v[58:59], v[110:111], v[44:45]
	v_fma_f64 v[42:43], -v[58:59], v[112:113], v[42:43]
	;; [unrolled: 1-line block ×3, first 2 shown]
	ds_read2_b64 v[110:113], v104 offset0:32 offset1:33
	v_fma_f64 v[38:39], -v[58:59], v[116:117], v[38:39]
	ds_read2_b64 v[114:117], v104 offset0:34 offset1:35
	v_fma_f64 v[36:37], -v[58:59], v[118:119], v[36:37]
	v_fma_f64 v[34:35], -v[58:59], v[120:121], v[34:35]
	s_waitcnt lgkmcnt(0)
	v_fma_f64 v[30:31], -v[58:59], v[110:111], v[30:31]
	ds_read2_b64 v[118:121], v104 offset0:36 offset1:37
	v_fma_f64 v[32:33], -v[58:59], v[112:113], v[32:33]
	ds_read2_b64 v[110:113], v104 offset0:38 offset1:39
	v_fma_f64 v[28:29], -v[58:59], v[114:115], v[28:29]
	v_fma_f64 v[26:27], -v[58:59], v[116:117], v[26:27]
	ds_read2_b64 v[114:117], v104 offset0:40 offset1:41
	s_waitcnt lgkmcnt(0)
	v_fma_f64 v[24:25], -v[58:59], v[118:119], v[24:25]
	v_fma_f64 v[22:23], -v[58:59], v[120:121], v[22:23]
	;; [unrolled: 1-line block ×4, first 2 shown]
	ds_read2_b64 v[110:113], v104 offset0:42 offset1:43
	v_fma_f64 v[16:17], -v[58:59], v[114:115], v[16:17]
	ds_read2_b64 v[118:121], v104 offset0:44 offset1:45
	v_fma_f64 v[14:15], -v[58:59], v[116:117], v[14:15]
	ds_read2_b64 v[114:117], v104 offset0:46 offset1:47
	s_waitcnt lgkmcnt(0)
	v_fma_f64 v[12:13], -v[58:59], v[110:111], v[12:13]
	v_fma_f64 v[8:9], -v[58:59], v[112:113], v[8:9]
	;; [unrolled: 1-line block ×6, first 2 shown]
.LBB94_335:
	s_or_b64 exec, exec, s[0:1]
	v_lshl_add_u32 v100, v105, 3, v104
	s_barrier
	ds_write_b64 v100, v[56:57]
	s_waitcnt lgkmcnt(0)
	s_barrier
	ds_read_b64 v[100:101], v104 offset:160
	s_cmp_lt_i32 s18, 22
	v_mov_b32_e32 v102, 20
	s_cbranch_scc1 .LBB94_338
; %bb.336:
	v_add_u32_e32 v109, 0xa8, v104
	s_mov_b32 s0, 21
	v_mov_b32_e32 v102, 20
.LBB94_337:                             ; =>This Inner Loop Header: Depth=1
	ds_read_b64 v[110:111], v109
	v_mov_b32_e32 v112, s0
	s_add_i32 s0, s0, 1
	v_add_u32_e32 v109, 8, v109
	s_cmp_lg_u32 s18, s0
	s_waitcnt lgkmcnt(0)
	v_cmp_lt_f64_e64 vcc, |v[100:101]|, |v[110:111]|
	v_cndmask_b32_e32 v101, v101, v111, vcc
	v_cndmask_b32_e32 v100, v100, v110, vcc
	;; [unrolled: 1-line block ×3, first 2 shown]
	s_cbranch_scc1 .LBB94_337
.LBB94_338:
	s_waitcnt lgkmcnt(0)
	v_cmp_eq_f64_e32 vcc, 0, v[100:101]
	s_and_saveexec_b64 s[0:1], vcc
	s_xor_b64 s[0:1], exec, s[0:1]
; %bb.339:
	v_cmp_ne_u32_e32 vcc, 0, v108
	v_cndmask_b32_e32 v108, 21, v108, vcc
; %bb.340:
	s_andn2_saveexec_b64 s[0:1], s[0:1]
; %bb.341:
	v_div_scale_f64 v[110:111], s[2:3], v[100:101], v[100:101], 1.0
	v_rcp_f64_e32 v[112:113], v[110:111]
	v_div_scale_f64 v[114:115], vcc, 1.0, v[100:101], 1.0
	v_fma_f64 v[116:117], -v[110:111], v[112:113], 1.0
	v_fmac_f64_e32 v[112:113], v[112:113], v[116:117]
	v_fma_f64 v[116:117], -v[110:111], v[112:113], 1.0
	v_fmac_f64_e32 v[112:113], v[112:113], v[116:117]
	v_mul_f64 v[116:117], v[114:115], v[112:113]
	v_fma_f64 v[110:111], -v[110:111], v[116:117], v[114:115]
	v_div_fmas_f64 v[110:111], v[110:111], v[112:113], v[116:117]
	v_div_fixup_f64 v[100:101], v[110:111], v[100:101], 1.0
; %bb.342:
	s_or_b64 exec, exec, s[0:1]
	v_cmp_ne_u32_e32 vcc, v105, v102
	s_and_saveexec_b64 s[0:1], vcc
	s_xor_b64 s[0:1], exec, s[0:1]
	s_cbranch_execz .LBB94_348
; %bb.343:
	v_cmp_eq_u32_e32 vcc, 20, v105
	s_and_saveexec_b64 s[2:3], vcc
	s_cbranch_execz .LBB94_347
; %bb.344:
	v_cmp_ne_u32_e32 vcc, 20, v102
	s_xor_b64 s[14:15], s[6:7], -1
	s_and_b64 s[16:17], s[14:15], vcc
	s_and_saveexec_b64 s[14:15], s[16:17]
	s_cbranch_execz .LBB94_346
; %bb.345:
	v_ashrrev_i32_e32 v103, 31, v102
	v_lshlrev_b64 v[110:111], 2, v[102:103]
	v_add_co_u32_e32 v110, vcc, v4, v110
	v_addc_co_u32_e32 v111, vcc, v5, v111, vcc
	flat_load_dword v103, v[110:111]
	flat_load_dword v105, v[4:5] offset:80
	s_waitcnt vmcnt(0) lgkmcnt(0)
	flat_store_dword v[4:5], v103 offset:80
	flat_store_dword v[110:111], v105
.LBB94_346:
	s_or_b64 exec, exec, s[14:15]
	v_mov_b32_e32 v103, v102
	v_mov_b32_e32 v105, v102
.LBB94_347:
	s_or_b64 exec, exec, s[2:3]
.LBB94_348:
	s_andn2_saveexec_b64 s[0:1], s[0:1]
	s_cbranch_execz .LBB94_350
; %bb.349:
	v_mov_b32_e32 v105, 20
	ds_write2_b64 v104, v[52:53], v[54:55] offset0:21 offset1:22
	ds_write2_b64 v104, v[50:51], v[48:49] offset0:23 offset1:24
	;; [unrolled: 1-line block ×13, first 2 shown]
	ds_write_b64 v104, v[98:99] offset:376
.LBB94_350:
	s_or_b64 exec, exec, s[0:1]
	v_cmp_lt_i32_e32 vcc, 20, v105
	s_waitcnt lgkmcnt(0)
	s_barrier
	s_and_saveexec_b64 s[0:1], vcc
	s_cbranch_execz .LBB94_352
; %bb.351:
	ds_read2_b64 v[110:113], v104 offset0:21 offset1:22
	ds_read2_b64 v[114:117], v104 offset0:23 offset1:24
	v_mul_f64 v[56:57], v[100:101], v[56:57]
	ds_read2_b64 v[118:121], v104 offset0:25 offset1:26
	ds_read_b64 v[100:101], v104 offset:376
	s_waitcnt lgkmcnt(0)
	v_fma_f64 v[52:53], -v[56:57], v[110:111], v[52:53]
	v_fma_f64 v[54:55], -v[56:57], v[112:113], v[54:55]
	ds_read2_b64 v[110:113], v104 offset0:27 offset1:28
	v_fma_f64 v[50:51], -v[56:57], v[114:115], v[50:51]
	v_fma_f64 v[48:49], -v[56:57], v[116:117], v[48:49]
	;; [unrolled: 1-line block ×3, first 2 shown]
	ds_read2_b64 v[114:117], v104 offset0:29 offset1:30
	v_fma_f64 v[44:45], -v[56:57], v[120:121], v[44:45]
	ds_read2_b64 v[118:121], v104 offset0:31 offset1:32
	s_waitcnt lgkmcnt(0)
	v_fma_f64 v[42:43], -v[56:57], v[110:111], v[42:43]
	v_fma_f64 v[40:41], -v[56:57], v[112:113], v[40:41]
	ds_read2_b64 v[110:113], v104 offset0:33 offset1:34
	v_fma_f64 v[38:39], -v[56:57], v[114:115], v[38:39]
	v_fma_f64 v[36:37], -v[56:57], v[116:117], v[36:37]
	ds_read2_b64 v[114:117], v104 offset0:35 offset1:36
	v_fma_f64 v[34:35], -v[56:57], v[118:119], v[34:35]
	v_fma_f64 v[30:31], -v[56:57], v[120:121], v[30:31]
	s_waitcnt lgkmcnt(0)
	v_fma_f64 v[32:33], -v[56:57], v[110:111], v[32:33]
	ds_read2_b64 v[118:121], v104 offset0:37 offset1:38
	v_fma_f64 v[28:29], -v[56:57], v[112:113], v[28:29]
	ds_read2_b64 v[110:113], v104 offset0:39 offset1:40
	v_fma_f64 v[26:27], -v[56:57], v[114:115], v[26:27]
	v_fma_f64 v[24:25], -v[56:57], v[116:117], v[24:25]
	s_waitcnt lgkmcnt(0)
	v_fma_f64 v[22:23], -v[56:57], v[118:119], v[22:23]
	ds_read2_b64 v[114:117], v104 offset0:41 offset1:42
	v_fma_f64 v[20:21], -v[56:57], v[120:121], v[20:21]
	v_fma_f64 v[18:19], -v[56:57], v[110:111], v[18:19]
	;; [unrolled: 1-line block ×3, first 2 shown]
	ds_read2_b64 v[110:113], v104 offset0:43 offset1:44
	ds_read2_b64 v[118:121], v104 offset0:45 offset1:46
	s_waitcnt lgkmcnt(0)
	v_fma_f64 v[14:15], -v[56:57], v[114:115], v[14:15]
	v_fma_f64 v[12:13], -v[56:57], v[116:117], v[12:13]
	;; [unrolled: 1-line block ×7, first 2 shown]
.LBB94_352:
	s_or_b64 exec, exec, s[0:1]
	v_lshl_add_u32 v100, v105, 3, v104
	s_barrier
	ds_write_b64 v100, v[52:53]
	s_waitcnt lgkmcnt(0)
	s_barrier
	ds_read_b64 v[100:101], v104 offset:168
	s_cmp_lt_i32 s18, 23
	v_mov_b32_e32 v102, 21
	s_cbranch_scc1 .LBB94_355
; %bb.353:
	v_add_u32_e32 v109, 0xb0, v104
	s_mov_b32 s0, 22
	v_mov_b32_e32 v102, 21
.LBB94_354:                             ; =>This Inner Loop Header: Depth=1
	ds_read_b64 v[110:111], v109
	v_mov_b32_e32 v112, s0
	s_add_i32 s0, s0, 1
	v_add_u32_e32 v109, 8, v109
	s_cmp_lg_u32 s18, s0
	s_waitcnt lgkmcnt(0)
	v_cmp_lt_f64_e64 vcc, |v[100:101]|, |v[110:111]|
	v_cndmask_b32_e32 v101, v101, v111, vcc
	v_cndmask_b32_e32 v100, v100, v110, vcc
	;; [unrolled: 1-line block ×3, first 2 shown]
	s_cbranch_scc1 .LBB94_354
.LBB94_355:
	s_waitcnt lgkmcnt(0)
	v_cmp_eq_f64_e32 vcc, 0, v[100:101]
	s_and_saveexec_b64 s[0:1], vcc
	s_xor_b64 s[0:1], exec, s[0:1]
; %bb.356:
	v_cmp_ne_u32_e32 vcc, 0, v108
	v_cndmask_b32_e32 v108, 22, v108, vcc
; %bb.357:
	s_andn2_saveexec_b64 s[0:1], s[0:1]
; %bb.358:
	v_div_scale_f64 v[110:111], s[2:3], v[100:101], v[100:101], 1.0
	v_rcp_f64_e32 v[112:113], v[110:111]
	v_div_scale_f64 v[114:115], vcc, 1.0, v[100:101], 1.0
	v_fma_f64 v[116:117], -v[110:111], v[112:113], 1.0
	v_fmac_f64_e32 v[112:113], v[112:113], v[116:117]
	v_fma_f64 v[116:117], -v[110:111], v[112:113], 1.0
	v_fmac_f64_e32 v[112:113], v[112:113], v[116:117]
	v_mul_f64 v[116:117], v[114:115], v[112:113]
	v_fma_f64 v[110:111], -v[110:111], v[116:117], v[114:115]
	v_div_fmas_f64 v[110:111], v[110:111], v[112:113], v[116:117]
	v_div_fixup_f64 v[100:101], v[110:111], v[100:101], 1.0
; %bb.359:
	s_or_b64 exec, exec, s[0:1]
	v_cmp_ne_u32_e32 vcc, v105, v102
	s_and_saveexec_b64 s[0:1], vcc
	s_xor_b64 s[0:1], exec, s[0:1]
	s_cbranch_execz .LBB94_365
; %bb.360:
	v_cmp_eq_u32_e32 vcc, 21, v105
	s_and_saveexec_b64 s[2:3], vcc
	s_cbranch_execz .LBB94_364
; %bb.361:
	v_cmp_ne_u32_e32 vcc, 21, v102
	s_xor_b64 s[14:15], s[6:7], -1
	s_and_b64 s[16:17], s[14:15], vcc
	s_and_saveexec_b64 s[14:15], s[16:17]
	s_cbranch_execz .LBB94_363
; %bb.362:
	v_ashrrev_i32_e32 v103, 31, v102
	v_lshlrev_b64 v[110:111], 2, v[102:103]
	v_add_co_u32_e32 v110, vcc, v4, v110
	v_addc_co_u32_e32 v111, vcc, v5, v111, vcc
	flat_load_dword v103, v[110:111]
	flat_load_dword v105, v[4:5] offset:84
	s_waitcnt vmcnt(0) lgkmcnt(0)
	flat_store_dword v[4:5], v103 offset:84
	flat_store_dword v[110:111], v105
.LBB94_363:
	s_or_b64 exec, exec, s[14:15]
	v_mov_b32_e32 v103, v102
	v_mov_b32_e32 v105, v102
.LBB94_364:
	s_or_b64 exec, exec, s[2:3]
.LBB94_365:
	s_andn2_saveexec_b64 s[0:1], s[0:1]
	s_cbranch_execz .LBB94_367
; %bb.366:
	v_mov_b32_e32 v110, v54
	v_mov_b32_e32 v111, v55
	v_mov_b32_e32 v112, v50
	v_mov_b32_e32 v113, v51
	ds_write2_b64 v104, v[110:111], v[112:113] offset0:22 offset1:23
	v_mov_b32_e32 v110, v48
	v_mov_b32_e32 v111, v49
	v_mov_b32_e32 v112, v46
	v_mov_b32_e32 v113, v47
	ds_write2_b64 v104, v[110:111], v[112:113] offset0:24 offset1:25
	;; [unrolled: 5-line block ×12, first 2 shown]
	v_mov_b32_e32 v110, v0
	v_mov_b32_e32 v111, v1
	;; [unrolled: 1-line block ×3, first 2 shown]
	ds_write2_b64 v104, v[110:111], v[98:99] offset0:46 offset1:47
.LBB94_367:
	s_or_b64 exec, exec, s[0:1]
	v_cmp_lt_i32_e32 vcc, 21, v105
	s_waitcnt lgkmcnt(0)
	s_barrier
	s_and_saveexec_b64 s[0:1], vcc
	s_cbranch_execz .LBB94_369
; %bb.368:
	ds_read2_b64 v[110:113], v104 offset0:22 offset1:23
	ds_read2_b64 v[114:117], v104 offset0:24 offset1:25
	v_mul_f64 v[52:53], v[100:101], v[52:53]
	ds_read2_b64 v[118:121], v104 offset0:26 offset1:27
	s_waitcnt lgkmcnt(0)
	v_fma_f64 v[54:55], -v[52:53], v[110:111], v[54:55]
	v_fma_f64 v[50:51], -v[52:53], v[112:113], v[50:51]
	ds_read2_b64 v[110:113], v104 offset0:28 offset1:29
	v_fma_f64 v[48:49], -v[52:53], v[114:115], v[48:49]
	v_fma_f64 v[46:47], -v[52:53], v[116:117], v[46:47]
	;; [unrolled: 1-line block ×3, first 2 shown]
	ds_read2_b64 v[114:117], v104 offset0:30 offset1:31
	v_fma_f64 v[42:43], -v[52:53], v[120:121], v[42:43]
	ds_read2_b64 v[118:121], v104 offset0:32 offset1:33
	s_waitcnt lgkmcnt(0)
	v_fma_f64 v[40:41], -v[52:53], v[110:111], v[40:41]
	v_fma_f64 v[38:39], -v[52:53], v[112:113], v[38:39]
	ds_read2_b64 v[110:113], v104 offset0:34 offset1:35
	v_fma_f64 v[36:37], -v[52:53], v[114:115], v[36:37]
	v_fma_f64 v[34:35], -v[52:53], v[116:117], v[34:35]
	ds_read2_b64 v[114:117], v104 offset0:36 offset1:37
	v_fma_f64 v[30:31], -v[52:53], v[118:119], v[30:31]
	v_fma_f64 v[32:33], -v[52:53], v[120:121], v[32:33]
	s_waitcnt lgkmcnt(0)
	v_fma_f64 v[28:29], -v[52:53], v[110:111], v[28:29]
	ds_read2_b64 v[118:121], v104 offset0:38 offset1:39
	v_fma_f64 v[26:27], -v[52:53], v[112:113], v[26:27]
	ds_read2_b64 v[110:113], v104 offset0:40 offset1:41
	v_fma_f64 v[24:25], -v[52:53], v[114:115], v[24:25]
	v_fma_f64 v[22:23], -v[52:53], v[116:117], v[22:23]
	s_waitcnt lgkmcnt(0)
	v_fma_f64 v[20:21], -v[52:53], v[118:119], v[20:21]
	v_fma_f64 v[18:19], -v[52:53], v[120:121], v[18:19]
	ds_read2_b64 v[114:117], v104 offset0:42 offset1:43
	ds_read2_b64 v[118:121], v104 offset0:44 offset1:45
	v_fma_f64 v[16:17], -v[52:53], v[110:111], v[16:17]
	v_fma_f64 v[14:15], -v[52:53], v[112:113], v[14:15]
	ds_read2_b64 v[110:113], v104 offset0:46 offset1:47
	s_waitcnt lgkmcnt(0)
	v_fma_f64 v[12:13], -v[52:53], v[114:115], v[12:13]
	v_fma_f64 v[8:9], -v[52:53], v[116:117], v[8:9]
	;; [unrolled: 1-line block ×6, first 2 shown]
.LBB94_369:
	s_or_b64 exec, exec, s[0:1]
	v_lshl_add_u32 v100, v105, 3, v104
	s_barrier
	ds_write_b64 v100, v[54:55]
	s_waitcnt lgkmcnt(0)
	s_barrier
	ds_read_b64 v[100:101], v104 offset:176
	s_cmp_lt_i32 s18, 24
	v_mov_b32_e32 v102, 22
	s_cbranch_scc1 .LBB94_372
; %bb.370:
	v_add_u32_e32 v109, 0xb8, v104
	s_mov_b32 s0, 23
	v_mov_b32_e32 v102, 22
.LBB94_371:                             ; =>This Inner Loop Header: Depth=1
	ds_read_b64 v[110:111], v109
	v_mov_b32_e32 v112, s0
	s_add_i32 s0, s0, 1
	v_add_u32_e32 v109, 8, v109
	s_cmp_lg_u32 s18, s0
	s_waitcnt lgkmcnt(0)
	v_cmp_lt_f64_e64 vcc, |v[100:101]|, |v[110:111]|
	v_cndmask_b32_e32 v101, v101, v111, vcc
	v_cndmask_b32_e32 v100, v100, v110, vcc
	;; [unrolled: 1-line block ×3, first 2 shown]
	s_cbranch_scc1 .LBB94_371
.LBB94_372:
	s_waitcnt lgkmcnt(0)
	v_cmp_eq_f64_e32 vcc, 0, v[100:101]
	s_and_saveexec_b64 s[0:1], vcc
	s_xor_b64 s[0:1], exec, s[0:1]
; %bb.373:
	v_cmp_ne_u32_e32 vcc, 0, v108
	v_cndmask_b32_e32 v108, 23, v108, vcc
; %bb.374:
	s_andn2_saveexec_b64 s[0:1], s[0:1]
; %bb.375:
	v_div_scale_f64 v[110:111], s[2:3], v[100:101], v[100:101], 1.0
	v_rcp_f64_e32 v[112:113], v[110:111]
	v_div_scale_f64 v[114:115], vcc, 1.0, v[100:101], 1.0
	v_fma_f64 v[116:117], -v[110:111], v[112:113], 1.0
	v_fmac_f64_e32 v[112:113], v[112:113], v[116:117]
	v_fma_f64 v[116:117], -v[110:111], v[112:113], 1.0
	v_fmac_f64_e32 v[112:113], v[112:113], v[116:117]
	v_mul_f64 v[116:117], v[114:115], v[112:113]
	v_fma_f64 v[110:111], -v[110:111], v[116:117], v[114:115]
	v_div_fmas_f64 v[110:111], v[110:111], v[112:113], v[116:117]
	v_div_fixup_f64 v[100:101], v[110:111], v[100:101], 1.0
; %bb.376:
	s_or_b64 exec, exec, s[0:1]
	v_cmp_ne_u32_e32 vcc, v105, v102
	s_and_saveexec_b64 s[0:1], vcc
	s_xor_b64 s[0:1], exec, s[0:1]
	s_cbranch_execz .LBB94_382
; %bb.377:
	v_cmp_eq_u32_e32 vcc, 22, v105
	s_and_saveexec_b64 s[2:3], vcc
	s_cbranch_execz .LBB94_381
; %bb.378:
	v_cmp_ne_u32_e32 vcc, 22, v102
	s_xor_b64 s[14:15], s[6:7], -1
	s_and_b64 s[16:17], s[14:15], vcc
	s_and_saveexec_b64 s[14:15], s[16:17]
	s_cbranch_execz .LBB94_380
; %bb.379:
	v_ashrrev_i32_e32 v103, 31, v102
	v_lshlrev_b64 v[110:111], 2, v[102:103]
	v_add_co_u32_e32 v110, vcc, v4, v110
	v_addc_co_u32_e32 v111, vcc, v5, v111, vcc
	flat_load_dword v103, v[110:111]
	flat_load_dword v105, v[4:5] offset:88
	s_waitcnt vmcnt(0) lgkmcnt(0)
	flat_store_dword v[4:5], v103 offset:88
	flat_store_dword v[110:111], v105
.LBB94_380:
	s_or_b64 exec, exec, s[14:15]
	v_mov_b32_e32 v103, v102
	v_mov_b32_e32 v105, v102
.LBB94_381:
	s_or_b64 exec, exec, s[2:3]
.LBB94_382:
	s_andn2_saveexec_b64 s[0:1], s[0:1]
	s_cbranch_execz .LBB94_384
; %bb.383:
	v_mov_b32_e32 v105, 22
	ds_write2_b64 v104, v[50:51], v[48:49] offset0:23 offset1:24
	ds_write2_b64 v104, v[46:47], v[44:45] offset0:25 offset1:26
	;; [unrolled: 1-line block ×12, first 2 shown]
	ds_write_b64 v104, v[98:99] offset:376
.LBB94_384:
	s_or_b64 exec, exec, s[0:1]
	v_cmp_lt_i32_e32 vcc, 22, v105
	s_waitcnt lgkmcnt(0)
	s_barrier
	s_and_saveexec_b64 s[0:1], vcc
	s_cbranch_execz .LBB94_386
; %bb.385:
	ds_read2_b64 v[110:113], v104 offset0:23 offset1:24
	ds_read2_b64 v[114:117], v104 offset0:25 offset1:26
	;; [unrolled: 1-line block ×3, first 2 shown]
	v_mul_f64 v[54:55], v[100:101], v[54:55]
	ds_read_b64 v[100:101], v104 offset:376
	s_waitcnt lgkmcnt(0)
	v_fma_f64 v[50:51], -v[54:55], v[110:111], v[50:51]
	v_fma_f64 v[48:49], -v[54:55], v[112:113], v[48:49]
	ds_read2_b64 v[110:113], v104 offset0:29 offset1:30
	v_fma_f64 v[46:47], -v[54:55], v[114:115], v[46:47]
	v_fma_f64 v[44:45], -v[54:55], v[116:117], v[44:45]
	;; [unrolled: 1-line block ×3, first 2 shown]
	ds_read2_b64 v[114:117], v104 offset0:31 offset1:32
	v_fma_f64 v[40:41], -v[54:55], v[120:121], v[40:41]
	ds_read2_b64 v[118:121], v104 offset0:33 offset1:34
	s_waitcnt lgkmcnt(0)
	v_fma_f64 v[38:39], -v[54:55], v[110:111], v[38:39]
	v_fma_f64 v[36:37], -v[54:55], v[112:113], v[36:37]
	;; [unrolled: 1-line block ×3, first 2 shown]
	ds_read2_b64 v[110:113], v104 offset0:35 offset1:36
	v_fma_f64 v[30:31], -v[54:55], v[116:117], v[30:31]
	ds_read2_b64 v[114:117], v104 offset0:37 offset1:38
	v_fma_f64 v[32:33], -v[54:55], v[118:119], v[32:33]
	v_fma_f64 v[28:29], -v[54:55], v[120:121], v[28:29]
	ds_read2_b64 v[118:121], v104 offset0:39 offset1:40
	s_waitcnt lgkmcnt(0)
	v_fma_f64 v[26:27], -v[54:55], v[110:111], v[26:27]
	v_fma_f64 v[24:25], -v[54:55], v[112:113], v[24:25]
	ds_read2_b64 v[110:113], v104 offset0:41 offset1:42
	v_fma_f64 v[22:23], -v[54:55], v[114:115], v[22:23]
	v_fma_f64 v[20:21], -v[54:55], v[116:117], v[20:21]
	;; [unrolled: 1-line block ×4, first 2 shown]
	ds_read2_b64 v[114:117], v104 offset0:43 offset1:44
	ds_read2_b64 v[118:121], v104 offset0:45 offset1:46
	s_waitcnt lgkmcnt(0)
	v_fma_f64 v[14:15], -v[54:55], v[110:111], v[14:15]
	v_fma_f64 v[12:13], -v[54:55], v[112:113], v[12:13]
	;; [unrolled: 1-line block ×7, first 2 shown]
.LBB94_386:
	s_or_b64 exec, exec, s[0:1]
	v_lshl_add_u32 v100, v105, 3, v104
	s_barrier
	ds_write_b64 v100, v[50:51]
	s_waitcnt lgkmcnt(0)
	s_barrier
	ds_read_b64 v[100:101], v104 offset:184
	s_cmp_lt_i32 s18, 25
	v_mov_b32_e32 v102, 23
	s_cbranch_scc1 .LBB94_389
; %bb.387:
	v_add_u32_e32 v109, 0xc0, v104
	s_mov_b32 s0, 24
	v_mov_b32_e32 v102, 23
.LBB94_388:                             ; =>This Inner Loop Header: Depth=1
	ds_read_b64 v[110:111], v109
	v_mov_b32_e32 v112, s0
	s_add_i32 s0, s0, 1
	v_add_u32_e32 v109, 8, v109
	s_cmp_lg_u32 s18, s0
	s_waitcnt lgkmcnt(0)
	v_cmp_lt_f64_e64 vcc, |v[100:101]|, |v[110:111]|
	v_cndmask_b32_e32 v101, v101, v111, vcc
	v_cndmask_b32_e32 v100, v100, v110, vcc
	;; [unrolled: 1-line block ×3, first 2 shown]
	s_cbranch_scc1 .LBB94_388
.LBB94_389:
	s_waitcnt lgkmcnt(0)
	v_cmp_eq_f64_e32 vcc, 0, v[100:101]
	s_and_saveexec_b64 s[0:1], vcc
	s_xor_b64 s[0:1], exec, s[0:1]
; %bb.390:
	v_cmp_ne_u32_e32 vcc, 0, v108
	v_cndmask_b32_e32 v108, 24, v108, vcc
; %bb.391:
	s_andn2_saveexec_b64 s[0:1], s[0:1]
; %bb.392:
	v_div_scale_f64 v[110:111], s[2:3], v[100:101], v[100:101], 1.0
	v_rcp_f64_e32 v[112:113], v[110:111]
	v_div_scale_f64 v[114:115], vcc, 1.0, v[100:101], 1.0
	v_fma_f64 v[116:117], -v[110:111], v[112:113], 1.0
	v_fmac_f64_e32 v[112:113], v[112:113], v[116:117]
	v_fma_f64 v[116:117], -v[110:111], v[112:113], 1.0
	v_fmac_f64_e32 v[112:113], v[112:113], v[116:117]
	v_mul_f64 v[116:117], v[114:115], v[112:113]
	v_fma_f64 v[110:111], -v[110:111], v[116:117], v[114:115]
	v_div_fmas_f64 v[110:111], v[110:111], v[112:113], v[116:117]
	v_div_fixup_f64 v[100:101], v[110:111], v[100:101], 1.0
; %bb.393:
	s_or_b64 exec, exec, s[0:1]
	v_cmp_ne_u32_e32 vcc, v105, v102
	s_and_saveexec_b64 s[0:1], vcc
	s_xor_b64 s[0:1], exec, s[0:1]
	s_cbranch_execz .LBB94_399
; %bb.394:
	v_cmp_eq_u32_e32 vcc, 23, v105
	s_and_saveexec_b64 s[2:3], vcc
	s_cbranch_execz .LBB94_398
; %bb.395:
	v_cmp_ne_u32_e32 vcc, 23, v102
	s_xor_b64 s[14:15], s[6:7], -1
	s_and_b64 s[16:17], s[14:15], vcc
	s_and_saveexec_b64 s[14:15], s[16:17]
	s_cbranch_execz .LBB94_397
; %bb.396:
	v_ashrrev_i32_e32 v103, 31, v102
	v_lshlrev_b64 v[110:111], 2, v[102:103]
	v_add_co_u32_e32 v110, vcc, v4, v110
	v_addc_co_u32_e32 v111, vcc, v5, v111, vcc
	flat_load_dword v103, v[110:111]
	flat_load_dword v105, v[4:5] offset:92
	s_waitcnt vmcnt(0) lgkmcnt(0)
	flat_store_dword v[4:5], v103 offset:92
	flat_store_dword v[110:111], v105
.LBB94_397:
	s_or_b64 exec, exec, s[14:15]
	v_mov_b32_e32 v103, v102
	v_mov_b32_e32 v105, v102
.LBB94_398:
	s_or_b64 exec, exec, s[2:3]
.LBB94_399:
	s_andn2_saveexec_b64 s[0:1], s[0:1]
	s_cbranch_execz .LBB94_401
; %bb.400:
	v_mov_b32_e32 v110, v48
	v_mov_b32_e32 v111, v49
	v_mov_b32_e32 v112, v46
	v_mov_b32_e32 v113, v47
	ds_write2_b64 v104, v[110:111], v[112:113] offset0:24 offset1:25
	v_mov_b32_e32 v110, v44
	v_mov_b32_e32 v111, v45
	v_mov_b32_e32 v112, v42
	v_mov_b32_e32 v113, v43
	ds_write2_b64 v104, v[110:111], v[112:113] offset0:26 offset1:27
	;; [unrolled: 5-line block ×11, first 2 shown]
	v_mov_b32_e32 v110, v0
	v_mov_b32_e32 v111, v1
	;; [unrolled: 1-line block ×3, first 2 shown]
	ds_write2_b64 v104, v[110:111], v[98:99] offset0:46 offset1:47
.LBB94_401:
	s_or_b64 exec, exec, s[0:1]
	v_cmp_lt_i32_e32 vcc, 23, v105
	s_waitcnt lgkmcnt(0)
	s_barrier
	s_and_saveexec_b64 s[0:1], vcc
	s_cbranch_execz .LBB94_403
; %bb.402:
	ds_read2_b64 v[110:113], v104 offset0:24 offset1:25
	ds_read2_b64 v[114:117], v104 offset0:26 offset1:27
	;; [unrolled: 1-line block ×3, first 2 shown]
	v_mul_f64 v[50:51], v[100:101], v[50:51]
	s_waitcnt lgkmcnt(0)
	v_fma_f64 v[48:49], -v[50:51], v[110:111], v[48:49]
	v_fma_f64 v[46:47], -v[50:51], v[112:113], v[46:47]
	ds_read2_b64 v[110:113], v104 offset0:30 offset1:31
	v_fma_f64 v[44:45], -v[50:51], v[114:115], v[44:45]
	v_fma_f64 v[42:43], -v[50:51], v[116:117], v[42:43]
	;; [unrolled: 1-line block ×3, first 2 shown]
	ds_read2_b64 v[114:117], v104 offset0:32 offset1:33
	v_fma_f64 v[38:39], -v[50:51], v[120:121], v[38:39]
	ds_read2_b64 v[118:121], v104 offset0:34 offset1:35
	s_waitcnt lgkmcnt(0)
	v_fma_f64 v[36:37], -v[50:51], v[110:111], v[36:37]
	v_fma_f64 v[34:35], -v[50:51], v[112:113], v[34:35]
	;; [unrolled: 1-line block ×3, first 2 shown]
	ds_read2_b64 v[110:113], v104 offset0:36 offset1:37
	v_fma_f64 v[32:33], -v[50:51], v[116:117], v[32:33]
	ds_read2_b64 v[114:117], v104 offset0:38 offset1:39
	v_fma_f64 v[28:29], -v[50:51], v[118:119], v[28:29]
	v_fma_f64 v[26:27], -v[50:51], v[120:121], v[26:27]
	ds_read2_b64 v[118:121], v104 offset0:40 offset1:41
	s_waitcnt lgkmcnt(0)
	v_fma_f64 v[24:25], -v[50:51], v[110:111], v[24:25]
	v_fma_f64 v[22:23], -v[50:51], v[112:113], v[22:23]
	ds_read2_b64 v[110:113], v104 offset0:42 offset1:43
	v_fma_f64 v[20:21], -v[50:51], v[114:115], v[20:21]
	v_fma_f64 v[18:19], -v[50:51], v[116:117], v[18:19]
	;; [unrolled: 1-line block ×3, first 2 shown]
	ds_read2_b64 v[114:117], v104 offset0:44 offset1:45
	v_fma_f64 v[14:15], -v[50:51], v[120:121], v[14:15]
	ds_read2_b64 v[118:121], v104 offset0:46 offset1:47
	s_waitcnt lgkmcnt(0)
	v_fma_f64 v[12:13], -v[50:51], v[110:111], v[12:13]
	v_fma_f64 v[8:9], -v[50:51], v[112:113], v[8:9]
	;; [unrolled: 1-line block ×6, first 2 shown]
.LBB94_403:
	s_or_b64 exec, exec, s[0:1]
	v_lshl_add_u32 v100, v105, 3, v104
	s_barrier
	ds_write_b64 v100, v[48:49]
	s_waitcnt lgkmcnt(0)
	s_barrier
	ds_read_b64 v[100:101], v104 offset:192
	s_cmp_lt_i32 s18, 26
	v_mov_b32_e32 v102, 24
	s_cbranch_scc1 .LBB94_406
; %bb.404:
	v_add_u32_e32 v109, 0xc8, v104
	s_mov_b32 s0, 25
	v_mov_b32_e32 v102, 24
.LBB94_405:                             ; =>This Inner Loop Header: Depth=1
	ds_read_b64 v[110:111], v109
	v_mov_b32_e32 v112, s0
	s_add_i32 s0, s0, 1
	v_add_u32_e32 v109, 8, v109
	s_cmp_lg_u32 s18, s0
	s_waitcnt lgkmcnt(0)
	v_cmp_lt_f64_e64 vcc, |v[100:101]|, |v[110:111]|
	v_cndmask_b32_e32 v101, v101, v111, vcc
	v_cndmask_b32_e32 v100, v100, v110, vcc
	;; [unrolled: 1-line block ×3, first 2 shown]
	s_cbranch_scc1 .LBB94_405
.LBB94_406:
	s_waitcnt lgkmcnt(0)
	v_cmp_eq_f64_e32 vcc, 0, v[100:101]
	s_and_saveexec_b64 s[0:1], vcc
	s_xor_b64 s[0:1], exec, s[0:1]
; %bb.407:
	v_cmp_ne_u32_e32 vcc, 0, v108
	v_cndmask_b32_e32 v108, 25, v108, vcc
; %bb.408:
	s_andn2_saveexec_b64 s[0:1], s[0:1]
; %bb.409:
	v_div_scale_f64 v[110:111], s[2:3], v[100:101], v[100:101], 1.0
	v_rcp_f64_e32 v[112:113], v[110:111]
	v_div_scale_f64 v[114:115], vcc, 1.0, v[100:101], 1.0
	v_fma_f64 v[116:117], -v[110:111], v[112:113], 1.0
	v_fmac_f64_e32 v[112:113], v[112:113], v[116:117]
	v_fma_f64 v[116:117], -v[110:111], v[112:113], 1.0
	v_fmac_f64_e32 v[112:113], v[112:113], v[116:117]
	v_mul_f64 v[116:117], v[114:115], v[112:113]
	v_fma_f64 v[110:111], -v[110:111], v[116:117], v[114:115]
	v_div_fmas_f64 v[110:111], v[110:111], v[112:113], v[116:117]
	v_div_fixup_f64 v[100:101], v[110:111], v[100:101], 1.0
; %bb.410:
	s_or_b64 exec, exec, s[0:1]
	v_cmp_ne_u32_e32 vcc, v105, v102
	s_and_saveexec_b64 s[0:1], vcc
	s_xor_b64 s[0:1], exec, s[0:1]
	s_cbranch_execz .LBB94_416
; %bb.411:
	v_cmp_eq_u32_e32 vcc, 24, v105
	s_and_saveexec_b64 s[2:3], vcc
	s_cbranch_execz .LBB94_415
; %bb.412:
	v_cmp_ne_u32_e32 vcc, 24, v102
	s_xor_b64 s[14:15], s[6:7], -1
	s_and_b64 s[16:17], s[14:15], vcc
	s_and_saveexec_b64 s[14:15], s[16:17]
	s_cbranch_execz .LBB94_414
; %bb.413:
	v_ashrrev_i32_e32 v103, 31, v102
	v_lshlrev_b64 v[110:111], 2, v[102:103]
	v_add_co_u32_e32 v110, vcc, v4, v110
	v_addc_co_u32_e32 v111, vcc, v5, v111, vcc
	flat_load_dword v103, v[110:111]
	flat_load_dword v105, v[4:5] offset:96
	s_waitcnt vmcnt(0) lgkmcnt(0)
	flat_store_dword v[4:5], v103 offset:96
	flat_store_dword v[110:111], v105
.LBB94_414:
	s_or_b64 exec, exec, s[14:15]
	v_mov_b32_e32 v103, v102
	v_mov_b32_e32 v105, v102
.LBB94_415:
	s_or_b64 exec, exec, s[2:3]
.LBB94_416:
	s_andn2_saveexec_b64 s[0:1], s[0:1]
	s_cbranch_execz .LBB94_418
; %bb.417:
	v_mov_b32_e32 v105, 24
	ds_write2_b64 v104, v[46:47], v[44:45] offset0:25 offset1:26
	ds_write2_b64 v104, v[42:43], v[40:41] offset0:27 offset1:28
	;; [unrolled: 1-line block ×11, first 2 shown]
	ds_write_b64 v104, v[98:99] offset:376
.LBB94_418:
	s_or_b64 exec, exec, s[0:1]
	v_cmp_lt_i32_e32 vcc, 24, v105
	s_waitcnt lgkmcnt(0)
	s_barrier
	s_and_saveexec_b64 s[0:1], vcc
	s_cbranch_execz .LBB94_420
; %bb.419:
	ds_read2_b64 v[110:113], v104 offset0:25 offset1:26
	ds_read2_b64 v[114:117], v104 offset0:27 offset1:28
	v_mul_f64 v[48:49], v[100:101], v[48:49]
	ds_read2_b64 v[118:121], v104 offset0:29 offset1:30
	ds_read_b64 v[100:101], v104 offset:376
	s_waitcnt lgkmcnt(0)
	v_fma_f64 v[46:47], -v[48:49], v[110:111], v[46:47]
	v_fma_f64 v[44:45], -v[48:49], v[112:113], v[44:45]
	ds_read2_b64 v[110:113], v104 offset0:31 offset1:32
	v_fma_f64 v[42:43], -v[48:49], v[114:115], v[42:43]
	v_fma_f64 v[40:41], -v[48:49], v[116:117], v[40:41]
	ds_read2_b64 v[114:117], v104 offset0:33 offset1:34
	;; [unrolled: 3-line block ×3, first 2 shown]
	s_waitcnt lgkmcnt(0)
	v_fma_f64 v[34:35], -v[48:49], v[110:111], v[34:35]
	v_fma_f64 v[30:31], -v[48:49], v[112:113], v[30:31]
	;; [unrolled: 1-line block ×3, first 2 shown]
	ds_read2_b64 v[110:113], v104 offset0:37 offset1:38
	v_fma_f64 v[28:29], -v[48:49], v[116:117], v[28:29]
	ds_read2_b64 v[114:117], v104 offset0:39 offset1:40
	v_fma_f64 v[26:27], -v[48:49], v[118:119], v[26:27]
	v_fma_f64 v[24:25], -v[48:49], v[120:121], v[24:25]
	s_waitcnt lgkmcnt(0)
	v_fma_f64 v[22:23], -v[48:49], v[110:111], v[22:23]
	ds_read2_b64 v[118:121], v104 offset0:41 offset1:42
	v_fma_f64 v[20:21], -v[48:49], v[112:113], v[20:21]
	ds_read2_b64 v[110:113], v104 offset0:43 offset1:44
	v_fma_f64 v[18:19], -v[48:49], v[114:115], v[18:19]
	v_fma_f64 v[16:17], -v[48:49], v[116:117], v[16:17]
	ds_read2_b64 v[114:117], v104 offset0:45 offset1:46
	s_waitcnt lgkmcnt(0)
	v_fma_f64 v[14:15], -v[48:49], v[118:119], v[14:15]
	v_fma_f64 v[12:13], -v[48:49], v[120:121], v[12:13]
	;; [unrolled: 1-line block ×7, first 2 shown]
.LBB94_420:
	s_or_b64 exec, exec, s[0:1]
	v_lshl_add_u32 v100, v105, 3, v104
	s_barrier
	ds_write_b64 v100, v[46:47]
	s_waitcnt lgkmcnt(0)
	s_barrier
	ds_read_b64 v[100:101], v104 offset:200
	s_cmp_lt_i32 s18, 27
	v_mov_b32_e32 v102, 25
	s_cbranch_scc1 .LBB94_423
; %bb.421:
	v_add_u32_e32 v109, 0xd0, v104
	s_mov_b32 s0, 26
	v_mov_b32_e32 v102, 25
.LBB94_422:                             ; =>This Inner Loop Header: Depth=1
	ds_read_b64 v[110:111], v109
	v_mov_b32_e32 v112, s0
	s_add_i32 s0, s0, 1
	v_add_u32_e32 v109, 8, v109
	s_cmp_lg_u32 s18, s0
	s_waitcnt lgkmcnt(0)
	v_cmp_lt_f64_e64 vcc, |v[100:101]|, |v[110:111]|
	v_cndmask_b32_e32 v101, v101, v111, vcc
	v_cndmask_b32_e32 v100, v100, v110, vcc
	;; [unrolled: 1-line block ×3, first 2 shown]
	s_cbranch_scc1 .LBB94_422
.LBB94_423:
	s_waitcnt lgkmcnt(0)
	v_cmp_eq_f64_e32 vcc, 0, v[100:101]
	s_and_saveexec_b64 s[0:1], vcc
	s_xor_b64 s[0:1], exec, s[0:1]
; %bb.424:
	v_cmp_ne_u32_e32 vcc, 0, v108
	v_cndmask_b32_e32 v108, 26, v108, vcc
; %bb.425:
	s_andn2_saveexec_b64 s[0:1], s[0:1]
; %bb.426:
	v_div_scale_f64 v[110:111], s[2:3], v[100:101], v[100:101], 1.0
	v_rcp_f64_e32 v[112:113], v[110:111]
	v_div_scale_f64 v[114:115], vcc, 1.0, v[100:101], 1.0
	v_fma_f64 v[116:117], -v[110:111], v[112:113], 1.0
	v_fmac_f64_e32 v[112:113], v[112:113], v[116:117]
	v_fma_f64 v[116:117], -v[110:111], v[112:113], 1.0
	v_fmac_f64_e32 v[112:113], v[112:113], v[116:117]
	v_mul_f64 v[116:117], v[114:115], v[112:113]
	v_fma_f64 v[110:111], -v[110:111], v[116:117], v[114:115]
	v_div_fmas_f64 v[110:111], v[110:111], v[112:113], v[116:117]
	v_div_fixup_f64 v[100:101], v[110:111], v[100:101], 1.0
; %bb.427:
	s_or_b64 exec, exec, s[0:1]
	v_cmp_ne_u32_e32 vcc, v105, v102
	s_and_saveexec_b64 s[0:1], vcc
	s_xor_b64 s[0:1], exec, s[0:1]
	s_cbranch_execz .LBB94_433
; %bb.428:
	v_cmp_eq_u32_e32 vcc, 25, v105
	s_and_saveexec_b64 s[2:3], vcc
	s_cbranch_execz .LBB94_432
; %bb.429:
	v_cmp_ne_u32_e32 vcc, 25, v102
	s_xor_b64 s[14:15], s[6:7], -1
	s_and_b64 s[16:17], s[14:15], vcc
	s_and_saveexec_b64 s[14:15], s[16:17]
	s_cbranch_execz .LBB94_431
; %bb.430:
	v_ashrrev_i32_e32 v103, 31, v102
	v_lshlrev_b64 v[110:111], 2, v[102:103]
	v_add_co_u32_e32 v110, vcc, v4, v110
	v_addc_co_u32_e32 v111, vcc, v5, v111, vcc
	flat_load_dword v103, v[110:111]
	flat_load_dword v105, v[4:5] offset:100
	s_waitcnt vmcnt(0) lgkmcnt(0)
	flat_store_dword v[4:5], v103 offset:100
	flat_store_dword v[110:111], v105
.LBB94_431:
	s_or_b64 exec, exec, s[14:15]
	v_mov_b32_e32 v103, v102
	v_mov_b32_e32 v105, v102
.LBB94_432:
	s_or_b64 exec, exec, s[2:3]
.LBB94_433:
	s_andn2_saveexec_b64 s[0:1], s[0:1]
	s_cbranch_execz .LBB94_435
; %bb.434:
	v_mov_b32_e32 v110, v44
	v_mov_b32_e32 v111, v45
	v_mov_b32_e32 v112, v42
	v_mov_b32_e32 v113, v43
	ds_write2_b64 v104, v[110:111], v[112:113] offset0:26 offset1:27
	v_mov_b32_e32 v110, v40
	v_mov_b32_e32 v111, v41
	v_mov_b32_e32 v112, v38
	v_mov_b32_e32 v113, v39
	ds_write2_b64 v104, v[110:111], v[112:113] offset0:28 offset1:29
	;; [unrolled: 5-line block ×10, first 2 shown]
	v_mov_b32_e32 v110, v0
	v_mov_b32_e32 v111, v1
	;; [unrolled: 1-line block ×3, first 2 shown]
	ds_write2_b64 v104, v[110:111], v[98:99] offset0:46 offset1:47
.LBB94_435:
	s_or_b64 exec, exec, s[0:1]
	v_cmp_lt_i32_e32 vcc, 25, v105
	s_waitcnt lgkmcnt(0)
	s_barrier
	s_and_saveexec_b64 s[0:1], vcc
	s_cbranch_execz .LBB94_437
; %bb.436:
	ds_read2_b64 v[110:113], v104 offset0:26 offset1:27
	ds_read2_b64 v[114:117], v104 offset0:28 offset1:29
	v_mul_f64 v[46:47], v[100:101], v[46:47]
	ds_read2_b64 v[118:121], v104 offset0:30 offset1:31
	s_waitcnt lgkmcnt(0)
	v_fma_f64 v[44:45], -v[46:47], v[110:111], v[44:45]
	v_fma_f64 v[42:43], -v[46:47], v[112:113], v[42:43]
	ds_read2_b64 v[110:113], v104 offset0:32 offset1:33
	v_fma_f64 v[40:41], -v[46:47], v[114:115], v[40:41]
	v_fma_f64 v[38:39], -v[46:47], v[116:117], v[38:39]
	ds_read2_b64 v[114:117], v104 offset0:34 offset1:35
	v_fma_f64 v[36:37], -v[46:47], v[118:119], v[36:37]
	v_fma_f64 v[34:35], -v[46:47], v[120:121], v[34:35]
	ds_read2_b64 v[118:121], v104 offset0:36 offset1:37
	s_waitcnt lgkmcnt(0)
	v_fma_f64 v[30:31], -v[46:47], v[110:111], v[30:31]
	v_fma_f64 v[32:33], -v[46:47], v[112:113], v[32:33]
	;; [unrolled: 1-line block ×3, first 2 shown]
	ds_read2_b64 v[110:113], v104 offset0:38 offset1:39
	v_fma_f64 v[26:27], -v[46:47], v[116:117], v[26:27]
	ds_read2_b64 v[114:117], v104 offset0:40 offset1:41
	v_fma_f64 v[24:25], -v[46:47], v[118:119], v[24:25]
	v_fma_f64 v[22:23], -v[46:47], v[120:121], v[22:23]
	s_waitcnt lgkmcnt(0)
	v_fma_f64 v[20:21], -v[46:47], v[110:111], v[20:21]
	v_fma_f64 v[18:19], -v[46:47], v[112:113], v[18:19]
	ds_read2_b64 v[110:113], v104 offset0:42 offset1:43
	ds_read2_b64 v[118:121], v104 offset0:44 offset1:45
	v_fma_f64 v[16:17], -v[46:47], v[114:115], v[16:17]
	v_fma_f64 v[14:15], -v[46:47], v[116:117], v[14:15]
	ds_read2_b64 v[114:117], v104 offset0:46 offset1:47
	s_waitcnt lgkmcnt(0)
	v_fma_f64 v[12:13], -v[46:47], v[110:111], v[12:13]
	v_fma_f64 v[8:9], -v[46:47], v[112:113], v[8:9]
	;; [unrolled: 1-line block ×6, first 2 shown]
.LBB94_437:
	s_or_b64 exec, exec, s[0:1]
	v_lshl_add_u32 v100, v105, 3, v104
	s_barrier
	ds_write_b64 v100, v[44:45]
	s_waitcnt lgkmcnt(0)
	s_barrier
	ds_read_b64 v[100:101], v104 offset:208
	s_cmp_lt_i32 s18, 28
	v_mov_b32_e32 v102, 26
	s_cbranch_scc1 .LBB94_440
; %bb.438:
	v_add_u32_e32 v109, 0xd8, v104
	s_mov_b32 s0, 27
	v_mov_b32_e32 v102, 26
.LBB94_439:                             ; =>This Inner Loop Header: Depth=1
	ds_read_b64 v[110:111], v109
	v_mov_b32_e32 v112, s0
	s_add_i32 s0, s0, 1
	v_add_u32_e32 v109, 8, v109
	s_cmp_lg_u32 s18, s0
	s_waitcnt lgkmcnt(0)
	v_cmp_lt_f64_e64 vcc, |v[100:101]|, |v[110:111]|
	v_cndmask_b32_e32 v101, v101, v111, vcc
	v_cndmask_b32_e32 v100, v100, v110, vcc
	;; [unrolled: 1-line block ×3, first 2 shown]
	s_cbranch_scc1 .LBB94_439
.LBB94_440:
	s_waitcnt lgkmcnt(0)
	v_cmp_eq_f64_e32 vcc, 0, v[100:101]
	s_and_saveexec_b64 s[0:1], vcc
	s_xor_b64 s[0:1], exec, s[0:1]
; %bb.441:
	v_cmp_ne_u32_e32 vcc, 0, v108
	v_cndmask_b32_e32 v108, 27, v108, vcc
; %bb.442:
	s_andn2_saveexec_b64 s[0:1], s[0:1]
; %bb.443:
	v_div_scale_f64 v[110:111], s[2:3], v[100:101], v[100:101], 1.0
	v_rcp_f64_e32 v[112:113], v[110:111]
	v_div_scale_f64 v[114:115], vcc, 1.0, v[100:101], 1.0
	v_fma_f64 v[116:117], -v[110:111], v[112:113], 1.0
	v_fmac_f64_e32 v[112:113], v[112:113], v[116:117]
	v_fma_f64 v[116:117], -v[110:111], v[112:113], 1.0
	v_fmac_f64_e32 v[112:113], v[112:113], v[116:117]
	v_mul_f64 v[116:117], v[114:115], v[112:113]
	v_fma_f64 v[110:111], -v[110:111], v[116:117], v[114:115]
	v_div_fmas_f64 v[110:111], v[110:111], v[112:113], v[116:117]
	v_div_fixup_f64 v[100:101], v[110:111], v[100:101], 1.0
; %bb.444:
	s_or_b64 exec, exec, s[0:1]
	v_cmp_ne_u32_e32 vcc, v105, v102
	s_and_saveexec_b64 s[0:1], vcc
	s_xor_b64 s[0:1], exec, s[0:1]
	s_cbranch_execz .LBB94_450
; %bb.445:
	v_cmp_eq_u32_e32 vcc, 26, v105
	s_and_saveexec_b64 s[2:3], vcc
	s_cbranch_execz .LBB94_449
; %bb.446:
	v_cmp_ne_u32_e32 vcc, 26, v102
	s_xor_b64 s[14:15], s[6:7], -1
	s_and_b64 s[16:17], s[14:15], vcc
	s_and_saveexec_b64 s[14:15], s[16:17]
	s_cbranch_execz .LBB94_448
; %bb.447:
	v_ashrrev_i32_e32 v103, 31, v102
	v_lshlrev_b64 v[110:111], 2, v[102:103]
	v_add_co_u32_e32 v110, vcc, v4, v110
	v_addc_co_u32_e32 v111, vcc, v5, v111, vcc
	flat_load_dword v103, v[110:111]
	flat_load_dword v105, v[4:5] offset:104
	s_waitcnt vmcnt(0) lgkmcnt(0)
	flat_store_dword v[4:5], v103 offset:104
	flat_store_dword v[110:111], v105
.LBB94_448:
	s_or_b64 exec, exec, s[14:15]
	v_mov_b32_e32 v103, v102
	v_mov_b32_e32 v105, v102
.LBB94_449:
	s_or_b64 exec, exec, s[2:3]
.LBB94_450:
	s_andn2_saveexec_b64 s[0:1], s[0:1]
	s_cbranch_execz .LBB94_452
; %bb.451:
	v_mov_b32_e32 v105, 26
	ds_write2_b64 v104, v[42:43], v[40:41] offset0:27 offset1:28
	ds_write2_b64 v104, v[38:39], v[36:37] offset0:29 offset1:30
	;; [unrolled: 1-line block ×10, first 2 shown]
	ds_write_b64 v104, v[98:99] offset:376
.LBB94_452:
	s_or_b64 exec, exec, s[0:1]
	v_cmp_lt_i32_e32 vcc, 26, v105
	s_waitcnt lgkmcnt(0)
	s_barrier
	s_and_saveexec_b64 s[0:1], vcc
	s_cbranch_execz .LBB94_454
; %bb.453:
	ds_read2_b64 v[110:113], v104 offset0:27 offset1:28
	ds_read2_b64 v[114:117], v104 offset0:29 offset1:30
	v_mul_f64 v[44:45], v[100:101], v[44:45]
	ds_read2_b64 v[118:121], v104 offset0:31 offset1:32
	ds_read_b64 v[100:101], v104 offset:376
	s_waitcnt lgkmcnt(0)
	v_fma_f64 v[42:43], -v[44:45], v[110:111], v[42:43]
	v_fma_f64 v[40:41], -v[44:45], v[112:113], v[40:41]
	ds_read2_b64 v[110:113], v104 offset0:33 offset1:34
	v_fma_f64 v[38:39], -v[44:45], v[114:115], v[38:39]
	v_fma_f64 v[36:37], -v[44:45], v[116:117], v[36:37]
	;; [unrolled: 1-line block ×3, first 2 shown]
	ds_read2_b64 v[114:117], v104 offset0:35 offset1:36
	v_fma_f64 v[30:31], -v[44:45], v[120:121], v[30:31]
	ds_read2_b64 v[118:121], v104 offset0:37 offset1:38
	s_waitcnt lgkmcnt(0)
	v_fma_f64 v[32:33], -v[44:45], v[110:111], v[32:33]
	v_fma_f64 v[28:29], -v[44:45], v[112:113], v[28:29]
	ds_read2_b64 v[110:113], v104 offset0:39 offset1:40
	v_fma_f64 v[26:27], -v[44:45], v[114:115], v[26:27]
	v_fma_f64 v[24:25], -v[44:45], v[116:117], v[24:25]
	ds_read2_b64 v[114:117], v104 offset0:41 offset1:42
	v_fma_f64 v[22:23], -v[44:45], v[118:119], v[22:23]
	v_fma_f64 v[20:21], -v[44:45], v[120:121], v[20:21]
	s_waitcnt lgkmcnt(0)
	v_fma_f64 v[18:19], -v[44:45], v[110:111], v[18:19]
	v_fma_f64 v[16:17], -v[44:45], v[112:113], v[16:17]
	ds_read2_b64 v[110:113], v104 offset0:43 offset1:44
	ds_read2_b64 v[118:121], v104 offset0:45 offset1:46
	v_fma_f64 v[14:15], -v[44:45], v[114:115], v[14:15]
	v_fma_f64 v[12:13], -v[44:45], v[116:117], v[12:13]
	;; [unrolled: 1-line block ×3, first 2 shown]
	s_waitcnt lgkmcnt(0)
	v_fma_f64 v[8:9], -v[44:45], v[110:111], v[8:9]
	v_fma_f64 v[10:11], -v[44:45], v[112:113], v[10:11]
	v_fma_f64 v[6:7], -v[44:45], v[118:119], v[6:7]
	v_fma_f64 v[0:1], -v[44:45], v[120:121], v[0:1]
.LBB94_454:
	s_or_b64 exec, exec, s[0:1]
	v_lshl_add_u32 v100, v105, 3, v104
	s_barrier
	ds_write_b64 v100, v[42:43]
	s_waitcnt lgkmcnt(0)
	s_barrier
	ds_read_b64 v[100:101], v104 offset:216
	s_cmp_lt_i32 s18, 29
	v_mov_b32_e32 v102, 27
	s_cbranch_scc1 .LBB94_457
; %bb.455:
	v_add_u32_e32 v109, 0xe0, v104
	s_mov_b32 s0, 28
	v_mov_b32_e32 v102, 27
.LBB94_456:                             ; =>This Inner Loop Header: Depth=1
	ds_read_b64 v[110:111], v109
	v_mov_b32_e32 v112, s0
	s_add_i32 s0, s0, 1
	v_add_u32_e32 v109, 8, v109
	s_cmp_lg_u32 s18, s0
	s_waitcnt lgkmcnt(0)
	v_cmp_lt_f64_e64 vcc, |v[100:101]|, |v[110:111]|
	v_cndmask_b32_e32 v101, v101, v111, vcc
	v_cndmask_b32_e32 v100, v100, v110, vcc
	;; [unrolled: 1-line block ×3, first 2 shown]
	s_cbranch_scc1 .LBB94_456
.LBB94_457:
	s_waitcnt lgkmcnt(0)
	v_cmp_eq_f64_e32 vcc, 0, v[100:101]
	s_and_saveexec_b64 s[0:1], vcc
	s_xor_b64 s[0:1], exec, s[0:1]
; %bb.458:
	v_cmp_ne_u32_e32 vcc, 0, v108
	v_cndmask_b32_e32 v108, 28, v108, vcc
; %bb.459:
	s_andn2_saveexec_b64 s[0:1], s[0:1]
; %bb.460:
	v_div_scale_f64 v[110:111], s[2:3], v[100:101], v[100:101], 1.0
	v_rcp_f64_e32 v[112:113], v[110:111]
	v_div_scale_f64 v[114:115], vcc, 1.0, v[100:101], 1.0
	v_fma_f64 v[116:117], -v[110:111], v[112:113], 1.0
	v_fmac_f64_e32 v[112:113], v[112:113], v[116:117]
	v_fma_f64 v[116:117], -v[110:111], v[112:113], 1.0
	v_fmac_f64_e32 v[112:113], v[112:113], v[116:117]
	v_mul_f64 v[116:117], v[114:115], v[112:113]
	v_fma_f64 v[110:111], -v[110:111], v[116:117], v[114:115]
	v_div_fmas_f64 v[110:111], v[110:111], v[112:113], v[116:117]
	v_div_fixup_f64 v[100:101], v[110:111], v[100:101], 1.0
; %bb.461:
	s_or_b64 exec, exec, s[0:1]
	v_cmp_ne_u32_e32 vcc, v105, v102
	s_and_saveexec_b64 s[0:1], vcc
	s_xor_b64 s[0:1], exec, s[0:1]
	s_cbranch_execz .LBB94_467
; %bb.462:
	v_cmp_eq_u32_e32 vcc, 27, v105
	s_and_saveexec_b64 s[2:3], vcc
	s_cbranch_execz .LBB94_466
; %bb.463:
	v_cmp_ne_u32_e32 vcc, 27, v102
	s_xor_b64 s[14:15], s[6:7], -1
	s_and_b64 s[16:17], s[14:15], vcc
	s_and_saveexec_b64 s[14:15], s[16:17]
	s_cbranch_execz .LBB94_465
; %bb.464:
	v_ashrrev_i32_e32 v103, 31, v102
	v_lshlrev_b64 v[110:111], 2, v[102:103]
	v_add_co_u32_e32 v110, vcc, v4, v110
	v_addc_co_u32_e32 v111, vcc, v5, v111, vcc
	flat_load_dword v103, v[110:111]
	flat_load_dword v105, v[4:5] offset:108
	s_waitcnt vmcnt(0) lgkmcnt(0)
	flat_store_dword v[4:5], v103 offset:108
	flat_store_dword v[110:111], v105
.LBB94_465:
	s_or_b64 exec, exec, s[14:15]
	v_mov_b32_e32 v103, v102
	v_mov_b32_e32 v105, v102
.LBB94_466:
	s_or_b64 exec, exec, s[2:3]
.LBB94_467:
	s_andn2_saveexec_b64 s[0:1], s[0:1]
	s_cbranch_execz .LBB94_469
; %bb.468:
	v_mov_b32_e32 v110, v40
	v_mov_b32_e32 v111, v41
	v_mov_b32_e32 v112, v38
	v_mov_b32_e32 v113, v39
	ds_write2_b64 v104, v[110:111], v[112:113] offset0:28 offset1:29
	v_mov_b32_e32 v110, v36
	v_mov_b32_e32 v111, v37
	v_mov_b32_e32 v112, v34
	v_mov_b32_e32 v113, v35
	ds_write2_b64 v104, v[110:111], v[112:113] offset0:30 offset1:31
	;; [unrolled: 5-line block ×9, first 2 shown]
	v_mov_b32_e32 v110, v0
	v_mov_b32_e32 v111, v1
	;; [unrolled: 1-line block ×3, first 2 shown]
	ds_write2_b64 v104, v[110:111], v[98:99] offset0:46 offset1:47
.LBB94_469:
	s_or_b64 exec, exec, s[0:1]
	v_cmp_lt_i32_e32 vcc, 27, v105
	s_waitcnt lgkmcnt(0)
	s_barrier
	s_and_saveexec_b64 s[0:1], vcc
	s_cbranch_execz .LBB94_471
; %bb.470:
	ds_read2_b64 v[110:113], v104 offset0:28 offset1:29
	ds_read2_b64 v[114:117], v104 offset0:30 offset1:31
	v_mul_f64 v[42:43], v[100:101], v[42:43]
	ds_read2_b64 v[118:121], v104 offset0:32 offset1:33
	s_waitcnt lgkmcnt(0)
	v_fma_f64 v[40:41], -v[42:43], v[110:111], v[40:41]
	v_fma_f64 v[38:39], -v[42:43], v[112:113], v[38:39]
	ds_read2_b64 v[110:113], v104 offset0:34 offset1:35
	v_fma_f64 v[36:37], -v[42:43], v[114:115], v[36:37]
	v_fma_f64 v[34:35], -v[42:43], v[116:117], v[34:35]
	;; [unrolled: 1-line block ×3, first 2 shown]
	ds_read2_b64 v[114:117], v104 offset0:36 offset1:37
	v_fma_f64 v[32:33], -v[42:43], v[120:121], v[32:33]
	ds_read2_b64 v[118:121], v104 offset0:38 offset1:39
	s_waitcnt lgkmcnt(0)
	v_fma_f64 v[28:29], -v[42:43], v[110:111], v[28:29]
	v_fma_f64 v[26:27], -v[42:43], v[112:113], v[26:27]
	ds_read2_b64 v[110:113], v104 offset0:40 offset1:41
	v_fma_f64 v[24:25], -v[42:43], v[114:115], v[24:25]
	v_fma_f64 v[22:23], -v[42:43], v[116:117], v[22:23]
	ds_read2_b64 v[114:117], v104 offset0:42 offset1:43
	v_fma_f64 v[20:21], -v[42:43], v[118:119], v[20:21]
	v_fma_f64 v[18:19], -v[42:43], v[120:121], v[18:19]
	s_waitcnt lgkmcnt(0)
	v_fma_f64 v[16:17], -v[42:43], v[110:111], v[16:17]
	ds_read2_b64 v[118:121], v104 offset0:44 offset1:45
	v_fma_f64 v[14:15], -v[42:43], v[112:113], v[14:15]
	ds_read2_b64 v[110:113], v104 offset0:46 offset1:47
	v_fma_f64 v[12:13], -v[42:43], v[114:115], v[12:13]
	v_fma_f64 v[8:9], -v[42:43], v[116:117], v[8:9]
	s_waitcnt lgkmcnt(0)
	v_fma_f64 v[10:11], -v[42:43], v[118:119], v[10:11]
	v_fma_f64 v[6:7], -v[42:43], v[120:121], v[6:7]
	v_fma_f64 v[0:1], -v[42:43], v[110:111], v[0:1]
	v_fma_f64 v[98:99], -v[42:43], v[112:113], v[98:99]
.LBB94_471:
	s_or_b64 exec, exec, s[0:1]
	v_lshl_add_u32 v100, v105, 3, v104
	s_barrier
	ds_write_b64 v100, v[40:41]
	s_waitcnt lgkmcnt(0)
	s_barrier
	ds_read_b64 v[100:101], v104 offset:224
	s_cmp_lt_i32 s18, 30
	v_mov_b32_e32 v102, 28
	s_cbranch_scc1 .LBB94_474
; %bb.472:
	v_add_u32_e32 v109, 0xe8, v104
	s_mov_b32 s0, 29
	v_mov_b32_e32 v102, 28
.LBB94_473:                             ; =>This Inner Loop Header: Depth=1
	ds_read_b64 v[110:111], v109
	v_mov_b32_e32 v112, s0
	s_add_i32 s0, s0, 1
	v_add_u32_e32 v109, 8, v109
	s_cmp_lg_u32 s18, s0
	s_waitcnt lgkmcnt(0)
	v_cmp_lt_f64_e64 vcc, |v[100:101]|, |v[110:111]|
	v_cndmask_b32_e32 v101, v101, v111, vcc
	v_cndmask_b32_e32 v100, v100, v110, vcc
	;; [unrolled: 1-line block ×3, first 2 shown]
	s_cbranch_scc1 .LBB94_473
.LBB94_474:
	s_waitcnt lgkmcnt(0)
	v_cmp_eq_f64_e32 vcc, 0, v[100:101]
	s_and_saveexec_b64 s[0:1], vcc
	s_xor_b64 s[0:1], exec, s[0:1]
; %bb.475:
	v_cmp_ne_u32_e32 vcc, 0, v108
	v_cndmask_b32_e32 v108, 29, v108, vcc
; %bb.476:
	s_andn2_saveexec_b64 s[0:1], s[0:1]
; %bb.477:
	v_div_scale_f64 v[110:111], s[2:3], v[100:101], v[100:101], 1.0
	v_rcp_f64_e32 v[112:113], v[110:111]
	v_div_scale_f64 v[114:115], vcc, 1.0, v[100:101], 1.0
	v_fma_f64 v[116:117], -v[110:111], v[112:113], 1.0
	v_fmac_f64_e32 v[112:113], v[112:113], v[116:117]
	v_fma_f64 v[116:117], -v[110:111], v[112:113], 1.0
	v_fmac_f64_e32 v[112:113], v[112:113], v[116:117]
	v_mul_f64 v[116:117], v[114:115], v[112:113]
	v_fma_f64 v[110:111], -v[110:111], v[116:117], v[114:115]
	v_div_fmas_f64 v[110:111], v[110:111], v[112:113], v[116:117]
	v_div_fixup_f64 v[100:101], v[110:111], v[100:101], 1.0
; %bb.478:
	s_or_b64 exec, exec, s[0:1]
	v_cmp_ne_u32_e32 vcc, v105, v102
	s_and_saveexec_b64 s[0:1], vcc
	s_xor_b64 s[0:1], exec, s[0:1]
	s_cbranch_execz .LBB94_484
; %bb.479:
	v_cmp_eq_u32_e32 vcc, 28, v105
	s_and_saveexec_b64 s[2:3], vcc
	s_cbranch_execz .LBB94_483
; %bb.480:
	v_cmp_ne_u32_e32 vcc, 28, v102
	s_xor_b64 s[14:15], s[6:7], -1
	s_and_b64 s[16:17], s[14:15], vcc
	s_and_saveexec_b64 s[14:15], s[16:17]
	s_cbranch_execz .LBB94_482
; %bb.481:
	v_ashrrev_i32_e32 v103, 31, v102
	v_lshlrev_b64 v[110:111], 2, v[102:103]
	v_add_co_u32_e32 v110, vcc, v4, v110
	v_addc_co_u32_e32 v111, vcc, v5, v111, vcc
	flat_load_dword v103, v[110:111]
	flat_load_dword v105, v[4:5] offset:112
	s_waitcnt vmcnt(0) lgkmcnt(0)
	flat_store_dword v[4:5], v103 offset:112
	flat_store_dword v[110:111], v105
.LBB94_482:
	s_or_b64 exec, exec, s[14:15]
	v_mov_b32_e32 v103, v102
	v_mov_b32_e32 v105, v102
.LBB94_483:
	s_or_b64 exec, exec, s[2:3]
.LBB94_484:
	s_andn2_saveexec_b64 s[0:1], s[0:1]
	s_cbranch_execz .LBB94_486
; %bb.485:
	v_mov_b32_e32 v105, 28
	ds_write2_b64 v104, v[38:39], v[36:37] offset0:29 offset1:30
	ds_write2_b64 v104, v[34:35], v[30:31] offset0:31 offset1:32
	;; [unrolled: 1-line block ×9, first 2 shown]
	ds_write_b64 v104, v[98:99] offset:376
.LBB94_486:
	s_or_b64 exec, exec, s[0:1]
	v_cmp_lt_i32_e32 vcc, 28, v105
	s_waitcnt lgkmcnt(0)
	s_barrier
	s_and_saveexec_b64 s[0:1], vcc
	s_cbranch_execz .LBB94_488
; %bb.487:
	ds_read2_b64 v[110:113], v104 offset0:29 offset1:30
	ds_read2_b64 v[114:117], v104 offset0:31 offset1:32
	;; [unrolled: 1-line block ×3, first 2 shown]
	v_mul_f64 v[40:41], v[100:101], v[40:41]
	ds_read_b64 v[100:101], v104 offset:376
	s_waitcnt lgkmcnt(0)
	v_fma_f64 v[38:39], -v[40:41], v[110:111], v[38:39]
	v_fma_f64 v[36:37], -v[40:41], v[112:113], v[36:37]
	ds_read2_b64 v[110:113], v104 offset0:35 offset1:36
	v_fma_f64 v[34:35], -v[40:41], v[114:115], v[34:35]
	v_fma_f64 v[30:31], -v[40:41], v[116:117], v[30:31]
	;; [unrolled: 1-line block ×3, first 2 shown]
	ds_read2_b64 v[114:117], v104 offset0:37 offset1:38
	v_fma_f64 v[28:29], -v[40:41], v[120:121], v[28:29]
	ds_read2_b64 v[118:121], v104 offset0:39 offset1:40
	s_waitcnt lgkmcnt(0)
	v_fma_f64 v[26:27], -v[40:41], v[110:111], v[26:27]
	v_fma_f64 v[24:25], -v[40:41], v[112:113], v[24:25]
	;; [unrolled: 1-line block ×3, first 2 shown]
	ds_read2_b64 v[110:113], v104 offset0:41 offset1:42
	v_fma_f64 v[20:21], -v[40:41], v[116:117], v[20:21]
	ds_read2_b64 v[114:117], v104 offset0:43 offset1:44
	v_fma_f64 v[18:19], -v[40:41], v[118:119], v[18:19]
	v_fma_f64 v[16:17], -v[40:41], v[120:121], v[16:17]
	ds_read2_b64 v[118:121], v104 offset0:45 offset1:46
	s_waitcnt lgkmcnt(0)
	v_fma_f64 v[14:15], -v[40:41], v[110:111], v[14:15]
	v_fma_f64 v[12:13], -v[40:41], v[112:113], v[12:13]
	;; [unrolled: 1-line block ×7, first 2 shown]
.LBB94_488:
	s_or_b64 exec, exec, s[0:1]
	v_lshl_add_u32 v100, v105, 3, v104
	s_barrier
	ds_write_b64 v100, v[38:39]
	s_waitcnt lgkmcnt(0)
	s_barrier
	ds_read_b64 v[100:101], v104 offset:232
	s_cmp_lt_i32 s18, 31
	v_mov_b32_e32 v102, 29
	s_cbranch_scc1 .LBB94_491
; %bb.489:
	v_add_u32_e32 v109, 0xf0, v104
	s_mov_b32 s0, 30
	v_mov_b32_e32 v102, 29
.LBB94_490:                             ; =>This Inner Loop Header: Depth=1
	ds_read_b64 v[110:111], v109
	v_mov_b32_e32 v112, s0
	s_add_i32 s0, s0, 1
	v_add_u32_e32 v109, 8, v109
	s_cmp_lg_u32 s18, s0
	s_waitcnt lgkmcnt(0)
	v_cmp_lt_f64_e64 vcc, |v[100:101]|, |v[110:111]|
	v_cndmask_b32_e32 v101, v101, v111, vcc
	v_cndmask_b32_e32 v100, v100, v110, vcc
	;; [unrolled: 1-line block ×3, first 2 shown]
	s_cbranch_scc1 .LBB94_490
.LBB94_491:
	s_waitcnt lgkmcnt(0)
	v_cmp_eq_f64_e32 vcc, 0, v[100:101]
	s_and_saveexec_b64 s[0:1], vcc
	s_xor_b64 s[0:1], exec, s[0:1]
; %bb.492:
	v_cmp_ne_u32_e32 vcc, 0, v108
	v_cndmask_b32_e32 v108, 30, v108, vcc
; %bb.493:
	s_andn2_saveexec_b64 s[0:1], s[0:1]
; %bb.494:
	v_div_scale_f64 v[110:111], s[2:3], v[100:101], v[100:101], 1.0
	v_rcp_f64_e32 v[112:113], v[110:111]
	v_div_scale_f64 v[114:115], vcc, 1.0, v[100:101], 1.0
	v_fma_f64 v[116:117], -v[110:111], v[112:113], 1.0
	v_fmac_f64_e32 v[112:113], v[112:113], v[116:117]
	v_fma_f64 v[116:117], -v[110:111], v[112:113], 1.0
	v_fmac_f64_e32 v[112:113], v[112:113], v[116:117]
	v_mul_f64 v[116:117], v[114:115], v[112:113]
	v_fma_f64 v[110:111], -v[110:111], v[116:117], v[114:115]
	v_div_fmas_f64 v[110:111], v[110:111], v[112:113], v[116:117]
	v_div_fixup_f64 v[100:101], v[110:111], v[100:101], 1.0
; %bb.495:
	s_or_b64 exec, exec, s[0:1]
	v_cmp_ne_u32_e32 vcc, v105, v102
	s_and_saveexec_b64 s[0:1], vcc
	s_xor_b64 s[0:1], exec, s[0:1]
	s_cbranch_execz .LBB94_501
; %bb.496:
	v_cmp_eq_u32_e32 vcc, 29, v105
	s_and_saveexec_b64 s[2:3], vcc
	s_cbranch_execz .LBB94_500
; %bb.497:
	v_cmp_ne_u32_e32 vcc, 29, v102
	s_xor_b64 s[14:15], s[6:7], -1
	s_and_b64 s[16:17], s[14:15], vcc
	s_and_saveexec_b64 s[14:15], s[16:17]
	s_cbranch_execz .LBB94_499
; %bb.498:
	v_ashrrev_i32_e32 v103, 31, v102
	v_lshlrev_b64 v[110:111], 2, v[102:103]
	v_add_co_u32_e32 v110, vcc, v4, v110
	v_addc_co_u32_e32 v111, vcc, v5, v111, vcc
	flat_load_dword v103, v[110:111]
	flat_load_dword v105, v[4:5] offset:116
	s_waitcnt vmcnt(0) lgkmcnt(0)
	flat_store_dword v[4:5], v103 offset:116
	flat_store_dword v[110:111], v105
.LBB94_499:
	s_or_b64 exec, exec, s[14:15]
	v_mov_b32_e32 v103, v102
	v_mov_b32_e32 v105, v102
.LBB94_500:
	s_or_b64 exec, exec, s[2:3]
.LBB94_501:
	s_andn2_saveexec_b64 s[0:1], s[0:1]
	s_cbranch_execz .LBB94_503
; %bb.502:
	v_mov_b32_e32 v110, v36
	v_mov_b32_e32 v111, v37
	v_mov_b32_e32 v112, v34
	v_mov_b32_e32 v113, v35
	ds_write2_b64 v104, v[110:111], v[112:113] offset0:30 offset1:31
	v_mov_b32_e32 v110, v30
	v_mov_b32_e32 v111, v31
	v_mov_b32_e32 v112, v32
	v_mov_b32_e32 v113, v33
	ds_write2_b64 v104, v[110:111], v[112:113] offset0:32 offset1:33
	;; [unrolled: 5-line block ×8, first 2 shown]
	v_mov_b32_e32 v110, v0
	v_mov_b32_e32 v111, v1
	;; [unrolled: 1-line block ×3, first 2 shown]
	ds_write2_b64 v104, v[110:111], v[98:99] offset0:46 offset1:47
.LBB94_503:
	s_or_b64 exec, exec, s[0:1]
	v_cmp_lt_i32_e32 vcc, 29, v105
	s_waitcnt lgkmcnt(0)
	s_barrier
	s_and_saveexec_b64 s[0:1], vcc
	s_cbranch_execz .LBB94_505
; %bb.504:
	ds_read2_b64 v[110:113], v104 offset0:30 offset1:31
	ds_read2_b64 v[114:117], v104 offset0:32 offset1:33
	;; [unrolled: 1-line block ×3, first 2 shown]
	v_mul_f64 v[38:39], v[100:101], v[38:39]
	s_waitcnt lgkmcnt(0)
	v_fma_f64 v[36:37], -v[38:39], v[110:111], v[36:37]
	v_fma_f64 v[34:35], -v[38:39], v[112:113], v[34:35]
	ds_read2_b64 v[110:113], v104 offset0:36 offset1:37
	v_fma_f64 v[30:31], -v[38:39], v[114:115], v[30:31]
	v_fma_f64 v[32:33], -v[38:39], v[116:117], v[32:33]
	;; [unrolled: 1-line block ×3, first 2 shown]
	ds_read2_b64 v[114:117], v104 offset0:38 offset1:39
	v_fma_f64 v[26:27], -v[38:39], v[120:121], v[26:27]
	ds_read2_b64 v[118:121], v104 offset0:40 offset1:41
	s_waitcnt lgkmcnt(0)
	v_fma_f64 v[24:25], -v[38:39], v[110:111], v[24:25]
	v_fma_f64 v[22:23], -v[38:39], v[112:113], v[22:23]
	;; [unrolled: 1-line block ×4, first 2 shown]
	ds_read2_b64 v[110:113], v104 offset0:42 offset1:43
	ds_read2_b64 v[114:117], v104 offset0:44 offset1:45
	v_fma_f64 v[16:17], -v[38:39], v[118:119], v[16:17]
	v_fma_f64 v[14:15], -v[38:39], v[120:121], v[14:15]
	ds_read2_b64 v[118:121], v104 offset0:46 offset1:47
	s_waitcnt lgkmcnt(0)
	v_fma_f64 v[12:13], -v[38:39], v[110:111], v[12:13]
	v_fma_f64 v[8:9], -v[38:39], v[112:113], v[8:9]
	;; [unrolled: 1-line block ×6, first 2 shown]
.LBB94_505:
	s_or_b64 exec, exec, s[0:1]
	v_lshl_add_u32 v100, v105, 3, v104
	s_barrier
	ds_write_b64 v100, v[36:37]
	s_waitcnt lgkmcnt(0)
	s_barrier
	ds_read_b64 v[100:101], v104 offset:240
	s_cmp_lt_i32 s18, 32
	v_mov_b32_e32 v102, 30
	s_cbranch_scc1 .LBB94_508
; %bb.506:
	v_add_u32_e32 v109, 0xf8, v104
	s_mov_b32 s0, 31
	v_mov_b32_e32 v102, 30
.LBB94_507:                             ; =>This Inner Loop Header: Depth=1
	ds_read_b64 v[110:111], v109
	v_mov_b32_e32 v112, s0
	s_add_i32 s0, s0, 1
	v_add_u32_e32 v109, 8, v109
	s_cmp_lg_u32 s18, s0
	s_waitcnt lgkmcnt(0)
	v_cmp_lt_f64_e64 vcc, |v[100:101]|, |v[110:111]|
	v_cndmask_b32_e32 v101, v101, v111, vcc
	v_cndmask_b32_e32 v100, v100, v110, vcc
	;; [unrolled: 1-line block ×3, first 2 shown]
	s_cbranch_scc1 .LBB94_507
.LBB94_508:
	s_waitcnt lgkmcnt(0)
	v_cmp_eq_f64_e32 vcc, 0, v[100:101]
	s_and_saveexec_b64 s[0:1], vcc
	s_xor_b64 s[0:1], exec, s[0:1]
; %bb.509:
	v_cmp_ne_u32_e32 vcc, 0, v108
	v_cndmask_b32_e32 v108, 31, v108, vcc
; %bb.510:
	s_andn2_saveexec_b64 s[0:1], s[0:1]
; %bb.511:
	v_div_scale_f64 v[110:111], s[2:3], v[100:101], v[100:101], 1.0
	v_rcp_f64_e32 v[112:113], v[110:111]
	v_div_scale_f64 v[114:115], vcc, 1.0, v[100:101], 1.0
	v_fma_f64 v[116:117], -v[110:111], v[112:113], 1.0
	v_fmac_f64_e32 v[112:113], v[112:113], v[116:117]
	v_fma_f64 v[116:117], -v[110:111], v[112:113], 1.0
	v_fmac_f64_e32 v[112:113], v[112:113], v[116:117]
	v_mul_f64 v[116:117], v[114:115], v[112:113]
	v_fma_f64 v[110:111], -v[110:111], v[116:117], v[114:115]
	v_div_fmas_f64 v[110:111], v[110:111], v[112:113], v[116:117]
	v_div_fixup_f64 v[100:101], v[110:111], v[100:101], 1.0
; %bb.512:
	s_or_b64 exec, exec, s[0:1]
	v_cmp_ne_u32_e32 vcc, v105, v102
	s_and_saveexec_b64 s[0:1], vcc
	s_xor_b64 s[0:1], exec, s[0:1]
	s_cbranch_execz .LBB94_518
; %bb.513:
	v_cmp_eq_u32_e32 vcc, 30, v105
	s_and_saveexec_b64 s[2:3], vcc
	s_cbranch_execz .LBB94_517
; %bb.514:
	v_cmp_ne_u32_e32 vcc, 30, v102
	s_xor_b64 s[14:15], s[6:7], -1
	s_and_b64 s[16:17], s[14:15], vcc
	s_and_saveexec_b64 s[14:15], s[16:17]
	s_cbranch_execz .LBB94_516
; %bb.515:
	v_ashrrev_i32_e32 v103, 31, v102
	v_lshlrev_b64 v[110:111], 2, v[102:103]
	v_add_co_u32_e32 v110, vcc, v4, v110
	v_addc_co_u32_e32 v111, vcc, v5, v111, vcc
	flat_load_dword v103, v[110:111]
	flat_load_dword v105, v[4:5] offset:120
	s_waitcnt vmcnt(0) lgkmcnt(0)
	flat_store_dword v[4:5], v103 offset:120
	flat_store_dword v[110:111], v105
.LBB94_516:
	s_or_b64 exec, exec, s[14:15]
	v_mov_b32_e32 v103, v102
	v_mov_b32_e32 v105, v102
.LBB94_517:
	s_or_b64 exec, exec, s[2:3]
.LBB94_518:
	s_andn2_saveexec_b64 s[0:1], s[0:1]
	s_cbranch_execz .LBB94_520
; %bb.519:
	v_mov_b32_e32 v105, 30
	ds_write2_b64 v104, v[34:35], v[30:31] offset0:31 offset1:32
	ds_write2_b64 v104, v[32:33], v[28:29] offset0:33 offset1:34
	;; [unrolled: 1-line block ×8, first 2 shown]
	ds_write_b64 v104, v[98:99] offset:376
.LBB94_520:
	s_or_b64 exec, exec, s[0:1]
	v_cmp_lt_i32_e32 vcc, 30, v105
	s_waitcnt lgkmcnt(0)
	s_barrier
	s_and_saveexec_b64 s[0:1], vcc
	s_cbranch_execz .LBB94_522
; %bb.521:
	ds_read2_b64 v[110:113], v104 offset0:31 offset1:32
	ds_read2_b64 v[114:117], v104 offset0:33 offset1:34
	v_mul_f64 v[36:37], v[100:101], v[36:37]
	ds_read2_b64 v[118:121], v104 offset0:35 offset1:36
	ds_read_b64 v[100:101], v104 offset:376
	s_waitcnt lgkmcnt(0)
	v_fma_f64 v[34:35], -v[36:37], v[110:111], v[34:35]
	v_fma_f64 v[30:31], -v[36:37], v[112:113], v[30:31]
	ds_read2_b64 v[110:113], v104 offset0:37 offset1:38
	v_fma_f64 v[32:33], -v[36:37], v[114:115], v[32:33]
	v_fma_f64 v[28:29], -v[36:37], v[116:117], v[28:29]
	ds_read2_b64 v[114:117], v104 offset0:39 offset1:40
	;; [unrolled: 3-line block ×3, first 2 shown]
	s_waitcnt lgkmcnt(0)
	v_fma_f64 v[22:23], -v[36:37], v[110:111], v[22:23]
	v_fma_f64 v[20:21], -v[36:37], v[112:113], v[20:21]
	;; [unrolled: 1-line block ×4, first 2 shown]
	ds_read2_b64 v[110:113], v104 offset0:43 offset1:44
	ds_read2_b64 v[114:117], v104 offset0:45 offset1:46
	v_fma_f64 v[14:15], -v[36:37], v[118:119], v[14:15]
	v_fma_f64 v[12:13], -v[36:37], v[120:121], v[12:13]
	;; [unrolled: 1-line block ×3, first 2 shown]
	s_waitcnt lgkmcnt(0)
	v_fma_f64 v[8:9], -v[36:37], v[110:111], v[8:9]
	v_fma_f64 v[10:11], -v[36:37], v[112:113], v[10:11]
	;; [unrolled: 1-line block ×4, first 2 shown]
.LBB94_522:
	s_or_b64 exec, exec, s[0:1]
	v_lshl_add_u32 v100, v105, 3, v104
	s_barrier
	ds_write_b64 v100, v[34:35]
	s_waitcnt lgkmcnt(0)
	s_barrier
	ds_read_b64 v[100:101], v104 offset:248
	s_cmp_lt_i32 s18, 33
	v_mov_b32_e32 v102, 31
	s_cbranch_scc1 .LBB94_525
; %bb.523:
	v_add_u32_e32 v109, 0x100, v104
	s_mov_b32 s0, 32
	v_mov_b32_e32 v102, 31
.LBB94_524:                             ; =>This Inner Loop Header: Depth=1
	ds_read_b64 v[110:111], v109
	v_mov_b32_e32 v112, s0
	s_add_i32 s0, s0, 1
	v_add_u32_e32 v109, 8, v109
	s_cmp_lg_u32 s18, s0
	s_waitcnt lgkmcnt(0)
	v_cmp_lt_f64_e64 vcc, |v[100:101]|, |v[110:111]|
	v_cndmask_b32_e32 v101, v101, v111, vcc
	v_cndmask_b32_e32 v100, v100, v110, vcc
	;; [unrolled: 1-line block ×3, first 2 shown]
	s_cbranch_scc1 .LBB94_524
.LBB94_525:
	s_waitcnt lgkmcnt(0)
	v_cmp_eq_f64_e32 vcc, 0, v[100:101]
	s_and_saveexec_b64 s[0:1], vcc
	s_xor_b64 s[0:1], exec, s[0:1]
; %bb.526:
	v_cmp_ne_u32_e32 vcc, 0, v108
	v_cndmask_b32_e32 v108, 32, v108, vcc
; %bb.527:
	s_andn2_saveexec_b64 s[0:1], s[0:1]
; %bb.528:
	v_div_scale_f64 v[110:111], s[2:3], v[100:101], v[100:101], 1.0
	v_rcp_f64_e32 v[112:113], v[110:111]
	v_div_scale_f64 v[114:115], vcc, 1.0, v[100:101], 1.0
	v_fma_f64 v[116:117], -v[110:111], v[112:113], 1.0
	v_fmac_f64_e32 v[112:113], v[112:113], v[116:117]
	v_fma_f64 v[116:117], -v[110:111], v[112:113], 1.0
	v_fmac_f64_e32 v[112:113], v[112:113], v[116:117]
	v_mul_f64 v[116:117], v[114:115], v[112:113]
	v_fma_f64 v[110:111], -v[110:111], v[116:117], v[114:115]
	v_div_fmas_f64 v[110:111], v[110:111], v[112:113], v[116:117]
	v_div_fixup_f64 v[100:101], v[110:111], v[100:101], 1.0
; %bb.529:
	s_or_b64 exec, exec, s[0:1]
	v_cmp_ne_u32_e32 vcc, v105, v102
	s_and_saveexec_b64 s[0:1], vcc
	s_xor_b64 s[0:1], exec, s[0:1]
	s_cbranch_execz .LBB94_535
; %bb.530:
	v_cmp_eq_u32_e32 vcc, 31, v105
	s_and_saveexec_b64 s[2:3], vcc
	s_cbranch_execz .LBB94_534
; %bb.531:
	v_cmp_ne_u32_e32 vcc, 31, v102
	s_xor_b64 s[14:15], s[6:7], -1
	s_and_b64 s[16:17], s[14:15], vcc
	s_and_saveexec_b64 s[14:15], s[16:17]
	s_cbranch_execz .LBB94_533
; %bb.532:
	v_ashrrev_i32_e32 v103, 31, v102
	v_lshlrev_b64 v[110:111], 2, v[102:103]
	v_add_co_u32_e32 v110, vcc, v4, v110
	v_addc_co_u32_e32 v111, vcc, v5, v111, vcc
	flat_load_dword v103, v[110:111]
	flat_load_dword v105, v[4:5] offset:124
	s_waitcnt vmcnt(0) lgkmcnt(0)
	flat_store_dword v[4:5], v103 offset:124
	flat_store_dword v[110:111], v105
.LBB94_533:
	s_or_b64 exec, exec, s[14:15]
	v_mov_b32_e32 v103, v102
	v_mov_b32_e32 v105, v102
.LBB94_534:
	s_or_b64 exec, exec, s[2:3]
.LBB94_535:
	s_andn2_saveexec_b64 s[0:1], s[0:1]
	s_cbranch_execz .LBB94_537
; %bb.536:
	v_mov_b32_e32 v110, v30
	v_mov_b32_e32 v111, v31
	v_mov_b32_e32 v112, v32
	v_mov_b32_e32 v113, v33
	ds_write2_b64 v104, v[110:111], v[112:113] offset0:32 offset1:33
	v_mov_b32_e32 v110, v28
	v_mov_b32_e32 v111, v29
	v_mov_b32_e32 v112, v26
	v_mov_b32_e32 v113, v27
	ds_write2_b64 v104, v[110:111], v[112:113] offset0:34 offset1:35
	;; [unrolled: 5-line block ×7, first 2 shown]
	v_mov_b32_e32 v110, v0
	v_mov_b32_e32 v111, v1
	;; [unrolled: 1-line block ×3, first 2 shown]
	ds_write2_b64 v104, v[110:111], v[98:99] offset0:46 offset1:47
.LBB94_537:
	s_or_b64 exec, exec, s[0:1]
	v_cmp_lt_i32_e32 vcc, 31, v105
	s_waitcnt lgkmcnt(0)
	s_barrier
	s_and_saveexec_b64 s[0:1], vcc
	s_cbranch_execz .LBB94_539
; %bb.538:
	ds_read2_b64 v[110:113], v104 offset0:32 offset1:33
	ds_read2_b64 v[114:117], v104 offset0:34 offset1:35
	v_mul_f64 v[34:35], v[100:101], v[34:35]
	ds_read2_b64 v[118:121], v104 offset0:36 offset1:37
	s_waitcnt lgkmcnt(0)
	v_fma_f64 v[30:31], -v[34:35], v[110:111], v[30:31]
	v_fma_f64 v[32:33], -v[34:35], v[112:113], v[32:33]
	ds_read2_b64 v[110:113], v104 offset0:38 offset1:39
	v_fma_f64 v[28:29], -v[34:35], v[114:115], v[28:29]
	v_fma_f64 v[26:27], -v[34:35], v[116:117], v[26:27]
	ds_read2_b64 v[114:117], v104 offset0:40 offset1:41
	v_fma_f64 v[24:25], -v[34:35], v[118:119], v[24:25]
	v_fma_f64 v[22:23], -v[34:35], v[120:121], v[22:23]
	s_waitcnt lgkmcnt(0)
	v_fma_f64 v[20:21], -v[34:35], v[110:111], v[20:21]
	v_fma_f64 v[18:19], -v[34:35], v[112:113], v[18:19]
	ds_read2_b64 v[110:113], v104 offset0:42 offset1:43
	v_fma_f64 v[16:17], -v[34:35], v[114:115], v[16:17]
	ds_read2_b64 v[118:121], v104 offset0:44 offset1:45
	;; [unrolled: 2-line block ×3, first 2 shown]
	s_waitcnt lgkmcnt(0)
	v_fma_f64 v[12:13], -v[34:35], v[110:111], v[12:13]
	v_fma_f64 v[8:9], -v[34:35], v[112:113], v[8:9]
	;; [unrolled: 1-line block ×6, first 2 shown]
.LBB94_539:
	s_or_b64 exec, exec, s[0:1]
	v_lshl_add_u32 v100, v105, 3, v104
	s_barrier
	ds_write_b64 v100, v[30:31]
	s_waitcnt lgkmcnt(0)
	s_barrier
	ds_read_b64 v[100:101], v104 offset:256
	s_cmp_lt_i32 s18, 34
	v_mov_b32_e32 v102, 32
	s_cbranch_scc1 .LBB94_542
; %bb.540:
	v_add_u32_e32 v109, 0x108, v104
	s_mov_b32 s0, 33
	v_mov_b32_e32 v102, 32
.LBB94_541:                             ; =>This Inner Loop Header: Depth=1
	ds_read_b64 v[110:111], v109
	v_mov_b32_e32 v112, s0
	s_add_i32 s0, s0, 1
	v_add_u32_e32 v109, 8, v109
	s_cmp_lg_u32 s18, s0
	s_waitcnt lgkmcnt(0)
	v_cmp_lt_f64_e64 vcc, |v[100:101]|, |v[110:111]|
	v_cndmask_b32_e32 v101, v101, v111, vcc
	v_cndmask_b32_e32 v100, v100, v110, vcc
	;; [unrolled: 1-line block ×3, first 2 shown]
	s_cbranch_scc1 .LBB94_541
.LBB94_542:
	s_waitcnt lgkmcnt(0)
	v_cmp_eq_f64_e32 vcc, 0, v[100:101]
	s_and_saveexec_b64 s[0:1], vcc
	s_xor_b64 s[0:1], exec, s[0:1]
; %bb.543:
	v_cmp_ne_u32_e32 vcc, 0, v108
	v_cndmask_b32_e32 v108, 33, v108, vcc
; %bb.544:
	s_andn2_saveexec_b64 s[0:1], s[0:1]
; %bb.545:
	v_div_scale_f64 v[110:111], s[2:3], v[100:101], v[100:101], 1.0
	v_rcp_f64_e32 v[112:113], v[110:111]
	v_div_scale_f64 v[114:115], vcc, 1.0, v[100:101], 1.0
	v_fma_f64 v[116:117], -v[110:111], v[112:113], 1.0
	v_fmac_f64_e32 v[112:113], v[112:113], v[116:117]
	v_fma_f64 v[116:117], -v[110:111], v[112:113], 1.0
	v_fmac_f64_e32 v[112:113], v[112:113], v[116:117]
	v_mul_f64 v[116:117], v[114:115], v[112:113]
	v_fma_f64 v[110:111], -v[110:111], v[116:117], v[114:115]
	v_div_fmas_f64 v[110:111], v[110:111], v[112:113], v[116:117]
	v_div_fixup_f64 v[100:101], v[110:111], v[100:101], 1.0
; %bb.546:
	s_or_b64 exec, exec, s[0:1]
	v_cmp_ne_u32_e32 vcc, v105, v102
	s_and_saveexec_b64 s[0:1], vcc
	s_xor_b64 s[0:1], exec, s[0:1]
	s_cbranch_execz .LBB94_552
; %bb.547:
	v_cmp_eq_u32_e32 vcc, 32, v105
	s_and_saveexec_b64 s[2:3], vcc
	s_cbranch_execz .LBB94_551
; %bb.548:
	v_cmp_ne_u32_e32 vcc, 32, v102
	s_xor_b64 s[14:15], s[6:7], -1
	s_and_b64 s[16:17], s[14:15], vcc
	s_and_saveexec_b64 s[14:15], s[16:17]
	s_cbranch_execz .LBB94_550
; %bb.549:
	v_ashrrev_i32_e32 v103, 31, v102
	v_lshlrev_b64 v[110:111], 2, v[102:103]
	v_add_co_u32_e32 v110, vcc, v4, v110
	v_addc_co_u32_e32 v111, vcc, v5, v111, vcc
	flat_load_dword v103, v[110:111]
	flat_load_dword v105, v[4:5] offset:128
	s_waitcnt vmcnt(0) lgkmcnt(0)
	flat_store_dword v[4:5], v103 offset:128
	flat_store_dword v[110:111], v105
.LBB94_550:
	s_or_b64 exec, exec, s[14:15]
	v_mov_b32_e32 v103, v102
	v_mov_b32_e32 v105, v102
.LBB94_551:
	s_or_b64 exec, exec, s[2:3]
.LBB94_552:
	s_andn2_saveexec_b64 s[0:1], s[0:1]
	s_cbranch_execz .LBB94_554
; %bb.553:
	v_mov_b32_e32 v105, 32
	ds_write2_b64 v104, v[32:33], v[28:29] offset0:33 offset1:34
	ds_write2_b64 v104, v[26:27], v[24:25] offset0:35 offset1:36
	ds_write2_b64 v104, v[22:23], v[20:21] offset0:37 offset1:38
	ds_write2_b64 v104, v[18:19], v[16:17] offset0:39 offset1:40
	ds_write2_b64 v104, v[14:15], v[12:13] offset0:41 offset1:42
	ds_write2_b64 v104, v[8:9], v[10:11] offset0:43 offset1:44
	ds_write2_b64 v104, v[6:7], v[0:1] offset0:45 offset1:46
	ds_write_b64 v104, v[98:99] offset:376
.LBB94_554:
	s_or_b64 exec, exec, s[0:1]
	v_cmp_lt_i32_e32 vcc, 32, v105
	s_waitcnt lgkmcnt(0)
	s_barrier
	s_and_saveexec_b64 s[0:1], vcc
	s_cbranch_execz .LBB94_556
; %bb.555:
	ds_read2_b64 v[110:113], v104 offset0:33 offset1:34
	ds_read2_b64 v[114:117], v104 offset0:35 offset1:36
	v_mul_f64 v[30:31], v[100:101], v[30:31]
	ds_read2_b64 v[118:121], v104 offset0:37 offset1:38
	ds_read_b64 v[100:101], v104 offset:376
	s_waitcnt lgkmcnt(0)
	v_fma_f64 v[32:33], -v[30:31], v[110:111], v[32:33]
	v_fma_f64 v[28:29], -v[30:31], v[112:113], v[28:29]
	ds_read2_b64 v[110:113], v104 offset0:39 offset1:40
	v_fma_f64 v[26:27], -v[30:31], v[114:115], v[26:27]
	v_fma_f64 v[24:25], -v[30:31], v[116:117], v[24:25]
	;; [unrolled: 1-line block ×3, first 2 shown]
	ds_read2_b64 v[114:117], v104 offset0:41 offset1:42
	v_fma_f64 v[20:21], -v[30:31], v[120:121], v[20:21]
	s_waitcnt lgkmcnt(0)
	v_fma_f64 v[18:19], -v[30:31], v[110:111], v[18:19]
	v_fma_f64 v[16:17], -v[30:31], v[112:113], v[16:17]
	ds_read2_b64 v[110:113], v104 offset0:43 offset1:44
	ds_read2_b64 v[118:121], v104 offset0:45 offset1:46
	v_fma_f64 v[14:15], -v[30:31], v[114:115], v[14:15]
	v_fma_f64 v[12:13], -v[30:31], v[116:117], v[12:13]
	;; [unrolled: 1-line block ×3, first 2 shown]
	s_waitcnt lgkmcnt(0)
	v_fma_f64 v[8:9], -v[30:31], v[110:111], v[8:9]
	v_fma_f64 v[10:11], -v[30:31], v[112:113], v[10:11]
	;; [unrolled: 1-line block ×4, first 2 shown]
.LBB94_556:
	s_or_b64 exec, exec, s[0:1]
	v_lshl_add_u32 v100, v105, 3, v104
	s_barrier
	ds_write_b64 v100, v[32:33]
	s_waitcnt lgkmcnt(0)
	s_barrier
	ds_read_b64 v[100:101], v104 offset:264
	s_cmp_lt_i32 s18, 35
	v_mov_b32_e32 v102, 33
	s_cbranch_scc1 .LBB94_559
; %bb.557:
	v_add_u32_e32 v109, 0x110, v104
	s_mov_b32 s0, 34
	v_mov_b32_e32 v102, 33
.LBB94_558:                             ; =>This Inner Loop Header: Depth=1
	ds_read_b64 v[110:111], v109
	v_mov_b32_e32 v112, s0
	s_add_i32 s0, s0, 1
	v_add_u32_e32 v109, 8, v109
	s_cmp_lg_u32 s18, s0
	s_waitcnt lgkmcnt(0)
	v_cmp_lt_f64_e64 vcc, |v[100:101]|, |v[110:111]|
	v_cndmask_b32_e32 v101, v101, v111, vcc
	v_cndmask_b32_e32 v100, v100, v110, vcc
	;; [unrolled: 1-line block ×3, first 2 shown]
	s_cbranch_scc1 .LBB94_558
.LBB94_559:
	s_waitcnt lgkmcnt(0)
	v_cmp_eq_f64_e32 vcc, 0, v[100:101]
	s_and_saveexec_b64 s[0:1], vcc
	s_xor_b64 s[0:1], exec, s[0:1]
; %bb.560:
	v_cmp_ne_u32_e32 vcc, 0, v108
	v_cndmask_b32_e32 v108, 34, v108, vcc
; %bb.561:
	s_andn2_saveexec_b64 s[0:1], s[0:1]
; %bb.562:
	v_div_scale_f64 v[110:111], s[2:3], v[100:101], v[100:101], 1.0
	v_rcp_f64_e32 v[112:113], v[110:111]
	v_div_scale_f64 v[114:115], vcc, 1.0, v[100:101], 1.0
	v_fma_f64 v[116:117], -v[110:111], v[112:113], 1.0
	v_fmac_f64_e32 v[112:113], v[112:113], v[116:117]
	v_fma_f64 v[116:117], -v[110:111], v[112:113], 1.0
	v_fmac_f64_e32 v[112:113], v[112:113], v[116:117]
	v_mul_f64 v[116:117], v[114:115], v[112:113]
	v_fma_f64 v[110:111], -v[110:111], v[116:117], v[114:115]
	v_div_fmas_f64 v[110:111], v[110:111], v[112:113], v[116:117]
	v_div_fixup_f64 v[100:101], v[110:111], v[100:101], 1.0
; %bb.563:
	s_or_b64 exec, exec, s[0:1]
	v_cmp_ne_u32_e32 vcc, v105, v102
	s_and_saveexec_b64 s[0:1], vcc
	s_xor_b64 s[0:1], exec, s[0:1]
	s_cbranch_execz .LBB94_569
; %bb.564:
	v_cmp_eq_u32_e32 vcc, 33, v105
	s_and_saveexec_b64 s[2:3], vcc
	s_cbranch_execz .LBB94_568
; %bb.565:
	v_cmp_ne_u32_e32 vcc, 33, v102
	s_xor_b64 s[14:15], s[6:7], -1
	s_and_b64 s[16:17], s[14:15], vcc
	s_and_saveexec_b64 s[14:15], s[16:17]
	s_cbranch_execz .LBB94_567
; %bb.566:
	v_ashrrev_i32_e32 v103, 31, v102
	v_lshlrev_b64 v[110:111], 2, v[102:103]
	v_add_co_u32_e32 v110, vcc, v4, v110
	v_addc_co_u32_e32 v111, vcc, v5, v111, vcc
	flat_load_dword v103, v[110:111]
	flat_load_dword v105, v[4:5] offset:132
	s_waitcnt vmcnt(0) lgkmcnt(0)
	flat_store_dword v[4:5], v103 offset:132
	flat_store_dword v[110:111], v105
.LBB94_567:
	s_or_b64 exec, exec, s[14:15]
	v_mov_b32_e32 v103, v102
	v_mov_b32_e32 v105, v102
.LBB94_568:
	s_or_b64 exec, exec, s[2:3]
.LBB94_569:
	s_andn2_saveexec_b64 s[0:1], s[0:1]
	s_cbranch_execz .LBB94_571
; %bb.570:
	v_mov_b32_e32 v110, v28
	v_mov_b32_e32 v111, v29
	v_mov_b32_e32 v112, v26
	v_mov_b32_e32 v113, v27
	ds_write2_b64 v104, v[110:111], v[112:113] offset0:34 offset1:35
	v_mov_b32_e32 v110, v24
	v_mov_b32_e32 v111, v25
	v_mov_b32_e32 v112, v22
	v_mov_b32_e32 v113, v23
	ds_write2_b64 v104, v[110:111], v[112:113] offset0:36 offset1:37
	;; [unrolled: 5-line block ×6, first 2 shown]
	v_mov_b32_e32 v110, v0
	v_mov_b32_e32 v111, v1
	;; [unrolled: 1-line block ×3, first 2 shown]
	ds_write2_b64 v104, v[110:111], v[98:99] offset0:46 offset1:47
.LBB94_571:
	s_or_b64 exec, exec, s[0:1]
	v_cmp_lt_i32_e32 vcc, 33, v105
	s_waitcnt lgkmcnt(0)
	s_barrier
	s_and_saveexec_b64 s[0:1], vcc
	s_cbranch_execz .LBB94_573
; %bb.572:
	ds_read2_b64 v[110:113], v104 offset0:34 offset1:35
	ds_read2_b64 v[114:117], v104 offset0:36 offset1:37
	v_mul_f64 v[32:33], v[100:101], v[32:33]
	ds_read2_b64 v[118:121], v104 offset0:38 offset1:39
	s_waitcnt lgkmcnt(0)
	v_fma_f64 v[28:29], -v[32:33], v[110:111], v[28:29]
	v_fma_f64 v[26:27], -v[32:33], v[112:113], v[26:27]
	ds_read2_b64 v[110:113], v104 offset0:40 offset1:41
	v_fma_f64 v[24:25], -v[32:33], v[114:115], v[24:25]
	v_fma_f64 v[22:23], -v[32:33], v[116:117], v[22:23]
	;; [unrolled: 1-line block ×4, first 2 shown]
	ds_read2_b64 v[114:117], v104 offset0:42 offset1:43
	ds_read2_b64 v[118:121], v104 offset0:44 offset1:45
	s_waitcnt lgkmcnt(0)
	v_fma_f64 v[16:17], -v[32:33], v[110:111], v[16:17]
	v_fma_f64 v[14:15], -v[32:33], v[112:113], v[14:15]
	ds_read2_b64 v[110:113], v104 offset0:46 offset1:47
	v_fma_f64 v[12:13], -v[32:33], v[114:115], v[12:13]
	v_fma_f64 v[8:9], -v[32:33], v[116:117], v[8:9]
	;; [unrolled: 1-line block ×4, first 2 shown]
	s_waitcnt lgkmcnt(0)
	v_fma_f64 v[0:1], -v[32:33], v[110:111], v[0:1]
	v_fma_f64 v[98:99], -v[32:33], v[112:113], v[98:99]
.LBB94_573:
	s_or_b64 exec, exec, s[0:1]
	v_lshl_add_u32 v100, v105, 3, v104
	s_barrier
	ds_write_b64 v100, v[28:29]
	s_waitcnt lgkmcnt(0)
	s_barrier
	ds_read_b64 v[100:101], v104 offset:272
	s_cmp_lt_i32 s18, 36
	v_mov_b32_e32 v102, 34
	s_cbranch_scc1 .LBB94_576
; %bb.574:
	v_add_u32_e32 v109, 0x118, v104
	s_mov_b32 s0, 35
	v_mov_b32_e32 v102, 34
.LBB94_575:                             ; =>This Inner Loop Header: Depth=1
	ds_read_b64 v[110:111], v109
	v_mov_b32_e32 v112, s0
	s_add_i32 s0, s0, 1
	v_add_u32_e32 v109, 8, v109
	s_cmp_lg_u32 s18, s0
	s_waitcnt lgkmcnt(0)
	v_cmp_lt_f64_e64 vcc, |v[100:101]|, |v[110:111]|
	v_cndmask_b32_e32 v101, v101, v111, vcc
	v_cndmask_b32_e32 v100, v100, v110, vcc
	;; [unrolled: 1-line block ×3, first 2 shown]
	s_cbranch_scc1 .LBB94_575
.LBB94_576:
	s_waitcnt lgkmcnt(0)
	v_cmp_eq_f64_e32 vcc, 0, v[100:101]
	s_and_saveexec_b64 s[0:1], vcc
	s_xor_b64 s[0:1], exec, s[0:1]
; %bb.577:
	v_cmp_ne_u32_e32 vcc, 0, v108
	v_cndmask_b32_e32 v108, 35, v108, vcc
; %bb.578:
	s_andn2_saveexec_b64 s[0:1], s[0:1]
; %bb.579:
	v_div_scale_f64 v[110:111], s[2:3], v[100:101], v[100:101], 1.0
	v_rcp_f64_e32 v[112:113], v[110:111]
	v_div_scale_f64 v[114:115], vcc, 1.0, v[100:101], 1.0
	v_fma_f64 v[116:117], -v[110:111], v[112:113], 1.0
	v_fmac_f64_e32 v[112:113], v[112:113], v[116:117]
	v_fma_f64 v[116:117], -v[110:111], v[112:113], 1.0
	v_fmac_f64_e32 v[112:113], v[112:113], v[116:117]
	v_mul_f64 v[116:117], v[114:115], v[112:113]
	v_fma_f64 v[110:111], -v[110:111], v[116:117], v[114:115]
	v_div_fmas_f64 v[110:111], v[110:111], v[112:113], v[116:117]
	v_div_fixup_f64 v[100:101], v[110:111], v[100:101], 1.0
; %bb.580:
	s_or_b64 exec, exec, s[0:1]
	v_cmp_ne_u32_e32 vcc, v105, v102
	s_and_saveexec_b64 s[0:1], vcc
	s_xor_b64 s[0:1], exec, s[0:1]
	s_cbranch_execz .LBB94_586
; %bb.581:
	v_cmp_eq_u32_e32 vcc, 34, v105
	s_and_saveexec_b64 s[2:3], vcc
	s_cbranch_execz .LBB94_585
; %bb.582:
	v_cmp_ne_u32_e32 vcc, 34, v102
	s_xor_b64 s[14:15], s[6:7], -1
	s_and_b64 s[16:17], s[14:15], vcc
	s_and_saveexec_b64 s[14:15], s[16:17]
	s_cbranch_execz .LBB94_584
; %bb.583:
	v_ashrrev_i32_e32 v103, 31, v102
	v_lshlrev_b64 v[110:111], 2, v[102:103]
	v_add_co_u32_e32 v110, vcc, v4, v110
	v_addc_co_u32_e32 v111, vcc, v5, v111, vcc
	flat_load_dword v103, v[110:111]
	flat_load_dword v105, v[4:5] offset:136
	s_waitcnt vmcnt(0) lgkmcnt(0)
	flat_store_dword v[4:5], v103 offset:136
	flat_store_dword v[110:111], v105
.LBB94_584:
	s_or_b64 exec, exec, s[14:15]
	v_mov_b32_e32 v103, v102
	v_mov_b32_e32 v105, v102
.LBB94_585:
	s_or_b64 exec, exec, s[2:3]
.LBB94_586:
	s_andn2_saveexec_b64 s[0:1], s[0:1]
	s_cbranch_execz .LBB94_588
; %bb.587:
	v_mov_b32_e32 v105, 34
	ds_write2_b64 v104, v[26:27], v[24:25] offset0:35 offset1:36
	ds_write2_b64 v104, v[22:23], v[20:21] offset0:37 offset1:38
	;; [unrolled: 1-line block ×6, first 2 shown]
	ds_write_b64 v104, v[98:99] offset:376
.LBB94_588:
	s_or_b64 exec, exec, s[0:1]
	v_cmp_lt_i32_e32 vcc, 34, v105
	s_waitcnt lgkmcnt(0)
	s_barrier
	s_and_saveexec_b64 s[0:1], vcc
	s_cbranch_execz .LBB94_590
; %bb.589:
	ds_read2_b64 v[110:113], v104 offset0:35 offset1:36
	ds_read2_b64 v[114:117], v104 offset0:37 offset1:38
	;; [unrolled: 1-line block ×3, first 2 shown]
	v_mul_f64 v[28:29], v[100:101], v[28:29]
	ds_read_b64 v[100:101], v104 offset:376
	s_waitcnt lgkmcnt(0)
	v_fma_f64 v[26:27], -v[28:29], v[110:111], v[26:27]
	v_fma_f64 v[24:25], -v[28:29], v[112:113], v[24:25]
	ds_read2_b64 v[110:113], v104 offset0:41 offset1:42
	v_fma_f64 v[22:23], -v[28:29], v[114:115], v[22:23]
	v_fma_f64 v[20:21], -v[28:29], v[116:117], v[20:21]
	;; [unrolled: 1-line block ×4, first 2 shown]
	ds_read2_b64 v[114:117], v104 offset0:43 offset1:44
	ds_read2_b64 v[118:121], v104 offset0:45 offset1:46
	s_waitcnt lgkmcnt(0)
	v_fma_f64 v[14:15], -v[28:29], v[110:111], v[14:15]
	v_fma_f64 v[12:13], -v[28:29], v[112:113], v[12:13]
	;; [unrolled: 1-line block ×7, first 2 shown]
.LBB94_590:
	s_or_b64 exec, exec, s[0:1]
	v_lshl_add_u32 v100, v105, 3, v104
	s_barrier
	ds_write_b64 v100, v[26:27]
	s_waitcnt lgkmcnt(0)
	s_barrier
	ds_read_b64 v[100:101], v104 offset:280
	s_cmp_lt_i32 s18, 37
	v_mov_b32_e32 v102, 35
	s_cbranch_scc1 .LBB94_593
; %bb.591:
	v_add_u32_e32 v109, 0x120, v104
	s_mov_b32 s0, 36
	v_mov_b32_e32 v102, 35
.LBB94_592:                             ; =>This Inner Loop Header: Depth=1
	ds_read_b64 v[110:111], v109
	v_mov_b32_e32 v112, s0
	s_add_i32 s0, s0, 1
	v_add_u32_e32 v109, 8, v109
	s_cmp_lg_u32 s18, s0
	s_waitcnt lgkmcnt(0)
	v_cmp_lt_f64_e64 vcc, |v[100:101]|, |v[110:111]|
	v_cndmask_b32_e32 v101, v101, v111, vcc
	v_cndmask_b32_e32 v100, v100, v110, vcc
	;; [unrolled: 1-line block ×3, first 2 shown]
	s_cbranch_scc1 .LBB94_592
.LBB94_593:
	s_waitcnt lgkmcnt(0)
	v_cmp_eq_f64_e32 vcc, 0, v[100:101]
	s_and_saveexec_b64 s[0:1], vcc
	s_xor_b64 s[0:1], exec, s[0:1]
; %bb.594:
	v_cmp_ne_u32_e32 vcc, 0, v108
	v_cndmask_b32_e32 v108, 36, v108, vcc
; %bb.595:
	s_andn2_saveexec_b64 s[0:1], s[0:1]
; %bb.596:
	v_div_scale_f64 v[110:111], s[2:3], v[100:101], v[100:101], 1.0
	v_rcp_f64_e32 v[112:113], v[110:111]
	v_div_scale_f64 v[114:115], vcc, 1.0, v[100:101], 1.0
	v_fma_f64 v[116:117], -v[110:111], v[112:113], 1.0
	v_fmac_f64_e32 v[112:113], v[112:113], v[116:117]
	v_fma_f64 v[116:117], -v[110:111], v[112:113], 1.0
	v_fmac_f64_e32 v[112:113], v[112:113], v[116:117]
	v_mul_f64 v[116:117], v[114:115], v[112:113]
	v_fma_f64 v[110:111], -v[110:111], v[116:117], v[114:115]
	v_div_fmas_f64 v[110:111], v[110:111], v[112:113], v[116:117]
	v_div_fixup_f64 v[100:101], v[110:111], v[100:101], 1.0
; %bb.597:
	s_or_b64 exec, exec, s[0:1]
	v_cmp_ne_u32_e32 vcc, v105, v102
	s_and_saveexec_b64 s[0:1], vcc
	s_xor_b64 s[0:1], exec, s[0:1]
	s_cbranch_execz .LBB94_603
; %bb.598:
	v_cmp_eq_u32_e32 vcc, 35, v105
	s_and_saveexec_b64 s[2:3], vcc
	s_cbranch_execz .LBB94_602
; %bb.599:
	v_cmp_ne_u32_e32 vcc, 35, v102
	s_xor_b64 s[14:15], s[6:7], -1
	s_and_b64 s[16:17], s[14:15], vcc
	s_and_saveexec_b64 s[14:15], s[16:17]
	s_cbranch_execz .LBB94_601
; %bb.600:
	v_ashrrev_i32_e32 v103, 31, v102
	v_lshlrev_b64 v[110:111], 2, v[102:103]
	v_add_co_u32_e32 v110, vcc, v4, v110
	v_addc_co_u32_e32 v111, vcc, v5, v111, vcc
	flat_load_dword v103, v[110:111]
	flat_load_dword v105, v[4:5] offset:140
	s_waitcnt vmcnt(0) lgkmcnt(0)
	flat_store_dword v[4:5], v103 offset:140
	flat_store_dword v[110:111], v105
.LBB94_601:
	s_or_b64 exec, exec, s[14:15]
	v_mov_b32_e32 v103, v102
	v_mov_b32_e32 v105, v102
.LBB94_602:
	s_or_b64 exec, exec, s[2:3]
.LBB94_603:
	s_andn2_saveexec_b64 s[0:1], s[0:1]
	s_cbranch_execz .LBB94_605
; %bb.604:
	v_mov_b32_e32 v110, v24
	v_mov_b32_e32 v111, v25
	v_mov_b32_e32 v112, v22
	v_mov_b32_e32 v113, v23
	ds_write2_b64 v104, v[110:111], v[112:113] offset0:36 offset1:37
	v_mov_b32_e32 v110, v20
	v_mov_b32_e32 v111, v21
	v_mov_b32_e32 v112, v18
	v_mov_b32_e32 v113, v19
	ds_write2_b64 v104, v[110:111], v[112:113] offset0:38 offset1:39
	;; [unrolled: 5-line block ×5, first 2 shown]
	v_mov_b32_e32 v110, v0
	v_mov_b32_e32 v111, v1
	v_mov_b32_e32 v105, 35
	ds_write2_b64 v104, v[110:111], v[98:99] offset0:46 offset1:47
.LBB94_605:
	s_or_b64 exec, exec, s[0:1]
	v_cmp_lt_i32_e32 vcc, 35, v105
	s_waitcnt lgkmcnt(0)
	s_barrier
	s_and_saveexec_b64 s[0:1], vcc
	s_cbranch_execz .LBB94_607
; %bb.606:
	ds_read2_b64 v[110:113], v104 offset0:36 offset1:37
	ds_read2_b64 v[114:117], v104 offset0:38 offset1:39
	;; [unrolled: 1-line block ×3, first 2 shown]
	v_mul_f64 v[26:27], v[100:101], v[26:27]
	s_waitcnt lgkmcnt(0)
	v_fma_f64 v[24:25], -v[26:27], v[110:111], v[24:25]
	v_fma_f64 v[22:23], -v[26:27], v[112:113], v[22:23]
	ds_read2_b64 v[110:113], v104 offset0:42 offset1:43
	v_fma_f64 v[20:21], -v[26:27], v[114:115], v[20:21]
	v_fma_f64 v[18:19], -v[26:27], v[116:117], v[18:19]
	;; [unrolled: 1-line block ×3, first 2 shown]
	ds_read2_b64 v[114:117], v104 offset0:44 offset1:45
	v_fma_f64 v[14:15], -v[26:27], v[120:121], v[14:15]
	ds_read2_b64 v[118:121], v104 offset0:46 offset1:47
	s_waitcnt lgkmcnt(0)
	v_fma_f64 v[12:13], -v[26:27], v[110:111], v[12:13]
	v_fma_f64 v[8:9], -v[26:27], v[112:113], v[8:9]
	;; [unrolled: 1-line block ×6, first 2 shown]
.LBB94_607:
	s_or_b64 exec, exec, s[0:1]
	v_lshl_add_u32 v100, v105, 3, v104
	s_barrier
	ds_write_b64 v100, v[24:25]
	s_waitcnt lgkmcnt(0)
	s_barrier
	ds_read_b64 v[100:101], v104 offset:288
	s_cmp_lt_i32 s18, 38
	v_mov_b32_e32 v102, 36
	s_cbranch_scc1 .LBB94_610
; %bb.608:
	v_add_u32_e32 v109, 0x128, v104
	s_mov_b32 s0, 37
	v_mov_b32_e32 v102, 36
.LBB94_609:                             ; =>This Inner Loop Header: Depth=1
	ds_read_b64 v[110:111], v109
	v_mov_b32_e32 v112, s0
	s_add_i32 s0, s0, 1
	v_add_u32_e32 v109, 8, v109
	s_cmp_lg_u32 s18, s0
	s_waitcnt lgkmcnt(0)
	v_cmp_lt_f64_e64 vcc, |v[100:101]|, |v[110:111]|
	v_cndmask_b32_e32 v101, v101, v111, vcc
	v_cndmask_b32_e32 v100, v100, v110, vcc
	;; [unrolled: 1-line block ×3, first 2 shown]
	s_cbranch_scc1 .LBB94_609
.LBB94_610:
	s_waitcnt lgkmcnt(0)
	v_cmp_eq_f64_e32 vcc, 0, v[100:101]
	s_and_saveexec_b64 s[0:1], vcc
	s_xor_b64 s[0:1], exec, s[0:1]
; %bb.611:
	v_cmp_ne_u32_e32 vcc, 0, v108
	v_cndmask_b32_e32 v108, 37, v108, vcc
; %bb.612:
	s_andn2_saveexec_b64 s[0:1], s[0:1]
; %bb.613:
	v_div_scale_f64 v[110:111], s[2:3], v[100:101], v[100:101], 1.0
	v_rcp_f64_e32 v[112:113], v[110:111]
	v_div_scale_f64 v[114:115], vcc, 1.0, v[100:101], 1.0
	v_fma_f64 v[116:117], -v[110:111], v[112:113], 1.0
	v_fmac_f64_e32 v[112:113], v[112:113], v[116:117]
	v_fma_f64 v[116:117], -v[110:111], v[112:113], 1.0
	v_fmac_f64_e32 v[112:113], v[112:113], v[116:117]
	v_mul_f64 v[116:117], v[114:115], v[112:113]
	v_fma_f64 v[110:111], -v[110:111], v[116:117], v[114:115]
	v_div_fmas_f64 v[110:111], v[110:111], v[112:113], v[116:117]
	v_div_fixup_f64 v[100:101], v[110:111], v[100:101], 1.0
; %bb.614:
	s_or_b64 exec, exec, s[0:1]
	v_cmp_ne_u32_e32 vcc, v105, v102
	s_and_saveexec_b64 s[0:1], vcc
	s_xor_b64 s[0:1], exec, s[0:1]
	s_cbranch_execz .LBB94_620
; %bb.615:
	v_cmp_eq_u32_e32 vcc, 36, v105
	s_and_saveexec_b64 s[2:3], vcc
	s_cbranch_execz .LBB94_619
; %bb.616:
	v_cmp_ne_u32_e32 vcc, 36, v102
	s_xor_b64 s[14:15], s[6:7], -1
	s_and_b64 s[16:17], s[14:15], vcc
	s_and_saveexec_b64 s[14:15], s[16:17]
	s_cbranch_execz .LBB94_618
; %bb.617:
	v_ashrrev_i32_e32 v103, 31, v102
	v_lshlrev_b64 v[110:111], 2, v[102:103]
	v_add_co_u32_e32 v110, vcc, v4, v110
	v_addc_co_u32_e32 v111, vcc, v5, v111, vcc
	flat_load_dword v103, v[110:111]
	flat_load_dword v105, v[4:5] offset:144
	s_waitcnt vmcnt(0) lgkmcnt(0)
	flat_store_dword v[4:5], v103 offset:144
	flat_store_dword v[110:111], v105
.LBB94_618:
	s_or_b64 exec, exec, s[14:15]
	v_mov_b32_e32 v103, v102
	v_mov_b32_e32 v105, v102
.LBB94_619:
	s_or_b64 exec, exec, s[2:3]
.LBB94_620:
	s_andn2_saveexec_b64 s[0:1], s[0:1]
	s_cbranch_execz .LBB94_622
; %bb.621:
	v_mov_b32_e32 v105, 36
	ds_write2_b64 v104, v[22:23], v[20:21] offset0:37 offset1:38
	ds_write2_b64 v104, v[18:19], v[16:17] offset0:39 offset1:40
	;; [unrolled: 1-line block ×5, first 2 shown]
	ds_write_b64 v104, v[98:99] offset:376
.LBB94_622:
	s_or_b64 exec, exec, s[0:1]
	v_cmp_lt_i32_e32 vcc, 36, v105
	s_waitcnt lgkmcnt(0)
	s_barrier
	s_and_saveexec_b64 s[0:1], vcc
	s_cbranch_execz .LBB94_624
; %bb.623:
	ds_read2_b64 v[110:113], v104 offset0:37 offset1:38
	ds_read2_b64 v[114:117], v104 offset0:39 offset1:40
	v_mul_f64 v[24:25], v[100:101], v[24:25]
	ds_read2_b64 v[118:121], v104 offset0:41 offset1:42
	ds_read_b64 v[100:101], v104 offset:376
	s_waitcnt lgkmcnt(0)
	v_fma_f64 v[22:23], -v[24:25], v[110:111], v[22:23]
	v_fma_f64 v[20:21], -v[24:25], v[112:113], v[20:21]
	ds_read2_b64 v[110:113], v104 offset0:43 offset1:44
	v_fma_f64 v[18:19], -v[24:25], v[114:115], v[18:19]
	v_fma_f64 v[16:17], -v[24:25], v[116:117], v[16:17]
	ds_read2_b64 v[114:117], v104 offset0:45 offset1:46
	v_fma_f64 v[14:15], -v[24:25], v[118:119], v[14:15]
	v_fma_f64 v[12:13], -v[24:25], v[120:121], v[12:13]
	s_waitcnt lgkmcnt(0)
	v_fma_f64 v[8:9], -v[24:25], v[110:111], v[8:9]
	v_fma_f64 v[10:11], -v[24:25], v[112:113], v[10:11]
	;; [unrolled: 1-line block ×5, first 2 shown]
.LBB94_624:
	s_or_b64 exec, exec, s[0:1]
	v_lshl_add_u32 v100, v105, 3, v104
	s_barrier
	ds_write_b64 v100, v[22:23]
	s_waitcnt lgkmcnt(0)
	s_barrier
	ds_read_b64 v[100:101], v104 offset:296
	s_cmp_lt_i32 s18, 39
	v_mov_b32_e32 v102, 37
	s_cbranch_scc1 .LBB94_627
; %bb.625:
	v_add_u32_e32 v109, 0x130, v104
	s_mov_b32 s0, 38
	v_mov_b32_e32 v102, 37
.LBB94_626:                             ; =>This Inner Loop Header: Depth=1
	ds_read_b64 v[110:111], v109
	v_mov_b32_e32 v112, s0
	s_add_i32 s0, s0, 1
	v_add_u32_e32 v109, 8, v109
	s_cmp_lg_u32 s18, s0
	s_waitcnt lgkmcnt(0)
	v_cmp_lt_f64_e64 vcc, |v[100:101]|, |v[110:111]|
	v_cndmask_b32_e32 v101, v101, v111, vcc
	v_cndmask_b32_e32 v100, v100, v110, vcc
	;; [unrolled: 1-line block ×3, first 2 shown]
	s_cbranch_scc1 .LBB94_626
.LBB94_627:
	s_waitcnt lgkmcnt(0)
	v_cmp_eq_f64_e32 vcc, 0, v[100:101]
	s_and_saveexec_b64 s[0:1], vcc
	s_xor_b64 s[0:1], exec, s[0:1]
; %bb.628:
	v_cmp_ne_u32_e32 vcc, 0, v108
	v_cndmask_b32_e32 v108, 38, v108, vcc
; %bb.629:
	s_andn2_saveexec_b64 s[0:1], s[0:1]
; %bb.630:
	v_div_scale_f64 v[110:111], s[2:3], v[100:101], v[100:101], 1.0
	v_rcp_f64_e32 v[112:113], v[110:111]
	v_div_scale_f64 v[114:115], vcc, 1.0, v[100:101], 1.0
	v_fma_f64 v[116:117], -v[110:111], v[112:113], 1.0
	v_fmac_f64_e32 v[112:113], v[112:113], v[116:117]
	v_fma_f64 v[116:117], -v[110:111], v[112:113], 1.0
	v_fmac_f64_e32 v[112:113], v[112:113], v[116:117]
	v_mul_f64 v[116:117], v[114:115], v[112:113]
	v_fma_f64 v[110:111], -v[110:111], v[116:117], v[114:115]
	v_div_fmas_f64 v[110:111], v[110:111], v[112:113], v[116:117]
	v_div_fixup_f64 v[100:101], v[110:111], v[100:101], 1.0
; %bb.631:
	s_or_b64 exec, exec, s[0:1]
	v_cmp_ne_u32_e32 vcc, v105, v102
	s_and_saveexec_b64 s[0:1], vcc
	s_xor_b64 s[0:1], exec, s[0:1]
	s_cbranch_execz .LBB94_637
; %bb.632:
	v_cmp_eq_u32_e32 vcc, 37, v105
	s_and_saveexec_b64 s[2:3], vcc
	s_cbranch_execz .LBB94_636
; %bb.633:
	v_cmp_ne_u32_e32 vcc, 37, v102
	s_xor_b64 s[14:15], s[6:7], -1
	s_and_b64 s[16:17], s[14:15], vcc
	s_and_saveexec_b64 s[14:15], s[16:17]
	s_cbranch_execz .LBB94_635
; %bb.634:
	v_ashrrev_i32_e32 v103, 31, v102
	v_lshlrev_b64 v[110:111], 2, v[102:103]
	v_add_co_u32_e32 v110, vcc, v4, v110
	v_addc_co_u32_e32 v111, vcc, v5, v111, vcc
	flat_load_dword v103, v[110:111]
	flat_load_dword v105, v[4:5] offset:148
	s_waitcnt vmcnt(0) lgkmcnt(0)
	flat_store_dword v[4:5], v103 offset:148
	flat_store_dword v[110:111], v105
.LBB94_635:
	s_or_b64 exec, exec, s[14:15]
	v_mov_b32_e32 v103, v102
	v_mov_b32_e32 v105, v102
.LBB94_636:
	s_or_b64 exec, exec, s[2:3]
.LBB94_637:
	s_andn2_saveexec_b64 s[0:1], s[0:1]
	s_cbranch_execz .LBB94_639
; %bb.638:
	v_mov_b32_e32 v110, v20
	v_mov_b32_e32 v111, v21
	v_mov_b32_e32 v112, v18
	v_mov_b32_e32 v113, v19
	ds_write2_b64 v104, v[110:111], v[112:113] offset0:38 offset1:39
	v_mov_b32_e32 v110, v16
	v_mov_b32_e32 v111, v17
	v_mov_b32_e32 v112, v14
	v_mov_b32_e32 v113, v15
	ds_write2_b64 v104, v[110:111], v[112:113] offset0:40 offset1:41
	;; [unrolled: 5-line block ×4, first 2 shown]
	v_mov_b32_e32 v110, v0
	v_mov_b32_e32 v111, v1
	v_mov_b32_e32 v105, 37
	ds_write2_b64 v104, v[110:111], v[98:99] offset0:46 offset1:47
.LBB94_639:
	s_or_b64 exec, exec, s[0:1]
	v_cmp_lt_i32_e32 vcc, 37, v105
	s_waitcnt lgkmcnt(0)
	s_barrier
	s_and_saveexec_b64 s[0:1], vcc
	s_cbranch_execz .LBB94_641
; %bb.640:
	ds_read2_b64 v[110:113], v104 offset0:38 offset1:39
	ds_read2_b64 v[114:117], v104 offset0:40 offset1:41
	v_mul_f64 v[22:23], v[100:101], v[22:23]
	ds_read2_b64 v[118:121], v104 offset0:44 offset1:45
	s_waitcnt lgkmcnt(0)
	v_fma_f64 v[20:21], -v[22:23], v[110:111], v[20:21]
	v_fma_f64 v[18:19], -v[22:23], v[112:113], v[18:19]
	ds_read2_b64 v[110:113], v104 offset0:42 offset1:43
	v_fma_f64 v[16:17], -v[22:23], v[114:115], v[16:17]
	v_fma_f64 v[14:15], -v[22:23], v[116:117], v[14:15]
	ds_read2_b64 v[114:117], v104 offset0:46 offset1:47
	v_fma_f64 v[10:11], -v[22:23], v[118:119], v[10:11]
	s_waitcnt lgkmcnt(0)
	v_fma_f64 v[12:13], -v[22:23], v[110:111], v[12:13]
	v_fma_f64 v[8:9], -v[22:23], v[112:113], v[8:9]
	;; [unrolled: 1-line block ×5, first 2 shown]
.LBB94_641:
	s_or_b64 exec, exec, s[0:1]
	v_lshl_add_u32 v100, v105, 3, v104
	s_barrier
	ds_write_b64 v100, v[20:21]
	s_waitcnt lgkmcnt(0)
	s_barrier
	ds_read_b64 v[100:101], v104 offset:304
	s_cmp_lt_i32 s18, 40
	v_mov_b32_e32 v102, 38
	s_cbranch_scc1 .LBB94_644
; %bb.642:
	v_add_u32_e32 v109, 0x138, v104
	s_mov_b32 s0, 39
	v_mov_b32_e32 v102, 38
.LBB94_643:                             ; =>This Inner Loop Header: Depth=1
	ds_read_b64 v[110:111], v109
	v_mov_b32_e32 v112, s0
	s_add_i32 s0, s0, 1
	v_add_u32_e32 v109, 8, v109
	s_cmp_lg_u32 s18, s0
	s_waitcnt lgkmcnt(0)
	v_cmp_lt_f64_e64 vcc, |v[100:101]|, |v[110:111]|
	v_cndmask_b32_e32 v101, v101, v111, vcc
	v_cndmask_b32_e32 v100, v100, v110, vcc
	;; [unrolled: 1-line block ×3, first 2 shown]
	s_cbranch_scc1 .LBB94_643
.LBB94_644:
	s_waitcnt lgkmcnt(0)
	v_cmp_eq_f64_e32 vcc, 0, v[100:101]
	s_and_saveexec_b64 s[0:1], vcc
	s_xor_b64 s[0:1], exec, s[0:1]
; %bb.645:
	v_cmp_ne_u32_e32 vcc, 0, v108
	v_cndmask_b32_e32 v108, 39, v108, vcc
; %bb.646:
	s_andn2_saveexec_b64 s[0:1], s[0:1]
; %bb.647:
	v_div_scale_f64 v[110:111], s[2:3], v[100:101], v[100:101], 1.0
	v_rcp_f64_e32 v[112:113], v[110:111]
	v_div_scale_f64 v[114:115], vcc, 1.0, v[100:101], 1.0
	v_fma_f64 v[116:117], -v[110:111], v[112:113], 1.0
	v_fmac_f64_e32 v[112:113], v[112:113], v[116:117]
	v_fma_f64 v[116:117], -v[110:111], v[112:113], 1.0
	v_fmac_f64_e32 v[112:113], v[112:113], v[116:117]
	v_mul_f64 v[116:117], v[114:115], v[112:113]
	v_fma_f64 v[110:111], -v[110:111], v[116:117], v[114:115]
	v_div_fmas_f64 v[110:111], v[110:111], v[112:113], v[116:117]
	v_div_fixup_f64 v[100:101], v[110:111], v[100:101], 1.0
; %bb.648:
	s_or_b64 exec, exec, s[0:1]
	v_cmp_ne_u32_e32 vcc, v105, v102
	s_and_saveexec_b64 s[0:1], vcc
	s_xor_b64 s[0:1], exec, s[0:1]
	s_cbranch_execz .LBB94_654
; %bb.649:
	v_cmp_eq_u32_e32 vcc, 38, v105
	s_and_saveexec_b64 s[2:3], vcc
	s_cbranch_execz .LBB94_653
; %bb.650:
	v_cmp_ne_u32_e32 vcc, 38, v102
	s_xor_b64 s[14:15], s[6:7], -1
	s_and_b64 s[16:17], s[14:15], vcc
	s_and_saveexec_b64 s[14:15], s[16:17]
	s_cbranch_execz .LBB94_652
; %bb.651:
	v_ashrrev_i32_e32 v103, 31, v102
	v_lshlrev_b64 v[110:111], 2, v[102:103]
	v_add_co_u32_e32 v110, vcc, v4, v110
	v_addc_co_u32_e32 v111, vcc, v5, v111, vcc
	flat_load_dword v103, v[110:111]
	flat_load_dword v105, v[4:5] offset:152
	s_waitcnt vmcnt(0) lgkmcnt(0)
	flat_store_dword v[4:5], v103 offset:152
	flat_store_dword v[110:111], v105
.LBB94_652:
	s_or_b64 exec, exec, s[14:15]
	v_mov_b32_e32 v103, v102
	v_mov_b32_e32 v105, v102
.LBB94_653:
	s_or_b64 exec, exec, s[2:3]
.LBB94_654:
	s_andn2_saveexec_b64 s[0:1], s[0:1]
	s_cbranch_execz .LBB94_656
; %bb.655:
	v_mov_b32_e32 v105, 38
	ds_write2_b64 v104, v[18:19], v[16:17] offset0:39 offset1:40
	ds_write2_b64 v104, v[14:15], v[12:13] offset0:41 offset1:42
	;; [unrolled: 1-line block ×4, first 2 shown]
	ds_write_b64 v104, v[98:99] offset:376
.LBB94_656:
	s_or_b64 exec, exec, s[0:1]
	v_cmp_lt_i32_e32 vcc, 38, v105
	s_waitcnt lgkmcnt(0)
	s_barrier
	s_and_saveexec_b64 s[0:1], vcc
	s_cbranch_execz .LBB94_658
; %bb.657:
	ds_read2_b64 v[110:113], v104 offset0:39 offset1:40
	ds_read2_b64 v[114:117], v104 offset0:41 offset1:42
	v_mul_f64 v[20:21], v[100:101], v[20:21]
	ds_read_b64 v[100:101], v104 offset:376
	ds_read2_b64 v[118:121], v104 offset0:45 offset1:46
	s_waitcnt lgkmcnt(0)
	v_fma_f64 v[18:19], -v[20:21], v[110:111], v[18:19]
	v_fma_f64 v[16:17], -v[20:21], v[112:113], v[16:17]
	ds_read2_b64 v[110:113], v104 offset0:43 offset1:44
	v_fma_f64 v[14:15], -v[20:21], v[114:115], v[14:15]
	v_fma_f64 v[12:13], -v[20:21], v[116:117], v[12:13]
	;; [unrolled: 1-line block ×4, first 2 shown]
	s_waitcnt lgkmcnt(0)
	v_fma_f64 v[8:9], -v[20:21], v[110:111], v[8:9]
	v_fma_f64 v[10:11], -v[20:21], v[112:113], v[10:11]
	;; [unrolled: 1-line block ×3, first 2 shown]
.LBB94_658:
	s_or_b64 exec, exec, s[0:1]
	v_lshl_add_u32 v100, v105, 3, v104
	s_barrier
	ds_write_b64 v100, v[18:19]
	s_waitcnt lgkmcnt(0)
	s_barrier
	ds_read_b64 v[100:101], v104 offset:312
	s_cmp_lt_i32 s18, 41
	v_mov_b32_e32 v102, 39
	s_cbranch_scc1 .LBB94_661
; %bb.659:
	v_add_u32_e32 v109, 0x140, v104
	s_mov_b32 s0, 40
	v_mov_b32_e32 v102, 39
.LBB94_660:                             ; =>This Inner Loop Header: Depth=1
	ds_read_b64 v[110:111], v109
	v_mov_b32_e32 v112, s0
	s_add_i32 s0, s0, 1
	v_add_u32_e32 v109, 8, v109
	s_cmp_lg_u32 s18, s0
	s_waitcnt lgkmcnt(0)
	v_cmp_lt_f64_e64 vcc, |v[100:101]|, |v[110:111]|
	v_cndmask_b32_e32 v101, v101, v111, vcc
	v_cndmask_b32_e32 v100, v100, v110, vcc
	;; [unrolled: 1-line block ×3, first 2 shown]
	s_cbranch_scc1 .LBB94_660
.LBB94_661:
	s_waitcnt lgkmcnt(0)
	v_cmp_eq_f64_e32 vcc, 0, v[100:101]
	s_and_saveexec_b64 s[0:1], vcc
	s_xor_b64 s[0:1], exec, s[0:1]
; %bb.662:
	v_cmp_ne_u32_e32 vcc, 0, v108
	v_cndmask_b32_e32 v108, 40, v108, vcc
; %bb.663:
	s_andn2_saveexec_b64 s[0:1], s[0:1]
; %bb.664:
	v_div_scale_f64 v[110:111], s[2:3], v[100:101], v[100:101], 1.0
	v_rcp_f64_e32 v[112:113], v[110:111]
	v_div_scale_f64 v[114:115], vcc, 1.0, v[100:101], 1.0
	v_fma_f64 v[116:117], -v[110:111], v[112:113], 1.0
	v_fmac_f64_e32 v[112:113], v[112:113], v[116:117]
	v_fma_f64 v[116:117], -v[110:111], v[112:113], 1.0
	v_fmac_f64_e32 v[112:113], v[112:113], v[116:117]
	v_mul_f64 v[116:117], v[114:115], v[112:113]
	v_fma_f64 v[110:111], -v[110:111], v[116:117], v[114:115]
	v_div_fmas_f64 v[110:111], v[110:111], v[112:113], v[116:117]
	v_div_fixup_f64 v[100:101], v[110:111], v[100:101], 1.0
; %bb.665:
	s_or_b64 exec, exec, s[0:1]
	v_cmp_ne_u32_e32 vcc, v105, v102
	s_and_saveexec_b64 s[0:1], vcc
	s_xor_b64 s[0:1], exec, s[0:1]
	s_cbranch_execz .LBB94_671
; %bb.666:
	v_cmp_eq_u32_e32 vcc, 39, v105
	s_and_saveexec_b64 s[2:3], vcc
	s_cbranch_execz .LBB94_670
; %bb.667:
	v_cmp_ne_u32_e32 vcc, 39, v102
	s_xor_b64 s[14:15], s[6:7], -1
	s_and_b64 s[16:17], s[14:15], vcc
	s_and_saveexec_b64 s[14:15], s[16:17]
	s_cbranch_execz .LBB94_669
; %bb.668:
	v_ashrrev_i32_e32 v103, 31, v102
	v_lshlrev_b64 v[110:111], 2, v[102:103]
	v_add_co_u32_e32 v110, vcc, v4, v110
	v_addc_co_u32_e32 v111, vcc, v5, v111, vcc
	flat_load_dword v103, v[110:111]
	flat_load_dword v105, v[4:5] offset:156
	s_waitcnt vmcnt(0) lgkmcnt(0)
	flat_store_dword v[4:5], v103 offset:156
	flat_store_dword v[110:111], v105
.LBB94_669:
	s_or_b64 exec, exec, s[14:15]
	v_mov_b32_e32 v103, v102
	v_mov_b32_e32 v105, v102
.LBB94_670:
	s_or_b64 exec, exec, s[2:3]
.LBB94_671:
	s_andn2_saveexec_b64 s[0:1], s[0:1]
	s_cbranch_execz .LBB94_673
; %bb.672:
	v_mov_b32_e32 v110, v16
	v_mov_b32_e32 v111, v17
	v_mov_b32_e32 v112, v14
	v_mov_b32_e32 v113, v15
	ds_write2_b64 v104, v[110:111], v[112:113] offset0:40 offset1:41
	v_mov_b32_e32 v110, v12
	v_mov_b32_e32 v111, v13
	v_mov_b32_e32 v112, v8
	v_mov_b32_e32 v113, v9
	ds_write2_b64 v104, v[110:111], v[112:113] offset0:42 offset1:43
	;; [unrolled: 5-line block ×3, first 2 shown]
	v_mov_b32_e32 v110, v0
	v_mov_b32_e32 v111, v1
	;; [unrolled: 1-line block ×3, first 2 shown]
	ds_write2_b64 v104, v[110:111], v[98:99] offset0:46 offset1:47
.LBB94_673:
	s_or_b64 exec, exec, s[0:1]
	v_cmp_lt_i32_e32 vcc, 39, v105
	s_waitcnt lgkmcnt(0)
	s_barrier
	s_and_saveexec_b64 s[0:1], vcc
	s_cbranch_execz .LBB94_675
; %bb.674:
	ds_read2_b64 v[110:113], v104 offset0:40 offset1:41
	ds_read2_b64 v[114:117], v104 offset0:42 offset1:43
	v_mul_f64 v[18:19], v[100:101], v[18:19]
	ds_read2_b64 v[118:121], v104 offset0:44 offset1:45
	s_waitcnt lgkmcnt(0)
	v_fma_f64 v[16:17], -v[18:19], v[110:111], v[16:17]
	v_fma_f64 v[14:15], -v[18:19], v[112:113], v[14:15]
	ds_read2_b64 v[110:113], v104 offset0:46 offset1:47
	v_fma_f64 v[12:13], -v[18:19], v[114:115], v[12:13]
	v_fma_f64 v[8:9], -v[18:19], v[116:117], v[8:9]
	;; [unrolled: 1-line block ×4, first 2 shown]
	s_waitcnt lgkmcnt(0)
	v_fma_f64 v[0:1], -v[18:19], v[110:111], v[0:1]
	v_fma_f64 v[98:99], -v[18:19], v[112:113], v[98:99]
.LBB94_675:
	s_or_b64 exec, exec, s[0:1]
	v_lshl_add_u32 v100, v105, 3, v104
	s_barrier
	ds_write_b64 v100, v[16:17]
	s_waitcnt lgkmcnt(0)
	s_barrier
	ds_read_b64 v[100:101], v104 offset:320
	s_cmp_lt_i32 s18, 42
	v_mov_b32_e32 v102, 40
	s_cbranch_scc1 .LBB94_678
; %bb.676:
	v_add_u32_e32 v109, 0x148, v104
	s_mov_b32 s0, 41
	v_mov_b32_e32 v102, 40
.LBB94_677:                             ; =>This Inner Loop Header: Depth=1
	ds_read_b64 v[110:111], v109
	v_mov_b32_e32 v112, s0
	s_add_i32 s0, s0, 1
	v_add_u32_e32 v109, 8, v109
	s_cmp_lg_u32 s18, s0
	s_waitcnt lgkmcnt(0)
	v_cmp_lt_f64_e64 vcc, |v[100:101]|, |v[110:111]|
	v_cndmask_b32_e32 v101, v101, v111, vcc
	v_cndmask_b32_e32 v100, v100, v110, vcc
	;; [unrolled: 1-line block ×3, first 2 shown]
	s_cbranch_scc1 .LBB94_677
.LBB94_678:
	s_waitcnt lgkmcnt(0)
	v_cmp_eq_f64_e32 vcc, 0, v[100:101]
	s_and_saveexec_b64 s[0:1], vcc
	s_xor_b64 s[0:1], exec, s[0:1]
; %bb.679:
	v_cmp_ne_u32_e32 vcc, 0, v108
	v_cndmask_b32_e32 v108, 41, v108, vcc
; %bb.680:
	s_andn2_saveexec_b64 s[0:1], s[0:1]
; %bb.681:
	v_div_scale_f64 v[110:111], s[2:3], v[100:101], v[100:101], 1.0
	v_rcp_f64_e32 v[112:113], v[110:111]
	v_div_scale_f64 v[114:115], vcc, 1.0, v[100:101], 1.0
	v_fma_f64 v[116:117], -v[110:111], v[112:113], 1.0
	v_fmac_f64_e32 v[112:113], v[112:113], v[116:117]
	v_fma_f64 v[116:117], -v[110:111], v[112:113], 1.0
	v_fmac_f64_e32 v[112:113], v[112:113], v[116:117]
	v_mul_f64 v[116:117], v[114:115], v[112:113]
	v_fma_f64 v[110:111], -v[110:111], v[116:117], v[114:115]
	v_div_fmas_f64 v[110:111], v[110:111], v[112:113], v[116:117]
	v_div_fixup_f64 v[100:101], v[110:111], v[100:101], 1.0
; %bb.682:
	s_or_b64 exec, exec, s[0:1]
	v_cmp_ne_u32_e32 vcc, v105, v102
	s_and_saveexec_b64 s[0:1], vcc
	s_xor_b64 s[0:1], exec, s[0:1]
	s_cbranch_execz .LBB94_688
; %bb.683:
	v_cmp_eq_u32_e32 vcc, 40, v105
	s_and_saveexec_b64 s[2:3], vcc
	s_cbranch_execz .LBB94_687
; %bb.684:
	v_cmp_ne_u32_e32 vcc, 40, v102
	s_xor_b64 s[14:15], s[6:7], -1
	s_and_b64 s[16:17], s[14:15], vcc
	s_and_saveexec_b64 s[14:15], s[16:17]
	s_cbranch_execz .LBB94_686
; %bb.685:
	v_ashrrev_i32_e32 v103, 31, v102
	v_lshlrev_b64 v[110:111], 2, v[102:103]
	v_add_co_u32_e32 v110, vcc, v4, v110
	v_addc_co_u32_e32 v111, vcc, v5, v111, vcc
	flat_load_dword v103, v[110:111]
	flat_load_dword v105, v[4:5] offset:160
	s_waitcnt vmcnt(0) lgkmcnt(0)
	flat_store_dword v[4:5], v103 offset:160
	flat_store_dword v[110:111], v105
.LBB94_686:
	s_or_b64 exec, exec, s[14:15]
	v_mov_b32_e32 v103, v102
	v_mov_b32_e32 v105, v102
.LBB94_687:
	s_or_b64 exec, exec, s[2:3]
.LBB94_688:
	s_andn2_saveexec_b64 s[0:1], s[0:1]
	s_cbranch_execz .LBB94_690
; %bb.689:
	v_mov_b32_e32 v105, 40
	ds_write2_b64 v104, v[14:15], v[12:13] offset0:41 offset1:42
	ds_write2_b64 v104, v[8:9], v[10:11] offset0:43 offset1:44
	;; [unrolled: 1-line block ×3, first 2 shown]
	ds_write_b64 v104, v[98:99] offset:376
.LBB94_690:
	s_or_b64 exec, exec, s[0:1]
	v_cmp_lt_i32_e32 vcc, 40, v105
	s_waitcnt lgkmcnt(0)
	s_barrier
	s_and_saveexec_b64 s[0:1], vcc
	s_cbranch_execz .LBB94_692
; %bb.691:
	ds_read2_b64 v[110:113], v104 offset0:41 offset1:42
	ds_read2_b64 v[114:117], v104 offset0:43 offset1:44
	v_mul_f64 v[16:17], v[100:101], v[16:17]
	ds_read2_b64 v[118:121], v104 offset0:45 offset1:46
	ds_read_b64 v[100:101], v104 offset:376
	s_waitcnt lgkmcnt(0)
	v_fma_f64 v[14:15], -v[16:17], v[110:111], v[14:15]
	v_fma_f64 v[12:13], -v[16:17], v[112:113], v[12:13]
	;; [unrolled: 1-line block ×7, first 2 shown]
.LBB94_692:
	s_or_b64 exec, exec, s[0:1]
	v_lshl_add_u32 v100, v105, 3, v104
	s_barrier
	ds_write_b64 v100, v[14:15]
	s_waitcnt lgkmcnt(0)
	s_barrier
	ds_read_b64 v[100:101], v104 offset:328
	s_cmp_lt_i32 s18, 43
	v_mov_b32_e32 v102, 41
	s_cbranch_scc1 .LBB94_695
; %bb.693:
	v_add_u32_e32 v109, 0x150, v104
	s_mov_b32 s0, 42
	v_mov_b32_e32 v102, 41
.LBB94_694:                             ; =>This Inner Loop Header: Depth=1
	ds_read_b64 v[110:111], v109
	v_mov_b32_e32 v112, s0
	s_add_i32 s0, s0, 1
	v_add_u32_e32 v109, 8, v109
	s_cmp_lg_u32 s18, s0
	s_waitcnt lgkmcnt(0)
	v_cmp_lt_f64_e64 vcc, |v[100:101]|, |v[110:111]|
	v_cndmask_b32_e32 v101, v101, v111, vcc
	v_cndmask_b32_e32 v100, v100, v110, vcc
	;; [unrolled: 1-line block ×3, first 2 shown]
	s_cbranch_scc1 .LBB94_694
.LBB94_695:
	s_waitcnt lgkmcnt(0)
	v_cmp_eq_f64_e32 vcc, 0, v[100:101]
	s_and_saveexec_b64 s[0:1], vcc
	s_xor_b64 s[0:1], exec, s[0:1]
; %bb.696:
	v_cmp_ne_u32_e32 vcc, 0, v108
	v_cndmask_b32_e32 v108, 42, v108, vcc
; %bb.697:
	s_andn2_saveexec_b64 s[0:1], s[0:1]
; %bb.698:
	v_div_scale_f64 v[110:111], s[2:3], v[100:101], v[100:101], 1.0
	v_rcp_f64_e32 v[112:113], v[110:111]
	v_div_scale_f64 v[114:115], vcc, 1.0, v[100:101], 1.0
	v_fma_f64 v[116:117], -v[110:111], v[112:113], 1.0
	v_fmac_f64_e32 v[112:113], v[112:113], v[116:117]
	v_fma_f64 v[116:117], -v[110:111], v[112:113], 1.0
	v_fmac_f64_e32 v[112:113], v[112:113], v[116:117]
	v_mul_f64 v[116:117], v[114:115], v[112:113]
	v_fma_f64 v[110:111], -v[110:111], v[116:117], v[114:115]
	v_div_fmas_f64 v[110:111], v[110:111], v[112:113], v[116:117]
	v_div_fixup_f64 v[100:101], v[110:111], v[100:101], 1.0
; %bb.699:
	s_or_b64 exec, exec, s[0:1]
	v_cmp_ne_u32_e32 vcc, v105, v102
	s_and_saveexec_b64 s[0:1], vcc
	s_xor_b64 s[0:1], exec, s[0:1]
	s_cbranch_execz .LBB94_705
; %bb.700:
	v_cmp_eq_u32_e32 vcc, 41, v105
	s_and_saveexec_b64 s[2:3], vcc
	s_cbranch_execz .LBB94_704
; %bb.701:
	v_cmp_ne_u32_e32 vcc, 41, v102
	s_xor_b64 s[14:15], s[6:7], -1
	s_and_b64 s[16:17], s[14:15], vcc
	s_and_saveexec_b64 s[14:15], s[16:17]
	s_cbranch_execz .LBB94_703
; %bb.702:
	v_ashrrev_i32_e32 v103, 31, v102
	v_lshlrev_b64 v[110:111], 2, v[102:103]
	v_add_co_u32_e32 v110, vcc, v4, v110
	v_addc_co_u32_e32 v111, vcc, v5, v111, vcc
	flat_load_dword v103, v[110:111]
	flat_load_dword v105, v[4:5] offset:164
	s_waitcnt vmcnt(0) lgkmcnt(0)
	flat_store_dword v[4:5], v103 offset:164
	flat_store_dword v[110:111], v105
.LBB94_703:
	s_or_b64 exec, exec, s[14:15]
	v_mov_b32_e32 v103, v102
	v_mov_b32_e32 v105, v102
.LBB94_704:
	s_or_b64 exec, exec, s[2:3]
.LBB94_705:
	s_andn2_saveexec_b64 s[0:1], s[0:1]
	s_cbranch_execz .LBB94_707
; %bb.706:
	v_mov_b32_e32 v110, v12
	v_mov_b32_e32 v111, v13
	;; [unrolled: 1-line block ×4, first 2 shown]
	ds_write2_b64 v104, v[110:111], v[112:113] offset0:42 offset1:43
	v_mov_b32_e32 v110, v10
	v_mov_b32_e32 v111, v11
	;; [unrolled: 1-line block ×4, first 2 shown]
	ds_write2_b64 v104, v[110:111], v[112:113] offset0:44 offset1:45
	v_mov_b32_e32 v110, v0
	v_mov_b32_e32 v111, v1
	;; [unrolled: 1-line block ×3, first 2 shown]
	ds_write2_b64 v104, v[110:111], v[98:99] offset0:46 offset1:47
.LBB94_707:
	s_or_b64 exec, exec, s[0:1]
	v_cmp_lt_i32_e32 vcc, 41, v105
	s_waitcnt lgkmcnt(0)
	s_barrier
	s_and_saveexec_b64 s[0:1], vcc
	s_cbranch_execz .LBB94_709
; %bb.708:
	ds_read2_b64 v[110:113], v104 offset0:42 offset1:43
	ds_read2_b64 v[114:117], v104 offset0:44 offset1:45
	ds_read2_b64 v[118:121], v104 offset0:46 offset1:47
	v_mul_f64 v[14:15], v[100:101], v[14:15]
	s_waitcnt lgkmcnt(0)
	v_fma_f64 v[12:13], -v[14:15], v[110:111], v[12:13]
	v_fma_f64 v[8:9], -v[14:15], v[112:113], v[8:9]
	;; [unrolled: 1-line block ×6, first 2 shown]
.LBB94_709:
	s_or_b64 exec, exec, s[0:1]
	v_lshl_add_u32 v100, v105, 3, v104
	s_barrier
	ds_write_b64 v100, v[12:13]
	s_waitcnt lgkmcnt(0)
	s_barrier
	ds_read_b64 v[100:101], v104 offset:336
	s_cmp_lt_i32 s18, 44
	v_mov_b32_e32 v102, 42
	s_cbranch_scc1 .LBB94_712
; %bb.710:
	v_add_u32_e32 v109, 0x158, v104
	s_mov_b32 s0, 43
	v_mov_b32_e32 v102, 42
.LBB94_711:                             ; =>This Inner Loop Header: Depth=1
	ds_read_b64 v[110:111], v109
	v_mov_b32_e32 v112, s0
	s_add_i32 s0, s0, 1
	v_add_u32_e32 v109, 8, v109
	s_cmp_lg_u32 s18, s0
	s_waitcnt lgkmcnt(0)
	v_cmp_lt_f64_e64 vcc, |v[100:101]|, |v[110:111]|
	v_cndmask_b32_e32 v101, v101, v111, vcc
	v_cndmask_b32_e32 v100, v100, v110, vcc
	v_cndmask_b32_e32 v102, v102, v112, vcc
	s_cbranch_scc1 .LBB94_711
.LBB94_712:
	s_waitcnt lgkmcnt(0)
	v_cmp_eq_f64_e32 vcc, 0, v[100:101]
	s_and_saveexec_b64 s[0:1], vcc
	s_xor_b64 s[0:1], exec, s[0:1]
; %bb.713:
	v_cmp_ne_u32_e32 vcc, 0, v108
	v_cndmask_b32_e32 v108, 43, v108, vcc
; %bb.714:
	s_andn2_saveexec_b64 s[0:1], s[0:1]
; %bb.715:
	v_div_scale_f64 v[110:111], s[2:3], v[100:101], v[100:101], 1.0
	v_rcp_f64_e32 v[112:113], v[110:111]
	v_div_scale_f64 v[114:115], vcc, 1.0, v[100:101], 1.0
	v_fma_f64 v[116:117], -v[110:111], v[112:113], 1.0
	v_fmac_f64_e32 v[112:113], v[112:113], v[116:117]
	v_fma_f64 v[116:117], -v[110:111], v[112:113], 1.0
	v_fmac_f64_e32 v[112:113], v[112:113], v[116:117]
	v_mul_f64 v[116:117], v[114:115], v[112:113]
	v_fma_f64 v[110:111], -v[110:111], v[116:117], v[114:115]
	v_div_fmas_f64 v[110:111], v[110:111], v[112:113], v[116:117]
	v_div_fixup_f64 v[100:101], v[110:111], v[100:101], 1.0
; %bb.716:
	s_or_b64 exec, exec, s[0:1]
	v_cmp_ne_u32_e32 vcc, v105, v102
	s_and_saveexec_b64 s[0:1], vcc
	s_xor_b64 s[0:1], exec, s[0:1]
	s_cbranch_execz .LBB94_722
; %bb.717:
	v_cmp_eq_u32_e32 vcc, 42, v105
	s_and_saveexec_b64 s[2:3], vcc
	s_cbranch_execz .LBB94_721
; %bb.718:
	v_cmp_ne_u32_e32 vcc, 42, v102
	s_xor_b64 s[14:15], s[6:7], -1
	s_and_b64 s[16:17], s[14:15], vcc
	s_and_saveexec_b64 s[14:15], s[16:17]
	s_cbranch_execz .LBB94_720
; %bb.719:
	v_ashrrev_i32_e32 v103, 31, v102
	v_lshlrev_b64 v[110:111], 2, v[102:103]
	v_add_co_u32_e32 v110, vcc, v4, v110
	v_addc_co_u32_e32 v111, vcc, v5, v111, vcc
	flat_load_dword v103, v[110:111]
	flat_load_dword v105, v[4:5] offset:168
	s_waitcnt vmcnt(0) lgkmcnt(0)
	flat_store_dword v[4:5], v103 offset:168
	flat_store_dword v[110:111], v105
.LBB94_720:
	s_or_b64 exec, exec, s[14:15]
	v_mov_b32_e32 v103, v102
	v_mov_b32_e32 v105, v102
.LBB94_721:
	s_or_b64 exec, exec, s[2:3]
.LBB94_722:
	s_andn2_saveexec_b64 s[0:1], s[0:1]
	s_cbranch_execz .LBB94_724
; %bb.723:
	v_mov_b32_e32 v105, 42
	ds_write2_b64 v104, v[8:9], v[10:11] offset0:43 offset1:44
	ds_write2_b64 v104, v[6:7], v[0:1] offset0:45 offset1:46
	ds_write_b64 v104, v[98:99] offset:376
.LBB94_724:
	s_or_b64 exec, exec, s[0:1]
	v_cmp_lt_i32_e32 vcc, 42, v105
	s_waitcnt lgkmcnt(0)
	s_barrier
	s_and_saveexec_b64 s[0:1], vcc
	s_cbranch_execz .LBB94_726
; %bb.725:
	ds_read2_b64 v[110:113], v104 offset0:43 offset1:44
	ds_read2_b64 v[114:117], v104 offset0:45 offset1:46
	v_mul_f64 v[12:13], v[100:101], v[12:13]
	ds_read_b64 v[100:101], v104 offset:376
	s_waitcnt lgkmcnt(0)
	v_fma_f64 v[8:9], -v[12:13], v[110:111], v[8:9]
	v_fma_f64 v[10:11], -v[12:13], v[112:113], v[10:11]
	;; [unrolled: 1-line block ×5, first 2 shown]
.LBB94_726:
	s_or_b64 exec, exec, s[0:1]
	v_lshl_add_u32 v100, v105, 3, v104
	s_barrier
	ds_write_b64 v100, v[8:9]
	s_waitcnt lgkmcnt(0)
	s_barrier
	ds_read_b64 v[100:101], v104 offset:344
	s_cmp_lt_i32 s18, 45
	v_mov_b32_e32 v102, 43
	s_cbranch_scc1 .LBB94_729
; %bb.727:
	v_add_u32_e32 v109, 0x160, v104
	s_mov_b32 s0, 44
	v_mov_b32_e32 v102, 43
.LBB94_728:                             ; =>This Inner Loop Header: Depth=1
	ds_read_b64 v[110:111], v109
	v_mov_b32_e32 v112, s0
	s_add_i32 s0, s0, 1
	v_add_u32_e32 v109, 8, v109
	s_cmp_lg_u32 s18, s0
	s_waitcnt lgkmcnt(0)
	v_cmp_lt_f64_e64 vcc, |v[100:101]|, |v[110:111]|
	v_cndmask_b32_e32 v101, v101, v111, vcc
	v_cndmask_b32_e32 v100, v100, v110, vcc
	;; [unrolled: 1-line block ×3, first 2 shown]
	s_cbranch_scc1 .LBB94_728
.LBB94_729:
	s_waitcnt lgkmcnt(0)
	v_cmp_eq_f64_e32 vcc, 0, v[100:101]
	s_and_saveexec_b64 s[0:1], vcc
	s_xor_b64 s[0:1], exec, s[0:1]
; %bb.730:
	v_cmp_ne_u32_e32 vcc, 0, v108
	v_cndmask_b32_e32 v108, 44, v108, vcc
; %bb.731:
	s_andn2_saveexec_b64 s[0:1], s[0:1]
; %bb.732:
	v_div_scale_f64 v[110:111], s[2:3], v[100:101], v[100:101], 1.0
	v_rcp_f64_e32 v[112:113], v[110:111]
	v_div_scale_f64 v[114:115], vcc, 1.0, v[100:101], 1.0
	v_fma_f64 v[116:117], -v[110:111], v[112:113], 1.0
	v_fmac_f64_e32 v[112:113], v[112:113], v[116:117]
	v_fma_f64 v[116:117], -v[110:111], v[112:113], 1.0
	v_fmac_f64_e32 v[112:113], v[112:113], v[116:117]
	v_mul_f64 v[116:117], v[114:115], v[112:113]
	v_fma_f64 v[110:111], -v[110:111], v[116:117], v[114:115]
	v_div_fmas_f64 v[110:111], v[110:111], v[112:113], v[116:117]
	v_div_fixup_f64 v[100:101], v[110:111], v[100:101], 1.0
; %bb.733:
	s_or_b64 exec, exec, s[0:1]
	v_cmp_ne_u32_e32 vcc, v105, v102
	s_and_saveexec_b64 s[0:1], vcc
	s_xor_b64 s[0:1], exec, s[0:1]
	s_cbranch_execz .LBB94_739
; %bb.734:
	v_cmp_eq_u32_e32 vcc, 43, v105
	s_and_saveexec_b64 s[2:3], vcc
	s_cbranch_execz .LBB94_738
; %bb.735:
	v_cmp_ne_u32_e32 vcc, 43, v102
	s_xor_b64 s[14:15], s[6:7], -1
	s_and_b64 s[16:17], s[14:15], vcc
	s_and_saveexec_b64 s[14:15], s[16:17]
	s_cbranch_execz .LBB94_737
; %bb.736:
	v_ashrrev_i32_e32 v103, 31, v102
	v_lshlrev_b64 v[110:111], 2, v[102:103]
	v_add_co_u32_e32 v110, vcc, v4, v110
	v_addc_co_u32_e32 v111, vcc, v5, v111, vcc
	flat_load_dword v103, v[110:111]
	flat_load_dword v105, v[4:5] offset:172
	s_waitcnt vmcnt(0) lgkmcnt(0)
	flat_store_dword v[4:5], v103 offset:172
	flat_store_dword v[110:111], v105
.LBB94_737:
	s_or_b64 exec, exec, s[14:15]
	v_mov_b32_e32 v103, v102
	v_mov_b32_e32 v105, v102
.LBB94_738:
	s_or_b64 exec, exec, s[2:3]
.LBB94_739:
	s_andn2_saveexec_b64 s[0:1], s[0:1]
	s_cbranch_execz .LBB94_741
; %bb.740:
	v_mov_b32_e32 v110, v10
	v_mov_b32_e32 v111, v11
	;; [unrolled: 1-line block ×4, first 2 shown]
	ds_write2_b64 v104, v[110:111], v[112:113] offset0:44 offset1:45
	v_mov_b32_e32 v110, v0
	v_mov_b32_e32 v111, v1
	;; [unrolled: 1-line block ×3, first 2 shown]
	ds_write2_b64 v104, v[110:111], v[98:99] offset0:46 offset1:47
.LBB94_741:
	s_or_b64 exec, exec, s[0:1]
	v_cmp_lt_i32_e32 vcc, 43, v105
	s_waitcnt lgkmcnt(0)
	s_barrier
	s_and_saveexec_b64 s[0:1], vcc
	s_cbranch_execz .LBB94_743
; %bb.742:
	ds_read2_b64 v[110:113], v104 offset0:44 offset1:45
	ds_read2_b64 v[114:117], v104 offset0:46 offset1:47
	v_mul_f64 v[8:9], v[100:101], v[8:9]
	s_waitcnt lgkmcnt(0)
	v_fma_f64 v[10:11], -v[8:9], v[110:111], v[10:11]
	v_fma_f64 v[6:7], -v[8:9], v[112:113], v[6:7]
	v_fma_f64 v[0:1], -v[8:9], v[114:115], v[0:1]
	v_fma_f64 v[98:99], -v[8:9], v[116:117], v[98:99]
.LBB94_743:
	s_or_b64 exec, exec, s[0:1]
	v_lshl_add_u32 v100, v105, 3, v104
	s_barrier
	ds_write_b64 v100, v[10:11]
	s_waitcnt lgkmcnt(0)
	s_barrier
	ds_read_b64 v[100:101], v104 offset:352
	s_cmp_lt_i32 s18, 46
	v_mov_b32_e32 v102, 44
	s_cbranch_scc1 .LBB94_746
; %bb.744:
	v_add_u32_e32 v109, 0x168, v104
	s_mov_b32 s0, 45
	v_mov_b32_e32 v102, 44
.LBB94_745:                             ; =>This Inner Loop Header: Depth=1
	ds_read_b64 v[110:111], v109
	v_mov_b32_e32 v112, s0
	s_add_i32 s0, s0, 1
	v_add_u32_e32 v109, 8, v109
	s_cmp_lg_u32 s18, s0
	s_waitcnt lgkmcnt(0)
	v_cmp_lt_f64_e64 vcc, |v[100:101]|, |v[110:111]|
	v_cndmask_b32_e32 v101, v101, v111, vcc
	v_cndmask_b32_e32 v100, v100, v110, vcc
	v_cndmask_b32_e32 v102, v102, v112, vcc
	s_cbranch_scc1 .LBB94_745
.LBB94_746:
	s_waitcnt lgkmcnt(0)
	v_cmp_eq_f64_e32 vcc, 0, v[100:101]
	s_and_saveexec_b64 s[0:1], vcc
	s_xor_b64 s[0:1], exec, s[0:1]
; %bb.747:
	v_cmp_ne_u32_e32 vcc, 0, v108
	v_cndmask_b32_e32 v108, 45, v108, vcc
; %bb.748:
	s_andn2_saveexec_b64 s[0:1], s[0:1]
; %bb.749:
	v_div_scale_f64 v[110:111], s[2:3], v[100:101], v[100:101], 1.0
	v_rcp_f64_e32 v[112:113], v[110:111]
	v_div_scale_f64 v[114:115], vcc, 1.0, v[100:101], 1.0
	v_fma_f64 v[116:117], -v[110:111], v[112:113], 1.0
	v_fmac_f64_e32 v[112:113], v[112:113], v[116:117]
	v_fma_f64 v[116:117], -v[110:111], v[112:113], 1.0
	v_fmac_f64_e32 v[112:113], v[112:113], v[116:117]
	v_mul_f64 v[116:117], v[114:115], v[112:113]
	v_fma_f64 v[110:111], -v[110:111], v[116:117], v[114:115]
	v_div_fmas_f64 v[110:111], v[110:111], v[112:113], v[116:117]
	v_div_fixup_f64 v[100:101], v[110:111], v[100:101], 1.0
; %bb.750:
	s_or_b64 exec, exec, s[0:1]
	v_cmp_ne_u32_e32 vcc, v105, v102
	s_and_saveexec_b64 s[0:1], vcc
	s_xor_b64 s[0:1], exec, s[0:1]
	s_cbranch_execz .LBB94_756
; %bb.751:
	v_cmp_eq_u32_e32 vcc, 44, v105
	s_and_saveexec_b64 s[2:3], vcc
	s_cbranch_execz .LBB94_755
; %bb.752:
	v_cmp_ne_u32_e32 vcc, 44, v102
	s_xor_b64 s[14:15], s[6:7], -1
	s_and_b64 s[16:17], s[14:15], vcc
	s_and_saveexec_b64 s[14:15], s[16:17]
	s_cbranch_execz .LBB94_754
; %bb.753:
	v_ashrrev_i32_e32 v103, 31, v102
	v_lshlrev_b64 v[110:111], 2, v[102:103]
	v_add_co_u32_e32 v110, vcc, v4, v110
	v_addc_co_u32_e32 v111, vcc, v5, v111, vcc
	flat_load_dword v103, v[110:111]
	flat_load_dword v105, v[4:5] offset:176
	s_waitcnt vmcnt(0) lgkmcnt(0)
	flat_store_dword v[4:5], v103 offset:176
	flat_store_dword v[110:111], v105
.LBB94_754:
	s_or_b64 exec, exec, s[14:15]
	v_mov_b32_e32 v103, v102
	v_mov_b32_e32 v105, v102
.LBB94_755:
	s_or_b64 exec, exec, s[2:3]
.LBB94_756:
	s_andn2_saveexec_b64 s[0:1], s[0:1]
	s_cbranch_execz .LBB94_758
; %bb.757:
	v_mov_b32_e32 v105, 44
	ds_write2_b64 v104, v[6:7], v[0:1] offset0:45 offset1:46
	ds_write_b64 v104, v[98:99] offset:376
.LBB94_758:
	s_or_b64 exec, exec, s[0:1]
	v_cmp_lt_i32_e32 vcc, 44, v105
	s_waitcnt lgkmcnt(0)
	s_barrier
	s_and_saveexec_b64 s[0:1], vcc
	s_cbranch_execz .LBB94_760
; %bb.759:
	ds_read2_b64 v[110:113], v104 offset0:45 offset1:46
	ds_read_b64 v[114:115], v104 offset:376
	v_mul_f64 v[10:11], v[100:101], v[10:11]
	s_waitcnt lgkmcnt(0)
	v_fma_f64 v[6:7], -v[10:11], v[110:111], v[6:7]
	v_fma_f64 v[0:1], -v[10:11], v[112:113], v[0:1]
	v_fma_f64 v[98:99], -v[10:11], v[114:115], v[98:99]
.LBB94_760:
	s_or_b64 exec, exec, s[0:1]
	v_lshl_add_u32 v100, v105, 3, v104
	s_barrier
	ds_write_b64 v100, v[6:7]
	s_waitcnt lgkmcnt(0)
	s_barrier
	ds_read_b64 v[100:101], v104 offset:360
	s_cmp_lt_i32 s18, 47
	v_mov_b32_e32 v102, 45
	s_cbranch_scc1 .LBB94_763
; %bb.761:
	v_add_u32_e32 v109, 0x170, v104
	s_mov_b32 s0, 46
	v_mov_b32_e32 v102, 45
.LBB94_762:                             ; =>This Inner Loop Header: Depth=1
	ds_read_b64 v[110:111], v109
	v_mov_b32_e32 v112, s0
	s_add_i32 s0, s0, 1
	v_add_u32_e32 v109, 8, v109
	s_cmp_lg_u32 s18, s0
	s_waitcnt lgkmcnt(0)
	v_cmp_lt_f64_e64 vcc, |v[100:101]|, |v[110:111]|
	v_cndmask_b32_e32 v101, v101, v111, vcc
	v_cndmask_b32_e32 v100, v100, v110, vcc
	;; [unrolled: 1-line block ×3, first 2 shown]
	s_cbranch_scc1 .LBB94_762
.LBB94_763:
	s_waitcnt lgkmcnt(0)
	v_cmp_eq_f64_e32 vcc, 0, v[100:101]
	s_and_saveexec_b64 s[0:1], vcc
	s_xor_b64 s[0:1], exec, s[0:1]
; %bb.764:
	v_cmp_ne_u32_e32 vcc, 0, v108
	v_cndmask_b32_e32 v108, 46, v108, vcc
; %bb.765:
	s_andn2_saveexec_b64 s[0:1], s[0:1]
; %bb.766:
	v_div_scale_f64 v[110:111], s[2:3], v[100:101], v[100:101], 1.0
	v_rcp_f64_e32 v[112:113], v[110:111]
	v_div_scale_f64 v[114:115], vcc, 1.0, v[100:101], 1.0
	v_fma_f64 v[116:117], -v[110:111], v[112:113], 1.0
	v_fmac_f64_e32 v[112:113], v[112:113], v[116:117]
	v_fma_f64 v[116:117], -v[110:111], v[112:113], 1.0
	v_fmac_f64_e32 v[112:113], v[112:113], v[116:117]
	v_mul_f64 v[116:117], v[114:115], v[112:113]
	v_fma_f64 v[110:111], -v[110:111], v[116:117], v[114:115]
	v_div_fmas_f64 v[110:111], v[110:111], v[112:113], v[116:117]
	v_div_fixup_f64 v[100:101], v[110:111], v[100:101], 1.0
; %bb.767:
	s_or_b64 exec, exec, s[0:1]
	v_cmp_ne_u32_e32 vcc, v105, v102
	s_and_saveexec_b64 s[0:1], vcc
	s_xor_b64 s[0:1], exec, s[0:1]
	s_cbranch_execz .LBB94_773
; %bb.768:
	v_cmp_eq_u32_e32 vcc, 45, v105
	s_and_saveexec_b64 s[2:3], vcc
	s_cbranch_execz .LBB94_772
; %bb.769:
	v_cmp_ne_u32_e32 vcc, 45, v102
	s_xor_b64 s[14:15], s[6:7], -1
	s_and_b64 s[16:17], s[14:15], vcc
	s_and_saveexec_b64 s[14:15], s[16:17]
	s_cbranch_execz .LBB94_771
; %bb.770:
	v_ashrrev_i32_e32 v103, 31, v102
	v_lshlrev_b64 v[110:111], 2, v[102:103]
	v_add_co_u32_e32 v110, vcc, v4, v110
	v_addc_co_u32_e32 v111, vcc, v5, v111, vcc
	flat_load_dword v103, v[110:111]
	flat_load_dword v105, v[4:5] offset:180
	s_waitcnt vmcnt(0) lgkmcnt(0)
	flat_store_dword v[4:5], v103 offset:180
	flat_store_dword v[110:111], v105
.LBB94_771:
	s_or_b64 exec, exec, s[14:15]
	v_mov_b32_e32 v103, v102
	v_mov_b32_e32 v105, v102
.LBB94_772:
	s_or_b64 exec, exec, s[2:3]
.LBB94_773:
	s_andn2_saveexec_b64 s[0:1], s[0:1]
	s_cbranch_execz .LBB94_775
; %bb.774:
	v_mov_b32_e32 v110, v0
	v_mov_b32_e32 v111, v1
	v_mov_b32_e32 v105, 45
	ds_write2_b64 v104, v[110:111], v[98:99] offset0:46 offset1:47
.LBB94_775:
	s_or_b64 exec, exec, s[0:1]
	v_cmp_lt_i32_e32 vcc, 45, v105
	s_waitcnt lgkmcnt(0)
	s_barrier
	s_and_saveexec_b64 s[0:1], vcc
	s_cbranch_execz .LBB94_777
; %bb.776:
	ds_read2_b64 v[110:113], v104 offset0:46 offset1:47
	v_mul_f64 v[6:7], v[100:101], v[6:7]
	s_waitcnt lgkmcnt(0)
	v_fma_f64 v[0:1], -v[6:7], v[110:111], v[0:1]
	v_fma_f64 v[98:99], -v[6:7], v[112:113], v[98:99]
.LBB94_777:
	s_or_b64 exec, exec, s[0:1]
	v_lshl_add_u32 v100, v105, 3, v104
	s_barrier
	ds_write_b64 v100, v[0:1]
	s_waitcnt lgkmcnt(0)
	s_barrier
	ds_read_b64 v[100:101], v104 offset:368
	s_cmp_lt_i32 s18, 48
	v_mov_b32_e32 v102, 46
	s_cbranch_scc1 .LBB94_780
; %bb.778:
	v_add_u32_e32 v109, 0x178, v104
	s_mov_b32 s0, 47
	v_mov_b32_e32 v102, 46
.LBB94_779:                             ; =>This Inner Loop Header: Depth=1
	ds_read_b64 v[110:111], v109
	v_mov_b32_e32 v112, s0
	s_add_i32 s0, s0, 1
	v_add_u32_e32 v109, 8, v109
	s_cmp_lg_u32 s18, s0
	s_waitcnt lgkmcnt(0)
	v_cmp_lt_f64_e64 vcc, |v[100:101]|, |v[110:111]|
	v_cndmask_b32_e32 v101, v101, v111, vcc
	v_cndmask_b32_e32 v100, v100, v110, vcc
	;; [unrolled: 1-line block ×3, first 2 shown]
	s_cbranch_scc1 .LBB94_779
.LBB94_780:
	s_waitcnt lgkmcnt(0)
	v_cmp_eq_f64_e32 vcc, 0, v[100:101]
	s_and_saveexec_b64 s[0:1], vcc
	s_xor_b64 s[0:1], exec, s[0:1]
; %bb.781:
	v_cmp_ne_u32_e32 vcc, 0, v108
	v_cndmask_b32_e32 v108, 47, v108, vcc
; %bb.782:
	s_andn2_saveexec_b64 s[0:1], s[0:1]
; %bb.783:
	v_div_scale_f64 v[110:111], s[2:3], v[100:101], v[100:101], 1.0
	v_rcp_f64_e32 v[112:113], v[110:111]
	v_div_scale_f64 v[114:115], vcc, 1.0, v[100:101], 1.0
	v_fma_f64 v[116:117], -v[110:111], v[112:113], 1.0
	v_fmac_f64_e32 v[112:113], v[112:113], v[116:117]
	v_fma_f64 v[116:117], -v[110:111], v[112:113], 1.0
	v_fmac_f64_e32 v[112:113], v[112:113], v[116:117]
	v_mul_f64 v[116:117], v[114:115], v[112:113]
	v_fma_f64 v[110:111], -v[110:111], v[116:117], v[114:115]
	v_div_fmas_f64 v[110:111], v[110:111], v[112:113], v[116:117]
	v_div_fixup_f64 v[100:101], v[110:111], v[100:101], 1.0
; %bb.784:
	s_or_b64 exec, exec, s[0:1]
	v_cmp_ne_u32_e32 vcc, v105, v102
	s_and_saveexec_b64 s[0:1], vcc
	s_xor_b64 s[0:1], exec, s[0:1]
	s_cbranch_execz .LBB94_790
; %bb.785:
	v_cmp_eq_u32_e32 vcc, 46, v105
	s_and_saveexec_b64 s[2:3], vcc
	s_cbranch_execz .LBB94_789
; %bb.786:
	v_cmp_ne_u32_e32 vcc, 46, v102
	s_xor_b64 s[14:15], s[6:7], -1
	s_and_b64 s[16:17], s[14:15], vcc
	s_and_saveexec_b64 s[14:15], s[16:17]
	s_cbranch_execz .LBB94_788
; %bb.787:
	v_ashrrev_i32_e32 v103, 31, v102
	v_lshlrev_b64 v[110:111], 2, v[102:103]
	v_add_co_u32_e32 v110, vcc, v4, v110
	v_addc_co_u32_e32 v111, vcc, v5, v111, vcc
	flat_load_dword v103, v[110:111]
	flat_load_dword v105, v[4:5] offset:184
	s_waitcnt vmcnt(0) lgkmcnt(0)
	flat_store_dword v[4:5], v103 offset:184
	flat_store_dword v[110:111], v105
.LBB94_788:
	s_or_b64 exec, exec, s[14:15]
	v_mov_b32_e32 v103, v102
	v_mov_b32_e32 v105, v102
.LBB94_789:
	s_or_b64 exec, exec, s[2:3]
.LBB94_790:
	s_andn2_saveexec_b64 s[0:1], s[0:1]
	s_cbranch_execz .LBB94_792
; %bb.791:
	v_mov_b32_e32 v105, 46
	ds_write_b64 v104, v[98:99] offset:376
.LBB94_792:
	s_or_b64 exec, exec, s[0:1]
	v_cmp_lt_i32_e32 vcc, 46, v105
	s_waitcnt lgkmcnt(0)
	s_barrier
	s_and_saveexec_b64 s[0:1], vcc
	s_cbranch_execz .LBB94_794
; %bb.793:
	ds_read_b64 v[110:111], v104 offset:376
	v_mul_f64 v[0:1], v[100:101], v[0:1]
	s_waitcnt lgkmcnt(0)
	v_fma_f64 v[98:99], -v[0:1], v[110:111], v[98:99]
.LBB94_794:
	s_or_b64 exec, exec, s[0:1]
	v_lshl_add_u32 v100, v105, 3, v104
	s_barrier
	ds_write_b64 v100, v[98:99]
	s_waitcnt lgkmcnt(0)
	s_barrier
	ds_read_b64 v[100:101], v104 offset:376
	s_cmp_lt_i32 s18, 49
	v_mov_b32_e32 v102, 47
	s_cbranch_scc1 .LBB94_797
; %bb.795:
	v_add_u32_e32 v104, 0x180, v104
	s_mov_b32 s0, 48
	v_mov_b32_e32 v102, 47
.LBB94_796:                             ; =>This Inner Loop Header: Depth=1
	ds_read_b64 v[110:111], v104
	v_mov_b32_e32 v109, s0
	s_add_i32 s0, s0, 1
	v_add_u32_e32 v104, 8, v104
	s_cmp_lg_u32 s18, s0
	s_waitcnt lgkmcnt(0)
	v_cmp_lt_f64_e64 vcc, |v[100:101]|, |v[110:111]|
	v_cndmask_b32_e32 v101, v101, v111, vcc
	v_cndmask_b32_e32 v100, v100, v110, vcc
	;; [unrolled: 1-line block ×3, first 2 shown]
	s_cbranch_scc1 .LBB94_796
.LBB94_797:
	s_waitcnt lgkmcnt(0)
	v_cmp_eq_f64_e32 vcc, 0, v[100:101]
	s_and_saveexec_b64 s[0:1], vcc
	s_xor_b64 s[0:1], exec, s[0:1]
; %bb.798:
	v_cmp_ne_u32_e32 vcc, 0, v108
	v_cndmask_b32_e32 v108, 48, v108, vcc
; %bb.799:
	s_andn2_saveexec_b64 s[0:1], s[0:1]
; %bb.800:
	v_div_scale_f64 v[110:111], s[2:3], v[100:101], v[100:101], 1.0
	v_rcp_f64_e32 v[112:113], v[110:111]
	v_div_scale_f64 v[114:115], vcc, 1.0, v[100:101], 1.0
	v_fma_f64 v[116:117], -v[110:111], v[112:113], 1.0
	v_fmac_f64_e32 v[112:113], v[112:113], v[116:117]
	v_fma_f64 v[116:117], -v[110:111], v[112:113], 1.0
	v_fmac_f64_e32 v[112:113], v[112:113], v[116:117]
	v_mul_f64 v[116:117], v[114:115], v[112:113]
	v_fma_f64 v[110:111], -v[110:111], v[116:117], v[114:115]
	v_div_fmas_f64 v[110:111], v[110:111], v[112:113], v[116:117]
	v_div_fixup_f64 v[100:101], v[110:111], v[100:101], 1.0
; %bb.801:
	s_or_b64 exec, exec, s[0:1]
	v_cmp_ne_u32_e32 vcc, v105, v102
	v_mov_b32_e32 v104, 47
	s_and_saveexec_b64 s[0:1], vcc
	s_cbranch_execz .LBB94_807
; %bb.802:
	v_cmp_eq_u32_e32 vcc, 47, v105
	s_and_saveexec_b64 s[2:3], vcc
	s_cbranch_execz .LBB94_806
; %bb.803:
	v_cmp_ne_u32_e32 vcc, 47, v102
	s_xor_b64 s[6:7], s[6:7], -1
	s_and_b64 s[14:15], s[6:7], vcc
	s_and_saveexec_b64 s[6:7], s[14:15]
	s_cbranch_execz .LBB94_805
; %bb.804:
	v_ashrrev_i32_e32 v103, 31, v102
	v_lshlrev_b64 v[104:105], 2, v[102:103]
	v_add_co_u32_e32 v104, vcc, v4, v104
	v_addc_co_u32_e32 v105, vcc, v5, v105, vcc
	flat_load_dword v103, v[104:105]
	flat_load_dword v109, v[4:5] offset:188
	s_waitcnt vmcnt(0) lgkmcnt(0)
	flat_store_dword v[4:5], v103 offset:188
	flat_store_dword v[104:105], v109
.LBB94_805:
	s_or_b64 exec, exec, s[6:7]
	v_mov_b32_e32 v103, v102
	v_mov_b32_e32 v105, v102
.LBB94_806:
	s_or_b64 exec, exec, s[2:3]
	v_mov_b32_e32 v104, v105
.LBB94_807:
	s_or_b64 exec, exec, s[0:1]
	s_load_dwordx8 s[0:7], s[4:5], 0x28
	v_cmp_gt_i32_e32 vcc, 48, v104
	v_ashrrev_i32_e32 v105, 31, v104
	s_waitcnt lgkmcnt(0)
	s_barrier
	s_barrier
	s_and_saveexec_b64 s[14:15], vcc
	s_cbranch_execz .LBB94_809
; %bb.808:
	v_mul_lo_u32 v102, v3, s4
	v_mul_lo_u32 v109, v2, s5
	v_mad_u64_u32 v[4:5], s[4:5], v2, s4, 0
	s_lshl_b64 s[2:3], s[2:3], 2
	v_add3_u32 v5, v5, v109, v102
	s_add_u32 s0, s2, s0
	v_lshlrev_b64 v[4:5], 2, v[4:5]
	s_addc_u32 s1, s3, s1
	v_mov_b32_e32 v102, s1
	v_add_co_u32_e32 v109, vcc, s0, v4
	v_addc_co_u32_e32 v102, vcc, v102, v5, vcc
	v_lshlrev_b64 v[4:5], 2, v[104:105]
	v_add_co_u32_e32 v4, vcc, v109, v4
	v_addc_co_u32_e32 v5, vcc, v102, v5, vcc
	v_add3_u32 v102, v103, s13, 1
	global_store_dword v[4:5], v102, off
.LBB94_809:
	s_or_b64 exec, exec, s[14:15]
	v_cmp_eq_u32_e32 vcc, 0, v104
	s_and_saveexec_b64 s[2:3], vcc
	s_cbranch_execz .LBB94_812
; %bb.810:
	v_lshlrev_b64 v[2:3], 2, v[2:3]
	v_mov_b32_e32 v4, s7
	v_add_co_u32_e32 v2, vcc, s6, v2
	v_addc_co_u32_e32 v3, vcc, v4, v3, vcc
	global_load_dword v4, v[2:3], off
	v_cmp_lt_i32_e64 s[0:1], 0, v108
	s_waitcnt vmcnt(0)
	v_cmp_eq_u32_e32 vcc, 0, v4
	s_and_b64 s[0:1], vcc, s[0:1]
	s_and_b64 exec, exec, s[0:1]
	s_cbranch_execz .LBB94_812
; %bb.811:
	v_add_u32_e32 v4, s13, v108
	global_store_dword v[2:3], v4, off
.LBB94_812:
	s_or_b64 exec, exec, s[2:3]
	v_mul_f64 v[2:3], v[100:101], v[98:99]
	v_cmp_lt_i32_e32 vcc, 47, v104
	v_lshlrev_b64 v[4:5], 3, v[104:105]
	v_cndmask_b32_e32 v3, v99, v3, vcc
	v_cndmask_b32_e32 v2, v98, v2, vcc
	v_add_co_u32_e32 v4, vcc, v106, v4
	v_addc_co_u32_e32 v5, vcc, v107, v5, vcc
	global_store_dwordx2 v[4:5], v[94:95], off
	v_mov_b32_e32 v94, s11
	v_add_co_u32_e32 v4, vcc, s10, v4
	v_addc_co_u32_e32 v5, vcc, v5, v94, vcc
	global_store_dwordx2 v[4:5], v[96:97], off
	v_add_u32_e32 v4, s12, v104
	v_ashrrev_i32_e32 v5, 31, v4
	v_lshlrev_b64 v[94:95], 3, v[4:5]
	v_add_co_u32_e32 v94, vcc, v106, v94
	v_add_u32_e32 v4, s8, v4
	v_addc_co_u32_e32 v95, vcc, v107, v95, vcc
	v_ashrrev_i32_e32 v5, 31, v4
	global_store_dwordx2 v[94:95], v[92:93], off
	v_lshlrev_b64 v[92:93], 3, v[4:5]
	v_add_co_u32_e32 v92, vcc, v106, v92
	v_add_u32_e32 v4, s8, v4
	v_addc_co_u32_e32 v93, vcc, v107, v93, vcc
	v_ashrrev_i32_e32 v5, 31, v4
	global_store_dwordx2 v[92:93], v[90:91], off
	;; [unrolled: 6-line block ×44, first 2 shown]
	v_lshlrev_b64 v[6:7], 3, v[4:5]
	v_add_co_u32_e32 v6, vcc, v106, v6
	v_addc_co_u32_e32 v7, vcc, v107, v7, vcc
	global_store_dwordx2 v[6:7], v[0:1], off
	v_add_u32_e32 v0, s8, v4
	v_ashrrev_i32_e32 v1, 31, v0
	v_lshlrev_b64 v[0:1], 3, v[0:1]
	v_add_co_u32_e32 v0, vcc, v106, v0
	v_addc_co_u32_e32 v1, vcc, v107, v1, vcc
	global_store_dwordx2 v[0:1], v[2:3], off
.LBB94_813:
	s_endpgm
	.section	.rodata,"a",@progbits
	.p2align	6, 0x0
	.amdhsa_kernel _ZN9rocsolver6v33100L18getf2_small_kernelILi48EdiiPKPdEEvT1_T3_lS5_lPS5_llPT2_S5_S5_S7_l
		.amdhsa_group_segment_fixed_size 0
		.amdhsa_private_segment_fixed_size 0
		.amdhsa_kernarg_size 352
		.amdhsa_user_sgpr_count 6
		.amdhsa_user_sgpr_private_segment_buffer 1
		.amdhsa_user_sgpr_dispatch_ptr 0
		.amdhsa_user_sgpr_queue_ptr 0
		.amdhsa_user_sgpr_kernarg_segment_ptr 1
		.amdhsa_user_sgpr_dispatch_id 0
		.amdhsa_user_sgpr_flat_scratch_init 0
		.amdhsa_user_sgpr_kernarg_preload_length 0
		.amdhsa_user_sgpr_kernarg_preload_offset 0
		.amdhsa_user_sgpr_private_segment_size 0
		.amdhsa_uses_dynamic_stack 0
		.amdhsa_system_sgpr_private_segment_wavefront_offset 0
		.amdhsa_system_sgpr_workgroup_id_x 1
		.amdhsa_system_sgpr_workgroup_id_y 1
		.amdhsa_system_sgpr_workgroup_id_z 0
		.amdhsa_system_sgpr_workgroup_info 0
		.amdhsa_system_vgpr_workitem_id 1
		.amdhsa_next_free_vgpr 156
		.amdhsa_next_free_sgpr 22
		.amdhsa_accum_offset 156
		.amdhsa_reserve_vcc 1
		.amdhsa_reserve_flat_scratch 0
		.amdhsa_float_round_mode_32 0
		.amdhsa_float_round_mode_16_64 0
		.amdhsa_float_denorm_mode_32 3
		.amdhsa_float_denorm_mode_16_64 3
		.amdhsa_dx10_clamp 1
		.amdhsa_ieee_mode 1
		.amdhsa_fp16_overflow 0
		.amdhsa_tg_split 0
		.amdhsa_exception_fp_ieee_invalid_op 0
		.amdhsa_exception_fp_denorm_src 0
		.amdhsa_exception_fp_ieee_div_zero 0
		.amdhsa_exception_fp_ieee_overflow 0
		.amdhsa_exception_fp_ieee_underflow 0
		.amdhsa_exception_fp_ieee_inexact 0
		.amdhsa_exception_int_div_zero 0
	.end_amdhsa_kernel
	.section	.text._ZN9rocsolver6v33100L18getf2_small_kernelILi48EdiiPKPdEEvT1_T3_lS5_lPS5_llPT2_S5_S5_S7_l,"axG",@progbits,_ZN9rocsolver6v33100L18getf2_small_kernelILi48EdiiPKPdEEvT1_T3_lS5_lPS5_llPT2_S5_S5_S7_l,comdat
.Lfunc_end94:
	.size	_ZN9rocsolver6v33100L18getf2_small_kernelILi48EdiiPKPdEEvT1_T3_lS5_lPS5_llPT2_S5_S5_S7_l, .Lfunc_end94-_ZN9rocsolver6v33100L18getf2_small_kernelILi48EdiiPKPdEEvT1_T3_lS5_lPS5_llPT2_S5_S5_S7_l
                                        ; -- End function
	.section	.AMDGPU.csdata,"",@progbits
; Kernel info:
; codeLenInByte = 45672
; NumSgprs: 26
; NumVgprs: 156
; NumAgprs: 0
; TotalNumVgprs: 156
; ScratchSize: 0
; MemoryBound: 0
; FloatMode: 240
; IeeeMode: 1
; LDSByteSize: 0 bytes/workgroup (compile time only)
; SGPRBlocks: 3
; VGPRBlocks: 19
; NumSGPRsForWavesPerEU: 26
; NumVGPRsForWavesPerEU: 156
; AccumOffset: 156
; Occupancy: 3
; WaveLimiterHint : 1
; COMPUTE_PGM_RSRC2:SCRATCH_EN: 0
; COMPUTE_PGM_RSRC2:USER_SGPR: 6
; COMPUTE_PGM_RSRC2:TRAP_HANDLER: 0
; COMPUTE_PGM_RSRC2:TGID_X_EN: 1
; COMPUTE_PGM_RSRC2:TGID_Y_EN: 1
; COMPUTE_PGM_RSRC2:TGID_Z_EN: 0
; COMPUTE_PGM_RSRC2:TIDIG_COMP_CNT: 1
; COMPUTE_PGM_RSRC3_GFX90A:ACCUM_OFFSET: 38
; COMPUTE_PGM_RSRC3_GFX90A:TG_SPLIT: 0
	.section	.text._ZN9rocsolver6v33100L23getf2_npvt_small_kernelILi48EdiiPKPdEEvT1_T3_lS5_lPT2_S5_S5_,"axG",@progbits,_ZN9rocsolver6v33100L23getf2_npvt_small_kernelILi48EdiiPKPdEEvT1_T3_lS5_lPT2_S5_S5_,comdat
	.globl	_ZN9rocsolver6v33100L23getf2_npvt_small_kernelILi48EdiiPKPdEEvT1_T3_lS5_lPT2_S5_S5_ ; -- Begin function _ZN9rocsolver6v33100L23getf2_npvt_small_kernelILi48EdiiPKPdEEvT1_T3_lS5_lPT2_S5_S5_
	.p2align	8
	.type	_ZN9rocsolver6v33100L23getf2_npvt_small_kernelILi48EdiiPKPdEEvT1_T3_lS5_lPT2_S5_S5_,@function
_ZN9rocsolver6v33100L23getf2_npvt_small_kernelILi48EdiiPKPdEEvT1_T3_lS5_lPT2_S5_S5_: ; @_ZN9rocsolver6v33100L23getf2_npvt_small_kernelILi48EdiiPKPdEEvT1_T3_lS5_lPT2_S5_S5_
; %bb.0:
	s_mov_b64 s[18:19], s[2:3]
	s_mov_b64 s[16:17], s[0:1]
	s_add_u32 s16, s16, s8
	s_load_dword s0, s[4:5], 0x44
	s_load_dwordx2 s[8:9], s[4:5], 0x30
	s_addc_u32 s17, s17, 0
	v_bfe_u32 v2, v0, 10, 10
	s_waitcnt lgkmcnt(0)
	s_lshr_b32 s6, s0, 16
	s_mul_i32 s7, s7, s6
	v_add_u32_e32 v4, s7, v2
	v_cmp_gt_i32_e32 vcc, s8, v4
	s_and_saveexec_b64 s[0:1], vcc
	s_cbranch_execz .LBB95_243
; %bb.1:
	v_ashrrev_i32_e32 v5, 31, v4
	s_load_dwordx4 s[12:15], s[4:5], 0x8
	s_load_dword s0, s[4:5], 0x18
	buffer_store_dword v4, off, s[16:19], 0 offset:168 ; 4-byte Folded Spill
	s_nop 0
	buffer_store_dword v5, off, s[16:19], 0 offset:172 ; 4-byte Folded Spill
	v_and_b32_e32 v228, 0x3ff, v0
	s_mulk_i32 s6, 0x180
	s_waitcnt lgkmcnt(0)
	v_mov_b32_e32 v1, s13
	s_add_i32 s1, s0, s0
	s_lshl_b64 s[2:3], s[14:15], 3
	v_add_u32_e32 v0, s1, v228
	v_mov_b32_e32 v3, s3
	v_add_u32_e32 v6, s0, v0
	v_ashrrev_i32_e32 v7, 31, v6
	v_add_u32_e32 v8, s0, v6
	v_lshlrev_b64 v[6:7], 3, v[6:7]
	v_ashrrev_i32_e32 v9, 31, v8
	v_add_u32_e32 v10, s0, v8
	v_lshlrev_b64 v[8:9], 3, v[8:9]
	;; [unrolled: 3-line block ×9, first 2 shown]
	v_ashrrev_i32_e32 v25, 31, v24
	v_add_u32_e32 v26, s0, v24
	v_ashrrev_i32_e32 v27, 31, v26
	v_add_u32_e32 v28, s0, v26
	;; [unrolled: 2-line block ×21, first 2 shown]
	v_ashrrev_i32_e32 v67, 31, v66
	v_lshlrev_b64 v[4:5], 3, v[4:5]
	v_add_co_u32_e32 v4, vcc, s12, v4
	v_addc_co_u32_e32 v5, vcc, v1, v5, vcc
	global_load_dwordx2 v[4:5], v[4:5], off
	v_ashrrev_i32_e32 v1, 31, v0
	v_lshlrev_b64 v[0:1], 3, v[0:1]
	v_add_u32_e32 v68, s0, v66
	v_ashrrev_i32_e32 v69, 31, v68
	v_add_u32_e32 v70, s0, v68
	v_ashrrev_i32_e32 v71, 31, v70
	;; [unrolled: 2-line block ×13, first 2 shown]
	s_ashr_i32 s1, s0, 31
	s_waitcnt vmcnt(0)
	v_add_co_u32_e32 v94, vcc, s2, v4
	v_addc_co_u32_e32 v3, vcc, v5, v3, vcc
	v_add_co_u32_e32 v100, vcc, v94, v0
	v_addc_co_u32_e32 v101, vcc, v3, v1, vcc
	;; [unrolled: 2-line block ×11, first 2 shown]
	v_lshlrev_b64 v[22:23], 3, v[24:25]
	v_add_co_u32_e32 v22, vcc, v94, v22
	v_addc_co_u32_e32 v23, vcc, v3, v23, vcc
	v_lshlrev_b64 v[24:25], 3, v[26:27]
	v_add_co_u32_e32 v24, vcc, v94, v24
	v_addc_co_u32_e32 v25, vcc, v3, v25, vcc
	;; [unrolled: 3-line block ×34, first 2 shown]
	v_lshlrev_b64 v[90:91], 3, v[92:93]
	v_add_u32_e32 v92, s0, v92
	v_add_co_u32_e32 v90, vcc, v94, v90
	v_ashrrev_i32_e32 v93, 31, v92
	v_addc_co_u32_e32 v91, vcc, v3, v91, vcc
	v_lshlrev_b64 v[92:93], 3, v[92:93]
	v_add_co_u32_e32 v92, vcc, v94, v92
	v_addc_co_u32_e32 v93, vcc, v3, v93, vcc
	v_lshlrev_b32_e32 v0, 3, v228
	v_add_co_u32_e32 v94, vcc, v94, v0
	v_addc_co_u32_e32 v95, vcc, 0, v3, vcc
	s_lshl_b64 s[0:1], s[0:1], 3
	v_mov_b32_e32 v0, s1
	v_add_co_u32_e32 v96, vcc, s0, v94
	v_addc_co_u32_e32 v97, vcc, v95, v0, vcc
	global_load_dwordx2 v[98:99], v[94:95], off
	global_load_dwordx2 v[144:145], v[96:97], off
	s_nop 0
	buffer_store_dword v100, off, s[16:19], 0 ; 4-byte Folded Spill
	s_nop 0
	buffer_store_dword v101, off, s[16:19], 0 offset:4 ; 4-byte Folded Spill
	global_load_dwordx2 v[190:191], v[100:101], off
	global_load_dwordx2 v[142:143], v[4:5], off
	;; [unrolled: 1-line block ×10, first 2 shown]
	s_nop 0
	buffer_store_dword v22, off, s[16:19], 0 offset:8 ; 4-byte Folded Spill
	s_nop 0
	buffer_store_dword v23, off, s[16:19], 0 offset:12 ; 4-byte Folded Spill
	s_movk_i32 s0, 0x180
	s_add_i32 s1, s6, 0
	v_mad_u32_u24 v225, v2, s0, 0
	v_lshl_add_u32 v224, v2, 3, s1
	v_cmp_ne_u32_e64 s[2:3], 0, v228
	v_cmp_eq_u32_e64 s[0:1], 0, v228
	global_load_dwordx2 v[180:181], v[22:23], off
	s_nop 0
	buffer_store_dword v24, off, s[16:19], 0 offset:16 ; 4-byte Folded Spill
	s_nop 0
	buffer_store_dword v25, off, s[16:19], 0 offset:20 ; 4-byte Folded Spill
	global_load_dwordx2 v[132:133], v[24:25], off
	s_nop 0
	buffer_store_dword v26, off, s[16:19], 0 offset:24 ; 4-byte Folded Spill
	s_nop 0
	buffer_store_dword v27, off, s[16:19], 0 offset:28 ; 4-byte Folded Spill
	;; [unrolled: 5-line block ×19, first 2 shown]
	global_load_dwordx2 v[114:115], v[60:61], off
	global_load_dwordx2 v[160:161], v[62:63], off
	;; [unrolled: 1-line block ×17, first 2 shown]
	s_and_saveexec_b64 s[6:7], s[0:1]
	s_cbranch_execz .LBB95_4
; %bb.2:
	s_waitcnt vmcnt(62)
	ds_write_b64 v224, v[98:99]
	ds_write2_b64 v225, v[144:145], v[190:191] offset0:1 offset1:2
	ds_write2_b64 v225, v[142:143], v[188:189] offset0:3 offset1:4
	;; [unrolled: 1-line block ×7, first 2 shown]
	s_waitcnt vmcnt(61)
	ds_write2_b64 v225, v[130:131], v[176:177] offset0:15 offset1:16
	s_waitcnt vmcnt(55)
	ds_write2_b64 v225, v[128:129], v[174:175] offset0:17 offset1:18
	;; [unrolled: 2-line block ×16, first 2 shown]
	s_waitcnt vmcnt(0)
	ds_write_b64 v225, v[192:193] offset:376
	ds_read_b64 v[2:3], v224
	s_waitcnt lgkmcnt(0)
	v_cmp_neq_f64_e32 vcc, 0, v[2:3]
	s_and_b64 exec, exec, vcc
	s_cbranch_execz .LBB95_4
; %bb.3:
	v_div_scale_f64 v[194:195], s[10:11], v[2:3], v[2:3], 1.0
	v_rcp_f64_e32 v[196:197], v[194:195]
	v_div_scale_f64 v[198:199], vcc, 1.0, v[2:3], 1.0
	v_fma_f64 v[200:201], -v[194:195], v[196:197], 1.0
	v_fmac_f64_e32 v[196:197], v[196:197], v[200:201]
	v_fma_f64 v[200:201], -v[194:195], v[196:197], 1.0
	v_fmac_f64_e32 v[196:197], v[196:197], v[200:201]
	v_mul_f64 v[200:201], v[198:199], v[196:197]
	v_fma_f64 v[194:195], -v[194:195], v[200:201], v[198:199]
	v_div_fmas_f64 v[194:195], v[194:195], v[196:197], v[200:201]
	v_div_fixup_f64 v[2:3], v[194:195], v[2:3], 1.0
	ds_write_b64 v224, v[2:3]
.LBB95_4:
	s_or_b64 exec, exec, s[6:7]
	s_waitcnt lgkmcnt(0)
	s_barrier
	ds_read_b64 v[226:227], v224
	s_and_saveexec_b64 s[6:7], s[2:3]
	s_cbranch_execz .LBB95_6
; %bb.5:
	ds_read2_b64 v[194:197], v225 offset0:1 offset1:2
	ds_read2_b64 v[198:201], v225 offset0:3 offset1:4
	s_waitcnt lgkmcnt(2)
	v_mul_f64 v[98:99], v[226:227], v[98:99]
	ds_read2_b64 v[202:205], v225 offset0:5 offset1:6
	ds_read_b64 v[2:3], v225 offset:376
	s_waitcnt lgkmcnt(3)
	v_fma_f64 v[144:145], -v[98:99], v[194:195], v[144:145]
	v_fma_f64 v[190:191], -v[98:99], v[196:197], v[190:191]
	ds_read2_b64 v[194:197], v225 offset0:7 offset1:8
	s_waitcnt lgkmcnt(3)
	v_fma_f64 v[142:143], -v[98:99], v[198:199], v[142:143]
	v_fma_f64 v[188:189], -v[98:99], v[200:201], v[188:189]
	ds_read2_b64 v[198:201], v225 offset0:9 offset1:10
	;; [unrolled: 4-line block ×3, first 2 shown]
	s_waitcnt lgkmcnt(2)
	v_fma_f64 v[138:139], -v[98:99], v[194:195], v[138:139]
	v_fma_f64 v[184:185], -v[98:99], v[196:197], v[184:185]
	s_waitcnt lgkmcnt(1)
	v_fma_f64 v[136:137], -v[98:99], v[198:199], v[136:137]
	ds_read2_b64 v[194:197], v225 offset0:13 offset1:14
	v_fma_f64 v[182:183], -v[98:99], v[200:201], v[182:183]
	ds_read2_b64 v[198:201], v225 offset0:15 offset1:16
	s_waitcnt lgkmcnt(2)
	v_fma_f64 v[134:135], -v[98:99], v[202:203], v[134:135]
	v_fma_f64 v[180:181], -v[98:99], v[204:205], v[180:181]
	s_waitcnt lgkmcnt(1)
	v_fma_f64 v[132:133], -v[98:99], v[194:195], v[132:133]
	ds_read2_b64 v[202:205], v225 offset0:17 offset1:18
	v_fma_f64 v[178:179], -v[98:99], v[196:197], v[178:179]
	ds_read2_b64 v[194:197], v225 offset0:19 offset1:20
	s_waitcnt lgkmcnt(2)
	v_fma_f64 v[130:131], -v[98:99], v[198:199], v[130:131]
	s_waitcnt vmcnt(61)
	v_fma_f64 v[176:177], -v[98:99], v[200:201], v[176:177]
	ds_read2_b64 v[198:201], v225 offset0:21 offset1:22
	s_waitcnt vmcnt(58) lgkmcnt(2)
	v_fma_f64 v[128:129], -v[98:99], v[202:203], v[128:129]
	s_waitcnt vmcnt(55)
	v_fma_f64 v[174:175], -v[98:99], v[204:205], v[174:175]
	ds_read2_b64 v[202:205], v225 offset0:23 offset1:24
	s_waitcnt vmcnt(52) lgkmcnt(2)
	v_fma_f64 v[126:127], -v[98:99], v[194:195], v[126:127]
	s_waitcnt vmcnt(49)
	v_fma_f64 v[172:173], -v[98:99], v[196:197], v[172:173]
	s_waitcnt vmcnt(46) lgkmcnt(1)
	v_fma_f64 v[124:125], -v[98:99], v[198:199], v[124:125]
	ds_read2_b64 v[194:197], v225 offset0:25 offset1:26
	s_waitcnt vmcnt(43)
	v_fma_f64 v[170:171], -v[98:99], v[200:201], v[170:171]
	ds_read2_b64 v[198:201], v225 offset0:27 offset1:28
	s_waitcnt vmcnt(40) lgkmcnt(2)
	v_fma_f64 v[122:123], -v[98:99], v[202:203], v[122:123]
	s_waitcnt vmcnt(37)
	v_fma_f64 v[168:169], -v[98:99], v[204:205], v[168:169]
	s_waitcnt vmcnt(34) lgkmcnt(1)
	v_fma_f64 v[120:121], -v[98:99], v[194:195], v[120:121]
	ds_read2_b64 v[202:205], v225 offset0:29 offset1:30
	s_waitcnt vmcnt(31)
	v_fma_f64 v[166:167], -v[98:99], v[196:197], v[166:167]
	ds_read2_b64 v[194:197], v225 offset0:31 offset1:32
	s_waitcnt vmcnt(28) lgkmcnt(2)
	v_fma_f64 v[118:119], -v[98:99], v[198:199], v[118:119]
	s_waitcnt vmcnt(25)
	v_fma_f64 v[164:165], -v[98:99], v[200:201], v[164:165]
	ds_read2_b64 v[198:201], v225 offset0:33 offset1:34
	s_waitcnt vmcnt(22) lgkmcnt(2)
	v_fma_f64 v[116:117], -v[98:99], v[202:203], v[116:117]
	;; [unrolled: 5-line block ×3, first 2 shown]
	s_waitcnt vmcnt(15)
	v_fma_f64 v[160:161], -v[98:99], v[196:197], v[160:161]
	s_waitcnt vmcnt(14) lgkmcnt(1)
	v_fma_f64 v[112:113], -v[98:99], v[198:199], v[112:113]
	ds_read2_b64 v[194:197], v225 offset0:37 offset1:38
	s_waitcnt vmcnt(13)
	v_fma_f64 v[158:159], -v[98:99], v[200:201], v[158:159]
	ds_read2_b64 v[198:201], v225 offset0:39 offset1:40
	s_waitcnt vmcnt(12) lgkmcnt(2)
	v_fma_f64 v[110:111], -v[98:99], v[202:203], v[110:111]
	s_waitcnt vmcnt(11)
	v_fma_f64 v[156:157], -v[98:99], v[204:205], v[156:157]
	s_waitcnt vmcnt(10) lgkmcnt(1)
	v_fma_f64 v[108:109], -v[98:99], v[194:195], v[108:109]
	ds_read2_b64 v[202:205], v225 offset0:41 offset1:42
	s_waitcnt vmcnt(9)
	v_fma_f64 v[154:155], -v[98:99], v[196:197], v[154:155]
	ds_read2_b64 v[194:197], v225 offset0:43 offset1:44
	s_waitcnt vmcnt(8) lgkmcnt(2)
	v_fma_f64 v[106:107], -v[98:99], v[198:199], v[106:107]
	s_waitcnt vmcnt(7)
	v_fma_f64 v[152:153], -v[98:99], v[200:201], v[152:153]
	ds_read2_b64 v[198:201], v225 offset0:45 offset1:46
	s_waitcnt vmcnt(6) lgkmcnt(2)
	v_fma_f64 v[104:105], -v[98:99], v[202:203], v[104:105]
	s_waitcnt vmcnt(5)
	v_fma_f64 v[150:151], -v[98:99], v[204:205], v[150:151]
	s_waitcnt vmcnt(4) lgkmcnt(1)
	v_fma_f64 v[102:103], -v[98:99], v[194:195], v[102:103]
	s_waitcnt vmcnt(3)
	v_fma_f64 v[148:149], -v[98:99], v[196:197], v[148:149]
	;; [unrolled: 4-line block ×3, first 2 shown]
	s_waitcnt vmcnt(0)
	v_fma_f64 v[192:193], -v[98:99], v[2:3], v[192:193]
.LBB95_6:
	s_or_b64 exec, exec, s[6:7]
	v_cmp_eq_u32_e32 vcc, 1, v228
	s_waitcnt lgkmcnt(0)
	s_barrier
	s_and_saveexec_b64 s[2:3], vcc
	s_cbranch_execz .LBB95_9
; %bb.7:
	v_mov_b32_e32 v2, v190
	v_mov_b32_e32 v3, v191
	;; [unrolled: 1-line block ×4, first 2 shown]
	ds_write_b64 v224, v[144:145]
	ds_write2_b64 v225, v[2:3], v[194:195] offset0:2 offset1:3
	v_mov_b32_e32 v2, v188
	v_mov_b32_e32 v3, v189
	v_mov_b32_e32 v194, v140
	v_mov_b32_e32 v195, v141
	ds_write2_b64 v225, v[2:3], v[194:195] offset0:4 offset1:5
	v_mov_b32_e32 v2, v186
	v_mov_b32_e32 v3, v187
	v_mov_b32_e32 v194, v138
	v_mov_b32_e32 v195, v139
	;; [unrolled: 5-line block ×6, first 2 shown]
	ds_write2_b64 v225, v[2:3], v[194:195] offset0:14 offset1:15
	s_waitcnt vmcnt(61)
	v_mov_b32_e32 v2, v176
	v_mov_b32_e32 v3, v177
	s_waitcnt vmcnt(58)
	v_mov_b32_e32 v194, v128
	v_mov_b32_e32 v195, v129
	ds_write2_b64 v225, v[2:3], v[194:195] offset0:16 offset1:17
	s_waitcnt vmcnt(55)
	v_mov_b32_e32 v2, v174
	v_mov_b32_e32 v3, v175
	s_waitcnt vmcnt(52)
	v_mov_b32_e32 v194, v126
	v_mov_b32_e32 v195, v127
	;; [unrolled: 7-line block ×15, first 2 shown]
	ds_write2_b64 v225, v[2:3], v[194:195] offset0:44 offset1:45
	s_waitcnt vmcnt(1)
	v_mov_b32_e32 v2, v146
	v_mov_b32_e32 v3, v147
	s_waitcnt vmcnt(0)
	ds_write2_b64 v225, v[2:3], v[192:193] offset0:46 offset1:47
	ds_read_b64 v[2:3], v224
	s_waitcnt lgkmcnt(0)
	v_cmp_neq_f64_e32 vcc, 0, v[2:3]
	s_and_b64 exec, exec, vcc
	s_cbranch_execz .LBB95_9
; %bb.8:
	v_div_scale_f64 v[194:195], s[6:7], v[2:3], v[2:3], 1.0
	v_rcp_f64_e32 v[196:197], v[194:195]
	v_div_scale_f64 v[198:199], vcc, 1.0, v[2:3], 1.0
	v_fma_f64 v[200:201], -v[194:195], v[196:197], 1.0
	v_fmac_f64_e32 v[196:197], v[196:197], v[200:201]
	v_fma_f64 v[200:201], -v[194:195], v[196:197], 1.0
	v_fmac_f64_e32 v[196:197], v[196:197], v[200:201]
	v_mul_f64 v[200:201], v[198:199], v[196:197]
	v_fma_f64 v[194:195], -v[194:195], v[200:201], v[198:199]
	v_div_fmas_f64 v[194:195], v[194:195], v[196:197], v[200:201]
	v_div_fixup_f64 v[2:3], v[194:195], v[2:3], 1.0
	ds_write_b64 v224, v[2:3]
.LBB95_9:
	s_or_b64 exec, exec, s[2:3]
	s_waitcnt lgkmcnt(0)
	s_barrier
	ds_read_b64 v[22:23], v224
	v_cmp_lt_u32_e32 vcc, 1, v228
	s_and_saveexec_b64 s[2:3], vcc
	s_cbranch_execz .LBB95_11
; %bb.10:
	ds_read2_b64 v[194:197], v225 offset0:2 offset1:3
	ds_read2_b64 v[198:201], v225 offset0:4 offset1:5
	s_waitcnt lgkmcnt(2)
	v_mul_f64 v[144:145], v[22:23], v[144:145]
	ds_read2_b64 v[202:205], v225 offset0:6 offset1:7
	s_waitcnt lgkmcnt(2)
	v_fma_f64 v[190:191], -v[144:145], v[194:195], v[190:191]
	v_fma_f64 v[142:143], -v[144:145], v[196:197], v[142:143]
	ds_read2_b64 v[194:197], v225 offset0:8 offset1:9
	s_waitcnt lgkmcnt(2)
	v_fma_f64 v[188:189], -v[144:145], v[198:199], v[188:189]
	v_fma_f64 v[140:141], -v[144:145], v[200:201], v[140:141]
	ds_read2_b64 v[198:201], v225 offset0:10 offset1:11
	s_waitcnt lgkmcnt(2)
	v_fma_f64 v[186:187], -v[144:145], v[202:203], v[186:187]
	v_fma_f64 v[138:139], -v[144:145], v[204:205], v[138:139]
	ds_read2_b64 v[202:205], v225 offset0:12 offset1:13
	s_waitcnt lgkmcnt(2)
	v_fma_f64 v[184:185], -v[144:145], v[194:195], v[184:185]
	v_fma_f64 v[136:137], -v[144:145], v[196:197], v[136:137]
	s_waitcnt lgkmcnt(1)
	v_fma_f64 v[182:183], -v[144:145], v[198:199], v[182:183]
	ds_read2_b64 v[194:197], v225 offset0:14 offset1:15
	v_fma_f64 v[134:135], -v[144:145], v[200:201], v[134:135]
	ds_read2_b64 v[198:201], v225 offset0:16 offset1:17
	s_waitcnt lgkmcnt(2)
	v_fma_f64 v[180:181], -v[144:145], v[202:203], v[180:181]
	v_fma_f64 v[132:133], -v[144:145], v[204:205], v[132:133]
	s_waitcnt lgkmcnt(1)
	v_fma_f64 v[178:179], -v[144:145], v[194:195], v[178:179]
	ds_read2_b64 v[202:205], v225 offset0:18 offset1:19
	v_fma_f64 v[130:131], -v[144:145], v[196:197], v[130:131]
	ds_read2_b64 v[194:197], v225 offset0:20 offset1:21
	s_waitcnt vmcnt(61) lgkmcnt(2)
	v_fma_f64 v[176:177], -v[144:145], v[198:199], v[176:177]
	s_waitcnt vmcnt(58)
	v_fma_f64 v[128:129], -v[144:145], v[200:201], v[128:129]
	ds_read2_b64 v[198:201], v225 offset0:22 offset1:23
	s_waitcnt vmcnt(55) lgkmcnt(2)
	v_fma_f64 v[174:175], -v[144:145], v[202:203], v[174:175]
	s_waitcnt vmcnt(52)
	;; [unrolled: 5-line block ×3, first 2 shown]
	v_fma_f64 v[124:125], -v[144:145], v[196:197], v[124:125]
	s_waitcnt vmcnt(43) lgkmcnt(1)
	v_fma_f64 v[170:171], -v[144:145], v[198:199], v[170:171]
	ds_read2_b64 v[194:197], v225 offset0:26 offset1:27
	s_waitcnt vmcnt(40)
	v_fma_f64 v[122:123], -v[144:145], v[200:201], v[122:123]
	ds_read2_b64 v[198:201], v225 offset0:28 offset1:29
	s_waitcnt vmcnt(37) lgkmcnt(2)
	v_fma_f64 v[168:169], -v[144:145], v[202:203], v[168:169]
	s_waitcnt vmcnt(34)
	v_fma_f64 v[120:121], -v[144:145], v[204:205], v[120:121]
	s_waitcnt vmcnt(31) lgkmcnt(1)
	v_fma_f64 v[166:167], -v[144:145], v[194:195], v[166:167]
	ds_read2_b64 v[202:205], v225 offset0:30 offset1:31
	s_waitcnt vmcnt(28)
	v_fma_f64 v[118:119], -v[144:145], v[196:197], v[118:119]
	ds_read2_b64 v[194:197], v225 offset0:32 offset1:33
	s_waitcnt vmcnt(25) lgkmcnt(2)
	v_fma_f64 v[164:165], -v[144:145], v[198:199], v[164:165]
	s_waitcnt vmcnt(22)
	v_fma_f64 v[116:117], -v[144:145], v[200:201], v[116:117]
	ds_read2_b64 v[198:201], v225 offset0:34 offset1:35
	s_waitcnt vmcnt(19) lgkmcnt(2)
	v_fma_f64 v[162:163], -v[144:145], v[202:203], v[162:163]
	;; [unrolled: 5-line block ×3, first 2 shown]
	s_waitcnt vmcnt(14)
	v_fma_f64 v[112:113], -v[144:145], v[196:197], v[112:113]
	s_waitcnt vmcnt(13) lgkmcnt(1)
	v_fma_f64 v[158:159], -v[144:145], v[198:199], v[158:159]
	ds_read2_b64 v[194:197], v225 offset0:38 offset1:39
	s_waitcnt vmcnt(12)
	v_fma_f64 v[110:111], -v[144:145], v[200:201], v[110:111]
	ds_read2_b64 v[198:201], v225 offset0:40 offset1:41
	s_waitcnt vmcnt(11) lgkmcnt(2)
	v_fma_f64 v[156:157], -v[144:145], v[202:203], v[156:157]
	s_waitcnt vmcnt(10)
	v_fma_f64 v[108:109], -v[144:145], v[204:205], v[108:109]
	s_waitcnt vmcnt(9) lgkmcnt(1)
	v_fma_f64 v[154:155], -v[144:145], v[194:195], v[154:155]
	s_waitcnt vmcnt(8)
	v_fma_f64 v[106:107], -v[144:145], v[196:197], v[106:107]
	ds_read2_b64 v[194:197], v225 offset0:42 offset1:43
	ds_read2_b64 v[202:205], v225 offset0:44 offset1:45
	s_waitcnt vmcnt(7) lgkmcnt(2)
	v_fma_f64 v[152:153], -v[144:145], v[198:199], v[152:153]
	s_waitcnt vmcnt(6)
	v_fma_f64 v[104:105], -v[144:145], v[200:201], v[104:105]
	ds_read2_b64 v[198:201], v225 offset0:46 offset1:47
	s_waitcnt vmcnt(5) lgkmcnt(2)
	v_fma_f64 v[150:151], -v[144:145], v[194:195], v[150:151]
	s_waitcnt vmcnt(4)
	v_fma_f64 v[102:103], -v[144:145], v[196:197], v[102:103]
	s_waitcnt vmcnt(3) lgkmcnt(1)
	v_fma_f64 v[148:149], -v[144:145], v[202:203], v[148:149]
	s_waitcnt vmcnt(2)
	v_fma_f64 v[100:101], -v[144:145], v[204:205], v[100:101]
	;; [unrolled: 4-line block ×3, first 2 shown]
.LBB95_11:
	s_or_b64 exec, exec, s[2:3]
	v_cmp_eq_u32_e32 vcc, 2, v228
	s_waitcnt lgkmcnt(0)
	s_barrier
	s_and_saveexec_b64 s[2:3], vcc
	s_cbranch_execz .LBB95_14
; %bb.12:
	ds_write_b64 v224, v[190:191]
	ds_write2_b64 v225, v[142:143], v[188:189] offset0:3 offset1:4
	ds_write2_b64 v225, v[140:141], v[186:187] offset0:5 offset1:6
	;; [unrolled: 1-line block ×6, first 2 shown]
	s_waitcnt vmcnt(61)
	ds_write2_b64 v225, v[130:131], v[176:177] offset0:15 offset1:16
	s_waitcnt vmcnt(55)
	ds_write2_b64 v225, v[128:129], v[174:175] offset0:17 offset1:18
	;; [unrolled: 2-line block ×16, first 2 shown]
	s_waitcnt vmcnt(0)
	ds_write_b64 v225, v[192:193] offset:376
	ds_read_b64 v[2:3], v224
	s_waitcnt lgkmcnt(0)
	v_cmp_neq_f64_e32 vcc, 0, v[2:3]
	s_and_b64 exec, exec, vcc
	s_cbranch_execz .LBB95_14
; %bb.13:
	v_div_scale_f64 v[194:195], s[6:7], v[2:3], v[2:3], 1.0
	v_rcp_f64_e32 v[196:197], v[194:195]
	v_div_scale_f64 v[198:199], vcc, 1.0, v[2:3], 1.0
	v_fma_f64 v[200:201], -v[194:195], v[196:197], 1.0
	v_fmac_f64_e32 v[196:197], v[196:197], v[200:201]
	v_fma_f64 v[200:201], -v[194:195], v[196:197], 1.0
	v_fmac_f64_e32 v[196:197], v[196:197], v[200:201]
	v_mul_f64 v[200:201], v[198:199], v[196:197]
	v_fma_f64 v[194:195], -v[194:195], v[200:201], v[198:199]
	v_div_fmas_f64 v[194:195], v[194:195], v[196:197], v[200:201]
	v_div_fixup_f64 v[2:3], v[194:195], v[2:3], 1.0
	ds_write_b64 v224, v[2:3]
.LBB95_14:
	s_or_b64 exec, exec, s[2:3]
	s_waitcnt lgkmcnt(0)
	s_barrier
	ds_read_b64 v[24:25], v224
	v_cmp_lt_u32_e32 vcc, 2, v228
	s_and_saveexec_b64 s[2:3], vcc
	s_cbranch_execz .LBB95_16
; %bb.15:
	ds_read2_b64 v[194:197], v225 offset0:3 offset1:4
	ds_read2_b64 v[198:201], v225 offset0:5 offset1:6
	s_waitcnt lgkmcnt(2)
	v_mul_f64 v[190:191], v[24:25], v[190:191]
	ds_read2_b64 v[202:205], v225 offset0:7 offset1:8
	ds_read_b64 v[2:3], v225 offset:376
	s_waitcnt lgkmcnt(3)
	v_fma_f64 v[142:143], -v[190:191], v[194:195], v[142:143]
	v_fma_f64 v[188:189], -v[190:191], v[196:197], v[188:189]
	ds_read2_b64 v[194:197], v225 offset0:9 offset1:10
	s_waitcnt lgkmcnt(3)
	v_fma_f64 v[140:141], -v[190:191], v[198:199], v[140:141]
	v_fma_f64 v[186:187], -v[190:191], v[200:201], v[186:187]
	s_waitcnt lgkmcnt(2)
	v_fma_f64 v[138:139], -v[190:191], v[202:203], v[138:139]
	ds_read2_b64 v[198:201], v225 offset0:11 offset1:12
	v_fma_f64 v[184:185], -v[190:191], v[204:205], v[184:185]
	ds_read2_b64 v[202:205], v225 offset0:13 offset1:14
	s_waitcnt lgkmcnt(2)
	v_fma_f64 v[136:137], -v[190:191], v[194:195], v[136:137]
	v_fma_f64 v[182:183], -v[190:191], v[196:197], v[182:183]
	ds_read2_b64 v[194:197], v225 offset0:15 offset1:16
	s_waitcnt lgkmcnt(2)
	v_fma_f64 v[134:135], -v[190:191], v[198:199], v[134:135]
	;; [unrolled: 4-line block ×3, first 2 shown]
	v_fma_f64 v[178:179], -v[190:191], v[204:205], v[178:179]
	s_waitcnt lgkmcnt(1)
	v_fma_f64 v[130:131], -v[190:191], v[194:195], v[130:131]
	ds_read2_b64 v[202:205], v225 offset0:19 offset1:20
	s_waitcnt vmcnt(61)
	v_fma_f64 v[176:177], -v[190:191], v[196:197], v[176:177]
	ds_read2_b64 v[194:197], v225 offset0:21 offset1:22
	s_waitcnt vmcnt(58) lgkmcnt(2)
	v_fma_f64 v[128:129], -v[190:191], v[198:199], v[128:129]
	s_waitcnt vmcnt(55)
	v_fma_f64 v[174:175], -v[190:191], v[200:201], v[174:175]
	s_waitcnt vmcnt(52) lgkmcnt(1)
	v_fma_f64 v[126:127], -v[190:191], v[202:203], v[126:127]
	ds_read2_b64 v[198:201], v225 offset0:23 offset1:24
	s_waitcnt vmcnt(49)
	v_fma_f64 v[172:173], -v[190:191], v[204:205], v[172:173]
	ds_read2_b64 v[202:205], v225 offset0:25 offset1:26
	s_waitcnt vmcnt(46) lgkmcnt(2)
	v_fma_f64 v[124:125], -v[190:191], v[194:195], v[124:125]
	s_waitcnt vmcnt(43)
	v_fma_f64 v[170:171], -v[190:191], v[196:197], v[170:171]
	ds_read2_b64 v[194:197], v225 offset0:27 offset1:28
	s_waitcnt vmcnt(40) lgkmcnt(2)
	v_fma_f64 v[122:123], -v[190:191], v[198:199], v[122:123]
	;; [unrolled: 5-line block ×3, first 2 shown]
	s_waitcnt vmcnt(31)
	v_fma_f64 v[166:167], -v[190:191], v[204:205], v[166:167]
	s_waitcnt vmcnt(28) lgkmcnt(1)
	v_fma_f64 v[118:119], -v[190:191], v[194:195], v[118:119]
	ds_read2_b64 v[202:205], v225 offset0:31 offset1:32
	s_waitcnt vmcnt(25)
	v_fma_f64 v[164:165], -v[190:191], v[196:197], v[164:165]
	ds_read2_b64 v[194:197], v225 offset0:33 offset1:34
	s_waitcnt vmcnt(22) lgkmcnt(2)
	v_fma_f64 v[116:117], -v[190:191], v[198:199], v[116:117]
	s_waitcnt vmcnt(19)
	v_fma_f64 v[162:163], -v[190:191], v[200:201], v[162:163]
	s_waitcnt vmcnt(16) lgkmcnt(1)
	v_fma_f64 v[114:115], -v[190:191], v[202:203], v[114:115]
	ds_read2_b64 v[198:201], v225 offset0:35 offset1:36
	s_waitcnt vmcnt(15)
	v_fma_f64 v[160:161], -v[190:191], v[204:205], v[160:161]
	ds_read2_b64 v[202:205], v225 offset0:37 offset1:38
	s_waitcnt vmcnt(14) lgkmcnt(2)
	v_fma_f64 v[112:113], -v[190:191], v[194:195], v[112:113]
	s_waitcnt vmcnt(13)
	v_fma_f64 v[158:159], -v[190:191], v[196:197], v[158:159]
	ds_read2_b64 v[194:197], v225 offset0:39 offset1:40
	s_waitcnt vmcnt(12) lgkmcnt(2)
	v_fma_f64 v[110:111], -v[190:191], v[198:199], v[110:111]
	;; [unrolled: 5-line block ×3, first 2 shown]
	s_waitcnt vmcnt(9)
	v_fma_f64 v[154:155], -v[190:191], v[204:205], v[154:155]
	s_waitcnt vmcnt(8) lgkmcnt(1)
	v_fma_f64 v[106:107], -v[190:191], v[194:195], v[106:107]
	s_waitcnt vmcnt(7)
	v_fma_f64 v[152:153], -v[190:191], v[196:197], v[152:153]
	ds_read2_b64 v[194:197], v225 offset0:43 offset1:44
	ds_read2_b64 v[202:205], v225 offset0:45 offset1:46
	s_waitcnt vmcnt(6) lgkmcnt(2)
	v_fma_f64 v[104:105], -v[190:191], v[198:199], v[104:105]
	s_waitcnt vmcnt(5)
	v_fma_f64 v[150:151], -v[190:191], v[200:201], v[150:151]
	s_waitcnt vmcnt(0)
	v_fma_f64 v[192:193], -v[190:191], v[2:3], v[192:193]
	s_waitcnt lgkmcnt(1)
	v_fma_f64 v[102:103], -v[190:191], v[194:195], v[102:103]
	v_fma_f64 v[148:149], -v[190:191], v[196:197], v[148:149]
	s_waitcnt lgkmcnt(0)
	v_fma_f64 v[100:101], -v[190:191], v[202:203], v[100:101]
	v_fma_f64 v[146:147], -v[190:191], v[204:205], v[146:147]
.LBB95_16:
	s_or_b64 exec, exec, s[2:3]
	v_cmp_eq_u32_e32 vcc, 3, v228
	s_waitcnt lgkmcnt(0)
	s_barrier
	s_and_saveexec_b64 s[2:3], vcc
	s_cbranch_execz .LBB95_19
; %bb.17:
	v_mov_b32_e32 v2, v188
	v_mov_b32_e32 v3, v189
	;; [unrolled: 1-line block ×4, first 2 shown]
	ds_write_b64 v224, v[142:143]
	ds_write2_b64 v225, v[2:3], v[194:195] offset0:4 offset1:5
	v_mov_b32_e32 v2, v186
	v_mov_b32_e32 v3, v187
	v_mov_b32_e32 v194, v138
	v_mov_b32_e32 v195, v139
	ds_write2_b64 v225, v[2:3], v[194:195] offset0:6 offset1:7
	v_mov_b32_e32 v2, v184
	v_mov_b32_e32 v3, v185
	v_mov_b32_e32 v194, v136
	v_mov_b32_e32 v195, v137
	;; [unrolled: 5-line block ×5, first 2 shown]
	ds_write2_b64 v225, v[2:3], v[194:195] offset0:14 offset1:15
	s_waitcnt vmcnt(61)
	v_mov_b32_e32 v2, v176
	v_mov_b32_e32 v3, v177
	s_waitcnt vmcnt(58)
	v_mov_b32_e32 v194, v128
	v_mov_b32_e32 v195, v129
	ds_write2_b64 v225, v[2:3], v[194:195] offset0:16 offset1:17
	s_waitcnt vmcnt(55)
	v_mov_b32_e32 v2, v174
	v_mov_b32_e32 v3, v175
	s_waitcnt vmcnt(52)
	v_mov_b32_e32 v194, v126
	v_mov_b32_e32 v195, v127
	ds_write2_b64 v225, v[2:3], v[194:195] offset0:18 offset1:19
	s_waitcnt vmcnt(49)
	v_mov_b32_e32 v2, v172
	v_mov_b32_e32 v3, v173
	s_waitcnt vmcnt(46)
	v_mov_b32_e32 v194, v124
	v_mov_b32_e32 v195, v125
	ds_write2_b64 v225, v[2:3], v[194:195] offset0:20 offset1:21
	s_waitcnt vmcnt(43)
	v_mov_b32_e32 v2, v170
	v_mov_b32_e32 v3, v171
	s_waitcnt vmcnt(40)
	v_mov_b32_e32 v194, v122
	v_mov_b32_e32 v195, v123
	ds_write2_b64 v225, v[2:3], v[194:195] offset0:22 offset1:23
	s_waitcnt vmcnt(37)
	v_mov_b32_e32 v2, v168
	v_mov_b32_e32 v3, v169
	s_waitcnt vmcnt(34)
	v_mov_b32_e32 v194, v120
	v_mov_b32_e32 v195, v121
	ds_write2_b64 v225, v[2:3], v[194:195] offset0:24 offset1:25
	s_waitcnt vmcnt(31)
	v_mov_b32_e32 v2, v166
	v_mov_b32_e32 v3, v167
	s_waitcnt vmcnt(28)
	v_mov_b32_e32 v194, v118
	v_mov_b32_e32 v195, v119
	ds_write2_b64 v225, v[2:3], v[194:195] offset0:26 offset1:27
	s_waitcnt vmcnt(25)
	v_mov_b32_e32 v2, v164
	v_mov_b32_e32 v3, v165
	s_waitcnt vmcnt(22)
	v_mov_b32_e32 v194, v116
	v_mov_b32_e32 v195, v117
	ds_write2_b64 v225, v[2:3], v[194:195] offset0:28 offset1:29
	s_waitcnt vmcnt(19)
	v_mov_b32_e32 v2, v162
	v_mov_b32_e32 v3, v163
	s_waitcnt vmcnt(16)
	v_mov_b32_e32 v194, v114
	v_mov_b32_e32 v195, v115
	ds_write2_b64 v225, v[2:3], v[194:195] offset0:30 offset1:31
	s_waitcnt vmcnt(15)
	v_mov_b32_e32 v2, v160
	v_mov_b32_e32 v3, v161
	s_waitcnt vmcnt(14)
	v_mov_b32_e32 v194, v112
	v_mov_b32_e32 v195, v113
	ds_write2_b64 v225, v[2:3], v[194:195] offset0:32 offset1:33
	s_waitcnt vmcnt(13)
	v_mov_b32_e32 v2, v158
	v_mov_b32_e32 v3, v159
	s_waitcnt vmcnt(12)
	v_mov_b32_e32 v194, v110
	v_mov_b32_e32 v195, v111
	ds_write2_b64 v225, v[2:3], v[194:195] offset0:34 offset1:35
	s_waitcnt vmcnt(11)
	v_mov_b32_e32 v2, v156
	v_mov_b32_e32 v3, v157
	s_waitcnt vmcnt(10)
	v_mov_b32_e32 v194, v108
	v_mov_b32_e32 v195, v109
	ds_write2_b64 v225, v[2:3], v[194:195] offset0:36 offset1:37
	s_waitcnt vmcnt(9)
	v_mov_b32_e32 v2, v154
	v_mov_b32_e32 v3, v155
	s_waitcnt vmcnt(8)
	v_mov_b32_e32 v194, v106
	v_mov_b32_e32 v195, v107
	ds_write2_b64 v225, v[2:3], v[194:195] offset0:38 offset1:39
	s_waitcnt vmcnt(7)
	v_mov_b32_e32 v2, v152
	v_mov_b32_e32 v3, v153
	s_waitcnt vmcnt(6)
	v_mov_b32_e32 v194, v104
	v_mov_b32_e32 v195, v105
	ds_write2_b64 v225, v[2:3], v[194:195] offset0:40 offset1:41
	s_waitcnt vmcnt(5)
	v_mov_b32_e32 v2, v150
	v_mov_b32_e32 v3, v151
	s_waitcnt vmcnt(4)
	v_mov_b32_e32 v194, v102
	v_mov_b32_e32 v195, v103
	ds_write2_b64 v225, v[2:3], v[194:195] offset0:42 offset1:43
	s_waitcnt vmcnt(3)
	v_mov_b32_e32 v2, v148
	v_mov_b32_e32 v3, v149
	s_waitcnt vmcnt(2)
	v_mov_b32_e32 v194, v100
	v_mov_b32_e32 v195, v101
	ds_write2_b64 v225, v[2:3], v[194:195] offset0:44 offset1:45
	s_waitcnt vmcnt(1)
	v_mov_b32_e32 v2, v146
	v_mov_b32_e32 v3, v147
	s_waitcnt vmcnt(0)
	ds_write2_b64 v225, v[2:3], v[192:193] offset0:46 offset1:47
	ds_read_b64 v[2:3], v224
	s_waitcnt lgkmcnt(0)
	v_cmp_neq_f64_e32 vcc, 0, v[2:3]
	s_and_b64 exec, exec, vcc
	s_cbranch_execz .LBB95_19
; %bb.18:
	v_div_scale_f64 v[194:195], s[6:7], v[2:3], v[2:3], 1.0
	v_rcp_f64_e32 v[196:197], v[194:195]
	v_div_scale_f64 v[198:199], vcc, 1.0, v[2:3], 1.0
	v_fma_f64 v[200:201], -v[194:195], v[196:197], 1.0
	v_fmac_f64_e32 v[196:197], v[196:197], v[200:201]
	v_fma_f64 v[200:201], -v[194:195], v[196:197], 1.0
	v_fmac_f64_e32 v[196:197], v[196:197], v[200:201]
	v_mul_f64 v[200:201], v[198:199], v[196:197]
	v_fma_f64 v[194:195], -v[194:195], v[200:201], v[198:199]
	v_div_fmas_f64 v[194:195], v[194:195], v[196:197], v[200:201]
	v_div_fixup_f64 v[2:3], v[194:195], v[2:3], 1.0
	ds_write_b64 v224, v[2:3]
.LBB95_19:
	s_or_b64 exec, exec, s[2:3]
	s_waitcnt lgkmcnt(0)
	s_barrier
	ds_read_b64 v[26:27], v224
	v_cmp_lt_u32_e32 vcc, 3, v228
	s_and_saveexec_b64 s[2:3], vcc
	s_cbranch_execz .LBB95_21
; %bb.20:
	ds_read2_b64 v[194:197], v225 offset0:4 offset1:5
	ds_read2_b64 v[198:201], v225 offset0:6 offset1:7
	s_waitcnt lgkmcnt(2)
	v_mul_f64 v[142:143], v[26:27], v[142:143]
	ds_read2_b64 v[202:205], v225 offset0:8 offset1:9
	s_waitcnt lgkmcnt(2)
	v_fma_f64 v[188:189], -v[142:143], v[194:195], v[188:189]
	v_fma_f64 v[140:141], -v[142:143], v[196:197], v[140:141]
	ds_read2_b64 v[194:197], v225 offset0:10 offset1:11
	s_waitcnt lgkmcnt(2)
	v_fma_f64 v[186:187], -v[142:143], v[198:199], v[186:187]
	v_fma_f64 v[138:139], -v[142:143], v[200:201], v[138:139]
	s_waitcnt lgkmcnt(1)
	v_fma_f64 v[184:185], -v[142:143], v[202:203], v[184:185]
	ds_read2_b64 v[198:201], v225 offset0:12 offset1:13
	v_fma_f64 v[136:137], -v[142:143], v[204:205], v[136:137]
	ds_read2_b64 v[202:205], v225 offset0:14 offset1:15
	s_waitcnt lgkmcnt(2)
	v_fma_f64 v[182:183], -v[142:143], v[194:195], v[182:183]
	v_fma_f64 v[134:135], -v[142:143], v[196:197], v[134:135]
	ds_read2_b64 v[194:197], v225 offset0:16 offset1:17
	s_waitcnt lgkmcnt(2)
	v_fma_f64 v[180:181], -v[142:143], v[198:199], v[180:181]
	;; [unrolled: 4-line block ×3, first 2 shown]
	v_fma_f64 v[130:131], -v[142:143], v[204:205], v[130:131]
	s_waitcnt vmcnt(61) lgkmcnt(1)
	v_fma_f64 v[176:177], -v[142:143], v[194:195], v[176:177]
	ds_read2_b64 v[202:205], v225 offset0:20 offset1:21
	s_waitcnt vmcnt(58)
	v_fma_f64 v[128:129], -v[142:143], v[196:197], v[128:129]
	ds_read2_b64 v[194:197], v225 offset0:22 offset1:23
	s_waitcnt vmcnt(55) lgkmcnt(2)
	v_fma_f64 v[174:175], -v[142:143], v[198:199], v[174:175]
	s_waitcnt vmcnt(52)
	v_fma_f64 v[126:127], -v[142:143], v[200:201], v[126:127]
	s_waitcnt vmcnt(49) lgkmcnt(1)
	v_fma_f64 v[172:173], -v[142:143], v[202:203], v[172:173]
	ds_read2_b64 v[198:201], v225 offset0:24 offset1:25
	s_waitcnt vmcnt(46)
	v_fma_f64 v[124:125], -v[142:143], v[204:205], v[124:125]
	ds_read2_b64 v[202:205], v225 offset0:26 offset1:27
	s_waitcnt vmcnt(43) lgkmcnt(2)
	v_fma_f64 v[170:171], -v[142:143], v[194:195], v[170:171]
	s_waitcnt vmcnt(40)
	v_fma_f64 v[122:123], -v[142:143], v[196:197], v[122:123]
	ds_read2_b64 v[194:197], v225 offset0:28 offset1:29
	s_waitcnt vmcnt(37) lgkmcnt(2)
	v_fma_f64 v[168:169], -v[142:143], v[198:199], v[168:169]
	;; [unrolled: 5-line block ×3, first 2 shown]
	s_waitcnt vmcnt(28)
	v_fma_f64 v[118:119], -v[142:143], v[204:205], v[118:119]
	s_waitcnt vmcnt(25) lgkmcnt(1)
	v_fma_f64 v[164:165], -v[142:143], v[194:195], v[164:165]
	ds_read2_b64 v[202:205], v225 offset0:32 offset1:33
	s_waitcnt vmcnt(22)
	v_fma_f64 v[116:117], -v[142:143], v[196:197], v[116:117]
	ds_read2_b64 v[194:197], v225 offset0:34 offset1:35
	s_waitcnt vmcnt(19) lgkmcnt(2)
	v_fma_f64 v[162:163], -v[142:143], v[198:199], v[162:163]
	s_waitcnt vmcnt(16)
	v_fma_f64 v[114:115], -v[142:143], v[200:201], v[114:115]
	s_waitcnt vmcnt(15) lgkmcnt(1)
	v_fma_f64 v[160:161], -v[142:143], v[202:203], v[160:161]
	ds_read2_b64 v[198:201], v225 offset0:36 offset1:37
	s_waitcnt vmcnt(14)
	v_fma_f64 v[112:113], -v[142:143], v[204:205], v[112:113]
	ds_read2_b64 v[202:205], v225 offset0:38 offset1:39
	s_waitcnt vmcnt(13) lgkmcnt(2)
	v_fma_f64 v[158:159], -v[142:143], v[194:195], v[158:159]
	s_waitcnt vmcnt(12)
	v_fma_f64 v[110:111], -v[142:143], v[196:197], v[110:111]
	ds_read2_b64 v[194:197], v225 offset0:40 offset1:41
	s_waitcnt vmcnt(11) lgkmcnt(2)
	v_fma_f64 v[156:157], -v[142:143], v[198:199], v[156:157]
	s_waitcnt vmcnt(10)
	v_fma_f64 v[108:109], -v[142:143], v[200:201], v[108:109]
	ds_read2_b64 v[198:201], v225 offset0:42 offset1:43
	s_waitcnt vmcnt(9) lgkmcnt(2)
	v_fma_f64 v[154:155], -v[142:143], v[202:203], v[154:155]
	s_waitcnt vmcnt(8)
	v_fma_f64 v[106:107], -v[142:143], v[204:205], v[106:107]
	s_waitcnt vmcnt(7) lgkmcnt(1)
	v_fma_f64 v[152:153], -v[142:143], v[194:195], v[152:153]
	ds_read2_b64 v[202:205], v225 offset0:44 offset1:45
	s_waitcnt vmcnt(6)
	v_fma_f64 v[104:105], -v[142:143], v[196:197], v[104:105]
	ds_read2_b64 v[194:197], v225 offset0:46 offset1:47
	s_waitcnt vmcnt(5) lgkmcnt(2)
	v_fma_f64 v[150:151], -v[142:143], v[198:199], v[150:151]
	s_waitcnt vmcnt(4)
	v_fma_f64 v[102:103], -v[142:143], v[200:201], v[102:103]
	s_waitcnt vmcnt(3) lgkmcnt(1)
	v_fma_f64 v[148:149], -v[142:143], v[202:203], v[148:149]
	s_waitcnt vmcnt(2)
	v_fma_f64 v[100:101], -v[142:143], v[204:205], v[100:101]
	;; [unrolled: 4-line block ×3, first 2 shown]
.LBB95_21:
	s_or_b64 exec, exec, s[2:3]
	v_cmp_eq_u32_e32 vcc, 4, v228
	s_waitcnt lgkmcnt(0)
	s_barrier
	s_and_saveexec_b64 s[2:3], vcc
	s_cbranch_execz .LBB95_24
; %bb.22:
	ds_write_b64 v224, v[188:189]
	ds_write2_b64 v225, v[140:141], v[186:187] offset0:5 offset1:6
	ds_write2_b64 v225, v[138:139], v[184:185] offset0:7 offset1:8
	;; [unrolled: 1-line block ×5, first 2 shown]
	s_waitcnt vmcnt(61)
	ds_write2_b64 v225, v[130:131], v[176:177] offset0:15 offset1:16
	s_waitcnt vmcnt(55)
	ds_write2_b64 v225, v[128:129], v[174:175] offset0:17 offset1:18
	;; [unrolled: 2-line block ×16, first 2 shown]
	s_waitcnt vmcnt(0)
	ds_write_b64 v225, v[192:193] offset:376
	ds_read_b64 v[2:3], v224
	s_waitcnt lgkmcnt(0)
	v_cmp_neq_f64_e32 vcc, 0, v[2:3]
	s_and_b64 exec, exec, vcc
	s_cbranch_execz .LBB95_24
; %bb.23:
	v_div_scale_f64 v[194:195], s[6:7], v[2:3], v[2:3], 1.0
	v_rcp_f64_e32 v[196:197], v[194:195]
	v_div_scale_f64 v[198:199], vcc, 1.0, v[2:3], 1.0
	v_fma_f64 v[200:201], -v[194:195], v[196:197], 1.0
	v_fmac_f64_e32 v[196:197], v[196:197], v[200:201]
	v_fma_f64 v[200:201], -v[194:195], v[196:197], 1.0
	v_fmac_f64_e32 v[196:197], v[196:197], v[200:201]
	v_mul_f64 v[200:201], v[198:199], v[196:197]
	v_fma_f64 v[194:195], -v[194:195], v[200:201], v[198:199]
	v_div_fmas_f64 v[194:195], v[194:195], v[196:197], v[200:201]
	v_div_fixup_f64 v[2:3], v[194:195], v[2:3], 1.0
	ds_write_b64 v224, v[2:3]
.LBB95_24:
	s_or_b64 exec, exec, s[2:3]
	s_waitcnt lgkmcnt(0)
	s_barrier
	ds_read_b64 v[28:29], v224
	v_cmp_lt_u32_e32 vcc, 4, v228
	s_and_saveexec_b64 s[2:3], vcc
	s_cbranch_execz .LBB95_26
; %bb.25:
	ds_read2_b64 v[194:197], v225 offset0:5 offset1:6
	ds_read2_b64 v[198:201], v225 offset0:7 offset1:8
	;; [unrolled: 1-line block ×3, first 2 shown]
	s_waitcnt lgkmcnt(3)
	v_mul_f64 v[188:189], v[28:29], v[188:189]
	ds_read_b64 v[2:3], v225 offset:376
	s_waitcnt lgkmcnt(3)
	v_fma_f64 v[140:141], -v[188:189], v[194:195], v[140:141]
	v_fma_f64 v[186:187], -v[188:189], v[196:197], v[186:187]
	ds_read2_b64 v[194:197], v225 offset0:11 offset1:12
	s_waitcnt lgkmcnt(3)
	v_fma_f64 v[138:139], -v[188:189], v[198:199], v[138:139]
	v_fma_f64 v[184:185], -v[188:189], v[200:201], v[184:185]
	s_waitcnt lgkmcnt(2)
	v_fma_f64 v[136:137], -v[188:189], v[202:203], v[136:137]
	ds_read2_b64 v[198:201], v225 offset0:13 offset1:14
	v_fma_f64 v[182:183], -v[188:189], v[204:205], v[182:183]
	ds_read2_b64 v[202:205], v225 offset0:15 offset1:16
	s_waitcnt lgkmcnt(2)
	v_fma_f64 v[134:135], -v[188:189], v[194:195], v[134:135]
	v_fma_f64 v[180:181], -v[188:189], v[196:197], v[180:181]
	s_waitcnt lgkmcnt(1)
	v_fma_f64 v[132:133], -v[188:189], v[198:199], v[132:133]
	ds_read2_b64 v[194:197], v225 offset0:17 offset1:18
	v_fma_f64 v[178:179], -v[188:189], v[200:201], v[178:179]
	ds_read2_b64 v[198:201], v225 offset0:19 offset1:20
	s_waitcnt lgkmcnt(2)
	v_fma_f64 v[130:131], -v[188:189], v[202:203], v[130:131]
	s_waitcnt vmcnt(61)
	v_fma_f64 v[176:177], -v[188:189], v[204:205], v[176:177]
	ds_read2_b64 v[202:205], v225 offset0:21 offset1:22
	s_waitcnt vmcnt(58) lgkmcnt(2)
	v_fma_f64 v[128:129], -v[188:189], v[194:195], v[128:129]
	s_waitcnt vmcnt(55)
	v_fma_f64 v[174:175], -v[188:189], v[196:197], v[174:175]
	ds_read2_b64 v[194:197], v225 offset0:23 offset1:24
	s_waitcnt vmcnt(52) lgkmcnt(2)
	v_fma_f64 v[126:127], -v[188:189], v[198:199], v[126:127]
	s_waitcnt vmcnt(49)
	v_fma_f64 v[172:173], -v[188:189], v[200:201], v[172:173]
	s_waitcnt vmcnt(46) lgkmcnt(1)
	v_fma_f64 v[124:125], -v[188:189], v[202:203], v[124:125]
	ds_read2_b64 v[198:201], v225 offset0:25 offset1:26
	s_waitcnt vmcnt(43)
	v_fma_f64 v[170:171], -v[188:189], v[204:205], v[170:171]
	ds_read2_b64 v[202:205], v225 offset0:27 offset1:28
	s_waitcnt vmcnt(40) lgkmcnt(2)
	v_fma_f64 v[122:123], -v[188:189], v[194:195], v[122:123]
	s_waitcnt vmcnt(37)
	v_fma_f64 v[168:169], -v[188:189], v[196:197], v[168:169]
	s_waitcnt vmcnt(34) lgkmcnt(1)
	v_fma_f64 v[120:121], -v[188:189], v[198:199], v[120:121]
	ds_read2_b64 v[194:197], v225 offset0:29 offset1:30
	s_waitcnt vmcnt(31)
	v_fma_f64 v[166:167], -v[188:189], v[200:201], v[166:167]
	ds_read2_b64 v[198:201], v225 offset0:31 offset1:32
	s_waitcnt vmcnt(28) lgkmcnt(2)
	v_fma_f64 v[118:119], -v[188:189], v[202:203], v[118:119]
	s_waitcnt vmcnt(25)
	v_fma_f64 v[164:165], -v[188:189], v[204:205], v[164:165]
	ds_read2_b64 v[202:205], v225 offset0:33 offset1:34
	s_waitcnt vmcnt(22) lgkmcnt(2)
	v_fma_f64 v[116:117], -v[188:189], v[194:195], v[116:117]
	;; [unrolled: 5-line block ×3, first 2 shown]
	s_waitcnt vmcnt(15)
	v_fma_f64 v[160:161], -v[188:189], v[200:201], v[160:161]
	s_waitcnt vmcnt(14) lgkmcnt(1)
	v_fma_f64 v[112:113], -v[188:189], v[202:203], v[112:113]
	ds_read2_b64 v[198:201], v225 offset0:37 offset1:38
	s_waitcnt vmcnt(13)
	v_fma_f64 v[158:159], -v[188:189], v[204:205], v[158:159]
	ds_read2_b64 v[202:205], v225 offset0:39 offset1:40
	s_waitcnt vmcnt(12) lgkmcnt(2)
	v_fma_f64 v[110:111], -v[188:189], v[194:195], v[110:111]
	s_waitcnt vmcnt(11)
	v_fma_f64 v[156:157], -v[188:189], v[196:197], v[156:157]
	s_waitcnt vmcnt(10) lgkmcnt(1)
	v_fma_f64 v[108:109], -v[188:189], v[198:199], v[108:109]
	ds_read2_b64 v[194:197], v225 offset0:41 offset1:42
	s_waitcnt vmcnt(9)
	v_fma_f64 v[154:155], -v[188:189], v[200:201], v[154:155]
	ds_read2_b64 v[198:201], v225 offset0:43 offset1:44
	s_waitcnt vmcnt(8) lgkmcnt(2)
	v_fma_f64 v[106:107], -v[188:189], v[202:203], v[106:107]
	s_waitcnt vmcnt(7)
	v_fma_f64 v[152:153], -v[188:189], v[204:205], v[152:153]
	ds_read2_b64 v[202:205], v225 offset0:45 offset1:46
	s_waitcnt vmcnt(6) lgkmcnt(2)
	v_fma_f64 v[104:105], -v[188:189], v[194:195], v[104:105]
	s_waitcnt vmcnt(5)
	v_fma_f64 v[150:151], -v[188:189], v[196:197], v[150:151]
	s_waitcnt vmcnt(4) lgkmcnt(1)
	v_fma_f64 v[102:103], -v[188:189], v[198:199], v[102:103]
	s_waitcnt vmcnt(3)
	v_fma_f64 v[148:149], -v[188:189], v[200:201], v[148:149]
	;; [unrolled: 4-line block ×3, first 2 shown]
	s_waitcnt vmcnt(0)
	v_fma_f64 v[192:193], -v[188:189], v[2:3], v[192:193]
.LBB95_26:
	s_or_b64 exec, exec, s[2:3]
	v_cmp_eq_u32_e32 vcc, 5, v228
	s_waitcnt lgkmcnt(0)
	s_barrier
	s_and_saveexec_b64 s[2:3], vcc
	s_cbranch_execz .LBB95_29
; %bb.27:
	v_mov_b32_e32 v2, v186
	v_mov_b32_e32 v3, v187
	;; [unrolled: 1-line block ×4, first 2 shown]
	ds_write_b64 v224, v[140:141]
	ds_write2_b64 v225, v[2:3], v[194:195] offset0:6 offset1:7
	v_mov_b32_e32 v2, v184
	v_mov_b32_e32 v3, v185
	v_mov_b32_e32 v194, v136
	v_mov_b32_e32 v195, v137
	ds_write2_b64 v225, v[2:3], v[194:195] offset0:8 offset1:9
	v_mov_b32_e32 v2, v182
	v_mov_b32_e32 v3, v183
	v_mov_b32_e32 v194, v134
	v_mov_b32_e32 v195, v135
	;; [unrolled: 5-line block ×4, first 2 shown]
	ds_write2_b64 v225, v[2:3], v[194:195] offset0:14 offset1:15
	s_waitcnt vmcnt(61)
	v_mov_b32_e32 v2, v176
	v_mov_b32_e32 v3, v177
	s_waitcnt vmcnt(58)
	v_mov_b32_e32 v194, v128
	v_mov_b32_e32 v195, v129
	ds_write2_b64 v225, v[2:3], v[194:195] offset0:16 offset1:17
	s_waitcnt vmcnt(55)
	v_mov_b32_e32 v2, v174
	v_mov_b32_e32 v3, v175
	s_waitcnt vmcnt(52)
	v_mov_b32_e32 v194, v126
	v_mov_b32_e32 v195, v127
	;; [unrolled: 7-line block ×15, first 2 shown]
	ds_write2_b64 v225, v[2:3], v[194:195] offset0:44 offset1:45
	s_waitcnt vmcnt(1)
	v_mov_b32_e32 v2, v146
	v_mov_b32_e32 v3, v147
	s_waitcnt vmcnt(0)
	ds_write2_b64 v225, v[2:3], v[192:193] offset0:46 offset1:47
	ds_read_b64 v[2:3], v224
	s_waitcnt lgkmcnt(0)
	v_cmp_neq_f64_e32 vcc, 0, v[2:3]
	s_and_b64 exec, exec, vcc
	s_cbranch_execz .LBB95_29
; %bb.28:
	v_div_scale_f64 v[194:195], s[6:7], v[2:3], v[2:3], 1.0
	v_rcp_f64_e32 v[196:197], v[194:195]
	v_div_scale_f64 v[198:199], vcc, 1.0, v[2:3], 1.0
	v_fma_f64 v[200:201], -v[194:195], v[196:197], 1.0
	v_fmac_f64_e32 v[196:197], v[196:197], v[200:201]
	v_fma_f64 v[200:201], -v[194:195], v[196:197], 1.0
	v_fmac_f64_e32 v[196:197], v[196:197], v[200:201]
	v_mul_f64 v[200:201], v[198:199], v[196:197]
	v_fma_f64 v[194:195], -v[194:195], v[200:201], v[198:199]
	v_div_fmas_f64 v[194:195], v[194:195], v[196:197], v[200:201]
	v_div_fixup_f64 v[2:3], v[194:195], v[2:3], 1.0
	ds_write_b64 v224, v[2:3]
.LBB95_29:
	s_or_b64 exec, exec, s[2:3]
	s_waitcnt lgkmcnt(0)
	s_barrier
	ds_read_b64 v[30:31], v224
	v_cmp_lt_u32_e32 vcc, 5, v228
	s_and_saveexec_b64 s[2:3], vcc
	s_cbranch_execz .LBB95_31
; %bb.30:
	ds_read2_b64 v[194:197], v225 offset0:6 offset1:7
	ds_read2_b64 v[198:201], v225 offset0:8 offset1:9
	;; [unrolled: 1-line block ×3, first 2 shown]
	s_waitcnt lgkmcnt(3)
	v_mul_f64 v[140:141], v[30:31], v[140:141]
	s_waitcnt lgkmcnt(2)
	v_fma_f64 v[186:187], -v[140:141], v[194:195], v[186:187]
	v_fma_f64 v[138:139], -v[140:141], v[196:197], v[138:139]
	ds_read2_b64 v[194:197], v225 offset0:12 offset1:13
	s_waitcnt lgkmcnt(2)
	v_fma_f64 v[184:185], -v[140:141], v[198:199], v[184:185]
	v_fma_f64 v[136:137], -v[140:141], v[200:201], v[136:137]
	s_waitcnt lgkmcnt(1)
	v_fma_f64 v[182:183], -v[140:141], v[202:203], v[182:183]
	ds_read2_b64 v[198:201], v225 offset0:14 offset1:15
	v_fma_f64 v[134:135], -v[140:141], v[204:205], v[134:135]
	ds_read2_b64 v[202:205], v225 offset0:16 offset1:17
	s_waitcnt lgkmcnt(2)
	v_fma_f64 v[180:181], -v[140:141], v[194:195], v[180:181]
	v_fma_f64 v[132:133], -v[140:141], v[196:197], v[132:133]
	s_waitcnt lgkmcnt(1)
	v_fma_f64 v[178:179], -v[140:141], v[198:199], v[178:179]
	ds_read2_b64 v[194:197], v225 offset0:18 offset1:19
	v_fma_f64 v[130:131], -v[140:141], v[200:201], v[130:131]
	ds_read2_b64 v[198:201], v225 offset0:20 offset1:21
	s_waitcnt vmcnt(61) lgkmcnt(2)
	v_fma_f64 v[176:177], -v[140:141], v[202:203], v[176:177]
	s_waitcnt vmcnt(58)
	v_fma_f64 v[128:129], -v[140:141], v[204:205], v[128:129]
	ds_read2_b64 v[202:205], v225 offset0:22 offset1:23
	s_waitcnt vmcnt(55) lgkmcnt(2)
	v_fma_f64 v[174:175], -v[140:141], v[194:195], v[174:175]
	s_waitcnt vmcnt(52)
	;; [unrolled: 5-line block ×3, first 2 shown]
	v_fma_f64 v[124:125], -v[140:141], v[200:201], v[124:125]
	s_waitcnt vmcnt(43) lgkmcnt(1)
	v_fma_f64 v[170:171], -v[140:141], v[202:203], v[170:171]
	ds_read2_b64 v[198:201], v225 offset0:26 offset1:27
	s_waitcnt vmcnt(40)
	v_fma_f64 v[122:123], -v[140:141], v[204:205], v[122:123]
	ds_read2_b64 v[202:205], v225 offset0:28 offset1:29
	s_waitcnt vmcnt(37) lgkmcnt(2)
	v_fma_f64 v[168:169], -v[140:141], v[194:195], v[168:169]
	s_waitcnt vmcnt(34)
	v_fma_f64 v[120:121], -v[140:141], v[196:197], v[120:121]
	s_waitcnt vmcnt(31) lgkmcnt(1)
	v_fma_f64 v[166:167], -v[140:141], v[198:199], v[166:167]
	ds_read2_b64 v[194:197], v225 offset0:30 offset1:31
	s_waitcnt vmcnt(28)
	v_fma_f64 v[118:119], -v[140:141], v[200:201], v[118:119]
	ds_read2_b64 v[198:201], v225 offset0:32 offset1:33
	s_waitcnt vmcnt(25) lgkmcnt(2)
	v_fma_f64 v[164:165], -v[140:141], v[202:203], v[164:165]
	s_waitcnt vmcnt(22)
	v_fma_f64 v[116:117], -v[140:141], v[204:205], v[116:117]
	ds_read2_b64 v[202:205], v225 offset0:34 offset1:35
	s_waitcnt vmcnt(19) lgkmcnt(2)
	v_fma_f64 v[162:163], -v[140:141], v[194:195], v[162:163]
	;; [unrolled: 5-line block ×3, first 2 shown]
	s_waitcnt vmcnt(14)
	v_fma_f64 v[112:113], -v[140:141], v[200:201], v[112:113]
	s_waitcnt vmcnt(13) lgkmcnt(1)
	v_fma_f64 v[158:159], -v[140:141], v[202:203], v[158:159]
	ds_read2_b64 v[198:201], v225 offset0:38 offset1:39
	s_waitcnt vmcnt(12)
	v_fma_f64 v[110:111], -v[140:141], v[204:205], v[110:111]
	ds_read2_b64 v[202:205], v225 offset0:40 offset1:41
	s_waitcnt vmcnt(11) lgkmcnt(2)
	v_fma_f64 v[156:157], -v[140:141], v[194:195], v[156:157]
	s_waitcnt vmcnt(10)
	v_fma_f64 v[108:109], -v[140:141], v[196:197], v[108:109]
	s_waitcnt vmcnt(9) lgkmcnt(1)
	v_fma_f64 v[154:155], -v[140:141], v[198:199], v[154:155]
	s_waitcnt vmcnt(8)
	v_fma_f64 v[106:107], -v[140:141], v[200:201], v[106:107]
	ds_read2_b64 v[194:197], v225 offset0:42 offset1:43
	ds_read2_b64 v[198:201], v225 offset0:44 offset1:45
	s_waitcnt vmcnt(7) lgkmcnt(2)
	v_fma_f64 v[152:153], -v[140:141], v[202:203], v[152:153]
	s_waitcnt vmcnt(6)
	v_fma_f64 v[104:105], -v[140:141], v[204:205], v[104:105]
	ds_read2_b64 v[202:205], v225 offset0:46 offset1:47
	s_waitcnt vmcnt(5) lgkmcnt(2)
	v_fma_f64 v[150:151], -v[140:141], v[194:195], v[150:151]
	s_waitcnt vmcnt(4)
	v_fma_f64 v[102:103], -v[140:141], v[196:197], v[102:103]
	s_waitcnt vmcnt(3) lgkmcnt(1)
	v_fma_f64 v[148:149], -v[140:141], v[198:199], v[148:149]
	s_waitcnt vmcnt(2)
	v_fma_f64 v[100:101], -v[140:141], v[200:201], v[100:101]
	;; [unrolled: 4-line block ×3, first 2 shown]
.LBB95_31:
	s_or_b64 exec, exec, s[2:3]
	v_cmp_eq_u32_e32 vcc, 6, v228
	s_waitcnt lgkmcnt(0)
	s_barrier
	s_and_saveexec_b64 s[2:3], vcc
	s_cbranch_execz .LBB95_34
; %bb.32:
	ds_write_b64 v224, v[186:187]
	ds_write2_b64 v225, v[138:139], v[184:185] offset0:7 offset1:8
	ds_write2_b64 v225, v[136:137], v[182:183] offset0:9 offset1:10
	;; [unrolled: 1-line block ×4, first 2 shown]
	s_waitcnt vmcnt(61)
	ds_write2_b64 v225, v[130:131], v[176:177] offset0:15 offset1:16
	s_waitcnt vmcnt(55)
	ds_write2_b64 v225, v[128:129], v[174:175] offset0:17 offset1:18
	;; [unrolled: 2-line block ×16, first 2 shown]
	s_waitcnt vmcnt(0)
	ds_write_b64 v225, v[192:193] offset:376
	ds_read_b64 v[2:3], v224
	s_waitcnt lgkmcnt(0)
	v_cmp_neq_f64_e32 vcc, 0, v[2:3]
	s_and_b64 exec, exec, vcc
	s_cbranch_execz .LBB95_34
; %bb.33:
	v_div_scale_f64 v[194:195], s[6:7], v[2:3], v[2:3], 1.0
	v_rcp_f64_e32 v[196:197], v[194:195]
	v_div_scale_f64 v[198:199], vcc, 1.0, v[2:3], 1.0
	v_fma_f64 v[200:201], -v[194:195], v[196:197], 1.0
	v_fmac_f64_e32 v[196:197], v[196:197], v[200:201]
	v_fma_f64 v[200:201], -v[194:195], v[196:197], 1.0
	v_fmac_f64_e32 v[196:197], v[196:197], v[200:201]
	v_mul_f64 v[200:201], v[198:199], v[196:197]
	v_fma_f64 v[194:195], -v[194:195], v[200:201], v[198:199]
	v_div_fmas_f64 v[194:195], v[194:195], v[196:197], v[200:201]
	v_div_fixup_f64 v[2:3], v[194:195], v[2:3], 1.0
	ds_write_b64 v224, v[2:3]
.LBB95_34:
	s_or_b64 exec, exec, s[2:3]
	s_waitcnt lgkmcnt(0)
	s_barrier
	ds_read_b64 v[32:33], v224
	v_cmp_lt_u32_e32 vcc, 6, v228
	s_and_saveexec_b64 s[2:3], vcc
	s_cbranch_execz .LBB95_36
; %bb.35:
	ds_read2_b64 v[194:197], v225 offset0:7 offset1:8
	ds_read2_b64 v[198:201], v225 offset0:9 offset1:10
	s_waitcnt lgkmcnt(2)
	v_mul_f64 v[186:187], v[32:33], v[186:187]
	ds_read2_b64 v[202:205], v225 offset0:11 offset1:12
	ds_read_b64 v[2:3], v225 offset:376
	s_waitcnt lgkmcnt(3)
	v_fma_f64 v[138:139], -v[186:187], v[194:195], v[138:139]
	v_fma_f64 v[184:185], -v[186:187], v[196:197], v[184:185]
	ds_read2_b64 v[194:197], v225 offset0:13 offset1:14
	s_waitcnt lgkmcnt(3)
	v_fma_f64 v[136:137], -v[186:187], v[198:199], v[136:137]
	v_fma_f64 v[182:183], -v[186:187], v[200:201], v[182:183]
	ds_read2_b64 v[198:201], v225 offset0:15 offset1:16
	;; [unrolled: 4-line block ×3, first 2 shown]
	s_waitcnt lgkmcnt(2)
	v_fma_f64 v[132:133], -v[186:187], v[194:195], v[132:133]
	v_fma_f64 v[178:179], -v[186:187], v[196:197], v[178:179]
	s_waitcnt lgkmcnt(1)
	v_fma_f64 v[130:131], -v[186:187], v[198:199], v[130:131]
	ds_read2_b64 v[194:197], v225 offset0:19 offset1:20
	s_waitcnt vmcnt(61)
	v_fma_f64 v[176:177], -v[186:187], v[200:201], v[176:177]
	ds_read2_b64 v[198:201], v225 offset0:21 offset1:22
	s_waitcnt vmcnt(58) lgkmcnt(2)
	v_fma_f64 v[128:129], -v[186:187], v[202:203], v[128:129]
	s_waitcnt vmcnt(55)
	v_fma_f64 v[174:175], -v[186:187], v[204:205], v[174:175]
	s_waitcnt vmcnt(52) lgkmcnt(1)
	v_fma_f64 v[126:127], -v[186:187], v[194:195], v[126:127]
	ds_read2_b64 v[202:205], v225 offset0:23 offset1:24
	s_waitcnt vmcnt(49)
	v_fma_f64 v[172:173], -v[186:187], v[196:197], v[172:173]
	ds_read2_b64 v[194:197], v225 offset0:25 offset1:26
	s_waitcnt vmcnt(46) lgkmcnt(2)
	v_fma_f64 v[124:125], -v[186:187], v[198:199], v[124:125]
	s_waitcnt vmcnt(43)
	v_fma_f64 v[170:171], -v[186:187], v[200:201], v[170:171]
	ds_read2_b64 v[198:201], v225 offset0:27 offset1:28
	s_waitcnt vmcnt(40) lgkmcnt(2)
	v_fma_f64 v[122:123], -v[186:187], v[202:203], v[122:123]
	;; [unrolled: 5-line block ×3, first 2 shown]
	s_waitcnt vmcnt(31)
	v_fma_f64 v[166:167], -v[186:187], v[196:197], v[166:167]
	s_waitcnt vmcnt(28) lgkmcnt(1)
	v_fma_f64 v[118:119], -v[186:187], v[198:199], v[118:119]
	ds_read2_b64 v[194:197], v225 offset0:31 offset1:32
	s_waitcnt vmcnt(25)
	v_fma_f64 v[164:165], -v[186:187], v[200:201], v[164:165]
	ds_read2_b64 v[198:201], v225 offset0:33 offset1:34
	s_waitcnt vmcnt(22) lgkmcnt(2)
	v_fma_f64 v[116:117], -v[186:187], v[202:203], v[116:117]
	s_waitcnt vmcnt(19)
	v_fma_f64 v[162:163], -v[186:187], v[204:205], v[162:163]
	s_waitcnt vmcnt(16) lgkmcnt(1)
	v_fma_f64 v[114:115], -v[186:187], v[194:195], v[114:115]
	ds_read2_b64 v[202:205], v225 offset0:35 offset1:36
	s_waitcnt vmcnt(15)
	v_fma_f64 v[160:161], -v[186:187], v[196:197], v[160:161]
	ds_read2_b64 v[194:197], v225 offset0:37 offset1:38
	s_waitcnt vmcnt(14) lgkmcnt(2)
	v_fma_f64 v[112:113], -v[186:187], v[198:199], v[112:113]
	s_waitcnt vmcnt(13)
	v_fma_f64 v[158:159], -v[186:187], v[200:201], v[158:159]
	ds_read2_b64 v[198:201], v225 offset0:39 offset1:40
	s_waitcnt vmcnt(12) lgkmcnt(2)
	v_fma_f64 v[110:111], -v[186:187], v[202:203], v[110:111]
	;; [unrolled: 5-line block ×3, first 2 shown]
	s_waitcnt vmcnt(9)
	v_fma_f64 v[154:155], -v[186:187], v[196:197], v[154:155]
	s_waitcnt vmcnt(8) lgkmcnt(1)
	v_fma_f64 v[106:107], -v[186:187], v[198:199], v[106:107]
	s_waitcnt vmcnt(7)
	v_fma_f64 v[152:153], -v[186:187], v[200:201], v[152:153]
	ds_read2_b64 v[194:197], v225 offset0:43 offset1:44
	ds_read2_b64 v[198:201], v225 offset0:45 offset1:46
	s_waitcnt vmcnt(6) lgkmcnt(2)
	v_fma_f64 v[104:105], -v[186:187], v[202:203], v[104:105]
	s_waitcnt vmcnt(5)
	v_fma_f64 v[150:151], -v[186:187], v[204:205], v[150:151]
	s_waitcnt vmcnt(0)
	v_fma_f64 v[192:193], -v[186:187], v[2:3], v[192:193]
	s_waitcnt lgkmcnt(1)
	v_fma_f64 v[102:103], -v[186:187], v[194:195], v[102:103]
	v_fma_f64 v[148:149], -v[186:187], v[196:197], v[148:149]
	s_waitcnt lgkmcnt(0)
	v_fma_f64 v[100:101], -v[186:187], v[198:199], v[100:101]
	v_fma_f64 v[146:147], -v[186:187], v[200:201], v[146:147]
.LBB95_36:
	s_or_b64 exec, exec, s[2:3]
	v_cmp_eq_u32_e32 vcc, 7, v228
	s_waitcnt lgkmcnt(0)
	s_barrier
	s_and_saveexec_b64 s[2:3], vcc
	s_cbranch_execz .LBB95_39
; %bb.37:
	v_mov_b32_e32 v2, v184
	v_mov_b32_e32 v3, v185
	;; [unrolled: 1-line block ×4, first 2 shown]
	ds_write_b64 v224, v[138:139]
	ds_write2_b64 v225, v[2:3], v[194:195] offset0:8 offset1:9
	v_mov_b32_e32 v2, v182
	v_mov_b32_e32 v3, v183
	v_mov_b32_e32 v194, v134
	v_mov_b32_e32 v195, v135
	ds_write2_b64 v225, v[2:3], v[194:195] offset0:10 offset1:11
	v_mov_b32_e32 v2, v180
	v_mov_b32_e32 v3, v181
	v_mov_b32_e32 v194, v132
	v_mov_b32_e32 v195, v133
	;; [unrolled: 5-line block ×3, first 2 shown]
	ds_write2_b64 v225, v[2:3], v[194:195] offset0:14 offset1:15
	s_waitcnt vmcnt(61)
	v_mov_b32_e32 v2, v176
	v_mov_b32_e32 v3, v177
	s_waitcnt vmcnt(58)
	v_mov_b32_e32 v194, v128
	v_mov_b32_e32 v195, v129
	ds_write2_b64 v225, v[2:3], v[194:195] offset0:16 offset1:17
	s_waitcnt vmcnt(55)
	v_mov_b32_e32 v2, v174
	v_mov_b32_e32 v3, v175
	s_waitcnt vmcnt(52)
	v_mov_b32_e32 v194, v126
	v_mov_b32_e32 v195, v127
	ds_write2_b64 v225, v[2:3], v[194:195] offset0:18 offset1:19
	s_waitcnt vmcnt(49)
	v_mov_b32_e32 v2, v172
	v_mov_b32_e32 v3, v173
	s_waitcnt vmcnt(46)
	v_mov_b32_e32 v194, v124
	v_mov_b32_e32 v195, v125
	ds_write2_b64 v225, v[2:3], v[194:195] offset0:20 offset1:21
	s_waitcnt vmcnt(43)
	v_mov_b32_e32 v2, v170
	v_mov_b32_e32 v3, v171
	s_waitcnt vmcnt(40)
	v_mov_b32_e32 v194, v122
	v_mov_b32_e32 v195, v123
	ds_write2_b64 v225, v[2:3], v[194:195] offset0:22 offset1:23
	s_waitcnt vmcnt(37)
	v_mov_b32_e32 v2, v168
	v_mov_b32_e32 v3, v169
	s_waitcnt vmcnt(34)
	v_mov_b32_e32 v194, v120
	v_mov_b32_e32 v195, v121
	ds_write2_b64 v225, v[2:3], v[194:195] offset0:24 offset1:25
	s_waitcnt vmcnt(31)
	v_mov_b32_e32 v2, v166
	v_mov_b32_e32 v3, v167
	s_waitcnt vmcnt(28)
	v_mov_b32_e32 v194, v118
	v_mov_b32_e32 v195, v119
	ds_write2_b64 v225, v[2:3], v[194:195] offset0:26 offset1:27
	s_waitcnt vmcnt(25)
	v_mov_b32_e32 v2, v164
	v_mov_b32_e32 v3, v165
	s_waitcnt vmcnt(22)
	v_mov_b32_e32 v194, v116
	v_mov_b32_e32 v195, v117
	ds_write2_b64 v225, v[2:3], v[194:195] offset0:28 offset1:29
	s_waitcnt vmcnt(19)
	v_mov_b32_e32 v2, v162
	v_mov_b32_e32 v3, v163
	s_waitcnt vmcnt(16)
	v_mov_b32_e32 v194, v114
	v_mov_b32_e32 v195, v115
	ds_write2_b64 v225, v[2:3], v[194:195] offset0:30 offset1:31
	s_waitcnt vmcnt(15)
	v_mov_b32_e32 v2, v160
	v_mov_b32_e32 v3, v161
	s_waitcnt vmcnt(14)
	v_mov_b32_e32 v194, v112
	v_mov_b32_e32 v195, v113
	ds_write2_b64 v225, v[2:3], v[194:195] offset0:32 offset1:33
	s_waitcnt vmcnt(13)
	v_mov_b32_e32 v2, v158
	v_mov_b32_e32 v3, v159
	s_waitcnt vmcnt(12)
	v_mov_b32_e32 v194, v110
	v_mov_b32_e32 v195, v111
	ds_write2_b64 v225, v[2:3], v[194:195] offset0:34 offset1:35
	s_waitcnt vmcnt(11)
	v_mov_b32_e32 v2, v156
	v_mov_b32_e32 v3, v157
	s_waitcnt vmcnt(10)
	v_mov_b32_e32 v194, v108
	v_mov_b32_e32 v195, v109
	ds_write2_b64 v225, v[2:3], v[194:195] offset0:36 offset1:37
	s_waitcnt vmcnt(9)
	v_mov_b32_e32 v2, v154
	v_mov_b32_e32 v3, v155
	s_waitcnt vmcnt(8)
	v_mov_b32_e32 v194, v106
	v_mov_b32_e32 v195, v107
	ds_write2_b64 v225, v[2:3], v[194:195] offset0:38 offset1:39
	s_waitcnt vmcnt(7)
	v_mov_b32_e32 v2, v152
	v_mov_b32_e32 v3, v153
	s_waitcnt vmcnt(6)
	v_mov_b32_e32 v194, v104
	v_mov_b32_e32 v195, v105
	ds_write2_b64 v225, v[2:3], v[194:195] offset0:40 offset1:41
	s_waitcnt vmcnt(5)
	v_mov_b32_e32 v2, v150
	v_mov_b32_e32 v3, v151
	s_waitcnt vmcnt(4)
	v_mov_b32_e32 v194, v102
	v_mov_b32_e32 v195, v103
	ds_write2_b64 v225, v[2:3], v[194:195] offset0:42 offset1:43
	s_waitcnt vmcnt(3)
	v_mov_b32_e32 v2, v148
	v_mov_b32_e32 v3, v149
	s_waitcnt vmcnt(2)
	v_mov_b32_e32 v194, v100
	v_mov_b32_e32 v195, v101
	ds_write2_b64 v225, v[2:3], v[194:195] offset0:44 offset1:45
	s_waitcnt vmcnt(1)
	v_mov_b32_e32 v2, v146
	v_mov_b32_e32 v3, v147
	s_waitcnt vmcnt(0)
	ds_write2_b64 v225, v[2:3], v[192:193] offset0:46 offset1:47
	ds_read_b64 v[2:3], v224
	s_waitcnt lgkmcnt(0)
	v_cmp_neq_f64_e32 vcc, 0, v[2:3]
	s_and_b64 exec, exec, vcc
	s_cbranch_execz .LBB95_39
; %bb.38:
	v_div_scale_f64 v[194:195], s[6:7], v[2:3], v[2:3], 1.0
	v_rcp_f64_e32 v[196:197], v[194:195]
	v_div_scale_f64 v[198:199], vcc, 1.0, v[2:3], 1.0
	v_fma_f64 v[200:201], -v[194:195], v[196:197], 1.0
	v_fmac_f64_e32 v[196:197], v[196:197], v[200:201]
	v_fma_f64 v[200:201], -v[194:195], v[196:197], 1.0
	v_fmac_f64_e32 v[196:197], v[196:197], v[200:201]
	v_mul_f64 v[200:201], v[198:199], v[196:197]
	v_fma_f64 v[194:195], -v[194:195], v[200:201], v[198:199]
	v_div_fmas_f64 v[194:195], v[194:195], v[196:197], v[200:201]
	v_div_fixup_f64 v[2:3], v[194:195], v[2:3], 1.0
	ds_write_b64 v224, v[2:3]
.LBB95_39:
	s_or_b64 exec, exec, s[2:3]
	s_waitcnt lgkmcnt(0)
	s_barrier
	ds_read_b64 v[34:35], v224
	v_cmp_lt_u32_e32 vcc, 7, v228
	s_and_saveexec_b64 s[2:3], vcc
	s_cbranch_execz .LBB95_41
; %bb.40:
	ds_read2_b64 v[194:197], v225 offset0:8 offset1:9
	ds_read2_b64 v[198:201], v225 offset0:10 offset1:11
	s_waitcnt lgkmcnt(2)
	v_mul_f64 v[138:139], v[34:35], v[138:139]
	ds_read2_b64 v[202:205], v225 offset0:12 offset1:13
	s_waitcnt lgkmcnt(2)
	v_fma_f64 v[184:185], -v[138:139], v[194:195], v[184:185]
	v_fma_f64 v[136:137], -v[138:139], v[196:197], v[136:137]
	ds_read2_b64 v[194:197], v225 offset0:14 offset1:15
	s_waitcnt lgkmcnt(2)
	v_fma_f64 v[182:183], -v[138:139], v[198:199], v[182:183]
	v_fma_f64 v[134:135], -v[138:139], v[200:201], v[134:135]
	;; [unrolled: 4-line block ×4, first 2 shown]
	s_waitcnt vmcnt(61) lgkmcnt(1)
	v_fma_f64 v[176:177], -v[138:139], v[198:199], v[176:177]
	ds_read2_b64 v[194:197], v225 offset0:20 offset1:21
	s_waitcnt vmcnt(58)
	v_fma_f64 v[128:129], -v[138:139], v[200:201], v[128:129]
	ds_read2_b64 v[198:201], v225 offset0:22 offset1:23
	s_waitcnt vmcnt(55) lgkmcnt(2)
	v_fma_f64 v[174:175], -v[138:139], v[202:203], v[174:175]
	s_waitcnt vmcnt(52)
	v_fma_f64 v[126:127], -v[138:139], v[204:205], v[126:127]
	s_waitcnt vmcnt(49) lgkmcnt(1)
	v_fma_f64 v[172:173], -v[138:139], v[194:195], v[172:173]
	ds_read2_b64 v[202:205], v225 offset0:24 offset1:25
	s_waitcnt vmcnt(46)
	v_fma_f64 v[124:125], -v[138:139], v[196:197], v[124:125]
	ds_read2_b64 v[194:197], v225 offset0:26 offset1:27
	s_waitcnt vmcnt(43) lgkmcnt(2)
	v_fma_f64 v[170:171], -v[138:139], v[198:199], v[170:171]
	s_waitcnt vmcnt(40)
	v_fma_f64 v[122:123], -v[138:139], v[200:201], v[122:123]
	ds_read2_b64 v[198:201], v225 offset0:28 offset1:29
	s_waitcnt vmcnt(37) lgkmcnt(2)
	v_fma_f64 v[168:169], -v[138:139], v[202:203], v[168:169]
	;; [unrolled: 5-line block ×3, first 2 shown]
	s_waitcnt vmcnt(28)
	v_fma_f64 v[118:119], -v[138:139], v[196:197], v[118:119]
	s_waitcnt vmcnt(25) lgkmcnt(1)
	v_fma_f64 v[164:165], -v[138:139], v[198:199], v[164:165]
	ds_read2_b64 v[194:197], v225 offset0:32 offset1:33
	s_waitcnt vmcnt(22)
	v_fma_f64 v[116:117], -v[138:139], v[200:201], v[116:117]
	ds_read2_b64 v[198:201], v225 offset0:34 offset1:35
	s_waitcnt vmcnt(19) lgkmcnt(2)
	v_fma_f64 v[162:163], -v[138:139], v[202:203], v[162:163]
	s_waitcnt vmcnt(16)
	v_fma_f64 v[114:115], -v[138:139], v[204:205], v[114:115]
	s_waitcnt vmcnt(15) lgkmcnt(1)
	v_fma_f64 v[160:161], -v[138:139], v[194:195], v[160:161]
	ds_read2_b64 v[202:205], v225 offset0:36 offset1:37
	s_waitcnt vmcnt(14)
	v_fma_f64 v[112:113], -v[138:139], v[196:197], v[112:113]
	ds_read2_b64 v[194:197], v225 offset0:38 offset1:39
	s_waitcnt vmcnt(13) lgkmcnt(2)
	v_fma_f64 v[158:159], -v[138:139], v[198:199], v[158:159]
	s_waitcnt vmcnt(12)
	v_fma_f64 v[110:111], -v[138:139], v[200:201], v[110:111]
	ds_read2_b64 v[198:201], v225 offset0:40 offset1:41
	s_waitcnt vmcnt(11) lgkmcnt(2)
	v_fma_f64 v[156:157], -v[138:139], v[202:203], v[156:157]
	s_waitcnt vmcnt(10)
	v_fma_f64 v[108:109], -v[138:139], v[204:205], v[108:109]
	s_waitcnt vmcnt(9) lgkmcnt(1)
	v_fma_f64 v[154:155], -v[138:139], v[194:195], v[154:155]
	s_waitcnt vmcnt(8)
	v_fma_f64 v[106:107], -v[138:139], v[196:197], v[106:107]
	ds_read2_b64 v[194:197], v225 offset0:42 offset1:43
	s_waitcnt vmcnt(7) lgkmcnt(1)
	v_fma_f64 v[152:153], -v[138:139], v[198:199], v[152:153]
	ds_read2_b64 v[202:205], v225 offset0:44 offset1:45
	s_waitcnt vmcnt(6)
	v_fma_f64 v[104:105], -v[138:139], v[200:201], v[104:105]
	ds_read2_b64 v[198:201], v225 offset0:46 offset1:47
	s_waitcnt vmcnt(5) lgkmcnt(2)
	v_fma_f64 v[150:151], -v[138:139], v[194:195], v[150:151]
	s_waitcnt vmcnt(4)
	v_fma_f64 v[102:103], -v[138:139], v[196:197], v[102:103]
	s_waitcnt vmcnt(3) lgkmcnt(1)
	v_fma_f64 v[148:149], -v[138:139], v[202:203], v[148:149]
	s_waitcnt vmcnt(2)
	v_fma_f64 v[100:101], -v[138:139], v[204:205], v[100:101]
	s_waitcnt vmcnt(1) lgkmcnt(0)
	v_fma_f64 v[146:147], -v[138:139], v[198:199], v[146:147]
	s_waitcnt vmcnt(0)
	v_fma_f64 v[192:193], -v[138:139], v[200:201], v[192:193]
.LBB95_41:
	s_or_b64 exec, exec, s[2:3]
	v_cmp_eq_u32_e32 vcc, 8, v228
	s_waitcnt lgkmcnt(0)
	s_barrier
	s_and_saveexec_b64 s[2:3], vcc
	s_cbranch_execz .LBB95_44
; %bb.42:
	ds_write_b64 v224, v[184:185]
	ds_write2_b64 v225, v[136:137], v[182:183] offset0:9 offset1:10
	ds_write2_b64 v225, v[134:135], v[180:181] offset0:11 offset1:12
	;; [unrolled: 1-line block ×3, first 2 shown]
	s_waitcnt vmcnt(61)
	ds_write2_b64 v225, v[130:131], v[176:177] offset0:15 offset1:16
	s_waitcnt vmcnt(55)
	ds_write2_b64 v225, v[128:129], v[174:175] offset0:17 offset1:18
	;; [unrolled: 2-line block ×16, first 2 shown]
	s_waitcnt vmcnt(0)
	ds_write_b64 v225, v[192:193] offset:376
	ds_read_b64 v[2:3], v224
	s_waitcnt lgkmcnt(0)
	v_cmp_neq_f64_e32 vcc, 0, v[2:3]
	s_and_b64 exec, exec, vcc
	s_cbranch_execz .LBB95_44
; %bb.43:
	v_div_scale_f64 v[194:195], s[6:7], v[2:3], v[2:3], 1.0
	v_rcp_f64_e32 v[196:197], v[194:195]
	v_div_scale_f64 v[198:199], vcc, 1.0, v[2:3], 1.0
	v_fma_f64 v[200:201], -v[194:195], v[196:197], 1.0
	v_fmac_f64_e32 v[196:197], v[196:197], v[200:201]
	v_fma_f64 v[200:201], -v[194:195], v[196:197], 1.0
	v_fmac_f64_e32 v[196:197], v[196:197], v[200:201]
	v_mul_f64 v[200:201], v[198:199], v[196:197]
	v_fma_f64 v[194:195], -v[194:195], v[200:201], v[198:199]
	v_div_fmas_f64 v[194:195], v[194:195], v[196:197], v[200:201]
	v_div_fixup_f64 v[2:3], v[194:195], v[2:3], 1.0
	ds_write_b64 v224, v[2:3]
.LBB95_44:
	s_or_b64 exec, exec, s[2:3]
	s_waitcnt lgkmcnt(0)
	s_barrier
	ds_read_b64 v[36:37], v224
	v_cmp_lt_u32_e32 vcc, 8, v228
	s_and_saveexec_b64 s[2:3], vcc
	s_cbranch_execz .LBB95_46
; %bb.45:
	ds_read2_b64 v[194:197], v225 offset0:9 offset1:10
	ds_read2_b64 v[198:201], v225 offset0:11 offset1:12
	s_waitcnt lgkmcnt(2)
	v_mul_f64 v[184:185], v[36:37], v[184:185]
	ds_read2_b64 v[202:205], v225 offset0:13 offset1:14
	ds_read_b64 v[2:3], v225 offset:376
	s_waitcnt lgkmcnt(3)
	v_fma_f64 v[136:137], -v[184:185], v[194:195], v[136:137]
	v_fma_f64 v[182:183], -v[184:185], v[196:197], v[182:183]
	ds_read2_b64 v[194:197], v225 offset0:15 offset1:16
	s_waitcnt lgkmcnt(3)
	v_fma_f64 v[134:135], -v[184:185], v[198:199], v[134:135]
	v_fma_f64 v[180:181], -v[184:185], v[200:201], v[180:181]
	s_waitcnt lgkmcnt(2)
	v_fma_f64 v[132:133], -v[184:185], v[202:203], v[132:133]
	ds_read2_b64 v[198:201], v225 offset0:17 offset1:18
	v_fma_f64 v[178:179], -v[184:185], v[204:205], v[178:179]
	ds_read2_b64 v[202:205], v225 offset0:19 offset1:20
	s_waitcnt lgkmcnt(2)
	v_fma_f64 v[130:131], -v[184:185], v[194:195], v[130:131]
	s_waitcnt vmcnt(61)
	v_fma_f64 v[176:177], -v[184:185], v[196:197], v[176:177]
	ds_read2_b64 v[194:197], v225 offset0:21 offset1:22
	s_waitcnt vmcnt(58) lgkmcnt(2)
	v_fma_f64 v[128:129], -v[184:185], v[198:199], v[128:129]
	s_waitcnt vmcnt(55)
	v_fma_f64 v[174:175], -v[184:185], v[200:201], v[174:175]
	ds_read2_b64 v[198:201], v225 offset0:23 offset1:24
	s_waitcnt vmcnt(52) lgkmcnt(2)
	v_fma_f64 v[126:127], -v[184:185], v[202:203], v[126:127]
	s_waitcnt vmcnt(49)
	v_fma_f64 v[172:173], -v[184:185], v[204:205], v[172:173]
	s_waitcnt vmcnt(46) lgkmcnt(1)
	v_fma_f64 v[124:125], -v[184:185], v[194:195], v[124:125]
	ds_read2_b64 v[202:205], v225 offset0:25 offset1:26
	s_waitcnt vmcnt(43)
	v_fma_f64 v[170:171], -v[184:185], v[196:197], v[170:171]
	ds_read2_b64 v[194:197], v225 offset0:27 offset1:28
	s_waitcnt vmcnt(40) lgkmcnt(2)
	v_fma_f64 v[122:123], -v[184:185], v[198:199], v[122:123]
	s_waitcnt vmcnt(37)
	v_fma_f64 v[168:169], -v[184:185], v[200:201], v[168:169]
	s_waitcnt vmcnt(34) lgkmcnt(1)
	v_fma_f64 v[120:121], -v[184:185], v[202:203], v[120:121]
	ds_read2_b64 v[198:201], v225 offset0:29 offset1:30
	s_waitcnt vmcnt(31)
	v_fma_f64 v[166:167], -v[184:185], v[204:205], v[166:167]
	ds_read2_b64 v[202:205], v225 offset0:31 offset1:32
	s_waitcnt vmcnt(28) lgkmcnt(2)
	v_fma_f64 v[118:119], -v[184:185], v[194:195], v[118:119]
	s_waitcnt vmcnt(25)
	v_fma_f64 v[164:165], -v[184:185], v[196:197], v[164:165]
	ds_read2_b64 v[194:197], v225 offset0:33 offset1:34
	s_waitcnt vmcnt(22) lgkmcnt(2)
	v_fma_f64 v[116:117], -v[184:185], v[198:199], v[116:117]
	;; [unrolled: 5-line block ×3, first 2 shown]
	s_waitcnt vmcnt(15)
	v_fma_f64 v[160:161], -v[184:185], v[204:205], v[160:161]
	s_waitcnt vmcnt(14) lgkmcnt(1)
	v_fma_f64 v[112:113], -v[184:185], v[194:195], v[112:113]
	ds_read2_b64 v[202:205], v225 offset0:37 offset1:38
	s_waitcnt vmcnt(13)
	v_fma_f64 v[158:159], -v[184:185], v[196:197], v[158:159]
	ds_read2_b64 v[194:197], v225 offset0:39 offset1:40
	s_waitcnt vmcnt(12) lgkmcnt(2)
	v_fma_f64 v[110:111], -v[184:185], v[198:199], v[110:111]
	s_waitcnt vmcnt(11)
	v_fma_f64 v[156:157], -v[184:185], v[200:201], v[156:157]
	s_waitcnt vmcnt(10) lgkmcnt(1)
	v_fma_f64 v[108:109], -v[184:185], v[202:203], v[108:109]
	ds_read2_b64 v[198:201], v225 offset0:41 offset1:42
	s_waitcnt vmcnt(9)
	v_fma_f64 v[154:155], -v[184:185], v[204:205], v[154:155]
	s_waitcnt vmcnt(8) lgkmcnt(1)
	v_fma_f64 v[106:107], -v[184:185], v[194:195], v[106:107]
	s_waitcnt vmcnt(7)
	v_fma_f64 v[152:153], -v[184:185], v[196:197], v[152:153]
	ds_read2_b64 v[194:197], v225 offset0:43 offset1:44
	ds_read2_b64 v[202:205], v225 offset0:45 offset1:46
	s_waitcnt vmcnt(6) lgkmcnt(2)
	v_fma_f64 v[104:105], -v[184:185], v[198:199], v[104:105]
	s_waitcnt vmcnt(5)
	v_fma_f64 v[150:151], -v[184:185], v[200:201], v[150:151]
	s_waitcnt vmcnt(0)
	v_fma_f64 v[192:193], -v[184:185], v[2:3], v[192:193]
	s_waitcnt lgkmcnt(1)
	v_fma_f64 v[102:103], -v[184:185], v[194:195], v[102:103]
	v_fma_f64 v[148:149], -v[184:185], v[196:197], v[148:149]
	s_waitcnt lgkmcnt(0)
	v_fma_f64 v[100:101], -v[184:185], v[202:203], v[100:101]
	v_fma_f64 v[146:147], -v[184:185], v[204:205], v[146:147]
.LBB95_46:
	s_or_b64 exec, exec, s[2:3]
	v_cmp_eq_u32_e32 vcc, 9, v228
	s_waitcnt lgkmcnt(0)
	s_barrier
	s_and_saveexec_b64 s[2:3], vcc
	s_cbranch_execz .LBB95_49
; %bb.47:
	v_mov_b32_e32 v2, v182
	v_mov_b32_e32 v3, v183
	;; [unrolled: 1-line block ×4, first 2 shown]
	ds_write_b64 v224, v[136:137]
	ds_write2_b64 v225, v[2:3], v[194:195] offset0:10 offset1:11
	v_mov_b32_e32 v2, v180
	v_mov_b32_e32 v3, v181
	;; [unrolled: 1-line block ×4, first 2 shown]
	ds_write2_b64 v225, v[2:3], v[194:195] offset0:12 offset1:13
	v_mov_b32_e32 v2, v178
	v_mov_b32_e32 v3, v179
	;; [unrolled: 1-line block ×4, first 2 shown]
	ds_write2_b64 v225, v[2:3], v[194:195] offset0:14 offset1:15
	s_waitcnt vmcnt(61)
	v_mov_b32_e32 v2, v176
	v_mov_b32_e32 v3, v177
	s_waitcnt vmcnt(58)
	v_mov_b32_e32 v194, v128
	v_mov_b32_e32 v195, v129
	ds_write2_b64 v225, v[2:3], v[194:195] offset0:16 offset1:17
	s_waitcnt vmcnt(55)
	v_mov_b32_e32 v2, v174
	v_mov_b32_e32 v3, v175
	s_waitcnt vmcnt(52)
	v_mov_b32_e32 v194, v126
	v_mov_b32_e32 v195, v127
	;; [unrolled: 7-line block ×15, first 2 shown]
	ds_write2_b64 v225, v[2:3], v[194:195] offset0:44 offset1:45
	s_waitcnt vmcnt(1)
	v_mov_b32_e32 v2, v146
	v_mov_b32_e32 v3, v147
	s_waitcnt vmcnt(0)
	ds_write2_b64 v225, v[2:3], v[192:193] offset0:46 offset1:47
	ds_read_b64 v[2:3], v224
	s_waitcnt lgkmcnt(0)
	v_cmp_neq_f64_e32 vcc, 0, v[2:3]
	s_and_b64 exec, exec, vcc
	s_cbranch_execz .LBB95_49
; %bb.48:
	v_div_scale_f64 v[194:195], s[6:7], v[2:3], v[2:3], 1.0
	v_rcp_f64_e32 v[196:197], v[194:195]
	v_div_scale_f64 v[198:199], vcc, 1.0, v[2:3], 1.0
	v_fma_f64 v[200:201], -v[194:195], v[196:197], 1.0
	v_fmac_f64_e32 v[196:197], v[196:197], v[200:201]
	v_fma_f64 v[200:201], -v[194:195], v[196:197], 1.0
	v_fmac_f64_e32 v[196:197], v[196:197], v[200:201]
	v_mul_f64 v[200:201], v[198:199], v[196:197]
	v_fma_f64 v[194:195], -v[194:195], v[200:201], v[198:199]
	v_div_fmas_f64 v[194:195], v[194:195], v[196:197], v[200:201]
	v_div_fixup_f64 v[2:3], v[194:195], v[2:3], 1.0
	ds_write_b64 v224, v[2:3]
.LBB95_49:
	s_or_b64 exec, exec, s[2:3]
	s_waitcnt lgkmcnt(0)
	s_barrier
	ds_read_b64 v[38:39], v224
	v_cmp_lt_u32_e32 vcc, 9, v228
	s_and_saveexec_b64 s[2:3], vcc
	s_cbranch_execz .LBB95_51
; %bb.50:
	ds_read2_b64 v[194:197], v225 offset0:10 offset1:11
	ds_read2_b64 v[198:201], v225 offset0:12 offset1:13
	s_waitcnt lgkmcnt(2)
	v_mul_f64 v[136:137], v[38:39], v[136:137]
	ds_read2_b64 v[202:205], v225 offset0:14 offset1:15
	s_waitcnt lgkmcnt(2)
	v_fma_f64 v[182:183], -v[136:137], v[194:195], v[182:183]
	v_fma_f64 v[134:135], -v[136:137], v[196:197], v[134:135]
	ds_read2_b64 v[194:197], v225 offset0:16 offset1:17
	s_waitcnt lgkmcnt(2)
	v_fma_f64 v[180:181], -v[136:137], v[198:199], v[180:181]
	v_fma_f64 v[132:133], -v[136:137], v[200:201], v[132:133]
	s_waitcnt lgkmcnt(1)
	v_fma_f64 v[178:179], -v[136:137], v[202:203], v[178:179]
	ds_read2_b64 v[198:201], v225 offset0:18 offset1:19
	v_fma_f64 v[130:131], -v[136:137], v[204:205], v[130:131]
	ds_read2_b64 v[202:205], v225 offset0:20 offset1:21
	s_waitcnt vmcnt(61) lgkmcnt(2)
	v_fma_f64 v[176:177], -v[136:137], v[194:195], v[176:177]
	s_waitcnt vmcnt(58)
	v_fma_f64 v[128:129], -v[136:137], v[196:197], v[128:129]
	ds_read2_b64 v[194:197], v225 offset0:22 offset1:23
	s_waitcnt vmcnt(55) lgkmcnt(2)
	v_fma_f64 v[174:175], -v[136:137], v[198:199], v[174:175]
	s_waitcnt vmcnt(52)
	;; [unrolled: 5-line block ×3, first 2 shown]
	v_fma_f64 v[124:125], -v[136:137], v[204:205], v[124:125]
	s_waitcnt vmcnt(43) lgkmcnt(1)
	v_fma_f64 v[170:171], -v[136:137], v[194:195], v[170:171]
	ds_read2_b64 v[202:205], v225 offset0:26 offset1:27
	s_waitcnt vmcnt(40)
	v_fma_f64 v[122:123], -v[136:137], v[196:197], v[122:123]
	ds_read2_b64 v[194:197], v225 offset0:28 offset1:29
	s_waitcnt vmcnt(37) lgkmcnt(2)
	v_fma_f64 v[168:169], -v[136:137], v[198:199], v[168:169]
	s_waitcnt vmcnt(34)
	v_fma_f64 v[120:121], -v[136:137], v[200:201], v[120:121]
	s_waitcnt vmcnt(31) lgkmcnt(1)
	v_fma_f64 v[166:167], -v[136:137], v[202:203], v[166:167]
	ds_read2_b64 v[198:201], v225 offset0:30 offset1:31
	s_waitcnt vmcnt(28)
	v_fma_f64 v[118:119], -v[136:137], v[204:205], v[118:119]
	ds_read2_b64 v[202:205], v225 offset0:32 offset1:33
	s_waitcnt vmcnt(25) lgkmcnt(2)
	v_fma_f64 v[164:165], -v[136:137], v[194:195], v[164:165]
	s_waitcnt vmcnt(22)
	v_fma_f64 v[116:117], -v[136:137], v[196:197], v[116:117]
	ds_read2_b64 v[194:197], v225 offset0:34 offset1:35
	s_waitcnt vmcnt(19) lgkmcnt(2)
	v_fma_f64 v[162:163], -v[136:137], v[198:199], v[162:163]
	;; [unrolled: 5-line block ×3, first 2 shown]
	s_waitcnt vmcnt(14)
	v_fma_f64 v[112:113], -v[136:137], v[204:205], v[112:113]
	s_waitcnt vmcnt(13) lgkmcnt(1)
	v_fma_f64 v[158:159], -v[136:137], v[194:195], v[158:159]
	ds_read2_b64 v[202:205], v225 offset0:38 offset1:39
	s_waitcnt vmcnt(12)
	v_fma_f64 v[110:111], -v[136:137], v[196:197], v[110:111]
	ds_read2_b64 v[194:197], v225 offset0:40 offset1:41
	s_waitcnt vmcnt(11) lgkmcnt(2)
	v_fma_f64 v[156:157], -v[136:137], v[198:199], v[156:157]
	s_waitcnt vmcnt(10)
	v_fma_f64 v[108:109], -v[136:137], v[200:201], v[108:109]
	s_waitcnt vmcnt(9) lgkmcnt(1)
	v_fma_f64 v[154:155], -v[136:137], v[202:203], v[154:155]
	s_waitcnt vmcnt(8)
	v_fma_f64 v[106:107], -v[136:137], v[204:205], v[106:107]
	ds_read2_b64 v[198:201], v225 offset0:42 offset1:43
	ds_read2_b64 v[202:205], v225 offset0:44 offset1:45
	s_waitcnt vmcnt(7) lgkmcnt(2)
	v_fma_f64 v[152:153], -v[136:137], v[194:195], v[152:153]
	s_waitcnt vmcnt(6)
	v_fma_f64 v[104:105], -v[136:137], v[196:197], v[104:105]
	ds_read2_b64 v[194:197], v225 offset0:46 offset1:47
	s_waitcnt vmcnt(5) lgkmcnt(2)
	v_fma_f64 v[150:151], -v[136:137], v[198:199], v[150:151]
	s_waitcnt vmcnt(4)
	v_fma_f64 v[102:103], -v[136:137], v[200:201], v[102:103]
	s_waitcnt vmcnt(3) lgkmcnt(1)
	v_fma_f64 v[148:149], -v[136:137], v[202:203], v[148:149]
	s_waitcnt vmcnt(2)
	v_fma_f64 v[100:101], -v[136:137], v[204:205], v[100:101]
	;; [unrolled: 4-line block ×3, first 2 shown]
.LBB95_51:
	s_or_b64 exec, exec, s[2:3]
	v_cmp_eq_u32_e32 vcc, 10, v228
	s_waitcnt lgkmcnt(0)
	s_barrier
	s_and_saveexec_b64 s[2:3], vcc
	s_cbranch_execz .LBB95_54
; %bb.52:
	ds_write_b64 v224, v[182:183]
	ds_write2_b64 v225, v[134:135], v[180:181] offset0:11 offset1:12
	ds_write2_b64 v225, v[132:133], v[178:179] offset0:13 offset1:14
	s_waitcnt vmcnt(61)
	ds_write2_b64 v225, v[130:131], v[176:177] offset0:15 offset1:16
	s_waitcnt vmcnt(55)
	;; [unrolled: 2-line block ×17, first 2 shown]
	ds_write_b64 v225, v[192:193] offset:376
	ds_read_b64 v[2:3], v224
	s_waitcnt lgkmcnt(0)
	v_cmp_neq_f64_e32 vcc, 0, v[2:3]
	s_and_b64 exec, exec, vcc
	s_cbranch_execz .LBB95_54
; %bb.53:
	v_div_scale_f64 v[194:195], s[6:7], v[2:3], v[2:3], 1.0
	v_rcp_f64_e32 v[196:197], v[194:195]
	v_div_scale_f64 v[198:199], vcc, 1.0, v[2:3], 1.0
	v_fma_f64 v[200:201], -v[194:195], v[196:197], 1.0
	v_fmac_f64_e32 v[196:197], v[196:197], v[200:201]
	v_fma_f64 v[200:201], -v[194:195], v[196:197], 1.0
	v_fmac_f64_e32 v[196:197], v[196:197], v[200:201]
	v_mul_f64 v[200:201], v[198:199], v[196:197]
	v_fma_f64 v[194:195], -v[194:195], v[200:201], v[198:199]
	v_div_fmas_f64 v[194:195], v[194:195], v[196:197], v[200:201]
	v_div_fixup_f64 v[2:3], v[194:195], v[2:3], 1.0
	ds_write_b64 v224, v[2:3]
.LBB95_54:
	s_or_b64 exec, exec, s[2:3]
	s_waitcnt lgkmcnt(0)
	s_barrier
	ds_read_b64 v[40:41], v224
	v_cmp_lt_u32_e32 vcc, 10, v228
	s_and_saveexec_b64 s[2:3], vcc
	s_cbranch_execz .LBB95_56
; %bb.55:
	ds_read2_b64 v[194:197], v225 offset0:11 offset1:12
	ds_read2_b64 v[198:201], v225 offset0:13 offset1:14
	;; [unrolled: 1-line block ×3, first 2 shown]
	s_waitcnt lgkmcnt(3)
	v_mul_f64 v[182:183], v[40:41], v[182:183]
	ds_read_b64 v[2:3], v225 offset:376
	s_waitcnt lgkmcnt(3)
	v_fma_f64 v[134:135], -v[182:183], v[194:195], v[134:135]
	v_fma_f64 v[180:181], -v[182:183], v[196:197], v[180:181]
	ds_read2_b64 v[194:197], v225 offset0:17 offset1:18
	s_waitcnt lgkmcnt(3)
	v_fma_f64 v[132:133], -v[182:183], v[198:199], v[132:133]
	v_fma_f64 v[178:179], -v[182:183], v[200:201], v[178:179]
	s_waitcnt lgkmcnt(2)
	v_fma_f64 v[130:131], -v[182:183], v[202:203], v[130:131]
	ds_read2_b64 v[198:201], v225 offset0:19 offset1:20
	s_waitcnt vmcnt(61)
	v_fma_f64 v[176:177], -v[182:183], v[204:205], v[176:177]
	ds_read2_b64 v[202:205], v225 offset0:21 offset1:22
	s_waitcnt vmcnt(58) lgkmcnt(2)
	v_fma_f64 v[128:129], -v[182:183], v[194:195], v[128:129]
	s_waitcnt vmcnt(55)
	v_fma_f64 v[174:175], -v[182:183], v[196:197], v[174:175]
	s_waitcnt vmcnt(52) lgkmcnt(1)
	v_fma_f64 v[126:127], -v[182:183], v[198:199], v[126:127]
	ds_read2_b64 v[194:197], v225 offset0:23 offset1:24
	s_waitcnt vmcnt(49)
	v_fma_f64 v[172:173], -v[182:183], v[200:201], v[172:173]
	ds_read2_b64 v[198:201], v225 offset0:25 offset1:26
	s_waitcnt vmcnt(46) lgkmcnt(2)
	v_fma_f64 v[124:125], -v[182:183], v[202:203], v[124:125]
	s_waitcnt vmcnt(43)
	v_fma_f64 v[170:171], -v[182:183], v[204:205], v[170:171]
	ds_read2_b64 v[202:205], v225 offset0:27 offset1:28
	s_waitcnt vmcnt(40) lgkmcnt(2)
	v_fma_f64 v[122:123], -v[182:183], v[194:195], v[122:123]
	;; [unrolled: 5-line block ×3, first 2 shown]
	s_waitcnt vmcnt(31)
	v_fma_f64 v[166:167], -v[182:183], v[200:201], v[166:167]
	s_waitcnt vmcnt(28) lgkmcnt(1)
	v_fma_f64 v[118:119], -v[182:183], v[202:203], v[118:119]
	ds_read2_b64 v[198:201], v225 offset0:31 offset1:32
	s_waitcnt vmcnt(25)
	v_fma_f64 v[164:165], -v[182:183], v[204:205], v[164:165]
	ds_read2_b64 v[202:205], v225 offset0:33 offset1:34
	s_waitcnt vmcnt(22) lgkmcnt(2)
	v_fma_f64 v[116:117], -v[182:183], v[194:195], v[116:117]
	s_waitcnt vmcnt(19)
	v_fma_f64 v[162:163], -v[182:183], v[196:197], v[162:163]
	s_waitcnt vmcnt(16) lgkmcnt(1)
	v_fma_f64 v[114:115], -v[182:183], v[198:199], v[114:115]
	ds_read2_b64 v[194:197], v225 offset0:35 offset1:36
	s_waitcnt vmcnt(15)
	v_fma_f64 v[160:161], -v[182:183], v[200:201], v[160:161]
	ds_read2_b64 v[198:201], v225 offset0:37 offset1:38
	s_waitcnt vmcnt(14) lgkmcnt(2)
	v_fma_f64 v[112:113], -v[182:183], v[202:203], v[112:113]
	s_waitcnt vmcnt(13)
	v_fma_f64 v[158:159], -v[182:183], v[204:205], v[158:159]
	ds_read2_b64 v[202:205], v225 offset0:39 offset1:40
	s_waitcnt vmcnt(12) lgkmcnt(2)
	v_fma_f64 v[110:111], -v[182:183], v[194:195], v[110:111]
	;; [unrolled: 5-line block ×3, first 2 shown]
	s_waitcnt vmcnt(9)
	v_fma_f64 v[154:155], -v[182:183], v[200:201], v[154:155]
	s_waitcnt vmcnt(8) lgkmcnt(1)
	v_fma_f64 v[106:107], -v[182:183], v[202:203], v[106:107]
	s_waitcnt vmcnt(7)
	v_fma_f64 v[152:153], -v[182:183], v[204:205], v[152:153]
	ds_read2_b64 v[198:201], v225 offset0:43 offset1:44
	ds_read2_b64 v[202:205], v225 offset0:45 offset1:46
	s_waitcnt vmcnt(6) lgkmcnt(2)
	v_fma_f64 v[104:105], -v[182:183], v[194:195], v[104:105]
	s_waitcnt vmcnt(5)
	v_fma_f64 v[150:151], -v[182:183], v[196:197], v[150:151]
	s_waitcnt vmcnt(0)
	v_fma_f64 v[192:193], -v[182:183], v[2:3], v[192:193]
	s_waitcnt lgkmcnt(1)
	v_fma_f64 v[102:103], -v[182:183], v[198:199], v[102:103]
	v_fma_f64 v[148:149], -v[182:183], v[200:201], v[148:149]
	s_waitcnt lgkmcnt(0)
	v_fma_f64 v[100:101], -v[182:183], v[202:203], v[100:101]
	v_fma_f64 v[146:147], -v[182:183], v[204:205], v[146:147]
.LBB95_56:
	s_or_b64 exec, exec, s[2:3]
	v_cmp_eq_u32_e32 vcc, 11, v228
	s_waitcnt lgkmcnt(0)
	s_barrier
	s_and_saveexec_b64 s[2:3], vcc
	s_cbranch_execz .LBB95_59
; %bb.57:
	v_mov_b32_e32 v2, v180
	v_mov_b32_e32 v3, v181
	;; [unrolled: 1-line block ×4, first 2 shown]
	ds_write_b64 v224, v[134:135]
	ds_write2_b64 v225, v[2:3], v[194:195] offset0:12 offset1:13
	v_mov_b32_e32 v2, v178
	v_mov_b32_e32 v3, v179
	v_mov_b32_e32 v194, v130
	v_mov_b32_e32 v195, v131
	ds_write2_b64 v225, v[2:3], v[194:195] offset0:14 offset1:15
	s_waitcnt vmcnt(61)
	v_mov_b32_e32 v2, v176
	v_mov_b32_e32 v3, v177
	s_waitcnt vmcnt(58)
	v_mov_b32_e32 v194, v128
	v_mov_b32_e32 v195, v129
	ds_write2_b64 v225, v[2:3], v[194:195] offset0:16 offset1:17
	s_waitcnt vmcnt(55)
	v_mov_b32_e32 v2, v174
	v_mov_b32_e32 v3, v175
	s_waitcnt vmcnt(52)
	v_mov_b32_e32 v194, v126
	v_mov_b32_e32 v195, v127
	;; [unrolled: 7-line block ×15, first 2 shown]
	ds_write2_b64 v225, v[2:3], v[194:195] offset0:44 offset1:45
	s_waitcnt vmcnt(1)
	v_mov_b32_e32 v2, v146
	v_mov_b32_e32 v3, v147
	s_waitcnt vmcnt(0)
	ds_write2_b64 v225, v[2:3], v[192:193] offset0:46 offset1:47
	ds_read_b64 v[2:3], v224
	s_waitcnt lgkmcnt(0)
	v_cmp_neq_f64_e32 vcc, 0, v[2:3]
	s_and_b64 exec, exec, vcc
	s_cbranch_execz .LBB95_59
; %bb.58:
	v_div_scale_f64 v[194:195], s[6:7], v[2:3], v[2:3], 1.0
	v_rcp_f64_e32 v[196:197], v[194:195]
	v_div_scale_f64 v[198:199], vcc, 1.0, v[2:3], 1.0
	v_fma_f64 v[200:201], -v[194:195], v[196:197], 1.0
	v_fmac_f64_e32 v[196:197], v[196:197], v[200:201]
	v_fma_f64 v[200:201], -v[194:195], v[196:197], 1.0
	v_fmac_f64_e32 v[196:197], v[196:197], v[200:201]
	v_mul_f64 v[200:201], v[198:199], v[196:197]
	v_fma_f64 v[194:195], -v[194:195], v[200:201], v[198:199]
	v_div_fmas_f64 v[194:195], v[194:195], v[196:197], v[200:201]
	v_div_fixup_f64 v[2:3], v[194:195], v[2:3], 1.0
	ds_write_b64 v224, v[2:3]
.LBB95_59:
	s_or_b64 exec, exec, s[2:3]
	s_waitcnt lgkmcnt(0)
	s_barrier
	ds_read_b64 v[42:43], v224
	v_cmp_lt_u32_e32 vcc, 11, v228
	s_and_saveexec_b64 s[2:3], vcc
	s_cbranch_execz .LBB95_61
; %bb.60:
	ds_read2_b64 v[194:197], v225 offset0:12 offset1:13
	ds_read2_b64 v[198:201], v225 offset0:14 offset1:15
	;; [unrolled: 1-line block ×3, first 2 shown]
	s_waitcnt lgkmcnt(3)
	v_mul_f64 v[134:135], v[42:43], v[134:135]
	s_waitcnt lgkmcnt(2)
	v_fma_f64 v[180:181], -v[134:135], v[194:195], v[180:181]
	v_fma_f64 v[132:133], -v[134:135], v[196:197], v[132:133]
	ds_read2_b64 v[194:197], v225 offset0:18 offset1:19
	s_waitcnt lgkmcnt(2)
	v_fma_f64 v[178:179], -v[134:135], v[198:199], v[178:179]
	v_fma_f64 v[130:131], -v[134:135], v[200:201], v[130:131]
	s_waitcnt vmcnt(61) lgkmcnt(1)
	v_fma_f64 v[176:177], -v[134:135], v[202:203], v[176:177]
	ds_read2_b64 v[198:201], v225 offset0:20 offset1:21
	s_waitcnt vmcnt(58)
	v_fma_f64 v[128:129], -v[134:135], v[204:205], v[128:129]
	ds_read2_b64 v[202:205], v225 offset0:22 offset1:23
	s_waitcnt vmcnt(55) lgkmcnt(2)
	v_fma_f64 v[174:175], -v[134:135], v[194:195], v[174:175]
	s_waitcnt vmcnt(52)
	v_fma_f64 v[126:127], -v[134:135], v[196:197], v[126:127]
	s_waitcnt vmcnt(49) lgkmcnt(1)
	v_fma_f64 v[172:173], -v[134:135], v[198:199], v[172:173]
	ds_read2_b64 v[194:197], v225 offset0:24 offset1:25
	s_waitcnt vmcnt(46)
	v_fma_f64 v[124:125], -v[134:135], v[200:201], v[124:125]
	ds_read2_b64 v[198:201], v225 offset0:26 offset1:27
	s_waitcnt vmcnt(43) lgkmcnt(2)
	v_fma_f64 v[170:171], -v[134:135], v[202:203], v[170:171]
	s_waitcnt vmcnt(40)
	v_fma_f64 v[122:123], -v[134:135], v[204:205], v[122:123]
	ds_read2_b64 v[202:205], v225 offset0:28 offset1:29
	s_waitcnt vmcnt(37) lgkmcnt(2)
	v_fma_f64 v[168:169], -v[134:135], v[194:195], v[168:169]
	;; [unrolled: 5-line block ×3, first 2 shown]
	s_waitcnt vmcnt(28)
	v_fma_f64 v[118:119], -v[134:135], v[200:201], v[118:119]
	s_waitcnt vmcnt(25) lgkmcnt(1)
	v_fma_f64 v[164:165], -v[134:135], v[202:203], v[164:165]
	ds_read2_b64 v[198:201], v225 offset0:32 offset1:33
	s_waitcnt vmcnt(22)
	v_fma_f64 v[116:117], -v[134:135], v[204:205], v[116:117]
	ds_read2_b64 v[202:205], v225 offset0:34 offset1:35
	s_waitcnt vmcnt(19) lgkmcnt(2)
	v_fma_f64 v[162:163], -v[134:135], v[194:195], v[162:163]
	s_waitcnt vmcnt(16)
	v_fma_f64 v[114:115], -v[134:135], v[196:197], v[114:115]
	s_waitcnt vmcnt(15) lgkmcnt(1)
	v_fma_f64 v[160:161], -v[134:135], v[198:199], v[160:161]
	ds_read2_b64 v[194:197], v225 offset0:36 offset1:37
	s_waitcnt vmcnt(14)
	v_fma_f64 v[112:113], -v[134:135], v[200:201], v[112:113]
	ds_read2_b64 v[198:201], v225 offset0:38 offset1:39
	s_waitcnt vmcnt(13) lgkmcnt(2)
	v_fma_f64 v[158:159], -v[134:135], v[202:203], v[158:159]
	s_waitcnt vmcnt(12)
	v_fma_f64 v[110:111], -v[134:135], v[204:205], v[110:111]
	ds_read2_b64 v[202:205], v225 offset0:40 offset1:41
	s_waitcnt vmcnt(11) lgkmcnt(2)
	v_fma_f64 v[156:157], -v[134:135], v[194:195], v[156:157]
	;; [unrolled: 5-line block ×3, first 2 shown]
	s_waitcnt vmcnt(8)
	v_fma_f64 v[106:107], -v[134:135], v[200:201], v[106:107]
	s_waitcnt vmcnt(7) lgkmcnt(1)
	v_fma_f64 v[152:153], -v[134:135], v[202:203], v[152:153]
	ds_read2_b64 v[198:201], v225 offset0:44 offset1:45
	s_waitcnt vmcnt(6)
	v_fma_f64 v[104:105], -v[134:135], v[204:205], v[104:105]
	ds_read2_b64 v[202:205], v225 offset0:46 offset1:47
	s_waitcnt vmcnt(5) lgkmcnt(2)
	v_fma_f64 v[150:151], -v[134:135], v[194:195], v[150:151]
	s_waitcnt vmcnt(4)
	v_fma_f64 v[102:103], -v[134:135], v[196:197], v[102:103]
	s_waitcnt vmcnt(3) lgkmcnt(1)
	v_fma_f64 v[148:149], -v[134:135], v[198:199], v[148:149]
	s_waitcnt vmcnt(2)
	v_fma_f64 v[100:101], -v[134:135], v[200:201], v[100:101]
	;; [unrolled: 4-line block ×3, first 2 shown]
.LBB95_61:
	s_or_b64 exec, exec, s[2:3]
	v_cmp_eq_u32_e32 vcc, 12, v228
	s_waitcnt lgkmcnt(0)
	s_barrier
	s_and_saveexec_b64 s[2:3], vcc
	s_cbranch_execz .LBB95_64
; %bb.62:
	ds_write_b64 v224, v[180:181]
	ds_write2_b64 v225, v[132:133], v[178:179] offset0:13 offset1:14
	s_waitcnt vmcnt(61)
	ds_write2_b64 v225, v[130:131], v[176:177] offset0:15 offset1:16
	s_waitcnt vmcnt(55)
	;; [unrolled: 2-line block ×17, first 2 shown]
	ds_write_b64 v225, v[192:193] offset:376
	ds_read_b64 v[2:3], v224
	s_waitcnt lgkmcnt(0)
	v_cmp_neq_f64_e32 vcc, 0, v[2:3]
	s_and_b64 exec, exec, vcc
	s_cbranch_execz .LBB95_64
; %bb.63:
	v_div_scale_f64 v[194:195], s[6:7], v[2:3], v[2:3], 1.0
	v_rcp_f64_e32 v[196:197], v[194:195]
	v_div_scale_f64 v[198:199], vcc, 1.0, v[2:3], 1.0
	v_fma_f64 v[200:201], -v[194:195], v[196:197], 1.0
	v_fmac_f64_e32 v[196:197], v[196:197], v[200:201]
	v_fma_f64 v[200:201], -v[194:195], v[196:197], 1.0
	v_fmac_f64_e32 v[196:197], v[196:197], v[200:201]
	v_mul_f64 v[200:201], v[198:199], v[196:197]
	v_fma_f64 v[194:195], -v[194:195], v[200:201], v[198:199]
	v_div_fmas_f64 v[194:195], v[194:195], v[196:197], v[200:201]
	v_div_fixup_f64 v[2:3], v[194:195], v[2:3], 1.0
	ds_write_b64 v224, v[2:3]
.LBB95_64:
	s_or_b64 exec, exec, s[2:3]
	s_waitcnt lgkmcnt(0)
	s_barrier
	ds_read_b64 v[44:45], v224
	v_cmp_lt_u32_e32 vcc, 12, v228
	s_and_saveexec_b64 s[2:3], vcc
	s_cbranch_execz .LBB95_66
; %bb.65:
	ds_read2_b64 v[194:197], v225 offset0:13 offset1:14
	ds_read2_b64 v[198:201], v225 offset0:15 offset1:16
	s_waitcnt lgkmcnt(2)
	v_mul_f64 v[180:181], v[44:45], v[180:181]
	ds_read2_b64 v[202:205], v225 offset0:17 offset1:18
	ds_read_b64 v[2:3], v225 offset:376
	s_waitcnt lgkmcnt(3)
	v_fma_f64 v[132:133], -v[180:181], v[194:195], v[132:133]
	v_fma_f64 v[178:179], -v[180:181], v[196:197], v[178:179]
	ds_read2_b64 v[194:197], v225 offset0:19 offset1:20
	s_waitcnt lgkmcnt(3)
	v_fma_f64 v[130:131], -v[180:181], v[198:199], v[130:131]
	s_waitcnt vmcnt(61)
	v_fma_f64 v[176:177], -v[180:181], v[200:201], v[176:177]
	ds_read2_b64 v[198:201], v225 offset0:21 offset1:22
	s_waitcnt vmcnt(58) lgkmcnt(3)
	v_fma_f64 v[128:129], -v[180:181], v[202:203], v[128:129]
	s_waitcnt vmcnt(55)
	v_fma_f64 v[174:175], -v[180:181], v[204:205], v[174:175]
	ds_read2_b64 v[202:205], v225 offset0:23 offset1:24
	s_waitcnt vmcnt(52) lgkmcnt(2)
	v_fma_f64 v[126:127], -v[180:181], v[194:195], v[126:127]
	s_waitcnt vmcnt(49)
	v_fma_f64 v[172:173], -v[180:181], v[196:197], v[172:173]
	s_waitcnt vmcnt(46) lgkmcnt(1)
	v_fma_f64 v[124:125], -v[180:181], v[198:199], v[124:125]
	ds_read2_b64 v[194:197], v225 offset0:25 offset1:26
	s_waitcnt vmcnt(43)
	v_fma_f64 v[170:171], -v[180:181], v[200:201], v[170:171]
	ds_read2_b64 v[198:201], v225 offset0:27 offset1:28
	s_waitcnt vmcnt(40) lgkmcnt(2)
	v_fma_f64 v[122:123], -v[180:181], v[202:203], v[122:123]
	s_waitcnt vmcnt(37)
	v_fma_f64 v[168:169], -v[180:181], v[204:205], v[168:169]
	s_waitcnt vmcnt(34) lgkmcnt(1)
	v_fma_f64 v[120:121], -v[180:181], v[194:195], v[120:121]
	ds_read2_b64 v[202:205], v225 offset0:29 offset1:30
	s_waitcnt vmcnt(31)
	v_fma_f64 v[166:167], -v[180:181], v[196:197], v[166:167]
	ds_read2_b64 v[194:197], v225 offset0:31 offset1:32
	s_waitcnt vmcnt(28) lgkmcnt(2)
	v_fma_f64 v[118:119], -v[180:181], v[198:199], v[118:119]
	s_waitcnt vmcnt(25)
	v_fma_f64 v[164:165], -v[180:181], v[200:201], v[164:165]
	ds_read2_b64 v[198:201], v225 offset0:33 offset1:34
	s_waitcnt vmcnt(22) lgkmcnt(2)
	v_fma_f64 v[116:117], -v[180:181], v[202:203], v[116:117]
	s_waitcnt vmcnt(19)
	v_fma_f64 v[162:163], -v[180:181], v[204:205], v[162:163]
	ds_read2_b64 v[202:205], v225 offset0:35 offset1:36
	s_waitcnt vmcnt(16) lgkmcnt(2)
	v_fma_f64 v[114:115], -v[180:181], v[194:195], v[114:115]
	s_waitcnt vmcnt(15)
	v_fma_f64 v[160:161], -v[180:181], v[196:197], v[160:161]
	s_waitcnt vmcnt(14) lgkmcnt(1)
	v_fma_f64 v[112:113], -v[180:181], v[198:199], v[112:113]
	ds_read2_b64 v[194:197], v225 offset0:37 offset1:38
	s_waitcnt vmcnt(13)
	v_fma_f64 v[158:159], -v[180:181], v[200:201], v[158:159]
	ds_read2_b64 v[198:201], v225 offset0:39 offset1:40
	s_waitcnt vmcnt(12) lgkmcnt(2)
	v_fma_f64 v[110:111], -v[180:181], v[202:203], v[110:111]
	s_waitcnt vmcnt(11)
	v_fma_f64 v[156:157], -v[180:181], v[204:205], v[156:157]
	s_waitcnt vmcnt(10) lgkmcnt(1)
	v_fma_f64 v[108:109], -v[180:181], v[194:195], v[108:109]
	ds_read2_b64 v[202:205], v225 offset0:41 offset1:42
	s_waitcnt vmcnt(9)
	v_fma_f64 v[154:155], -v[180:181], v[196:197], v[154:155]
	ds_read2_b64 v[194:197], v225 offset0:43 offset1:44
	s_waitcnt vmcnt(8) lgkmcnt(2)
	v_fma_f64 v[106:107], -v[180:181], v[198:199], v[106:107]
	s_waitcnt vmcnt(7)
	v_fma_f64 v[152:153], -v[180:181], v[200:201], v[152:153]
	ds_read2_b64 v[198:201], v225 offset0:45 offset1:46
	s_waitcnt vmcnt(6) lgkmcnt(2)
	v_fma_f64 v[104:105], -v[180:181], v[202:203], v[104:105]
	s_waitcnt vmcnt(5)
	v_fma_f64 v[150:151], -v[180:181], v[204:205], v[150:151]
	s_waitcnt vmcnt(4) lgkmcnt(1)
	v_fma_f64 v[102:103], -v[180:181], v[194:195], v[102:103]
	s_waitcnt vmcnt(3)
	v_fma_f64 v[148:149], -v[180:181], v[196:197], v[148:149]
	;; [unrolled: 4-line block ×3, first 2 shown]
	s_waitcnt vmcnt(0)
	v_fma_f64 v[192:193], -v[180:181], v[2:3], v[192:193]
.LBB95_66:
	s_or_b64 exec, exec, s[2:3]
	v_cmp_eq_u32_e32 vcc, 13, v228
	s_waitcnt lgkmcnt(0)
	s_barrier
	s_and_saveexec_b64 s[2:3], vcc
	s_cbranch_execz .LBB95_69
; %bb.67:
	v_mov_b32_e32 v2, v178
	v_mov_b32_e32 v3, v179
	;; [unrolled: 1-line block ×4, first 2 shown]
	ds_write_b64 v224, v[132:133]
	ds_write2_b64 v225, v[2:3], v[194:195] offset0:14 offset1:15
	s_waitcnt vmcnt(61)
	v_mov_b32_e32 v2, v176
	v_mov_b32_e32 v3, v177
	s_waitcnt vmcnt(58)
	v_mov_b32_e32 v194, v128
	v_mov_b32_e32 v195, v129
	ds_write2_b64 v225, v[2:3], v[194:195] offset0:16 offset1:17
	s_waitcnt vmcnt(55)
	v_mov_b32_e32 v2, v174
	v_mov_b32_e32 v3, v175
	s_waitcnt vmcnt(52)
	v_mov_b32_e32 v194, v126
	v_mov_b32_e32 v195, v127
	;; [unrolled: 7-line block ×15, first 2 shown]
	ds_write2_b64 v225, v[2:3], v[194:195] offset0:44 offset1:45
	s_waitcnt vmcnt(1)
	v_mov_b32_e32 v2, v146
	v_mov_b32_e32 v3, v147
	s_waitcnt vmcnt(0)
	ds_write2_b64 v225, v[2:3], v[192:193] offset0:46 offset1:47
	ds_read_b64 v[2:3], v224
	s_waitcnt lgkmcnt(0)
	v_cmp_neq_f64_e32 vcc, 0, v[2:3]
	s_and_b64 exec, exec, vcc
	s_cbranch_execz .LBB95_69
; %bb.68:
	v_div_scale_f64 v[194:195], s[6:7], v[2:3], v[2:3], 1.0
	v_rcp_f64_e32 v[196:197], v[194:195]
	v_div_scale_f64 v[198:199], vcc, 1.0, v[2:3], 1.0
	v_fma_f64 v[200:201], -v[194:195], v[196:197], 1.0
	v_fmac_f64_e32 v[196:197], v[196:197], v[200:201]
	v_fma_f64 v[200:201], -v[194:195], v[196:197], 1.0
	v_fmac_f64_e32 v[196:197], v[196:197], v[200:201]
	v_mul_f64 v[200:201], v[198:199], v[196:197]
	v_fma_f64 v[194:195], -v[194:195], v[200:201], v[198:199]
	v_div_fmas_f64 v[194:195], v[194:195], v[196:197], v[200:201]
	v_div_fixup_f64 v[2:3], v[194:195], v[2:3], 1.0
	ds_write_b64 v224, v[2:3]
.LBB95_69:
	s_or_b64 exec, exec, s[2:3]
	s_waitcnt lgkmcnt(0)
	s_barrier
	ds_read_b64 v[46:47], v224
	v_cmp_lt_u32_e32 vcc, 13, v228
	s_and_saveexec_b64 s[2:3], vcc
	s_cbranch_execz .LBB95_71
; %bb.70:
	ds_read2_b64 v[194:197], v225 offset0:14 offset1:15
	ds_read2_b64 v[198:201], v225 offset0:16 offset1:17
	s_waitcnt lgkmcnt(2)
	v_mul_f64 v[132:133], v[46:47], v[132:133]
	ds_read2_b64 v[202:205], v225 offset0:18 offset1:19
	s_waitcnt lgkmcnt(2)
	v_fma_f64 v[178:179], -v[132:133], v[194:195], v[178:179]
	v_fma_f64 v[130:131], -v[132:133], v[196:197], v[130:131]
	ds_read2_b64 v[194:197], v225 offset0:20 offset1:21
	s_waitcnt vmcnt(61) lgkmcnt(2)
	v_fma_f64 v[176:177], -v[132:133], v[198:199], v[176:177]
	s_waitcnt vmcnt(58)
	v_fma_f64 v[128:129], -v[132:133], v[200:201], v[128:129]
	ds_read2_b64 v[198:201], v225 offset0:22 offset1:23
	s_waitcnt vmcnt(55) lgkmcnt(2)
	v_fma_f64 v[174:175], -v[132:133], v[202:203], v[174:175]
	s_waitcnt vmcnt(52)
	;; [unrolled: 5-line block ×3, first 2 shown]
	v_fma_f64 v[124:125], -v[132:133], v[196:197], v[124:125]
	s_waitcnt vmcnt(43) lgkmcnt(1)
	v_fma_f64 v[170:171], -v[132:133], v[198:199], v[170:171]
	ds_read2_b64 v[194:197], v225 offset0:26 offset1:27
	s_waitcnt vmcnt(40)
	v_fma_f64 v[122:123], -v[132:133], v[200:201], v[122:123]
	ds_read2_b64 v[198:201], v225 offset0:28 offset1:29
	s_waitcnt vmcnt(37) lgkmcnt(2)
	v_fma_f64 v[168:169], -v[132:133], v[202:203], v[168:169]
	s_waitcnt vmcnt(34)
	v_fma_f64 v[120:121], -v[132:133], v[204:205], v[120:121]
	s_waitcnt vmcnt(31) lgkmcnt(1)
	v_fma_f64 v[166:167], -v[132:133], v[194:195], v[166:167]
	ds_read2_b64 v[202:205], v225 offset0:30 offset1:31
	s_waitcnt vmcnt(28)
	v_fma_f64 v[118:119], -v[132:133], v[196:197], v[118:119]
	ds_read2_b64 v[194:197], v225 offset0:32 offset1:33
	s_waitcnt vmcnt(25) lgkmcnt(2)
	v_fma_f64 v[164:165], -v[132:133], v[198:199], v[164:165]
	s_waitcnt vmcnt(22)
	v_fma_f64 v[116:117], -v[132:133], v[200:201], v[116:117]
	ds_read2_b64 v[198:201], v225 offset0:34 offset1:35
	s_waitcnt vmcnt(19) lgkmcnt(2)
	v_fma_f64 v[162:163], -v[132:133], v[202:203], v[162:163]
	;; [unrolled: 5-line block ×3, first 2 shown]
	s_waitcnt vmcnt(14)
	v_fma_f64 v[112:113], -v[132:133], v[196:197], v[112:113]
	s_waitcnt vmcnt(13) lgkmcnt(1)
	v_fma_f64 v[158:159], -v[132:133], v[198:199], v[158:159]
	ds_read2_b64 v[194:197], v225 offset0:38 offset1:39
	s_waitcnt vmcnt(12)
	v_fma_f64 v[110:111], -v[132:133], v[200:201], v[110:111]
	ds_read2_b64 v[198:201], v225 offset0:40 offset1:41
	s_waitcnt vmcnt(11) lgkmcnt(2)
	v_fma_f64 v[156:157], -v[132:133], v[202:203], v[156:157]
	s_waitcnt vmcnt(10)
	v_fma_f64 v[108:109], -v[132:133], v[204:205], v[108:109]
	s_waitcnt vmcnt(9) lgkmcnt(1)
	v_fma_f64 v[154:155], -v[132:133], v[194:195], v[154:155]
	s_waitcnt vmcnt(8)
	v_fma_f64 v[106:107], -v[132:133], v[196:197], v[106:107]
	ds_read2_b64 v[194:197], v225 offset0:42 offset1:43
	ds_read2_b64 v[202:205], v225 offset0:44 offset1:45
	s_waitcnt vmcnt(7) lgkmcnt(2)
	v_fma_f64 v[152:153], -v[132:133], v[198:199], v[152:153]
	s_waitcnt vmcnt(6)
	v_fma_f64 v[104:105], -v[132:133], v[200:201], v[104:105]
	ds_read2_b64 v[198:201], v225 offset0:46 offset1:47
	s_waitcnt vmcnt(5) lgkmcnt(2)
	v_fma_f64 v[150:151], -v[132:133], v[194:195], v[150:151]
	s_waitcnt vmcnt(4)
	v_fma_f64 v[102:103], -v[132:133], v[196:197], v[102:103]
	s_waitcnt vmcnt(3) lgkmcnt(1)
	v_fma_f64 v[148:149], -v[132:133], v[202:203], v[148:149]
	s_waitcnt vmcnt(2)
	v_fma_f64 v[100:101], -v[132:133], v[204:205], v[100:101]
	;; [unrolled: 4-line block ×3, first 2 shown]
.LBB95_71:
	s_or_b64 exec, exec, s[2:3]
	v_cmp_eq_u32_e32 vcc, 14, v228
	s_waitcnt lgkmcnt(0)
	s_barrier
	s_and_saveexec_b64 s[2:3], vcc
	s_cbranch_execz .LBB95_74
; %bb.72:
	ds_write_b64 v224, v[178:179]
	s_waitcnt vmcnt(61)
	ds_write2_b64 v225, v[130:131], v[176:177] offset0:15 offset1:16
	s_waitcnt vmcnt(55)
	ds_write2_b64 v225, v[128:129], v[174:175] offset0:17 offset1:18
	s_waitcnt vmcnt(49)
	ds_write2_b64 v225, v[126:127], v[172:173] offset0:19 offset1:20
	s_waitcnt vmcnt(43)
	ds_write2_b64 v225, v[124:125], v[170:171] offset0:21 offset1:22
	s_waitcnt vmcnt(37)
	ds_write2_b64 v225, v[122:123], v[168:169] offset0:23 offset1:24
	s_waitcnt vmcnt(31)
	ds_write2_b64 v225, v[120:121], v[166:167] offset0:25 offset1:26
	s_waitcnt vmcnt(25)
	ds_write2_b64 v225, v[118:119], v[164:165] offset0:27 offset1:28
	s_waitcnt vmcnt(19)
	ds_write2_b64 v225, v[116:117], v[162:163] offset0:29 offset1:30
	s_waitcnt vmcnt(15)
	ds_write2_b64 v225, v[114:115], v[160:161] offset0:31 offset1:32
	s_waitcnt vmcnt(13)
	ds_write2_b64 v225, v[112:113], v[158:159] offset0:33 offset1:34
	s_waitcnt vmcnt(11)
	ds_write2_b64 v225, v[110:111], v[156:157] offset0:35 offset1:36
	s_waitcnt vmcnt(9)
	ds_write2_b64 v225, v[108:109], v[154:155] offset0:37 offset1:38
	s_waitcnt vmcnt(7)
	ds_write2_b64 v225, v[106:107], v[152:153] offset0:39 offset1:40
	s_waitcnt vmcnt(5)
	ds_write2_b64 v225, v[104:105], v[150:151] offset0:41 offset1:42
	s_waitcnt vmcnt(3)
	ds_write2_b64 v225, v[102:103], v[148:149] offset0:43 offset1:44
	s_waitcnt vmcnt(1)
	ds_write2_b64 v225, v[100:101], v[146:147] offset0:45 offset1:46
	s_waitcnt vmcnt(0)
	ds_write_b64 v225, v[192:193] offset:376
	ds_read_b64 v[2:3], v224
	s_waitcnt lgkmcnt(0)
	v_cmp_neq_f64_e32 vcc, 0, v[2:3]
	s_and_b64 exec, exec, vcc
	s_cbranch_execz .LBB95_74
; %bb.73:
	v_div_scale_f64 v[194:195], s[6:7], v[2:3], v[2:3], 1.0
	v_rcp_f64_e32 v[196:197], v[194:195]
	v_div_scale_f64 v[198:199], vcc, 1.0, v[2:3], 1.0
	v_fma_f64 v[200:201], -v[194:195], v[196:197], 1.0
	v_fmac_f64_e32 v[196:197], v[196:197], v[200:201]
	v_fma_f64 v[200:201], -v[194:195], v[196:197], 1.0
	v_fmac_f64_e32 v[196:197], v[196:197], v[200:201]
	v_mul_f64 v[200:201], v[198:199], v[196:197]
	v_fma_f64 v[194:195], -v[194:195], v[200:201], v[198:199]
	v_div_fmas_f64 v[194:195], v[194:195], v[196:197], v[200:201]
	v_div_fixup_f64 v[2:3], v[194:195], v[2:3], 1.0
	ds_write_b64 v224, v[2:3]
.LBB95_74:
	s_or_b64 exec, exec, s[2:3]
	s_waitcnt lgkmcnt(0)
	s_barrier
	ds_read_b64 v[48:49], v224
	v_cmp_lt_u32_e32 vcc, 14, v228
	s_and_saveexec_b64 s[2:3], vcc
	s_cbranch_execz .LBB95_76
; %bb.75:
	ds_read2_b64 v[194:197], v225 offset0:15 offset1:16
	ds_read2_b64 v[198:201], v225 offset0:17 offset1:18
	s_waitcnt lgkmcnt(2)
	v_mul_f64 v[178:179], v[48:49], v[178:179]
	ds_read2_b64 v[202:205], v225 offset0:19 offset1:20
	ds_read_b64 v[2:3], v225 offset:376
	s_waitcnt lgkmcnt(3)
	v_fma_f64 v[130:131], -v[178:179], v[194:195], v[130:131]
	s_waitcnt vmcnt(61)
	v_fma_f64 v[176:177], -v[178:179], v[196:197], v[176:177]
	ds_read2_b64 v[194:197], v225 offset0:21 offset1:22
	s_waitcnt vmcnt(58) lgkmcnt(3)
	v_fma_f64 v[128:129], -v[178:179], v[198:199], v[128:129]
	s_waitcnt vmcnt(55)
	v_fma_f64 v[174:175], -v[178:179], v[200:201], v[174:175]
	s_waitcnt vmcnt(52) lgkmcnt(2)
	v_fma_f64 v[126:127], -v[178:179], v[202:203], v[126:127]
	ds_read2_b64 v[198:201], v225 offset0:23 offset1:24
	s_waitcnt vmcnt(49)
	v_fma_f64 v[172:173], -v[178:179], v[204:205], v[172:173]
	ds_read2_b64 v[202:205], v225 offset0:25 offset1:26
	s_waitcnt vmcnt(46) lgkmcnt(2)
	v_fma_f64 v[124:125], -v[178:179], v[194:195], v[124:125]
	s_waitcnt vmcnt(43)
	v_fma_f64 v[170:171], -v[178:179], v[196:197], v[170:171]
	ds_read2_b64 v[194:197], v225 offset0:27 offset1:28
	s_waitcnt vmcnt(40) lgkmcnt(2)
	v_fma_f64 v[122:123], -v[178:179], v[198:199], v[122:123]
	s_waitcnt vmcnt(37)
	v_fma_f64 v[168:169], -v[178:179], v[200:201], v[168:169]
	ds_read2_b64 v[198:201], v225 offset0:29 offset1:30
	s_waitcnt vmcnt(34) lgkmcnt(2)
	v_fma_f64 v[120:121], -v[178:179], v[202:203], v[120:121]
	s_waitcnt vmcnt(31)
	v_fma_f64 v[166:167], -v[178:179], v[204:205], v[166:167]
	s_waitcnt vmcnt(28) lgkmcnt(1)
	v_fma_f64 v[118:119], -v[178:179], v[194:195], v[118:119]
	ds_read2_b64 v[202:205], v225 offset0:31 offset1:32
	s_waitcnt vmcnt(25)
	v_fma_f64 v[164:165], -v[178:179], v[196:197], v[164:165]
	ds_read2_b64 v[194:197], v225 offset0:33 offset1:34
	s_waitcnt vmcnt(22) lgkmcnt(2)
	v_fma_f64 v[116:117], -v[178:179], v[198:199], v[116:117]
	s_waitcnt vmcnt(19)
	v_fma_f64 v[162:163], -v[178:179], v[200:201], v[162:163]
	s_waitcnt vmcnt(16) lgkmcnt(1)
	v_fma_f64 v[114:115], -v[178:179], v[202:203], v[114:115]
	ds_read2_b64 v[198:201], v225 offset0:35 offset1:36
	s_waitcnt vmcnt(15)
	v_fma_f64 v[160:161], -v[178:179], v[204:205], v[160:161]
	ds_read2_b64 v[202:205], v225 offset0:37 offset1:38
	s_waitcnt vmcnt(14) lgkmcnt(2)
	v_fma_f64 v[112:113], -v[178:179], v[194:195], v[112:113]
	s_waitcnt vmcnt(13)
	v_fma_f64 v[158:159], -v[178:179], v[196:197], v[158:159]
	ds_read2_b64 v[194:197], v225 offset0:39 offset1:40
	s_waitcnt vmcnt(12) lgkmcnt(2)
	v_fma_f64 v[110:111], -v[178:179], v[198:199], v[110:111]
	;; [unrolled: 5-line block ×3, first 2 shown]
	s_waitcnt vmcnt(9)
	v_fma_f64 v[154:155], -v[178:179], v[204:205], v[154:155]
	s_waitcnt vmcnt(8) lgkmcnt(1)
	v_fma_f64 v[106:107], -v[178:179], v[194:195], v[106:107]
	s_waitcnt vmcnt(7)
	v_fma_f64 v[152:153], -v[178:179], v[196:197], v[152:153]
	ds_read2_b64 v[194:197], v225 offset0:43 offset1:44
	ds_read2_b64 v[202:205], v225 offset0:45 offset1:46
	s_waitcnt vmcnt(6) lgkmcnt(2)
	v_fma_f64 v[104:105], -v[178:179], v[198:199], v[104:105]
	s_waitcnt vmcnt(5)
	v_fma_f64 v[150:151], -v[178:179], v[200:201], v[150:151]
	s_waitcnt vmcnt(0)
	v_fma_f64 v[192:193], -v[178:179], v[2:3], v[192:193]
	s_waitcnt lgkmcnt(1)
	v_fma_f64 v[102:103], -v[178:179], v[194:195], v[102:103]
	v_fma_f64 v[148:149], -v[178:179], v[196:197], v[148:149]
	s_waitcnt lgkmcnt(0)
	v_fma_f64 v[100:101], -v[178:179], v[202:203], v[100:101]
	v_fma_f64 v[146:147], -v[178:179], v[204:205], v[146:147]
.LBB95_76:
	s_or_b64 exec, exec, s[2:3]
	v_cmp_eq_u32_e32 vcc, 15, v228
	s_waitcnt lgkmcnt(0)
	s_barrier
	s_and_saveexec_b64 s[2:3], vcc
	s_cbranch_execz .LBB95_79
; %bb.77:
	s_waitcnt vmcnt(61)
	v_mov_b32_e32 v2, v176
	v_mov_b32_e32 v3, v177
	s_waitcnt vmcnt(58)
	v_mov_b32_e32 v194, v128
	v_mov_b32_e32 v195, v129
	ds_write_b64 v224, v[130:131]
	ds_write2_b64 v225, v[2:3], v[194:195] offset0:16 offset1:17
	s_waitcnt vmcnt(55)
	v_mov_b32_e32 v2, v174
	v_mov_b32_e32 v3, v175
	s_waitcnt vmcnt(52)
	v_mov_b32_e32 v194, v126
	v_mov_b32_e32 v195, v127
	ds_write2_b64 v225, v[2:3], v[194:195] offset0:18 offset1:19
	s_waitcnt vmcnt(49)
	v_mov_b32_e32 v2, v172
	v_mov_b32_e32 v3, v173
	s_waitcnt vmcnt(46)
	v_mov_b32_e32 v194, v124
	v_mov_b32_e32 v195, v125
	;; [unrolled: 7-line block ×14, first 2 shown]
	ds_write2_b64 v225, v[2:3], v[194:195] offset0:44 offset1:45
	s_waitcnt vmcnt(1)
	v_mov_b32_e32 v2, v146
	v_mov_b32_e32 v3, v147
	s_waitcnt vmcnt(0)
	ds_write2_b64 v225, v[2:3], v[192:193] offset0:46 offset1:47
	ds_read_b64 v[2:3], v224
	s_waitcnt lgkmcnt(0)
	v_cmp_neq_f64_e32 vcc, 0, v[2:3]
	s_and_b64 exec, exec, vcc
	s_cbranch_execz .LBB95_79
; %bb.78:
	v_div_scale_f64 v[194:195], s[6:7], v[2:3], v[2:3], 1.0
	v_rcp_f64_e32 v[196:197], v[194:195]
	v_div_scale_f64 v[198:199], vcc, 1.0, v[2:3], 1.0
	v_fma_f64 v[200:201], -v[194:195], v[196:197], 1.0
	v_fmac_f64_e32 v[196:197], v[196:197], v[200:201]
	v_fma_f64 v[200:201], -v[194:195], v[196:197], 1.0
	v_fmac_f64_e32 v[196:197], v[196:197], v[200:201]
	v_mul_f64 v[200:201], v[198:199], v[196:197]
	v_fma_f64 v[194:195], -v[194:195], v[200:201], v[198:199]
	v_div_fmas_f64 v[194:195], v[194:195], v[196:197], v[200:201]
	v_div_fixup_f64 v[2:3], v[194:195], v[2:3], 1.0
	ds_write_b64 v224, v[2:3]
.LBB95_79:
	s_or_b64 exec, exec, s[2:3]
	s_waitcnt lgkmcnt(0)
	s_barrier
	ds_read_b64 v[50:51], v224
	v_cmp_lt_u32_e32 vcc, 15, v228
	s_and_saveexec_b64 s[2:3], vcc
	s_cbranch_execz .LBB95_81
; %bb.80:
	ds_read2_b64 v[194:197], v225 offset0:16 offset1:17
	ds_read2_b64 v[198:201], v225 offset0:18 offset1:19
	s_waitcnt lgkmcnt(2)
	v_mul_f64 v[130:131], v[50:51], v[130:131]
	ds_read2_b64 v[202:205], v225 offset0:20 offset1:21
	s_waitcnt vmcnt(61) lgkmcnt(2)
	v_fma_f64 v[176:177], -v[130:131], v[194:195], v[176:177]
	s_waitcnt vmcnt(58)
	v_fma_f64 v[128:129], -v[130:131], v[196:197], v[128:129]
	ds_read2_b64 v[194:197], v225 offset0:22 offset1:23
	s_waitcnt vmcnt(55) lgkmcnt(2)
	v_fma_f64 v[174:175], -v[130:131], v[198:199], v[174:175]
	s_waitcnt vmcnt(52)
	v_fma_f64 v[126:127], -v[130:131], v[200:201], v[126:127]
	s_waitcnt vmcnt(49) lgkmcnt(1)
	v_fma_f64 v[172:173], -v[130:131], v[202:203], v[172:173]
	ds_read2_b64 v[198:201], v225 offset0:24 offset1:25
	s_waitcnt vmcnt(46)
	v_fma_f64 v[124:125], -v[130:131], v[204:205], v[124:125]
	ds_read2_b64 v[202:205], v225 offset0:26 offset1:27
	s_waitcnt vmcnt(43) lgkmcnt(2)
	v_fma_f64 v[170:171], -v[130:131], v[194:195], v[170:171]
	s_waitcnt vmcnt(40)
	v_fma_f64 v[122:123], -v[130:131], v[196:197], v[122:123]
	ds_read2_b64 v[194:197], v225 offset0:28 offset1:29
	s_waitcnt vmcnt(37) lgkmcnt(2)
	v_fma_f64 v[168:169], -v[130:131], v[198:199], v[168:169]
	;; [unrolled: 5-line block ×3, first 2 shown]
	s_waitcnt vmcnt(28)
	v_fma_f64 v[118:119], -v[130:131], v[204:205], v[118:119]
	s_waitcnt vmcnt(25) lgkmcnt(1)
	v_fma_f64 v[164:165], -v[130:131], v[194:195], v[164:165]
	ds_read2_b64 v[202:205], v225 offset0:32 offset1:33
	s_waitcnt vmcnt(22)
	v_fma_f64 v[116:117], -v[130:131], v[196:197], v[116:117]
	ds_read2_b64 v[194:197], v225 offset0:34 offset1:35
	s_waitcnt vmcnt(19) lgkmcnt(2)
	v_fma_f64 v[162:163], -v[130:131], v[198:199], v[162:163]
	s_waitcnt vmcnt(16)
	v_fma_f64 v[114:115], -v[130:131], v[200:201], v[114:115]
	s_waitcnt vmcnt(15) lgkmcnt(1)
	v_fma_f64 v[160:161], -v[130:131], v[202:203], v[160:161]
	ds_read2_b64 v[198:201], v225 offset0:36 offset1:37
	s_waitcnt vmcnt(14)
	v_fma_f64 v[112:113], -v[130:131], v[204:205], v[112:113]
	ds_read2_b64 v[202:205], v225 offset0:38 offset1:39
	s_waitcnt vmcnt(13) lgkmcnt(2)
	v_fma_f64 v[158:159], -v[130:131], v[194:195], v[158:159]
	s_waitcnt vmcnt(12)
	v_fma_f64 v[110:111], -v[130:131], v[196:197], v[110:111]
	ds_read2_b64 v[194:197], v225 offset0:40 offset1:41
	s_waitcnt vmcnt(11) lgkmcnt(2)
	v_fma_f64 v[156:157], -v[130:131], v[198:199], v[156:157]
	;; [unrolled: 5-line block ×3, first 2 shown]
	s_waitcnt vmcnt(8)
	v_fma_f64 v[106:107], -v[130:131], v[204:205], v[106:107]
	s_waitcnt vmcnt(7) lgkmcnt(1)
	v_fma_f64 v[152:153], -v[130:131], v[194:195], v[152:153]
	ds_read2_b64 v[202:205], v225 offset0:44 offset1:45
	s_waitcnt vmcnt(6)
	v_fma_f64 v[104:105], -v[130:131], v[196:197], v[104:105]
	ds_read2_b64 v[194:197], v225 offset0:46 offset1:47
	s_waitcnt vmcnt(5) lgkmcnt(2)
	v_fma_f64 v[150:151], -v[130:131], v[198:199], v[150:151]
	s_waitcnt vmcnt(4)
	v_fma_f64 v[102:103], -v[130:131], v[200:201], v[102:103]
	s_waitcnt vmcnt(3) lgkmcnt(1)
	v_fma_f64 v[148:149], -v[130:131], v[202:203], v[148:149]
	s_waitcnt vmcnt(2)
	v_fma_f64 v[100:101], -v[130:131], v[204:205], v[100:101]
	;; [unrolled: 4-line block ×3, first 2 shown]
.LBB95_81:
	s_or_b64 exec, exec, s[2:3]
	v_cmp_eq_u32_e32 vcc, 16, v228
	s_waitcnt lgkmcnt(0)
	s_barrier
	s_and_saveexec_b64 s[2:3], vcc
	s_cbranch_execz .LBB95_84
; %bb.82:
	s_waitcnt vmcnt(61)
	ds_write_b64 v224, v[176:177]
	s_waitcnt vmcnt(55)
	ds_write2_b64 v225, v[128:129], v[174:175] offset0:17 offset1:18
	s_waitcnt vmcnt(49)
	ds_write2_b64 v225, v[126:127], v[172:173] offset0:19 offset1:20
	;; [unrolled: 2-line block ×15, first 2 shown]
	s_waitcnt vmcnt(0)
	ds_write_b64 v225, v[192:193] offset:376
	ds_read_b64 v[2:3], v224
	s_waitcnt lgkmcnt(0)
	v_cmp_neq_f64_e32 vcc, 0, v[2:3]
	s_and_b64 exec, exec, vcc
	s_cbranch_execz .LBB95_84
; %bb.83:
	v_div_scale_f64 v[194:195], s[6:7], v[2:3], v[2:3], 1.0
	v_rcp_f64_e32 v[196:197], v[194:195]
	v_div_scale_f64 v[198:199], vcc, 1.0, v[2:3], 1.0
	v_fma_f64 v[200:201], -v[194:195], v[196:197], 1.0
	v_fmac_f64_e32 v[196:197], v[196:197], v[200:201]
	v_fma_f64 v[200:201], -v[194:195], v[196:197], 1.0
	v_fmac_f64_e32 v[196:197], v[196:197], v[200:201]
	v_mul_f64 v[200:201], v[198:199], v[196:197]
	v_fma_f64 v[194:195], -v[194:195], v[200:201], v[198:199]
	v_div_fmas_f64 v[194:195], v[194:195], v[196:197], v[200:201]
	v_div_fixup_f64 v[2:3], v[194:195], v[2:3], 1.0
	ds_write_b64 v224, v[2:3]
.LBB95_84:
	s_or_b64 exec, exec, s[2:3]
	s_waitcnt lgkmcnt(0)
	s_barrier
	ds_read_b64 v[52:53], v224
	v_cmp_lt_u32_e32 vcc, 16, v228
	s_and_saveexec_b64 s[2:3], vcc
	s_cbranch_execz .LBB95_86
; %bb.85:
	ds_read2_b64 v[194:197], v225 offset0:17 offset1:18
	ds_read2_b64 v[198:201], v225 offset0:19 offset1:20
	;; [unrolled: 1-line block ×3, first 2 shown]
	s_waitcnt vmcnt(61) lgkmcnt(3)
	v_mul_f64 v[176:177], v[52:53], v[176:177]
	ds_read_b64 v[2:3], v225 offset:376
	s_waitcnt vmcnt(58) lgkmcnt(3)
	v_fma_f64 v[128:129], -v[176:177], v[194:195], v[128:129]
	s_waitcnt vmcnt(55)
	v_fma_f64 v[174:175], -v[176:177], v[196:197], v[174:175]
	ds_read2_b64 v[194:197], v225 offset0:23 offset1:24
	s_waitcnt vmcnt(52) lgkmcnt(3)
	v_fma_f64 v[126:127], -v[176:177], v[198:199], v[126:127]
	s_waitcnt vmcnt(49)
	v_fma_f64 v[172:173], -v[176:177], v[200:201], v[172:173]
	s_waitcnt vmcnt(46) lgkmcnt(2)
	v_fma_f64 v[124:125], -v[176:177], v[202:203], v[124:125]
	ds_read2_b64 v[198:201], v225 offset0:25 offset1:26
	s_waitcnt vmcnt(43)
	v_fma_f64 v[170:171], -v[176:177], v[204:205], v[170:171]
	ds_read2_b64 v[202:205], v225 offset0:27 offset1:28
	s_waitcnt vmcnt(40) lgkmcnt(2)
	v_fma_f64 v[122:123], -v[176:177], v[194:195], v[122:123]
	s_waitcnt vmcnt(37)
	v_fma_f64 v[168:169], -v[176:177], v[196:197], v[168:169]
	s_waitcnt vmcnt(34) lgkmcnt(1)
	v_fma_f64 v[120:121], -v[176:177], v[198:199], v[120:121]
	ds_read2_b64 v[194:197], v225 offset0:29 offset1:30
	s_waitcnt vmcnt(31)
	v_fma_f64 v[166:167], -v[176:177], v[200:201], v[166:167]
	ds_read2_b64 v[198:201], v225 offset0:31 offset1:32
	s_waitcnt vmcnt(28) lgkmcnt(2)
	v_fma_f64 v[118:119], -v[176:177], v[202:203], v[118:119]
	s_waitcnt vmcnt(25)
	v_fma_f64 v[164:165], -v[176:177], v[204:205], v[164:165]
	ds_read2_b64 v[202:205], v225 offset0:33 offset1:34
	s_waitcnt vmcnt(22) lgkmcnt(2)
	v_fma_f64 v[116:117], -v[176:177], v[194:195], v[116:117]
	;; [unrolled: 5-line block ×3, first 2 shown]
	s_waitcnt vmcnt(15)
	v_fma_f64 v[160:161], -v[176:177], v[200:201], v[160:161]
	s_waitcnt vmcnt(14) lgkmcnt(1)
	v_fma_f64 v[112:113], -v[176:177], v[202:203], v[112:113]
	ds_read2_b64 v[198:201], v225 offset0:37 offset1:38
	s_waitcnt vmcnt(13)
	v_fma_f64 v[158:159], -v[176:177], v[204:205], v[158:159]
	ds_read2_b64 v[202:205], v225 offset0:39 offset1:40
	s_waitcnt vmcnt(12) lgkmcnt(2)
	v_fma_f64 v[110:111], -v[176:177], v[194:195], v[110:111]
	s_waitcnt vmcnt(11)
	v_fma_f64 v[156:157], -v[176:177], v[196:197], v[156:157]
	s_waitcnt vmcnt(10) lgkmcnt(1)
	v_fma_f64 v[108:109], -v[176:177], v[198:199], v[108:109]
	ds_read2_b64 v[194:197], v225 offset0:41 offset1:42
	s_waitcnt vmcnt(9)
	v_fma_f64 v[154:155], -v[176:177], v[200:201], v[154:155]
	ds_read2_b64 v[198:201], v225 offset0:43 offset1:44
	s_waitcnt vmcnt(8) lgkmcnt(2)
	v_fma_f64 v[106:107], -v[176:177], v[202:203], v[106:107]
	s_waitcnt vmcnt(7)
	v_fma_f64 v[152:153], -v[176:177], v[204:205], v[152:153]
	ds_read2_b64 v[202:205], v225 offset0:45 offset1:46
	s_waitcnt vmcnt(6) lgkmcnt(2)
	v_fma_f64 v[104:105], -v[176:177], v[194:195], v[104:105]
	s_waitcnt vmcnt(5)
	v_fma_f64 v[150:151], -v[176:177], v[196:197], v[150:151]
	s_waitcnt vmcnt(4) lgkmcnt(1)
	v_fma_f64 v[102:103], -v[176:177], v[198:199], v[102:103]
	s_waitcnt vmcnt(3)
	v_fma_f64 v[148:149], -v[176:177], v[200:201], v[148:149]
	;; [unrolled: 4-line block ×3, first 2 shown]
	s_waitcnt vmcnt(0)
	v_fma_f64 v[192:193], -v[176:177], v[2:3], v[192:193]
.LBB95_86:
	s_or_b64 exec, exec, s[2:3]
	v_cmp_eq_u32_e32 vcc, 17, v228
	s_waitcnt lgkmcnt(0)
	s_barrier
	s_and_saveexec_b64 s[2:3], vcc
	s_cbranch_execz .LBB95_89
; %bb.87:
	s_waitcnt vmcnt(55)
	v_mov_b32_e32 v2, v174
	v_mov_b32_e32 v3, v175
	s_waitcnt vmcnt(52)
	v_mov_b32_e32 v194, v126
	v_mov_b32_e32 v195, v127
	ds_write_b64 v224, v[128:129]
	ds_write2_b64 v225, v[2:3], v[194:195] offset0:18 offset1:19
	s_waitcnt vmcnt(49)
	v_mov_b32_e32 v2, v172
	v_mov_b32_e32 v3, v173
	s_waitcnt vmcnt(46)
	v_mov_b32_e32 v194, v124
	v_mov_b32_e32 v195, v125
	ds_write2_b64 v225, v[2:3], v[194:195] offset0:20 offset1:21
	s_waitcnt vmcnt(43)
	v_mov_b32_e32 v2, v170
	v_mov_b32_e32 v3, v171
	s_waitcnt vmcnt(40)
	v_mov_b32_e32 v194, v122
	v_mov_b32_e32 v195, v123
	;; [unrolled: 7-line block ×13, first 2 shown]
	ds_write2_b64 v225, v[2:3], v[194:195] offset0:44 offset1:45
	s_waitcnt vmcnt(1)
	v_mov_b32_e32 v2, v146
	v_mov_b32_e32 v3, v147
	s_waitcnt vmcnt(0)
	ds_write2_b64 v225, v[2:3], v[192:193] offset0:46 offset1:47
	ds_read_b64 v[2:3], v224
	s_waitcnt lgkmcnt(0)
	v_cmp_neq_f64_e32 vcc, 0, v[2:3]
	s_and_b64 exec, exec, vcc
	s_cbranch_execz .LBB95_89
; %bb.88:
	v_div_scale_f64 v[194:195], s[6:7], v[2:3], v[2:3], 1.0
	v_rcp_f64_e32 v[196:197], v[194:195]
	v_div_scale_f64 v[198:199], vcc, 1.0, v[2:3], 1.0
	v_fma_f64 v[200:201], -v[194:195], v[196:197], 1.0
	v_fmac_f64_e32 v[196:197], v[196:197], v[200:201]
	v_fma_f64 v[200:201], -v[194:195], v[196:197], 1.0
	v_fmac_f64_e32 v[196:197], v[196:197], v[200:201]
	v_mul_f64 v[200:201], v[198:199], v[196:197]
	v_fma_f64 v[194:195], -v[194:195], v[200:201], v[198:199]
	v_div_fmas_f64 v[194:195], v[194:195], v[196:197], v[200:201]
	v_div_fixup_f64 v[2:3], v[194:195], v[2:3], 1.0
	ds_write_b64 v224, v[2:3]
.LBB95_89:
	s_or_b64 exec, exec, s[2:3]
	s_waitcnt lgkmcnt(0)
	s_barrier
	ds_read_b64 v[54:55], v224
	v_cmp_lt_u32_e32 vcc, 17, v228
	s_and_saveexec_b64 s[2:3], vcc
	s_cbranch_execz .LBB95_91
; %bb.90:
	ds_read2_b64 v[194:197], v225 offset0:18 offset1:19
	ds_read2_b64 v[198:201], v225 offset0:20 offset1:21
	;; [unrolled: 1-line block ×3, first 2 shown]
	s_waitcnt vmcnt(58) lgkmcnt(3)
	v_mul_f64 v[128:129], v[54:55], v[128:129]
	s_waitcnt vmcnt(55) lgkmcnt(2)
	v_fma_f64 v[174:175], -v[128:129], v[194:195], v[174:175]
	s_waitcnt vmcnt(52)
	v_fma_f64 v[126:127], -v[128:129], v[196:197], v[126:127]
	ds_read2_b64 v[194:197], v225 offset0:24 offset1:25
	s_waitcnt vmcnt(49) lgkmcnt(2)
	v_fma_f64 v[172:173], -v[128:129], v[198:199], v[172:173]
	s_waitcnt vmcnt(46)
	v_fma_f64 v[124:125], -v[128:129], v[200:201], v[124:125]
	s_waitcnt vmcnt(43) lgkmcnt(1)
	v_fma_f64 v[170:171], -v[128:129], v[202:203], v[170:171]
	ds_read2_b64 v[198:201], v225 offset0:26 offset1:27
	s_waitcnt vmcnt(40)
	v_fma_f64 v[122:123], -v[128:129], v[204:205], v[122:123]
	ds_read2_b64 v[202:205], v225 offset0:28 offset1:29
	s_waitcnt vmcnt(37) lgkmcnt(2)
	v_fma_f64 v[168:169], -v[128:129], v[194:195], v[168:169]
	s_waitcnt vmcnt(34)
	v_fma_f64 v[120:121], -v[128:129], v[196:197], v[120:121]
	s_waitcnt vmcnt(31) lgkmcnt(1)
	v_fma_f64 v[166:167], -v[128:129], v[198:199], v[166:167]
	ds_read2_b64 v[194:197], v225 offset0:30 offset1:31
	s_waitcnt vmcnt(28)
	v_fma_f64 v[118:119], -v[128:129], v[200:201], v[118:119]
	ds_read2_b64 v[198:201], v225 offset0:32 offset1:33
	s_waitcnt vmcnt(25) lgkmcnt(2)
	v_fma_f64 v[164:165], -v[128:129], v[202:203], v[164:165]
	s_waitcnt vmcnt(22)
	v_fma_f64 v[116:117], -v[128:129], v[204:205], v[116:117]
	ds_read2_b64 v[202:205], v225 offset0:34 offset1:35
	s_waitcnt vmcnt(19) lgkmcnt(2)
	v_fma_f64 v[162:163], -v[128:129], v[194:195], v[162:163]
	;; [unrolled: 5-line block ×3, first 2 shown]
	s_waitcnt vmcnt(14)
	v_fma_f64 v[112:113], -v[128:129], v[200:201], v[112:113]
	s_waitcnt vmcnt(13) lgkmcnt(1)
	v_fma_f64 v[158:159], -v[128:129], v[202:203], v[158:159]
	ds_read2_b64 v[198:201], v225 offset0:38 offset1:39
	s_waitcnt vmcnt(12)
	v_fma_f64 v[110:111], -v[128:129], v[204:205], v[110:111]
	ds_read2_b64 v[202:205], v225 offset0:40 offset1:41
	s_waitcnt vmcnt(11) lgkmcnt(2)
	v_fma_f64 v[156:157], -v[128:129], v[194:195], v[156:157]
	s_waitcnt vmcnt(10)
	v_fma_f64 v[108:109], -v[128:129], v[196:197], v[108:109]
	s_waitcnt vmcnt(9) lgkmcnt(1)
	v_fma_f64 v[154:155], -v[128:129], v[198:199], v[154:155]
	s_waitcnt vmcnt(8)
	v_fma_f64 v[106:107], -v[128:129], v[200:201], v[106:107]
	ds_read2_b64 v[194:197], v225 offset0:42 offset1:43
	ds_read2_b64 v[198:201], v225 offset0:44 offset1:45
	s_waitcnt vmcnt(7) lgkmcnt(2)
	v_fma_f64 v[152:153], -v[128:129], v[202:203], v[152:153]
	s_waitcnt vmcnt(6)
	v_fma_f64 v[104:105], -v[128:129], v[204:205], v[104:105]
	ds_read2_b64 v[202:205], v225 offset0:46 offset1:47
	s_waitcnt vmcnt(5) lgkmcnt(2)
	v_fma_f64 v[150:151], -v[128:129], v[194:195], v[150:151]
	s_waitcnt vmcnt(4)
	v_fma_f64 v[102:103], -v[128:129], v[196:197], v[102:103]
	s_waitcnt vmcnt(3) lgkmcnt(1)
	v_fma_f64 v[148:149], -v[128:129], v[198:199], v[148:149]
	s_waitcnt vmcnt(2)
	v_fma_f64 v[100:101], -v[128:129], v[200:201], v[100:101]
	s_waitcnt vmcnt(1) lgkmcnt(0)
	v_fma_f64 v[146:147], -v[128:129], v[202:203], v[146:147]
	s_waitcnt vmcnt(0)
	v_fma_f64 v[192:193], -v[128:129], v[204:205], v[192:193]
.LBB95_91:
	s_or_b64 exec, exec, s[2:3]
	v_cmp_eq_u32_e32 vcc, 18, v228
	s_waitcnt lgkmcnt(0)
	s_barrier
	s_and_saveexec_b64 s[2:3], vcc
	s_cbranch_execz .LBB95_94
; %bb.92:
	s_waitcnt vmcnt(55)
	ds_write_b64 v224, v[174:175]
	s_waitcnt vmcnt(49)
	ds_write2_b64 v225, v[126:127], v[172:173] offset0:19 offset1:20
	s_waitcnt vmcnt(43)
	ds_write2_b64 v225, v[124:125], v[170:171] offset0:21 offset1:22
	;; [unrolled: 2-line block ×14, first 2 shown]
	s_waitcnt vmcnt(0)
	ds_write_b64 v225, v[192:193] offset:376
	ds_read_b64 v[2:3], v224
	s_waitcnt lgkmcnt(0)
	v_cmp_neq_f64_e32 vcc, 0, v[2:3]
	s_and_b64 exec, exec, vcc
	s_cbranch_execz .LBB95_94
; %bb.93:
	v_div_scale_f64 v[194:195], s[6:7], v[2:3], v[2:3], 1.0
	v_rcp_f64_e32 v[196:197], v[194:195]
	v_div_scale_f64 v[198:199], vcc, 1.0, v[2:3], 1.0
	v_fma_f64 v[200:201], -v[194:195], v[196:197], 1.0
	v_fmac_f64_e32 v[196:197], v[196:197], v[200:201]
	v_fma_f64 v[200:201], -v[194:195], v[196:197], 1.0
	v_fmac_f64_e32 v[196:197], v[196:197], v[200:201]
	v_mul_f64 v[200:201], v[198:199], v[196:197]
	v_fma_f64 v[194:195], -v[194:195], v[200:201], v[198:199]
	v_div_fmas_f64 v[194:195], v[194:195], v[196:197], v[200:201]
	v_div_fixup_f64 v[2:3], v[194:195], v[2:3], 1.0
	ds_write_b64 v224, v[2:3]
.LBB95_94:
	s_or_b64 exec, exec, s[2:3]
	s_waitcnt lgkmcnt(0)
	s_barrier
	ds_read_b64 v[56:57], v224
	v_cmp_lt_u32_e32 vcc, 18, v228
	s_and_saveexec_b64 s[2:3], vcc
	s_cbranch_execz .LBB95_96
; %bb.95:
	ds_read2_b64 v[194:197], v225 offset0:19 offset1:20
	ds_read2_b64 v[198:201], v225 offset0:21 offset1:22
	s_waitcnt vmcnt(55) lgkmcnt(2)
	v_mul_f64 v[174:175], v[56:57], v[174:175]
	ds_read2_b64 v[202:205], v225 offset0:23 offset1:24
	ds_read_b64 v[2:3], v225 offset:376
	s_waitcnt vmcnt(52) lgkmcnt(3)
	v_fma_f64 v[126:127], -v[174:175], v[194:195], v[126:127]
	s_waitcnt vmcnt(49)
	v_fma_f64 v[172:173], -v[174:175], v[196:197], v[172:173]
	ds_read2_b64 v[194:197], v225 offset0:25 offset1:26
	s_waitcnt vmcnt(46) lgkmcnt(3)
	v_fma_f64 v[124:125], -v[174:175], v[198:199], v[124:125]
	s_waitcnt vmcnt(43)
	v_fma_f64 v[170:171], -v[174:175], v[200:201], v[170:171]
	ds_read2_b64 v[198:201], v225 offset0:27 offset1:28
	;; [unrolled: 5-line block ×3, first 2 shown]
	s_waitcnt vmcnt(34) lgkmcnt(2)
	v_fma_f64 v[120:121], -v[174:175], v[194:195], v[120:121]
	s_waitcnt vmcnt(31)
	v_fma_f64 v[166:167], -v[174:175], v[196:197], v[166:167]
	s_waitcnt vmcnt(28) lgkmcnt(1)
	v_fma_f64 v[118:119], -v[174:175], v[198:199], v[118:119]
	ds_read2_b64 v[194:197], v225 offset0:31 offset1:32
	s_waitcnt vmcnt(25)
	v_fma_f64 v[164:165], -v[174:175], v[200:201], v[164:165]
	ds_read2_b64 v[198:201], v225 offset0:33 offset1:34
	s_waitcnt vmcnt(22) lgkmcnt(2)
	v_fma_f64 v[116:117], -v[174:175], v[202:203], v[116:117]
	s_waitcnt vmcnt(19)
	v_fma_f64 v[162:163], -v[174:175], v[204:205], v[162:163]
	s_waitcnt vmcnt(16) lgkmcnt(1)
	v_fma_f64 v[114:115], -v[174:175], v[194:195], v[114:115]
	ds_read2_b64 v[202:205], v225 offset0:35 offset1:36
	s_waitcnt vmcnt(15)
	v_fma_f64 v[160:161], -v[174:175], v[196:197], v[160:161]
	ds_read2_b64 v[194:197], v225 offset0:37 offset1:38
	s_waitcnt vmcnt(14) lgkmcnt(2)
	v_fma_f64 v[112:113], -v[174:175], v[198:199], v[112:113]
	s_waitcnt vmcnt(13)
	v_fma_f64 v[158:159], -v[174:175], v[200:201], v[158:159]
	ds_read2_b64 v[198:201], v225 offset0:39 offset1:40
	s_waitcnt vmcnt(12) lgkmcnt(2)
	v_fma_f64 v[110:111], -v[174:175], v[202:203], v[110:111]
	s_waitcnt vmcnt(11)
	v_fma_f64 v[156:157], -v[174:175], v[204:205], v[156:157]
	ds_read2_b64 v[202:205], v225 offset0:41 offset1:42
	s_waitcnt vmcnt(10) lgkmcnt(2)
	v_fma_f64 v[108:109], -v[174:175], v[194:195], v[108:109]
	s_waitcnt vmcnt(9)
	v_fma_f64 v[154:155], -v[174:175], v[196:197], v[154:155]
	s_waitcnt vmcnt(8) lgkmcnt(1)
	v_fma_f64 v[106:107], -v[174:175], v[198:199], v[106:107]
	s_waitcnt vmcnt(7)
	v_fma_f64 v[152:153], -v[174:175], v[200:201], v[152:153]
	ds_read2_b64 v[194:197], v225 offset0:43 offset1:44
	ds_read2_b64 v[198:201], v225 offset0:45 offset1:46
	s_waitcnt vmcnt(6) lgkmcnt(2)
	v_fma_f64 v[104:105], -v[174:175], v[202:203], v[104:105]
	s_waitcnt vmcnt(5)
	v_fma_f64 v[150:151], -v[174:175], v[204:205], v[150:151]
	s_waitcnt vmcnt(0)
	v_fma_f64 v[192:193], -v[174:175], v[2:3], v[192:193]
	s_waitcnt lgkmcnt(1)
	v_fma_f64 v[102:103], -v[174:175], v[194:195], v[102:103]
	v_fma_f64 v[148:149], -v[174:175], v[196:197], v[148:149]
	s_waitcnt lgkmcnt(0)
	v_fma_f64 v[100:101], -v[174:175], v[198:199], v[100:101]
	v_fma_f64 v[146:147], -v[174:175], v[200:201], v[146:147]
.LBB95_96:
	s_or_b64 exec, exec, s[2:3]
	v_cmp_eq_u32_e32 vcc, 19, v228
	s_waitcnt lgkmcnt(0)
	s_barrier
	s_and_saveexec_b64 s[2:3], vcc
	s_cbranch_execz .LBB95_99
; %bb.97:
	s_waitcnt vmcnt(49)
	v_mov_b32_e32 v2, v172
	v_mov_b32_e32 v3, v173
	s_waitcnt vmcnt(46)
	v_mov_b32_e32 v194, v124
	v_mov_b32_e32 v195, v125
	ds_write_b64 v224, v[126:127]
	ds_write2_b64 v225, v[2:3], v[194:195] offset0:20 offset1:21
	s_waitcnt vmcnt(43)
	v_mov_b32_e32 v2, v170
	v_mov_b32_e32 v3, v171
	s_waitcnt vmcnt(40)
	v_mov_b32_e32 v194, v122
	v_mov_b32_e32 v195, v123
	ds_write2_b64 v225, v[2:3], v[194:195] offset0:22 offset1:23
	s_waitcnt vmcnt(37)
	v_mov_b32_e32 v2, v168
	v_mov_b32_e32 v3, v169
	s_waitcnt vmcnt(34)
	v_mov_b32_e32 v194, v120
	v_mov_b32_e32 v195, v121
	;; [unrolled: 7-line block ×12, first 2 shown]
	ds_write2_b64 v225, v[2:3], v[194:195] offset0:44 offset1:45
	s_waitcnt vmcnt(1)
	v_mov_b32_e32 v2, v146
	v_mov_b32_e32 v3, v147
	s_waitcnt vmcnt(0)
	ds_write2_b64 v225, v[2:3], v[192:193] offset0:46 offset1:47
	ds_read_b64 v[2:3], v224
	s_waitcnt lgkmcnt(0)
	v_cmp_neq_f64_e32 vcc, 0, v[2:3]
	s_and_b64 exec, exec, vcc
	s_cbranch_execz .LBB95_99
; %bb.98:
	v_div_scale_f64 v[194:195], s[6:7], v[2:3], v[2:3], 1.0
	v_rcp_f64_e32 v[196:197], v[194:195]
	v_div_scale_f64 v[198:199], vcc, 1.0, v[2:3], 1.0
	v_fma_f64 v[200:201], -v[194:195], v[196:197], 1.0
	v_fmac_f64_e32 v[196:197], v[196:197], v[200:201]
	v_fma_f64 v[200:201], -v[194:195], v[196:197], 1.0
	v_fmac_f64_e32 v[196:197], v[196:197], v[200:201]
	v_mul_f64 v[200:201], v[198:199], v[196:197]
	v_fma_f64 v[194:195], -v[194:195], v[200:201], v[198:199]
	v_div_fmas_f64 v[194:195], v[194:195], v[196:197], v[200:201]
	v_div_fixup_f64 v[2:3], v[194:195], v[2:3], 1.0
	ds_write_b64 v224, v[2:3]
.LBB95_99:
	s_or_b64 exec, exec, s[2:3]
	s_waitcnt lgkmcnt(0)
	s_barrier
	ds_read_b64 v[58:59], v224
	v_cmp_lt_u32_e32 vcc, 19, v228
	s_and_saveexec_b64 s[2:3], vcc
	s_cbranch_execz .LBB95_101
; %bb.100:
	ds_read2_b64 v[194:197], v225 offset0:20 offset1:21
	ds_read2_b64 v[198:201], v225 offset0:22 offset1:23
	s_waitcnt vmcnt(52) lgkmcnt(2)
	v_mul_f64 v[126:127], v[58:59], v[126:127]
	ds_read2_b64 v[202:205], v225 offset0:24 offset1:25
	s_waitcnt vmcnt(49) lgkmcnt(2)
	v_fma_f64 v[172:173], -v[126:127], v[194:195], v[172:173]
	s_waitcnt vmcnt(46)
	v_fma_f64 v[124:125], -v[126:127], v[196:197], v[124:125]
	ds_read2_b64 v[194:197], v225 offset0:26 offset1:27
	s_waitcnt vmcnt(43) lgkmcnt(2)
	v_fma_f64 v[170:171], -v[126:127], v[198:199], v[170:171]
	s_waitcnt vmcnt(40)
	v_fma_f64 v[122:123], -v[126:127], v[200:201], v[122:123]
	;; [unrolled: 5-line block ×4, first 2 shown]
	s_waitcnt vmcnt(25) lgkmcnt(1)
	v_fma_f64 v[164:165], -v[126:127], v[198:199], v[164:165]
	ds_read2_b64 v[194:197], v225 offset0:32 offset1:33
	s_waitcnt vmcnt(22)
	v_fma_f64 v[116:117], -v[126:127], v[200:201], v[116:117]
	ds_read2_b64 v[198:201], v225 offset0:34 offset1:35
	s_waitcnt vmcnt(19) lgkmcnt(2)
	v_fma_f64 v[162:163], -v[126:127], v[202:203], v[162:163]
	s_waitcnt vmcnt(16)
	v_fma_f64 v[114:115], -v[126:127], v[204:205], v[114:115]
	s_waitcnt vmcnt(15) lgkmcnt(1)
	v_fma_f64 v[160:161], -v[126:127], v[194:195], v[160:161]
	ds_read2_b64 v[202:205], v225 offset0:36 offset1:37
	s_waitcnt vmcnt(14)
	v_fma_f64 v[112:113], -v[126:127], v[196:197], v[112:113]
	ds_read2_b64 v[194:197], v225 offset0:38 offset1:39
	s_waitcnt vmcnt(13) lgkmcnt(2)
	v_fma_f64 v[158:159], -v[126:127], v[198:199], v[158:159]
	s_waitcnt vmcnt(12)
	v_fma_f64 v[110:111], -v[126:127], v[200:201], v[110:111]
	ds_read2_b64 v[198:201], v225 offset0:40 offset1:41
	s_waitcnt vmcnt(11) lgkmcnt(2)
	v_fma_f64 v[156:157], -v[126:127], v[202:203], v[156:157]
	s_waitcnt vmcnt(10)
	v_fma_f64 v[108:109], -v[126:127], v[204:205], v[108:109]
	s_waitcnt vmcnt(9) lgkmcnt(1)
	v_fma_f64 v[154:155], -v[126:127], v[194:195], v[154:155]
	s_waitcnt vmcnt(8)
	v_fma_f64 v[106:107], -v[126:127], v[196:197], v[106:107]
	ds_read2_b64 v[194:197], v225 offset0:42 offset1:43
	s_waitcnt vmcnt(7) lgkmcnt(1)
	v_fma_f64 v[152:153], -v[126:127], v[198:199], v[152:153]
	ds_read2_b64 v[202:205], v225 offset0:44 offset1:45
	s_waitcnt vmcnt(6)
	v_fma_f64 v[104:105], -v[126:127], v[200:201], v[104:105]
	ds_read2_b64 v[198:201], v225 offset0:46 offset1:47
	s_waitcnt vmcnt(5) lgkmcnt(2)
	v_fma_f64 v[150:151], -v[126:127], v[194:195], v[150:151]
	s_waitcnt vmcnt(4)
	v_fma_f64 v[102:103], -v[126:127], v[196:197], v[102:103]
	s_waitcnt vmcnt(3) lgkmcnt(1)
	v_fma_f64 v[148:149], -v[126:127], v[202:203], v[148:149]
	s_waitcnt vmcnt(2)
	v_fma_f64 v[100:101], -v[126:127], v[204:205], v[100:101]
	;; [unrolled: 4-line block ×3, first 2 shown]
.LBB95_101:
	s_or_b64 exec, exec, s[2:3]
	v_cmp_eq_u32_e32 vcc, 20, v228
	s_waitcnt lgkmcnt(0)
	s_barrier
	s_and_saveexec_b64 s[2:3], vcc
	s_cbranch_execz .LBB95_104
; %bb.102:
	s_waitcnt vmcnt(49)
	ds_write_b64 v224, v[172:173]
	s_waitcnt vmcnt(43)
	ds_write2_b64 v225, v[124:125], v[170:171] offset0:21 offset1:22
	s_waitcnt vmcnt(37)
	ds_write2_b64 v225, v[122:123], v[168:169] offset0:23 offset1:24
	s_waitcnt vmcnt(31)
	ds_write2_b64 v225, v[120:121], v[166:167] offset0:25 offset1:26
	s_waitcnt vmcnt(25)
	ds_write2_b64 v225, v[118:119], v[164:165] offset0:27 offset1:28
	s_waitcnt vmcnt(19)
	ds_write2_b64 v225, v[116:117], v[162:163] offset0:29 offset1:30
	s_waitcnt vmcnt(15)
	ds_write2_b64 v225, v[114:115], v[160:161] offset0:31 offset1:32
	s_waitcnt vmcnt(13)
	ds_write2_b64 v225, v[112:113], v[158:159] offset0:33 offset1:34
	s_waitcnt vmcnt(11)
	ds_write2_b64 v225, v[110:111], v[156:157] offset0:35 offset1:36
	s_waitcnt vmcnt(9)
	ds_write2_b64 v225, v[108:109], v[154:155] offset0:37 offset1:38
	s_waitcnt vmcnt(7)
	ds_write2_b64 v225, v[106:107], v[152:153] offset0:39 offset1:40
	s_waitcnt vmcnt(5)
	ds_write2_b64 v225, v[104:105], v[150:151] offset0:41 offset1:42
	s_waitcnt vmcnt(3)
	ds_write2_b64 v225, v[102:103], v[148:149] offset0:43 offset1:44
	s_waitcnt vmcnt(1)
	ds_write2_b64 v225, v[100:101], v[146:147] offset0:45 offset1:46
	s_waitcnt vmcnt(0)
	ds_write_b64 v225, v[192:193] offset:376
	ds_read_b64 v[2:3], v224
	s_waitcnt lgkmcnt(0)
	v_cmp_neq_f64_e32 vcc, 0, v[2:3]
	s_and_b64 exec, exec, vcc
	s_cbranch_execz .LBB95_104
; %bb.103:
	v_div_scale_f64 v[194:195], s[6:7], v[2:3], v[2:3], 1.0
	v_rcp_f64_e32 v[196:197], v[194:195]
	v_div_scale_f64 v[198:199], vcc, 1.0, v[2:3], 1.0
	v_fma_f64 v[200:201], -v[194:195], v[196:197], 1.0
	v_fmac_f64_e32 v[196:197], v[196:197], v[200:201]
	v_fma_f64 v[200:201], -v[194:195], v[196:197], 1.0
	v_fmac_f64_e32 v[196:197], v[196:197], v[200:201]
	v_mul_f64 v[200:201], v[198:199], v[196:197]
	v_fma_f64 v[194:195], -v[194:195], v[200:201], v[198:199]
	v_div_fmas_f64 v[194:195], v[194:195], v[196:197], v[200:201]
	v_div_fixup_f64 v[2:3], v[194:195], v[2:3], 1.0
	ds_write_b64 v224, v[2:3]
.LBB95_104:
	s_or_b64 exec, exec, s[2:3]
	s_waitcnt lgkmcnt(0)
	s_barrier
	ds_read_b64 v[60:61], v224
	v_cmp_lt_u32_e32 vcc, 20, v228
	s_and_saveexec_b64 s[2:3], vcc
	s_cbranch_execz .LBB95_106
; %bb.105:
	ds_read2_b64 v[194:197], v225 offset0:21 offset1:22
	ds_read2_b64 v[198:201], v225 offset0:23 offset1:24
	s_waitcnt vmcnt(49) lgkmcnt(2)
	v_mul_f64 v[172:173], v[60:61], v[172:173]
	ds_read2_b64 v[202:205], v225 offset0:25 offset1:26
	ds_read_b64 v[2:3], v225 offset:376
	s_waitcnt vmcnt(46) lgkmcnt(3)
	v_fma_f64 v[124:125], -v[172:173], v[194:195], v[124:125]
	s_waitcnt vmcnt(43)
	v_fma_f64 v[170:171], -v[172:173], v[196:197], v[170:171]
	ds_read2_b64 v[194:197], v225 offset0:27 offset1:28
	s_waitcnt vmcnt(40) lgkmcnt(3)
	v_fma_f64 v[122:123], -v[172:173], v[198:199], v[122:123]
	s_waitcnt vmcnt(37)
	v_fma_f64 v[168:169], -v[172:173], v[200:201], v[168:169]
	s_waitcnt vmcnt(34) lgkmcnt(2)
	v_fma_f64 v[120:121], -v[172:173], v[202:203], v[120:121]
	ds_read2_b64 v[198:201], v225 offset0:29 offset1:30
	s_waitcnt vmcnt(31)
	v_fma_f64 v[166:167], -v[172:173], v[204:205], v[166:167]
	ds_read2_b64 v[202:205], v225 offset0:31 offset1:32
	s_waitcnt vmcnt(28) lgkmcnt(2)
	v_fma_f64 v[118:119], -v[172:173], v[194:195], v[118:119]
	s_waitcnt vmcnt(25)
	v_fma_f64 v[164:165], -v[172:173], v[196:197], v[164:165]
	ds_read2_b64 v[194:197], v225 offset0:33 offset1:34
	s_waitcnt vmcnt(22) lgkmcnt(2)
	v_fma_f64 v[116:117], -v[172:173], v[198:199], v[116:117]
	;; [unrolled: 5-line block ×3, first 2 shown]
	s_waitcnt vmcnt(15)
	v_fma_f64 v[160:161], -v[172:173], v[204:205], v[160:161]
	s_waitcnt vmcnt(14) lgkmcnt(1)
	v_fma_f64 v[112:113], -v[172:173], v[194:195], v[112:113]
	ds_read2_b64 v[202:205], v225 offset0:37 offset1:38
	s_waitcnt vmcnt(13)
	v_fma_f64 v[158:159], -v[172:173], v[196:197], v[158:159]
	ds_read2_b64 v[194:197], v225 offset0:39 offset1:40
	s_waitcnt vmcnt(12) lgkmcnt(2)
	v_fma_f64 v[110:111], -v[172:173], v[198:199], v[110:111]
	s_waitcnt vmcnt(11)
	v_fma_f64 v[156:157], -v[172:173], v[200:201], v[156:157]
	s_waitcnt vmcnt(10) lgkmcnt(1)
	v_fma_f64 v[108:109], -v[172:173], v[202:203], v[108:109]
	ds_read2_b64 v[198:201], v225 offset0:41 offset1:42
	s_waitcnt vmcnt(9)
	v_fma_f64 v[154:155], -v[172:173], v[204:205], v[154:155]
	s_waitcnt vmcnt(8) lgkmcnt(1)
	v_fma_f64 v[106:107], -v[172:173], v[194:195], v[106:107]
	s_waitcnt vmcnt(7)
	v_fma_f64 v[152:153], -v[172:173], v[196:197], v[152:153]
	ds_read2_b64 v[194:197], v225 offset0:43 offset1:44
	ds_read2_b64 v[202:205], v225 offset0:45 offset1:46
	s_waitcnt vmcnt(6) lgkmcnt(2)
	v_fma_f64 v[104:105], -v[172:173], v[198:199], v[104:105]
	s_waitcnt vmcnt(5)
	v_fma_f64 v[150:151], -v[172:173], v[200:201], v[150:151]
	s_waitcnt vmcnt(0)
	v_fma_f64 v[192:193], -v[172:173], v[2:3], v[192:193]
	s_waitcnt lgkmcnt(1)
	v_fma_f64 v[102:103], -v[172:173], v[194:195], v[102:103]
	v_fma_f64 v[148:149], -v[172:173], v[196:197], v[148:149]
	s_waitcnt lgkmcnt(0)
	v_fma_f64 v[100:101], -v[172:173], v[202:203], v[100:101]
	v_fma_f64 v[146:147], -v[172:173], v[204:205], v[146:147]
.LBB95_106:
	s_or_b64 exec, exec, s[2:3]
	v_cmp_eq_u32_e32 vcc, 21, v228
	s_waitcnt lgkmcnt(0)
	s_barrier
	s_and_saveexec_b64 s[2:3], vcc
	s_cbranch_execz .LBB95_109
; %bb.107:
	s_waitcnt vmcnt(43)
	v_mov_b32_e32 v2, v170
	v_mov_b32_e32 v3, v171
	s_waitcnt vmcnt(40)
	v_mov_b32_e32 v194, v122
	v_mov_b32_e32 v195, v123
	ds_write_b64 v224, v[124:125]
	ds_write2_b64 v225, v[2:3], v[194:195] offset0:22 offset1:23
	s_waitcnt vmcnt(37)
	v_mov_b32_e32 v2, v168
	v_mov_b32_e32 v3, v169
	s_waitcnt vmcnt(34)
	v_mov_b32_e32 v194, v120
	v_mov_b32_e32 v195, v121
	ds_write2_b64 v225, v[2:3], v[194:195] offset0:24 offset1:25
	s_waitcnt vmcnt(31)
	v_mov_b32_e32 v2, v166
	v_mov_b32_e32 v3, v167
	s_waitcnt vmcnt(28)
	v_mov_b32_e32 v194, v118
	v_mov_b32_e32 v195, v119
	;; [unrolled: 7-line block ×11, first 2 shown]
	ds_write2_b64 v225, v[2:3], v[194:195] offset0:44 offset1:45
	s_waitcnt vmcnt(1)
	v_mov_b32_e32 v2, v146
	v_mov_b32_e32 v3, v147
	s_waitcnt vmcnt(0)
	ds_write2_b64 v225, v[2:3], v[192:193] offset0:46 offset1:47
	ds_read_b64 v[2:3], v224
	s_waitcnt lgkmcnt(0)
	v_cmp_neq_f64_e32 vcc, 0, v[2:3]
	s_and_b64 exec, exec, vcc
	s_cbranch_execz .LBB95_109
; %bb.108:
	v_div_scale_f64 v[194:195], s[6:7], v[2:3], v[2:3], 1.0
	v_rcp_f64_e32 v[196:197], v[194:195]
	v_div_scale_f64 v[198:199], vcc, 1.0, v[2:3], 1.0
	v_fma_f64 v[200:201], -v[194:195], v[196:197], 1.0
	v_fmac_f64_e32 v[196:197], v[196:197], v[200:201]
	v_fma_f64 v[200:201], -v[194:195], v[196:197], 1.0
	v_fmac_f64_e32 v[196:197], v[196:197], v[200:201]
	v_mul_f64 v[200:201], v[198:199], v[196:197]
	v_fma_f64 v[194:195], -v[194:195], v[200:201], v[198:199]
	v_div_fmas_f64 v[194:195], v[194:195], v[196:197], v[200:201]
	v_div_fixup_f64 v[2:3], v[194:195], v[2:3], 1.0
	ds_write_b64 v224, v[2:3]
.LBB95_109:
	s_or_b64 exec, exec, s[2:3]
	s_waitcnt lgkmcnt(0)
	s_barrier
	ds_read_b64 v[236:237], v224
	v_cmp_lt_u32_e32 vcc, 21, v228
	s_and_saveexec_b64 s[2:3], vcc
	s_cbranch_execz .LBB95_111
; %bb.110:
	ds_read2_b64 v[194:197], v225 offset0:22 offset1:23
	ds_read2_b64 v[198:201], v225 offset0:24 offset1:25
	s_waitcnt vmcnt(46) lgkmcnt(2)
	v_mul_f64 v[124:125], v[236:237], v[124:125]
	ds_read2_b64 v[202:205], v225 offset0:26 offset1:27
	s_waitcnt vmcnt(43) lgkmcnt(2)
	v_fma_f64 v[170:171], -v[124:125], v[194:195], v[170:171]
	s_waitcnt vmcnt(40)
	v_fma_f64 v[122:123], -v[124:125], v[196:197], v[122:123]
	ds_read2_b64 v[194:197], v225 offset0:28 offset1:29
	s_waitcnt vmcnt(37) lgkmcnt(2)
	v_fma_f64 v[168:169], -v[124:125], v[198:199], v[168:169]
	s_waitcnt vmcnt(34)
	v_fma_f64 v[120:121], -v[124:125], v[200:201], v[120:121]
	s_waitcnt vmcnt(31) lgkmcnt(1)
	v_fma_f64 v[166:167], -v[124:125], v[202:203], v[166:167]
	ds_read2_b64 v[198:201], v225 offset0:30 offset1:31
	s_waitcnt vmcnt(28)
	v_fma_f64 v[118:119], -v[124:125], v[204:205], v[118:119]
	ds_read2_b64 v[202:205], v225 offset0:32 offset1:33
	s_waitcnt vmcnt(25) lgkmcnt(2)
	v_fma_f64 v[164:165], -v[124:125], v[194:195], v[164:165]
	s_waitcnt vmcnt(22)
	v_fma_f64 v[116:117], -v[124:125], v[196:197], v[116:117]
	ds_read2_b64 v[194:197], v225 offset0:34 offset1:35
	s_waitcnt vmcnt(19) lgkmcnt(2)
	v_fma_f64 v[162:163], -v[124:125], v[198:199], v[162:163]
	s_waitcnt vmcnt(16)
	v_fma_f64 v[114:115], -v[124:125], v[200:201], v[114:115]
	ds_read2_b64 v[198:201], v225 offset0:36 offset1:37
	s_waitcnt vmcnt(15) lgkmcnt(2)
	v_fma_f64 v[160:161], -v[124:125], v[202:203], v[160:161]
	s_waitcnt vmcnt(14)
	v_fma_f64 v[112:113], -v[124:125], v[204:205], v[112:113]
	s_waitcnt vmcnt(13) lgkmcnt(1)
	v_fma_f64 v[158:159], -v[124:125], v[194:195], v[158:159]
	ds_read2_b64 v[202:205], v225 offset0:38 offset1:39
	s_waitcnt vmcnt(12)
	v_fma_f64 v[110:111], -v[124:125], v[196:197], v[110:111]
	ds_read2_b64 v[194:197], v225 offset0:40 offset1:41
	s_waitcnt vmcnt(11) lgkmcnt(2)
	v_fma_f64 v[156:157], -v[124:125], v[198:199], v[156:157]
	s_waitcnt vmcnt(10)
	v_fma_f64 v[108:109], -v[124:125], v[200:201], v[108:109]
	s_waitcnt vmcnt(9) lgkmcnt(1)
	v_fma_f64 v[154:155], -v[124:125], v[202:203], v[154:155]
	s_waitcnt vmcnt(8)
	v_fma_f64 v[106:107], -v[124:125], v[204:205], v[106:107]
	ds_read2_b64 v[198:201], v225 offset0:42 offset1:43
	ds_read2_b64 v[202:205], v225 offset0:44 offset1:45
	s_waitcnt vmcnt(7) lgkmcnt(2)
	v_fma_f64 v[152:153], -v[124:125], v[194:195], v[152:153]
	s_waitcnt vmcnt(6)
	v_fma_f64 v[104:105], -v[124:125], v[196:197], v[104:105]
	ds_read2_b64 v[194:197], v225 offset0:46 offset1:47
	s_waitcnt vmcnt(5) lgkmcnt(2)
	v_fma_f64 v[150:151], -v[124:125], v[198:199], v[150:151]
	s_waitcnt vmcnt(4)
	v_fma_f64 v[102:103], -v[124:125], v[200:201], v[102:103]
	s_waitcnt vmcnt(3) lgkmcnt(1)
	v_fma_f64 v[148:149], -v[124:125], v[202:203], v[148:149]
	s_waitcnt vmcnt(2)
	v_fma_f64 v[100:101], -v[124:125], v[204:205], v[100:101]
	;; [unrolled: 4-line block ×3, first 2 shown]
.LBB95_111:
	s_or_b64 exec, exec, s[2:3]
	v_cmp_eq_u32_e32 vcc, 22, v228
	s_waitcnt lgkmcnt(0)
	s_barrier
	s_and_saveexec_b64 s[2:3], vcc
	s_cbranch_execz .LBB95_114
; %bb.112:
	s_waitcnt vmcnt(43)
	ds_write_b64 v224, v[170:171]
	s_waitcnt vmcnt(37)
	ds_write2_b64 v225, v[122:123], v[168:169] offset0:23 offset1:24
	s_waitcnt vmcnt(31)
	ds_write2_b64 v225, v[120:121], v[166:167] offset0:25 offset1:26
	;; [unrolled: 2-line block ×12, first 2 shown]
	s_waitcnt vmcnt(0)
	ds_write_b64 v225, v[192:193] offset:376
	ds_read_b64 v[2:3], v224
	s_waitcnt lgkmcnt(0)
	v_cmp_neq_f64_e32 vcc, 0, v[2:3]
	s_and_b64 exec, exec, vcc
	s_cbranch_execz .LBB95_114
; %bb.113:
	v_div_scale_f64 v[194:195], s[6:7], v[2:3], v[2:3], 1.0
	v_rcp_f64_e32 v[196:197], v[194:195]
	v_div_scale_f64 v[198:199], vcc, 1.0, v[2:3], 1.0
	v_fma_f64 v[200:201], -v[194:195], v[196:197], 1.0
	v_fmac_f64_e32 v[196:197], v[196:197], v[200:201]
	v_fma_f64 v[200:201], -v[194:195], v[196:197], 1.0
	v_fmac_f64_e32 v[196:197], v[196:197], v[200:201]
	v_mul_f64 v[200:201], v[198:199], v[196:197]
	v_fma_f64 v[194:195], -v[194:195], v[200:201], v[198:199]
	v_div_fmas_f64 v[194:195], v[194:195], v[196:197], v[200:201]
	v_div_fixup_f64 v[2:3], v[194:195], v[2:3], 1.0
	ds_write_b64 v224, v[2:3]
.LBB95_114:
	s_or_b64 exec, exec, s[2:3]
	s_waitcnt lgkmcnt(0)
	s_barrier
	ds_read_b64 v[238:239], v224
	v_cmp_lt_u32_e32 vcc, 22, v228
	s_and_saveexec_b64 s[2:3], vcc
	s_cbranch_execz .LBB95_116
; %bb.115:
	ds_read2_b64 v[194:197], v225 offset0:23 offset1:24
	ds_read2_b64 v[198:201], v225 offset0:25 offset1:26
	;; [unrolled: 1-line block ×3, first 2 shown]
	s_waitcnt vmcnt(43) lgkmcnt(3)
	v_mul_f64 v[170:171], v[238:239], v[170:171]
	ds_read_b64 v[2:3], v225 offset:376
	s_waitcnt vmcnt(40) lgkmcnt(3)
	v_fma_f64 v[122:123], -v[170:171], v[194:195], v[122:123]
	s_waitcnt vmcnt(37)
	v_fma_f64 v[168:169], -v[170:171], v[196:197], v[168:169]
	ds_read2_b64 v[194:197], v225 offset0:29 offset1:30
	s_waitcnt vmcnt(34) lgkmcnt(3)
	v_fma_f64 v[120:121], -v[170:171], v[198:199], v[120:121]
	s_waitcnt vmcnt(31)
	v_fma_f64 v[166:167], -v[170:171], v[200:201], v[166:167]
	s_waitcnt vmcnt(28) lgkmcnt(2)
	v_fma_f64 v[118:119], -v[170:171], v[202:203], v[118:119]
	ds_read2_b64 v[198:201], v225 offset0:31 offset1:32
	s_waitcnt vmcnt(25)
	v_fma_f64 v[164:165], -v[170:171], v[204:205], v[164:165]
	ds_read2_b64 v[202:205], v225 offset0:33 offset1:34
	s_waitcnt vmcnt(22) lgkmcnt(2)
	v_fma_f64 v[116:117], -v[170:171], v[194:195], v[116:117]
	s_waitcnt vmcnt(19)
	v_fma_f64 v[162:163], -v[170:171], v[196:197], v[162:163]
	s_waitcnt vmcnt(16) lgkmcnt(1)
	v_fma_f64 v[114:115], -v[170:171], v[198:199], v[114:115]
	ds_read2_b64 v[194:197], v225 offset0:35 offset1:36
	s_waitcnt vmcnt(15)
	v_fma_f64 v[160:161], -v[170:171], v[200:201], v[160:161]
	ds_read2_b64 v[198:201], v225 offset0:37 offset1:38
	s_waitcnt vmcnt(14) lgkmcnt(2)
	v_fma_f64 v[112:113], -v[170:171], v[202:203], v[112:113]
	s_waitcnt vmcnt(13)
	v_fma_f64 v[158:159], -v[170:171], v[204:205], v[158:159]
	ds_read2_b64 v[202:205], v225 offset0:39 offset1:40
	s_waitcnt vmcnt(12) lgkmcnt(2)
	v_fma_f64 v[110:111], -v[170:171], v[194:195], v[110:111]
	;; [unrolled: 5-line block ×3, first 2 shown]
	s_waitcnt vmcnt(9)
	v_fma_f64 v[154:155], -v[170:171], v[200:201], v[154:155]
	s_waitcnt vmcnt(8) lgkmcnt(1)
	v_fma_f64 v[106:107], -v[170:171], v[202:203], v[106:107]
	s_waitcnt vmcnt(7)
	v_fma_f64 v[152:153], -v[170:171], v[204:205], v[152:153]
	ds_read2_b64 v[198:201], v225 offset0:43 offset1:44
	ds_read2_b64 v[202:205], v225 offset0:45 offset1:46
	s_waitcnt vmcnt(6) lgkmcnt(2)
	v_fma_f64 v[104:105], -v[170:171], v[194:195], v[104:105]
	s_waitcnt vmcnt(5)
	v_fma_f64 v[150:151], -v[170:171], v[196:197], v[150:151]
	s_waitcnt vmcnt(0)
	v_fma_f64 v[192:193], -v[170:171], v[2:3], v[192:193]
	s_waitcnt lgkmcnt(1)
	v_fma_f64 v[102:103], -v[170:171], v[198:199], v[102:103]
	v_fma_f64 v[148:149], -v[170:171], v[200:201], v[148:149]
	s_waitcnt lgkmcnt(0)
	v_fma_f64 v[100:101], -v[170:171], v[202:203], v[100:101]
	v_fma_f64 v[146:147], -v[170:171], v[204:205], v[146:147]
.LBB95_116:
	s_or_b64 exec, exec, s[2:3]
	v_cmp_eq_u32_e32 vcc, 23, v228
	s_waitcnt lgkmcnt(0)
	s_barrier
	s_and_saveexec_b64 s[2:3], vcc
	s_cbranch_execz .LBB95_119
; %bb.117:
	s_waitcnt vmcnt(37)
	v_mov_b32_e32 v2, v168
	v_mov_b32_e32 v3, v169
	s_waitcnt vmcnt(34)
	v_mov_b32_e32 v194, v120
	v_mov_b32_e32 v195, v121
	ds_write_b64 v224, v[122:123]
	ds_write2_b64 v225, v[2:3], v[194:195] offset0:24 offset1:25
	s_waitcnt vmcnt(31)
	v_mov_b32_e32 v2, v166
	v_mov_b32_e32 v3, v167
	s_waitcnt vmcnt(28)
	v_mov_b32_e32 v194, v118
	v_mov_b32_e32 v195, v119
	ds_write2_b64 v225, v[2:3], v[194:195] offset0:26 offset1:27
	s_waitcnt vmcnt(25)
	v_mov_b32_e32 v2, v164
	v_mov_b32_e32 v3, v165
	s_waitcnt vmcnt(22)
	v_mov_b32_e32 v194, v116
	v_mov_b32_e32 v195, v117
	;; [unrolled: 7-line block ×10, first 2 shown]
	ds_write2_b64 v225, v[2:3], v[194:195] offset0:44 offset1:45
	s_waitcnt vmcnt(1)
	v_mov_b32_e32 v2, v146
	v_mov_b32_e32 v3, v147
	s_waitcnt vmcnt(0)
	ds_write2_b64 v225, v[2:3], v[192:193] offset0:46 offset1:47
	ds_read_b64 v[2:3], v224
	s_waitcnt lgkmcnt(0)
	v_cmp_neq_f64_e32 vcc, 0, v[2:3]
	s_and_b64 exec, exec, vcc
	s_cbranch_execz .LBB95_119
; %bb.118:
	v_div_scale_f64 v[194:195], s[6:7], v[2:3], v[2:3], 1.0
	v_rcp_f64_e32 v[196:197], v[194:195]
	v_div_scale_f64 v[198:199], vcc, 1.0, v[2:3], 1.0
	v_fma_f64 v[200:201], -v[194:195], v[196:197], 1.0
	v_fmac_f64_e32 v[196:197], v[196:197], v[200:201]
	v_fma_f64 v[200:201], -v[194:195], v[196:197], 1.0
	v_fmac_f64_e32 v[196:197], v[196:197], v[200:201]
	v_mul_f64 v[200:201], v[198:199], v[196:197]
	v_fma_f64 v[194:195], -v[194:195], v[200:201], v[198:199]
	v_div_fmas_f64 v[194:195], v[194:195], v[196:197], v[200:201]
	v_div_fixup_f64 v[2:3], v[194:195], v[2:3], 1.0
	ds_write_b64 v224, v[2:3]
.LBB95_119:
	s_or_b64 exec, exec, s[2:3]
	s_waitcnt lgkmcnt(0)
	s_barrier
	ds_read_b64 v[240:241], v224
	v_cmp_lt_u32_e32 vcc, 23, v228
	s_and_saveexec_b64 s[2:3], vcc
	s_cbranch_execz .LBB95_121
; %bb.120:
	ds_read2_b64 v[194:197], v225 offset0:24 offset1:25
	s_waitcnt vmcnt(40) lgkmcnt(1)
	v_mul_f64 v[122:123], v[240:241], v[122:123]
	s_waitcnt vmcnt(37) lgkmcnt(0)
	v_fma_f64 v[168:169], -v[122:123], v[194:195], v[168:169]
	s_waitcnt vmcnt(34)
	v_fma_f64 v[120:121], -v[122:123], v[196:197], v[120:121]
	ds_read2_b64 v[194:197], v225 offset0:26 offset1:27
	s_waitcnt vmcnt(31) lgkmcnt(0)
	v_fma_f64 v[166:167], -v[122:123], v[194:195], v[166:167]
	s_waitcnt vmcnt(28)
	v_fma_f64 v[118:119], -v[122:123], v[196:197], v[118:119]
	ds_read2_b64 v[194:197], v225 offset0:28 offset1:29
	;; [unrolled: 5-line block ×11, first 2 shown]
	s_waitcnt vmcnt(1) lgkmcnt(0)
	v_fma_f64 v[146:147], -v[122:123], v[194:195], v[146:147]
	s_waitcnt vmcnt(0)
	v_fma_f64 v[192:193], -v[122:123], v[196:197], v[192:193]
.LBB95_121:
	s_or_b64 exec, exec, s[2:3]
	v_cmp_eq_u32_e32 vcc, 24, v228
	s_waitcnt lgkmcnt(0)
	s_barrier
	s_and_saveexec_b64 s[2:3], vcc
	s_cbranch_execz .LBB95_124
; %bb.122:
	s_waitcnt vmcnt(37)
	ds_write_b64 v224, v[168:169]
	s_waitcnt vmcnt(31)
	ds_write2_b64 v225, v[120:121], v[166:167] offset0:25 offset1:26
	s_waitcnt vmcnt(25)
	ds_write2_b64 v225, v[118:119], v[164:165] offset0:27 offset1:28
	;; [unrolled: 2-line block ×11, first 2 shown]
	s_waitcnt vmcnt(0)
	ds_write_b64 v225, v[192:193] offset:376
	ds_read_b64 v[2:3], v224
	s_waitcnt lgkmcnt(0)
	v_cmp_neq_f64_e32 vcc, 0, v[2:3]
	s_and_b64 exec, exec, vcc
	s_cbranch_execz .LBB95_124
; %bb.123:
	v_div_scale_f64 v[194:195], s[6:7], v[2:3], v[2:3], 1.0
	v_rcp_f64_e32 v[196:197], v[194:195]
	v_div_scale_f64 v[198:199], vcc, 1.0, v[2:3], 1.0
	v_fma_f64 v[200:201], -v[194:195], v[196:197], 1.0
	v_fmac_f64_e32 v[196:197], v[196:197], v[200:201]
	v_fma_f64 v[200:201], -v[194:195], v[196:197], 1.0
	v_fmac_f64_e32 v[196:197], v[196:197], v[200:201]
	v_mul_f64 v[200:201], v[198:199], v[196:197]
	v_fma_f64 v[194:195], -v[194:195], v[200:201], v[198:199]
	v_div_fmas_f64 v[194:195], v[194:195], v[196:197], v[200:201]
	v_div_fixup_f64 v[2:3], v[194:195], v[2:3], 1.0
	ds_write_b64 v224, v[2:3]
.LBB95_124:
	s_or_b64 exec, exec, s[2:3]
	s_waitcnt lgkmcnt(0)
	s_barrier
	ds_read_b64 v[242:243], v224
	v_cmp_lt_u32_e32 vcc, 24, v228
	s_and_saveexec_b64 s[2:3], vcc
	s_cbranch_execz .LBB95_126
; %bb.125:
	ds_read2_b64 v[194:197], v225 offset0:25 offset1:26
	ds_read_b64 v[2:3], v225 offset:376
	s_waitcnt vmcnt(37) lgkmcnt(2)
	v_mul_f64 v[168:169], v[242:243], v[168:169]
	s_waitcnt vmcnt(34) lgkmcnt(1)
	v_fma_f64 v[120:121], -v[168:169], v[194:195], v[120:121]
	s_waitcnt vmcnt(31)
	v_fma_f64 v[166:167], -v[168:169], v[196:197], v[166:167]
	ds_read2_b64 v[194:197], v225 offset0:27 offset1:28
	s_waitcnt vmcnt(0) lgkmcnt(1)
	v_fma_f64 v[192:193], -v[168:169], v[2:3], v[192:193]
	s_waitcnt lgkmcnt(0)
	v_fma_f64 v[118:119], -v[168:169], v[194:195], v[118:119]
	v_fma_f64 v[164:165], -v[168:169], v[196:197], v[164:165]
	ds_read2_b64 v[194:197], v225 offset0:29 offset1:30
	s_waitcnt lgkmcnt(0)
	v_fma_f64 v[116:117], -v[168:169], v[194:195], v[116:117]
	v_fma_f64 v[162:163], -v[168:169], v[196:197], v[162:163]
	ds_read2_b64 v[194:197], v225 offset0:31 offset1:32
	;; [unrolled: 4-line block ×9, first 2 shown]
	s_waitcnt lgkmcnt(0)
	v_fma_f64 v[100:101], -v[168:169], v[194:195], v[100:101]
	v_fma_f64 v[146:147], -v[168:169], v[196:197], v[146:147]
.LBB95_126:
	s_or_b64 exec, exec, s[2:3]
	v_cmp_eq_u32_e32 vcc, 25, v228
	s_waitcnt lgkmcnt(0)
	s_barrier
	s_and_saveexec_b64 s[2:3], vcc
	s_cbranch_execz .LBB95_129
; %bb.127:
	s_waitcnt vmcnt(31)
	v_mov_b32_e32 v2, v166
	v_mov_b32_e32 v3, v167
	s_waitcnt vmcnt(28)
	v_mov_b32_e32 v194, v118
	v_mov_b32_e32 v195, v119
	ds_write_b64 v224, v[120:121]
	ds_write2_b64 v225, v[2:3], v[194:195] offset0:26 offset1:27
	s_waitcnt vmcnt(25)
	v_mov_b32_e32 v2, v164
	v_mov_b32_e32 v3, v165
	s_waitcnt vmcnt(22)
	v_mov_b32_e32 v194, v116
	v_mov_b32_e32 v195, v117
	ds_write2_b64 v225, v[2:3], v[194:195] offset0:28 offset1:29
	s_waitcnt vmcnt(19)
	v_mov_b32_e32 v2, v162
	v_mov_b32_e32 v3, v163
	s_waitcnt vmcnt(16)
	v_mov_b32_e32 v194, v114
	v_mov_b32_e32 v195, v115
	;; [unrolled: 7-line block ×9, first 2 shown]
	ds_write2_b64 v225, v[2:3], v[194:195] offset0:44 offset1:45
	s_waitcnt vmcnt(1)
	v_mov_b32_e32 v2, v146
	v_mov_b32_e32 v3, v147
	s_waitcnt vmcnt(0)
	ds_write2_b64 v225, v[2:3], v[192:193] offset0:46 offset1:47
	ds_read_b64 v[2:3], v224
	s_waitcnt lgkmcnt(0)
	v_cmp_neq_f64_e32 vcc, 0, v[2:3]
	s_and_b64 exec, exec, vcc
	s_cbranch_execz .LBB95_129
; %bb.128:
	v_div_scale_f64 v[194:195], s[6:7], v[2:3], v[2:3], 1.0
	v_rcp_f64_e32 v[196:197], v[194:195]
	v_div_scale_f64 v[198:199], vcc, 1.0, v[2:3], 1.0
	v_fma_f64 v[200:201], -v[194:195], v[196:197], 1.0
	v_fmac_f64_e32 v[196:197], v[196:197], v[200:201]
	v_fma_f64 v[200:201], -v[194:195], v[196:197], 1.0
	v_fmac_f64_e32 v[196:197], v[196:197], v[200:201]
	v_mul_f64 v[200:201], v[198:199], v[196:197]
	v_fma_f64 v[194:195], -v[194:195], v[200:201], v[198:199]
	v_div_fmas_f64 v[194:195], v[194:195], v[196:197], v[200:201]
	v_div_fixup_f64 v[2:3], v[194:195], v[2:3], 1.0
	ds_write_b64 v224, v[2:3]
.LBB95_129:
	s_or_b64 exec, exec, s[2:3]
	s_waitcnt lgkmcnt(0)
	s_barrier
	ds_read_b64 v[244:245], v224
	v_cmp_lt_u32_e32 vcc, 25, v228
	s_and_saveexec_b64 s[2:3], vcc
	s_cbranch_execz .LBB95_131
; %bb.130:
	ds_read2_b64 v[194:197], v225 offset0:26 offset1:27
	s_waitcnt vmcnt(34) lgkmcnt(1)
	v_mul_f64 v[120:121], v[244:245], v[120:121]
	s_waitcnt vmcnt(31) lgkmcnt(0)
	v_fma_f64 v[166:167], -v[120:121], v[194:195], v[166:167]
	s_waitcnt vmcnt(28)
	v_fma_f64 v[118:119], -v[120:121], v[196:197], v[118:119]
	ds_read2_b64 v[194:197], v225 offset0:28 offset1:29
	s_waitcnt vmcnt(25) lgkmcnt(0)
	v_fma_f64 v[164:165], -v[120:121], v[194:195], v[164:165]
	s_waitcnt vmcnt(22)
	v_fma_f64 v[116:117], -v[120:121], v[196:197], v[116:117]
	ds_read2_b64 v[194:197], v225 offset0:30 offset1:31
	;; [unrolled: 5-line block ×10, first 2 shown]
	s_waitcnt vmcnt(1) lgkmcnt(0)
	v_fma_f64 v[146:147], -v[120:121], v[194:195], v[146:147]
	s_waitcnt vmcnt(0)
	v_fma_f64 v[192:193], -v[120:121], v[196:197], v[192:193]
.LBB95_131:
	s_or_b64 exec, exec, s[2:3]
	v_cmp_eq_u32_e32 vcc, 26, v228
	s_waitcnt lgkmcnt(0)
	s_barrier
	s_and_saveexec_b64 s[2:3], vcc
	s_cbranch_execz .LBB95_134
; %bb.132:
	s_waitcnt vmcnt(31)
	ds_write_b64 v224, v[166:167]
	s_waitcnt vmcnt(25)
	ds_write2_b64 v225, v[118:119], v[164:165] offset0:27 offset1:28
	s_waitcnt vmcnt(19)
	ds_write2_b64 v225, v[116:117], v[162:163] offset0:29 offset1:30
	;; [unrolled: 2-line block ×10, first 2 shown]
	s_waitcnt vmcnt(0)
	ds_write_b64 v225, v[192:193] offset:376
	ds_read_b64 v[2:3], v224
	s_waitcnt lgkmcnt(0)
	v_cmp_neq_f64_e32 vcc, 0, v[2:3]
	s_and_b64 exec, exec, vcc
	s_cbranch_execz .LBB95_134
; %bb.133:
	v_div_scale_f64 v[194:195], s[6:7], v[2:3], v[2:3], 1.0
	v_rcp_f64_e32 v[196:197], v[194:195]
	v_div_scale_f64 v[198:199], vcc, 1.0, v[2:3], 1.0
	v_fma_f64 v[200:201], -v[194:195], v[196:197], 1.0
	v_fmac_f64_e32 v[196:197], v[196:197], v[200:201]
	v_fma_f64 v[200:201], -v[194:195], v[196:197], 1.0
	v_fmac_f64_e32 v[196:197], v[196:197], v[200:201]
	v_mul_f64 v[200:201], v[198:199], v[196:197]
	v_fma_f64 v[194:195], -v[194:195], v[200:201], v[198:199]
	v_div_fmas_f64 v[194:195], v[194:195], v[196:197], v[200:201]
	v_div_fixup_f64 v[2:3], v[194:195], v[2:3], 1.0
	ds_write_b64 v224, v[2:3]
.LBB95_134:
	s_or_b64 exec, exec, s[2:3]
	s_waitcnt lgkmcnt(0)
	s_barrier
	ds_read_b64 v[246:247], v224
	v_cmp_lt_u32_e32 vcc, 26, v228
	s_and_saveexec_b64 s[2:3], vcc
	s_cbranch_execz .LBB95_136
; %bb.135:
	ds_read2_b64 v[194:197], v225 offset0:27 offset1:28
	ds_read_b64 v[2:3], v225 offset:376
	s_waitcnt vmcnt(31) lgkmcnt(2)
	v_mul_f64 v[166:167], v[246:247], v[166:167]
	s_waitcnt vmcnt(28) lgkmcnt(1)
	v_fma_f64 v[118:119], -v[166:167], v[194:195], v[118:119]
	s_waitcnt vmcnt(25)
	v_fma_f64 v[164:165], -v[166:167], v[196:197], v[164:165]
	ds_read2_b64 v[194:197], v225 offset0:29 offset1:30
	s_waitcnt vmcnt(0) lgkmcnt(1)
	v_fma_f64 v[192:193], -v[166:167], v[2:3], v[192:193]
	s_waitcnt lgkmcnt(0)
	v_fma_f64 v[116:117], -v[166:167], v[194:195], v[116:117]
	v_fma_f64 v[162:163], -v[166:167], v[196:197], v[162:163]
	ds_read2_b64 v[194:197], v225 offset0:31 offset1:32
	s_waitcnt lgkmcnt(0)
	v_fma_f64 v[114:115], -v[166:167], v[194:195], v[114:115]
	v_fma_f64 v[160:161], -v[166:167], v[196:197], v[160:161]
	ds_read2_b64 v[194:197], v225 offset0:33 offset1:34
	;; [unrolled: 4-line block ×8, first 2 shown]
	s_waitcnt lgkmcnt(0)
	v_fma_f64 v[100:101], -v[166:167], v[194:195], v[100:101]
	v_fma_f64 v[146:147], -v[166:167], v[196:197], v[146:147]
.LBB95_136:
	s_or_b64 exec, exec, s[2:3]
	v_cmp_eq_u32_e32 vcc, 27, v228
	s_waitcnt lgkmcnt(0)
	s_barrier
	s_and_saveexec_b64 s[2:3], vcc
	s_cbranch_execz .LBB95_139
; %bb.137:
	s_waitcnt vmcnt(25)
	v_mov_b32_e32 v2, v164
	v_mov_b32_e32 v3, v165
	s_waitcnt vmcnt(22)
	v_mov_b32_e32 v194, v116
	v_mov_b32_e32 v195, v117
	ds_write_b64 v224, v[118:119]
	ds_write2_b64 v225, v[2:3], v[194:195] offset0:28 offset1:29
	s_waitcnt vmcnt(19)
	v_mov_b32_e32 v2, v162
	v_mov_b32_e32 v3, v163
	s_waitcnt vmcnt(16)
	v_mov_b32_e32 v194, v114
	v_mov_b32_e32 v195, v115
	ds_write2_b64 v225, v[2:3], v[194:195] offset0:30 offset1:31
	s_waitcnt vmcnt(15)
	v_mov_b32_e32 v2, v160
	v_mov_b32_e32 v3, v161
	s_waitcnt vmcnt(14)
	v_mov_b32_e32 v194, v112
	v_mov_b32_e32 v195, v113
	;; [unrolled: 7-line block ×8, first 2 shown]
	ds_write2_b64 v225, v[2:3], v[194:195] offset0:44 offset1:45
	s_waitcnt vmcnt(1)
	v_mov_b32_e32 v2, v146
	v_mov_b32_e32 v3, v147
	s_waitcnt vmcnt(0)
	ds_write2_b64 v225, v[2:3], v[192:193] offset0:46 offset1:47
	ds_read_b64 v[2:3], v224
	s_waitcnt lgkmcnt(0)
	v_cmp_neq_f64_e32 vcc, 0, v[2:3]
	s_and_b64 exec, exec, vcc
	s_cbranch_execz .LBB95_139
; %bb.138:
	v_div_scale_f64 v[194:195], s[6:7], v[2:3], v[2:3], 1.0
	v_rcp_f64_e32 v[196:197], v[194:195]
	v_div_scale_f64 v[198:199], vcc, 1.0, v[2:3], 1.0
	v_fma_f64 v[200:201], -v[194:195], v[196:197], 1.0
	v_fmac_f64_e32 v[196:197], v[196:197], v[200:201]
	v_fma_f64 v[200:201], -v[194:195], v[196:197], 1.0
	v_fmac_f64_e32 v[196:197], v[196:197], v[200:201]
	v_mul_f64 v[200:201], v[198:199], v[196:197]
	v_fma_f64 v[194:195], -v[194:195], v[200:201], v[198:199]
	v_div_fmas_f64 v[194:195], v[194:195], v[196:197], v[200:201]
	v_div_fixup_f64 v[2:3], v[194:195], v[2:3], 1.0
	ds_write_b64 v224, v[2:3]
.LBB95_139:
	s_or_b64 exec, exec, s[2:3]
	s_waitcnt lgkmcnt(0)
	s_barrier
	ds_read_b64 v[248:249], v224
	v_cmp_lt_u32_e32 vcc, 27, v228
	s_and_saveexec_b64 s[2:3], vcc
	s_cbranch_execz .LBB95_141
; %bb.140:
	ds_read2_b64 v[194:197], v225 offset0:28 offset1:29
	s_waitcnt vmcnt(28) lgkmcnt(1)
	v_mul_f64 v[118:119], v[248:249], v[118:119]
	s_waitcnt vmcnt(25) lgkmcnt(0)
	v_fma_f64 v[164:165], -v[118:119], v[194:195], v[164:165]
	s_waitcnt vmcnt(22)
	v_fma_f64 v[116:117], -v[118:119], v[196:197], v[116:117]
	ds_read2_b64 v[194:197], v225 offset0:30 offset1:31
	s_waitcnt vmcnt(19) lgkmcnt(0)
	v_fma_f64 v[162:163], -v[118:119], v[194:195], v[162:163]
	s_waitcnt vmcnt(16)
	v_fma_f64 v[114:115], -v[118:119], v[196:197], v[114:115]
	ds_read2_b64 v[194:197], v225 offset0:32 offset1:33
	;; [unrolled: 5-line block ×9, first 2 shown]
	s_waitcnt vmcnt(1) lgkmcnt(0)
	v_fma_f64 v[146:147], -v[118:119], v[194:195], v[146:147]
	s_waitcnt vmcnt(0)
	v_fma_f64 v[192:193], -v[118:119], v[196:197], v[192:193]
.LBB95_141:
	s_or_b64 exec, exec, s[2:3]
	v_cmp_eq_u32_e32 vcc, 28, v228
	s_waitcnt lgkmcnt(0)
	s_barrier
	s_and_saveexec_b64 s[2:3], vcc
	s_cbranch_execz .LBB95_144
; %bb.142:
	s_waitcnt vmcnt(25)
	ds_write_b64 v224, v[164:165]
	s_waitcnt vmcnt(19)
	ds_write2_b64 v225, v[116:117], v[162:163] offset0:29 offset1:30
	s_waitcnt vmcnt(15)
	ds_write2_b64 v225, v[114:115], v[160:161] offset0:31 offset1:32
	;; [unrolled: 2-line block ×9, first 2 shown]
	s_waitcnt vmcnt(0)
	ds_write_b64 v225, v[192:193] offset:376
	ds_read_b64 v[2:3], v224
	s_waitcnt lgkmcnt(0)
	v_cmp_neq_f64_e32 vcc, 0, v[2:3]
	s_and_b64 exec, exec, vcc
	s_cbranch_execz .LBB95_144
; %bb.143:
	v_div_scale_f64 v[194:195], s[6:7], v[2:3], v[2:3], 1.0
	v_rcp_f64_e32 v[196:197], v[194:195]
	v_div_scale_f64 v[198:199], vcc, 1.0, v[2:3], 1.0
	v_fma_f64 v[200:201], -v[194:195], v[196:197], 1.0
	v_fmac_f64_e32 v[196:197], v[196:197], v[200:201]
	v_fma_f64 v[200:201], -v[194:195], v[196:197], 1.0
	v_fmac_f64_e32 v[196:197], v[196:197], v[200:201]
	v_mul_f64 v[200:201], v[198:199], v[196:197]
	v_fma_f64 v[194:195], -v[194:195], v[200:201], v[198:199]
	v_div_fmas_f64 v[194:195], v[194:195], v[196:197], v[200:201]
	v_div_fixup_f64 v[2:3], v[194:195], v[2:3], 1.0
	ds_write_b64 v224, v[2:3]
.LBB95_144:
	s_or_b64 exec, exec, s[2:3]
	s_waitcnt lgkmcnt(0)
	s_barrier
	ds_read_b64 v[250:251], v224
	v_cmp_lt_u32_e32 vcc, 28, v228
	s_and_saveexec_b64 s[2:3], vcc
	s_cbranch_execz .LBB95_146
; %bb.145:
	ds_read2_b64 v[194:197], v225 offset0:29 offset1:30
	ds_read_b64 v[2:3], v225 offset:376
	s_waitcnt vmcnt(25) lgkmcnt(2)
	v_mul_f64 v[164:165], v[250:251], v[164:165]
	s_waitcnt vmcnt(22) lgkmcnt(1)
	v_fma_f64 v[116:117], -v[164:165], v[194:195], v[116:117]
	s_waitcnt vmcnt(19)
	v_fma_f64 v[162:163], -v[164:165], v[196:197], v[162:163]
	ds_read2_b64 v[194:197], v225 offset0:31 offset1:32
	s_waitcnt vmcnt(0) lgkmcnt(1)
	v_fma_f64 v[192:193], -v[164:165], v[2:3], v[192:193]
	s_waitcnt lgkmcnt(0)
	v_fma_f64 v[114:115], -v[164:165], v[194:195], v[114:115]
	v_fma_f64 v[160:161], -v[164:165], v[196:197], v[160:161]
	ds_read2_b64 v[194:197], v225 offset0:33 offset1:34
	s_waitcnt lgkmcnt(0)
	v_fma_f64 v[112:113], -v[164:165], v[194:195], v[112:113]
	v_fma_f64 v[158:159], -v[164:165], v[196:197], v[158:159]
	ds_read2_b64 v[194:197], v225 offset0:35 offset1:36
	;; [unrolled: 4-line block ×7, first 2 shown]
	s_waitcnt lgkmcnt(0)
	v_fma_f64 v[100:101], -v[164:165], v[194:195], v[100:101]
	v_fma_f64 v[146:147], -v[164:165], v[196:197], v[146:147]
.LBB95_146:
	s_or_b64 exec, exec, s[2:3]
	v_cmp_eq_u32_e32 vcc, 29, v228
	s_waitcnt lgkmcnt(0)
	s_barrier
	s_and_saveexec_b64 s[2:3], vcc
	s_cbranch_execz .LBB95_149
; %bb.147:
	s_waitcnt vmcnt(19)
	v_mov_b32_e32 v2, v162
	v_mov_b32_e32 v3, v163
	s_waitcnt vmcnt(16)
	v_mov_b32_e32 v194, v114
	v_mov_b32_e32 v195, v115
	ds_write_b64 v224, v[116:117]
	ds_write2_b64 v225, v[2:3], v[194:195] offset0:30 offset1:31
	s_waitcnt vmcnt(15)
	v_mov_b32_e32 v2, v160
	v_mov_b32_e32 v3, v161
	s_waitcnt vmcnt(14)
	v_mov_b32_e32 v194, v112
	v_mov_b32_e32 v195, v113
	ds_write2_b64 v225, v[2:3], v[194:195] offset0:32 offset1:33
	s_waitcnt vmcnt(13)
	v_mov_b32_e32 v2, v158
	v_mov_b32_e32 v3, v159
	s_waitcnt vmcnt(12)
	v_mov_b32_e32 v194, v110
	v_mov_b32_e32 v195, v111
	;; [unrolled: 7-line block ×7, first 2 shown]
	ds_write2_b64 v225, v[2:3], v[194:195] offset0:44 offset1:45
	s_waitcnt vmcnt(1)
	v_mov_b32_e32 v2, v146
	v_mov_b32_e32 v3, v147
	s_waitcnt vmcnt(0)
	ds_write2_b64 v225, v[2:3], v[192:193] offset0:46 offset1:47
	ds_read_b64 v[2:3], v224
	s_waitcnt lgkmcnt(0)
	v_cmp_neq_f64_e32 vcc, 0, v[2:3]
	s_and_b64 exec, exec, vcc
	s_cbranch_execz .LBB95_149
; %bb.148:
	v_div_scale_f64 v[194:195], s[6:7], v[2:3], v[2:3], 1.0
	v_rcp_f64_e32 v[196:197], v[194:195]
	v_div_scale_f64 v[198:199], vcc, 1.0, v[2:3], 1.0
	v_fma_f64 v[200:201], -v[194:195], v[196:197], 1.0
	v_fmac_f64_e32 v[196:197], v[196:197], v[200:201]
	v_fma_f64 v[200:201], -v[194:195], v[196:197], 1.0
	v_fmac_f64_e32 v[196:197], v[196:197], v[200:201]
	v_mul_f64 v[200:201], v[198:199], v[196:197]
	v_fma_f64 v[194:195], -v[194:195], v[200:201], v[198:199]
	v_div_fmas_f64 v[194:195], v[194:195], v[196:197], v[200:201]
	v_div_fixup_f64 v[2:3], v[194:195], v[2:3], 1.0
	ds_write_b64 v224, v[2:3]
.LBB95_149:
	s_or_b64 exec, exec, s[2:3]
	s_waitcnt lgkmcnt(0)
	s_barrier
	ds_read_b64 v[252:253], v224
	v_cmp_lt_u32_e32 vcc, 29, v228
	s_and_saveexec_b64 s[2:3], vcc
	s_cbranch_execz .LBB95_151
; %bb.150:
	ds_read2_b64 v[194:197], v225 offset0:30 offset1:31
	s_waitcnt vmcnt(22) lgkmcnt(1)
	v_mul_f64 v[116:117], v[252:253], v[116:117]
	s_waitcnt vmcnt(19) lgkmcnt(0)
	v_fma_f64 v[162:163], -v[116:117], v[194:195], v[162:163]
	s_waitcnt vmcnt(16)
	v_fma_f64 v[114:115], -v[116:117], v[196:197], v[114:115]
	ds_read2_b64 v[194:197], v225 offset0:32 offset1:33
	s_waitcnt vmcnt(15) lgkmcnt(0)
	v_fma_f64 v[160:161], -v[116:117], v[194:195], v[160:161]
	s_waitcnt vmcnt(14)
	v_fma_f64 v[112:113], -v[116:117], v[196:197], v[112:113]
	ds_read2_b64 v[194:197], v225 offset0:34 offset1:35
	s_waitcnt vmcnt(13) lgkmcnt(0)
	v_fma_f64 v[158:159], -v[116:117], v[194:195], v[158:159]
	s_waitcnt vmcnt(12)
	v_fma_f64 v[110:111], -v[116:117], v[196:197], v[110:111]
	ds_read2_b64 v[194:197], v225 offset0:36 offset1:37
	s_waitcnt vmcnt(11) lgkmcnt(0)
	v_fma_f64 v[156:157], -v[116:117], v[194:195], v[156:157]
	s_waitcnt vmcnt(10)
	v_fma_f64 v[108:109], -v[116:117], v[196:197], v[108:109]
	ds_read2_b64 v[194:197], v225 offset0:38 offset1:39
	s_waitcnt vmcnt(9) lgkmcnt(0)
	v_fma_f64 v[154:155], -v[116:117], v[194:195], v[154:155]
	s_waitcnt vmcnt(8)
	v_fma_f64 v[106:107], -v[116:117], v[196:197], v[106:107]
	ds_read2_b64 v[194:197], v225 offset0:40 offset1:41
	s_waitcnt vmcnt(7) lgkmcnt(0)
	v_fma_f64 v[152:153], -v[116:117], v[194:195], v[152:153]
	s_waitcnt vmcnt(6)
	v_fma_f64 v[104:105], -v[116:117], v[196:197], v[104:105]
	ds_read2_b64 v[194:197], v225 offset0:42 offset1:43
	s_waitcnt vmcnt(5) lgkmcnt(0)
	v_fma_f64 v[150:151], -v[116:117], v[194:195], v[150:151]
	s_waitcnt vmcnt(4)
	v_fma_f64 v[102:103], -v[116:117], v[196:197], v[102:103]
	ds_read2_b64 v[194:197], v225 offset0:44 offset1:45
	s_waitcnt vmcnt(3) lgkmcnt(0)
	v_fma_f64 v[148:149], -v[116:117], v[194:195], v[148:149]
	s_waitcnt vmcnt(2)
	v_fma_f64 v[100:101], -v[116:117], v[196:197], v[100:101]
	ds_read2_b64 v[194:197], v225 offset0:46 offset1:47
	s_waitcnt vmcnt(1) lgkmcnt(0)
	v_fma_f64 v[146:147], -v[116:117], v[194:195], v[146:147]
	s_waitcnt vmcnt(0)
	v_fma_f64 v[192:193], -v[116:117], v[196:197], v[192:193]
.LBB95_151:
	s_or_b64 exec, exec, s[2:3]
	v_cmp_eq_u32_e32 vcc, 30, v228
	s_waitcnt lgkmcnt(0)
	s_barrier
	s_and_saveexec_b64 s[2:3], vcc
	s_cbranch_execz .LBB95_154
; %bb.152:
	s_waitcnt vmcnt(19)
	ds_write_b64 v224, v[162:163]
	s_waitcnt vmcnt(15)
	ds_write2_b64 v225, v[114:115], v[160:161] offset0:31 offset1:32
	s_waitcnt vmcnt(13)
	ds_write2_b64 v225, v[112:113], v[158:159] offset0:33 offset1:34
	;; [unrolled: 2-line block ×8, first 2 shown]
	s_waitcnt vmcnt(0)
	ds_write_b64 v225, v[192:193] offset:376
	ds_read_b64 v[2:3], v224
	s_waitcnt lgkmcnt(0)
	v_cmp_neq_f64_e32 vcc, 0, v[2:3]
	s_and_b64 exec, exec, vcc
	s_cbranch_execz .LBB95_154
; %bb.153:
	v_div_scale_f64 v[194:195], s[6:7], v[2:3], v[2:3], 1.0
	v_rcp_f64_e32 v[196:197], v[194:195]
	v_div_scale_f64 v[198:199], vcc, 1.0, v[2:3], 1.0
	v_fma_f64 v[200:201], -v[194:195], v[196:197], 1.0
	v_fmac_f64_e32 v[196:197], v[196:197], v[200:201]
	v_fma_f64 v[200:201], -v[194:195], v[196:197], 1.0
	v_fmac_f64_e32 v[196:197], v[196:197], v[200:201]
	v_mul_f64 v[200:201], v[198:199], v[196:197]
	v_fma_f64 v[194:195], -v[194:195], v[200:201], v[198:199]
	v_div_fmas_f64 v[194:195], v[194:195], v[196:197], v[200:201]
	v_div_fixup_f64 v[2:3], v[194:195], v[2:3], 1.0
	ds_write_b64 v224, v[2:3]
.LBB95_154:
	s_or_b64 exec, exec, s[2:3]
	s_waitcnt lgkmcnt(0)
	s_barrier
	ds_read_b64 v[254:255], v224
	v_cmp_lt_u32_e32 vcc, 30, v228
	s_and_saveexec_b64 s[2:3], vcc
	s_cbranch_execz .LBB95_156
; %bb.155:
	ds_read2_b64 v[194:197], v225 offset0:31 offset1:32
	ds_read_b64 v[2:3], v225 offset:376
	s_waitcnt vmcnt(19) lgkmcnt(2)
	v_mul_f64 v[162:163], v[254:255], v[162:163]
	s_waitcnt vmcnt(16) lgkmcnt(1)
	v_fma_f64 v[114:115], -v[162:163], v[194:195], v[114:115]
	s_waitcnt vmcnt(15)
	v_fma_f64 v[160:161], -v[162:163], v[196:197], v[160:161]
	ds_read2_b64 v[194:197], v225 offset0:33 offset1:34
	s_waitcnt vmcnt(0) lgkmcnt(1)
	v_fma_f64 v[192:193], -v[162:163], v[2:3], v[192:193]
	s_waitcnt lgkmcnt(0)
	v_fma_f64 v[112:113], -v[162:163], v[194:195], v[112:113]
	v_fma_f64 v[158:159], -v[162:163], v[196:197], v[158:159]
	ds_read2_b64 v[194:197], v225 offset0:35 offset1:36
	s_waitcnt lgkmcnt(0)
	v_fma_f64 v[110:111], -v[162:163], v[194:195], v[110:111]
	v_fma_f64 v[156:157], -v[162:163], v[196:197], v[156:157]
	ds_read2_b64 v[194:197], v225 offset0:37 offset1:38
	;; [unrolled: 4-line block ×6, first 2 shown]
	s_waitcnt lgkmcnt(0)
	v_fma_f64 v[100:101], -v[162:163], v[194:195], v[100:101]
	v_fma_f64 v[146:147], -v[162:163], v[196:197], v[146:147]
.LBB95_156:
	s_or_b64 exec, exec, s[2:3]
	v_cmp_eq_u32_e32 vcc, 31, v228
	s_waitcnt lgkmcnt(0)
	s_barrier
	s_and_saveexec_b64 s[2:3], vcc
	s_cbranch_execz .LBB95_159
; %bb.157:
	s_waitcnt vmcnt(15)
	v_mov_b32_e32 v2, v160
	v_mov_b32_e32 v3, v161
	s_waitcnt vmcnt(14)
	v_mov_b32_e32 v194, v112
	v_mov_b32_e32 v195, v113
	ds_write_b64 v224, v[114:115]
	ds_write2_b64 v225, v[2:3], v[194:195] offset0:32 offset1:33
	s_waitcnt vmcnt(13)
	v_mov_b32_e32 v2, v158
	v_mov_b32_e32 v3, v159
	s_waitcnt vmcnt(12)
	v_mov_b32_e32 v194, v110
	v_mov_b32_e32 v195, v111
	ds_write2_b64 v225, v[2:3], v[194:195] offset0:34 offset1:35
	s_waitcnt vmcnt(11)
	v_mov_b32_e32 v2, v156
	v_mov_b32_e32 v3, v157
	s_waitcnt vmcnt(10)
	v_mov_b32_e32 v194, v108
	v_mov_b32_e32 v195, v109
	ds_write2_b64 v225, v[2:3], v[194:195] offset0:36 offset1:37
	s_waitcnt vmcnt(9)
	v_mov_b32_e32 v2, v154
	v_mov_b32_e32 v3, v155
	s_waitcnt vmcnt(8)
	v_mov_b32_e32 v194, v106
	v_mov_b32_e32 v195, v107
	ds_write2_b64 v225, v[2:3], v[194:195] offset0:38 offset1:39
	s_waitcnt vmcnt(7)
	v_mov_b32_e32 v2, v152
	v_mov_b32_e32 v3, v153
	s_waitcnt vmcnt(6)
	v_mov_b32_e32 v194, v104
	v_mov_b32_e32 v195, v105
	ds_write2_b64 v225, v[2:3], v[194:195] offset0:40 offset1:41
	s_waitcnt vmcnt(5)
	v_mov_b32_e32 v2, v150
	v_mov_b32_e32 v3, v151
	s_waitcnt vmcnt(4)
	v_mov_b32_e32 v194, v102
	v_mov_b32_e32 v195, v103
	ds_write2_b64 v225, v[2:3], v[194:195] offset0:42 offset1:43
	s_waitcnt vmcnt(3)
	v_mov_b32_e32 v2, v148
	v_mov_b32_e32 v3, v149
	s_waitcnt vmcnt(2)
	v_mov_b32_e32 v194, v100
	v_mov_b32_e32 v195, v101
	ds_write2_b64 v225, v[2:3], v[194:195] offset0:44 offset1:45
	s_waitcnt vmcnt(1)
	v_mov_b32_e32 v2, v146
	v_mov_b32_e32 v3, v147
	s_waitcnt vmcnt(0)
	ds_write2_b64 v225, v[2:3], v[192:193] offset0:46 offset1:47
	ds_read_b64 v[2:3], v224
	s_waitcnt lgkmcnt(0)
	v_cmp_neq_f64_e32 vcc, 0, v[2:3]
	s_and_b64 exec, exec, vcc
	s_cbranch_execz .LBB95_159
; %bb.158:
	v_div_scale_f64 v[194:195], s[6:7], v[2:3], v[2:3], 1.0
	v_rcp_f64_e32 v[196:197], v[194:195]
	v_div_scale_f64 v[198:199], vcc, 1.0, v[2:3], 1.0
	v_fma_f64 v[200:201], -v[194:195], v[196:197], 1.0
	v_fmac_f64_e32 v[196:197], v[196:197], v[200:201]
	v_fma_f64 v[200:201], -v[194:195], v[196:197], 1.0
	v_fmac_f64_e32 v[196:197], v[196:197], v[200:201]
	v_mul_f64 v[200:201], v[198:199], v[196:197]
	v_fma_f64 v[194:195], -v[194:195], v[200:201], v[198:199]
	v_div_fmas_f64 v[194:195], v[194:195], v[196:197], v[200:201]
	v_div_fixup_f64 v[2:3], v[194:195], v[2:3], 1.0
	ds_write_b64 v224, v[2:3]
.LBB95_159:
	s_or_b64 exec, exec, s[2:3]
	s_waitcnt lgkmcnt(0)
	s_barrier
	ds_read_b64 v[194:195], v224
	v_cmp_lt_u32_e32 vcc, 31, v228
	s_and_saveexec_b64 s[2:3], vcc
	s_cbranch_execz .LBB95_161
; %bb.160:
	ds_read2_b64 v[196:199], v225 offset0:32 offset1:33
	s_waitcnt vmcnt(16) lgkmcnt(1)
	v_mul_f64 v[114:115], v[194:195], v[114:115]
	s_waitcnt vmcnt(15) lgkmcnt(0)
	v_fma_f64 v[160:161], -v[114:115], v[196:197], v[160:161]
	s_waitcnt vmcnt(14)
	v_fma_f64 v[112:113], -v[114:115], v[198:199], v[112:113]
	ds_read2_b64 v[196:199], v225 offset0:34 offset1:35
	s_waitcnt vmcnt(13) lgkmcnt(0)
	v_fma_f64 v[158:159], -v[114:115], v[196:197], v[158:159]
	s_waitcnt vmcnt(12)
	v_fma_f64 v[110:111], -v[114:115], v[198:199], v[110:111]
	ds_read2_b64 v[196:199], v225 offset0:36 offset1:37
	;; [unrolled: 5-line block ×7, first 2 shown]
	s_waitcnt vmcnt(1) lgkmcnt(0)
	v_fma_f64 v[146:147], -v[114:115], v[196:197], v[146:147]
	s_waitcnt vmcnt(0)
	v_fma_f64 v[192:193], -v[114:115], v[198:199], v[192:193]
.LBB95_161:
	s_or_b64 exec, exec, s[2:3]
	v_cmp_eq_u32_e32 vcc, 32, v228
	s_waitcnt lgkmcnt(0)
	s_barrier
	s_and_saveexec_b64 s[2:3], vcc
	s_cbranch_execz .LBB95_164
; %bb.162:
	s_waitcnt vmcnt(15)
	ds_write_b64 v224, v[160:161]
	s_waitcnt vmcnt(13)
	ds_write2_b64 v225, v[112:113], v[158:159] offset0:33 offset1:34
	s_waitcnt vmcnt(11)
	ds_write2_b64 v225, v[110:111], v[156:157] offset0:35 offset1:36
	;; [unrolled: 2-line block ×7, first 2 shown]
	s_waitcnt vmcnt(0)
	ds_write_b64 v225, v[192:193] offset:376
	ds_read_b64 v[2:3], v224
	s_waitcnt lgkmcnt(0)
	v_cmp_neq_f64_e32 vcc, 0, v[2:3]
	s_and_b64 exec, exec, vcc
	s_cbranch_execz .LBB95_164
; %bb.163:
	v_div_scale_f64 v[196:197], s[6:7], v[2:3], v[2:3], 1.0
	v_rcp_f64_e32 v[198:199], v[196:197]
	v_div_scale_f64 v[200:201], vcc, 1.0, v[2:3], 1.0
	v_fma_f64 v[202:203], -v[196:197], v[198:199], 1.0
	v_fmac_f64_e32 v[198:199], v[198:199], v[202:203]
	v_fma_f64 v[202:203], -v[196:197], v[198:199], 1.0
	v_fmac_f64_e32 v[198:199], v[198:199], v[202:203]
	v_mul_f64 v[202:203], v[200:201], v[198:199]
	v_fma_f64 v[196:197], -v[196:197], v[202:203], v[200:201]
	v_div_fmas_f64 v[196:197], v[196:197], v[198:199], v[202:203]
	v_div_fixup_f64 v[2:3], v[196:197], v[2:3], 1.0
	ds_write_b64 v224, v[2:3]
.LBB95_164:
	s_or_b64 exec, exec, s[2:3]
	s_waitcnt lgkmcnt(0)
	s_barrier
	ds_read_b64 v[196:197], v224
	v_cmp_lt_u32_e32 vcc, 32, v228
	s_and_saveexec_b64 s[2:3], vcc
	s_cbranch_execz .LBB95_166
; %bb.165:
	ds_read2_b64 v[198:201], v225 offset0:33 offset1:34
	ds_read_b64 v[2:3], v225 offset:376
	s_waitcnt vmcnt(15) lgkmcnt(2)
	v_mul_f64 v[160:161], v[196:197], v[160:161]
	s_waitcnt vmcnt(14) lgkmcnt(1)
	v_fma_f64 v[112:113], -v[160:161], v[198:199], v[112:113]
	s_waitcnt vmcnt(13)
	v_fma_f64 v[158:159], -v[160:161], v[200:201], v[158:159]
	ds_read2_b64 v[198:201], v225 offset0:35 offset1:36
	s_waitcnt vmcnt(0) lgkmcnt(1)
	v_fma_f64 v[192:193], -v[160:161], v[2:3], v[192:193]
	s_waitcnt lgkmcnt(0)
	v_fma_f64 v[110:111], -v[160:161], v[198:199], v[110:111]
	v_fma_f64 v[156:157], -v[160:161], v[200:201], v[156:157]
	ds_read2_b64 v[198:201], v225 offset0:37 offset1:38
	s_waitcnt lgkmcnt(0)
	v_fma_f64 v[108:109], -v[160:161], v[198:199], v[108:109]
	v_fma_f64 v[154:155], -v[160:161], v[200:201], v[154:155]
	ds_read2_b64 v[198:201], v225 offset0:39 offset1:40
	;; [unrolled: 4-line block ×5, first 2 shown]
	s_waitcnt lgkmcnt(0)
	v_fma_f64 v[100:101], -v[160:161], v[198:199], v[100:101]
	v_fma_f64 v[146:147], -v[160:161], v[200:201], v[146:147]
.LBB95_166:
	s_or_b64 exec, exec, s[2:3]
	v_cmp_eq_u32_e32 vcc, 33, v228
	s_waitcnt lgkmcnt(0)
	s_barrier
	s_and_saveexec_b64 s[2:3], vcc
	s_cbranch_execz .LBB95_169
; %bb.167:
	s_waitcnt vmcnt(13)
	v_mov_b32_e32 v2, v158
	v_mov_b32_e32 v3, v159
	s_waitcnt vmcnt(12)
	v_mov_b32_e32 v198, v110
	v_mov_b32_e32 v199, v111
	ds_write_b64 v224, v[112:113]
	ds_write2_b64 v225, v[2:3], v[198:199] offset0:34 offset1:35
	s_waitcnt vmcnt(11)
	v_mov_b32_e32 v2, v156
	v_mov_b32_e32 v3, v157
	s_waitcnt vmcnt(10)
	v_mov_b32_e32 v198, v108
	v_mov_b32_e32 v199, v109
	ds_write2_b64 v225, v[2:3], v[198:199] offset0:36 offset1:37
	s_waitcnt vmcnt(9)
	v_mov_b32_e32 v2, v154
	v_mov_b32_e32 v3, v155
	s_waitcnt vmcnt(8)
	v_mov_b32_e32 v198, v106
	v_mov_b32_e32 v199, v107
	;; [unrolled: 7-line block ×5, first 2 shown]
	ds_write2_b64 v225, v[2:3], v[198:199] offset0:44 offset1:45
	s_waitcnt vmcnt(1)
	v_mov_b32_e32 v2, v146
	v_mov_b32_e32 v3, v147
	s_waitcnt vmcnt(0)
	ds_write2_b64 v225, v[2:3], v[192:193] offset0:46 offset1:47
	ds_read_b64 v[2:3], v224
	s_waitcnt lgkmcnt(0)
	v_cmp_neq_f64_e32 vcc, 0, v[2:3]
	s_and_b64 exec, exec, vcc
	s_cbranch_execz .LBB95_169
; %bb.168:
	v_div_scale_f64 v[198:199], s[6:7], v[2:3], v[2:3], 1.0
	v_rcp_f64_e32 v[200:201], v[198:199]
	v_div_scale_f64 v[202:203], vcc, 1.0, v[2:3], 1.0
	v_fma_f64 v[204:205], -v[198:199], v[200:201], 1.0
	v_fmac_f64_e32 v[200:201], v[200:201], v[204:205]
	v_fma_f64 v[204:205], -v[198:199], v[200:201], 1.0
	v_fmac_f64_e32 v[200:201], v[200:201], v[204:205]
	v_mul_f64 v[204:205], v[202:203], v[200:201]
	v_fma_f64 v[198:199], -v[198:199], v[204:205], v[202:203]
	v_div_fmas_f64 v[198:199], v[198:199], v[200:201], v[204:205]
	v_div_fixup_f64 v[2:3], v[198:199], v[2:3], 1.0
	ds_write_b64 v224, v[2:3]
.LBB95_169:
	s_or_b64 exec, exec, s[2:3]
	s_waitcnt lgkmcnt(0)
	s_barrier
	ds_read_b64 v[198:199], v224
	v_cmp_lt_u32_e32 vcc, 33, v228
	s_and_saveexec_b64 s[2:3], vcc
	s_cbranch_execz .LBB95_171
; %bb.170:
	ds_read2_b64 v[200:203], v225 offset0:34 offset1:35
	s_waitcnt vmcnt(14) lgkmcnt(1)
	v_mul_f64 v[112:113], v[198:199], v[112:113]
	s_waitcnt vmcnt(13) lgkmcnt(0)
	v_fma_f64 v[158:159], -v[112:113], v[200:201], v[158:159]
	s_waitcnt vmcnt(12)
	v_fma_f64 v[110:111], -v[112:113], v[202:203], v[110:111]
	ds_read2_b64 v[200:203], v225 offset0:36 offset1:37
	s_waitcnt vmcnt(11) lgkmcnt(0)
	v_fma_f64 v[156:157], -v[112:113], v[200:201], v[156:157]
	s_waitcnt vmcnt(10)
	v_fma_f64 v[108:109], -v[112:113], v[202:203], v[108:109]
	ds_read2_b64 v[200:203], v225 offset0:38 offset1:39
	;; [unrolled: 5-line block ×6, first 2 shown]
	s_waitcnt vmcnt(1) lgkmcnt(0)
	v_fma_f64 v[146:147], -v[112:113], v[200:201], v[146:147]
	s_waitcnt vmcnt(0)
	v_fma_f64 v[192:193], -v[112:113], v[202:203], v[192:193]
.LBB95_171:
	s_or_b64 exec, exec, s[2:3]
	v_cmp_eq_u32_e32 vcc, 34, v228
	s_waitcnt lgkmcnt(0)
	s_barrier
	s_and_saveexec_b64 s[2:3], vcc
	s_cbranch_execz .LBB95_174
; %bb.172:
	s_waitcnt vmcnt(13)
	ds_write_b64 v224, v[158:159]
	s_waitcnt vmcnt(11)
	ds_write2_b64 v225, v[110:111], v[156:157] offset0:35 offset1:36
	s_waitcnt vmcnt(9)
	ds_write2_b64 v225, v[108:109], v[154:155] offset0:37 offset1:38
	;; [unrolled: 2-line block ×6, first 2 shown]
	s_waitcnt vmcnt(0)
	ds_write_b64 v225, v[192:193] offset:376
	ds_read_b64 v[2:3], v224
	s_waitcnt lgkmcnt(0)
	v_cmp_neq_f64_e32 vcc, 0, v[2:3]
	s_and_b64 exec, exec, vcc
	s_cbranch_execz .LBB95_174
; %bb.173:
	v_div_scale_f64 v[200:201], s[6:7], v[2:3], v[2:3], 1.0
	v_rcp_f64_e32 v[202:203], v[200:201]
	v_div_scale_f64 v[204:205], vcc, 1.0, v[2:3], 1.0
	v_fma_f64 v[206:207], -v[200:201], v[202:203], 1.0
	v_fmac_f64_e32 v[202:203], v[202:203], v[206:207]
	v_fma_f64 v[206:207], -v[200:201], v[202:203], 1.0
	v_fmac_f64_e32 v[202:203], v[202:203], v[206:207]
	v_mul_f64 v[206:207], v[204:205], v[202:203]
	v_fma_f64 v[200:201], -v[200:201], v[206:207], v[204:205]
	v_div_fmas_f64 v[200:201], v[200:201], v[202:203], v[206:207]
	v_div_fixup_f64 v[2:3], v[200:201], v[2:3], 1.0
	ds_write_b64 v224, v[2:3]
.LBB95_174:
	s_or_b64 exec, exec, s[2:3]
	s_waitcnt lgkmcnt(0)
	s_barrier
	ds_read_b64 v[200:201], v224
	v_cmp_lt_u32_e32 vcc, 34, v228
	s_and_saveexec_b64 s[2:3], vcc
	s_cbranch_execz .LBB95_176
; %bb.175:
	ds_read2_b64 v[202:205], v225 offset0:35 offset1:36
	ds_read_b64 v[2:3], v225 offset:376
	s_waitcnt vmcnt(13) lgkmcnt(2)
	v_mul_f64 v[158:159], v[200:201], v[158:159]
	s_waitcnt vmcnt(12) lgkmcnt(1)
	v_fma_f64 v[110:111], -v[158:159], v[202:203], v[110:111]
	s_waitcnt vmcnt(11)
	v_fma_f64 v[156:157], -v[158:159], v[204:205], v[156:157]
	ds_read2_b64 v[202:205], v225 offset0:37 offset1:38
	s_waitcnt vmcnt(0) lgkmcnt(1)
	v_fma_f64 v[192:193], -v[158:159], v[2:3], v[192:193]
	s_waitcnt lgkmcnt(0)
	v_fma_f64 v[108:109], -v[158:159], v[202:203], v[108:109]
	v_fma_f64 v[154:155], -v[158:159], v[204:205], v[154:155]
	ds_read2_b64 v[202:205], v225 offset0:39 offset1:40
	s_waitcnt lgkmcnt(0)
	v_fma_f64 v[106:107], -v[158:159], v[202:203], v[106:107]
	v_fma_f64 v[152:153], -v[158:159], v[204:205], v[152:153]
	ds_read2_b64 v[202:205], v225 offset0:41 offset1:42
	;; [unrolled: 4-line block ×4, first 2 shown]
	s_waitcnt lgkmcnt(0)
	v_fma_f64 v[100:101], -v[158:159], v[202:203], v[100:101]
	v_fma_f64 v[146:147], -v[158:159], v[204:205], v[146:147]
.LBB95_176:
	s_or_b64 exec, exec, s[2:3]
	v_cmp_eq_u32_e32 vcc, 35, v228
	s_waitcnt lgkmcnt(0)
	s_barrier
	s_and_saveexec_b64 s[2:3], vcc
	s_cbranch_execz .LBB95_179
; %bb.177:
	s_waitcnt vmcnt(11)
	v_mov_b32_e32 v2, v156
	v_mov_b32_e32 v3, v157
	s_waitcnt vmcnt(10)
	v_mov_b32_e32 v202, v108
	v_mov_b32_e32 v203, v109
	ds_write_b64 v224, v[110:111]
	ds_write2_b64 v225, v[2:3], v[202:203] offset0:36 offset1:37
	s_waitcnt vmcnt(9)
	v_mov_b32_e32 v2, v154
	v_mov_b32_e32 v3, v155
	s_waitcnt vmcnt(8)
	v_mov_b32_e32 v202, v106
	v_mov_b32_e32 v203, v107
	ds_write2_b64 v225, v[2:3], v[202:203] offset0:38 offset1:39
	s_waitcnt vmcnt(7)
	v_mov_b32_e32 v2, v152
	v_mov_b32_e32 v3, v153
	s_waitcnt vmcnt(6)
	v_mov_b32_e32 v202, v104
	v_mov_b32_e32 v203, v105
	ds_write2_b64 v225, v[2:3], v[202:203] offset0:40 offset1:41
	s_waitcnt vmcnt(5)
	v_mov_b32_e32 v2, v150
	v_mov_b32_e32 v3, v151
	s_waitcnt vmcnt(4)
	v_mov_b32_e32 v202, v102
	v_mov_b32_e32 v203, v103
	ds_write2_b64 v225, v[2:3], v[202:203] offset0:42 offset1:43
	s_waitcnt vmcnt(3)
	v_mov_b32_e32 v2, v148
	v_mov_b32_e32 v3, v149
	s_waitcnt vmcnt(2)
	v_mov_b32_e32 v202, v100
	v_mov_b32_e32 v203, v101
	ds_write2_b64 v225, v[2:3], v[202:203] offset0:44 offset1:45
	s_waitcnt vmcnt(1)
	v_mov_b32_e32 v2, v146
	v_mov_b32_e32 v3, v147
	s_waitcnt vmcnt(0)
	ds_write2_b64 v225, v[2:3], v[192:193] offset0:46 offset1:47
	ds_read_b64 v[2:3], v224
	s_waitcnt lgkmcnt(0)
	v_cmp_neq_f64_e32 vcc, 0, v[2:3]
	s_and_b64 exec, exec, vcc
	s_cbranch_execz .LBB95_179
; %bb.178:
	v_div_scale_f64 v[202:203], s[6:7], v[2:3], v[2:3], 1.0
	v_rcp_f64_e32 v[204:205], v[202:203]
	v_div_scale_f64 v[206:207], vcc, 1.0, v[2:3], 1.0
	v_fma_f64 v[208:209], -v[202:203], v[204:205], 1.0
	v_fmac_f64_e32 v[204:205], v[204:205], v[208:209]
	v_fma_f64 v[208:209], -v[202:203], v[204:205], 1.0
	v_fmac_f64_e32 v[204:205], v[204:205], v[208:209]
	v_mul_f64 v[208:209], v[206:207], v[204:205]
	v_fma_f64 v[202:203], -v[202:203], v[208:209], v[206:207]
	v_div_fmas_f64 v[202:203], v[202:203], v[204:205], v[208:209]
	v_div_fixup_f64 v[2:3], v[202:203], v[2:3], 1.0
	ds_write_b64 v224, v[2:3]
.LBB95_179:
	s_or_b64 exec, exec, s[2:3]
	s_waitcnt lgkmcnt(0)
	s_barrier
	ds_read_b64 v[202:203], v224
	v_cmp_lt_u32_e32 vcc, 35, v228
	s_and_saveexec_b64 s[2:3], vcc
	s_cbranch_execz .LBB95_181
; %bb.180:
	ds_read2_b64 v[204:207], v225 offset0:36 offset1:37
	s_waitcnt vmcnt(12) lgkmcnt(1)
	v_mul_f64 v[110:111], v[202:203], v[110:111]
	s_waitcnt vmcnt(11) lgkmcnt(0)
	v_fma_f64 v[156:157], -v[110:111], v[204:205], v[156:157]
	s_waitcnt vmcnt(10)
	v_fma_f64 v[108:109], -v[110:111], v[206:207], v[108:109]
	ds_read2_b64 v[204:207], v225 offset0:38 offset1:39
	s_waitcnt vmcnt(9) lgkmcnt(0)
	v_fma_f64 v[154:155], -v[110:111], v[204:205], v[154:155]
	s_waitcnt vmcnt(8)
	v_fma_f64 v[106:107], -v[110:111], v[206:207], v[106:107]
	ds_read2_b64 v[204:207], v225 offset0:40 offset1:41
	;; [unrolled: 5-line block ×5, first 2 shown]
	s_waitcnt vmcnt(1) lgkmcnt(0)
	v_fma_f64 v[146:147], -v[110:111], v[204:205], v[146:147]
	s_waitcnt vmcnt(0)
	v_fma_f64 v[192:193], -v[110:111], v[206:207], v[192:193]
.LBB95_181:
	s_or_b64 exec, exec, s[2:3]
	v_cmp_eq_u32_e32 vcc, 36, v228
	s_waitcnt lgkmcnt(0)
	s_barrier
	s_and_saveexec_b64 s[2:3], vcc
	s_cbranch_execz .LBB95_184
; %bb.182:
	s_waitcnt vmcnt(11)
	ds_write_b64 v224, v[156:157]
	s_waitcnt vmcnt(9)
	ds_write2_b64 v225, v[108:109], v[154:155] offset0:37 offset1:38
	s_waitcnt vmcnt(7)
	ds_write2_b64 v225, v[106:107], v[152:153] offset0:39 offset1:40
	;; [unrolled: 2-line block ×5, first 2 shown]
	s_waitcnt vmcnt(0)
	ds_write_b64 v225, v[192:193] offset:376
	ds_read_b64 v[2:3], v224
	s_waitcnt lgkmcnt(0)
	v_cmp_neq_f64_e32 vcc, 0, v[2:3]
	s_and_b64 exec, exec, vcc
	s_cbranch_execz .LBB95_184
; %bb.183:
	v_div_scale_f64 v[204:205], s[6:7], v[2:3], v[2:3], 1.0
	v_rcp_f64_e32 v[206:207], v[204:205]
	v_div_scale_f64 v[208:209], vcc, 1.0, v[2:3], 1.0
	v_fma_f64 v[210:211], -v[204:205], v[206:207], 1.0
	v_fmac_f64_e32 v[206:207], v[206:207], v[210:211]
	v_fma_f64 v[210:211], -v[204:205], v[206:207], 1.0
	v_fmac_f64_e32 v[206:207], v[206:207], v[210:211]
	v_mul_f64 v[210:211], v[208:209], v[206:207]
	v_fma_f64 v[204:205], -v[204:205], v[210:211], v[208:209]
	v_div_fmas_f64 v[204:205], v[204:205], v[206:207], v[210:211]
	v_div_fixup_f64 v[2:3], v[204:205], v[2:3], 1.0
	ds_write_b64 v224, v[2:3]
.LBB95_184:
	s_or_b64 exec, exec, s[2:3]
	s_waitcnt lgkmcnt(0)
	s_barrier
	ds_read_b64 v[204:205], v224
	v_cmp_lt_u32_e32 vcc, 36, v228
	s_and_saveexec_b64 s[2:3], vcc
	s_cbranch_execz .LBB95_186
; %bb.185:
	ds_read2_b64 v[206:209], v225 offset0:37 offset1:38
	ds_read_b64 v[2:3], v225 offset:376
	s_waitcnt vmcnt(11) lgkmcnt(2)
	v_mul_f64 v[156:157], v[204:205], v[156:157]
	s_waitcnt vmcnt(10) lgkmcnt(1)
	v_fma_f64 v[108:109], -v[156:157], v[206:207], v[108:109]
	s_waitcnt vmcnt(9)
	v_fma_f64 v[154:155], -v[156:157], v[208:209], v[154:155]
	ds_read2_b64 v[206:209], v225 offset0:39 offset1:40
	s_waitcnt vmcnt(0) lgkmcnt(1)
	v_fma_f64 v[192:193], -v[156:157], v[2:3], v[192:193]
	s_waitcnt lgkmcnt(0)
	v_fma_f64 v[106:107], -v[156:157], v[206:207], v[106:107]
	v_fma_f64 v[152:153], -v[156:157], v[208:209], v[152:153]
	ds_read2_b64 v[206:209], v225 offset0:41 offset1:42
	s_waitcnt lgkmcnt(0)
	v_fma_f64 v[104:105], -v[156:157], v[206:207], v[104:105]
	v_fma_f64 v[150:151], -v[156:157], v[208:209], v[150:151]
	ds_read2_b64 v[206:209], v225 offset0:43 offset1:44
	;; [unrolled: 4-line block ×3, first 2 shown]
	s_waitcnt lgkmcnt(0)
	v_fma_f64 v[100:101], -v[156:157], v[206:207], v[100:101]
	v_fma_f64 v[146:147], -v[156:157], v[208:209], v[146:147]
.LBB95_186:
	s_or_b64 exec, exec, s[2:3]
	v_cmp_eq_u32_e32 vcc, 37, v228
	s_waitcnt lgkmcnt(0)
	s_barrier
	s_and_saveexec_b64 s[2:3], vcc
	s_cbranch_execz .LBB95_189
; %bb.187:
	s_waitcnt vmcnt(9)
	v_mov_b32_e32 v2, v154
	v_mov_b32_e32 v3, v155
	s_waitcnt vmcnt(8)
	v_mov_b32_e32 v206, v106
	v_mov_b32_e32 v207, v107
	ds_write_b64 v224, v[108:109]
	ds_write2_b64 v225, v[2:3], v[206:207] offset0:38 offset1:39
	s_waitcnt vmcnt(7)
	v_mov_b32_e32 v2, v152
	v_mov_b32_e32 v3, v153
	s_waitcnt vmcnt(6)
	v_mov_b32_e32 v206, v104
	v_mov_b32_e32 v207, v105
	ds_write2_b64 v225, v[2:3], v[206:207] offset0:40 offset1:41
	s_waitcnt vmcnt(5)
	v_mov_b32_e32 v2, v150
	v_mov_b32_e32 v3, v151
	s_waitcnt vmcnt(4)
	v_mov_b32_e32 v206, v102
	v_mov_b32_e32 v207, v103
	;; [unrolled: 7-line block ×3, first 2 shown]
	ds_write2_b64 v225, v[2:3], v[206:207] offset0:44 offset1:45
	s_waitcnt vmcnt(1)
	v_mov_b32_e32 v2, v146
	v_mov_b32_e32 v3, v147
	s_waitcnt vmcnt(0)
	ds_write2_b64 v225, v[2:3], v[192:193] offset0:46 offset1:47
	ds_read_b64 v[2:3], v224
	s_waitcnt lgkmcnt(0)
	v_cmp_neq_f64_e32 vcc, 0, v[2:3]
	s_and_b64 exec, exec, vcc
	s_cbranch_execz .LBB95_189
; %bb.188:
	v_div_scale_f64 v[206:207], s[6:7], v[2:3], v[2:3], 1.0
	v_rcp_f64_e32 v[208:209], v[206:207]
	v_div_scale_f64 v[210:211], vcc, 1.0, v[2:3], 1.0
	v_fma_f64 v[212:213], -v[206:207], v[208:209], 1.0
	v_fmac_f64_e32 v[208:209], v[208:209], v[212:213]
	v_fma_f64 v[212:213], -v[206:207], v[208:209], 1.0
	v_fmac_f64_e32 v[208:209], v[208:209], v[212:213]
	v_mul_f64 v[212:213], v[210:211], v[208:209]
	v_fma_f64 v[206:207], -v[206:207], v[212:213], v[210:211]
	v_div_fmas_f64 v[206:207], v[206:207], v[208:209], v[212:213]
	v_div_fixup_f64 v[2:3], v[206:207], v[2:3], 1.0
	ds_write_b64 v224, v[2:3]
.LBB95_189:
	s_or_b64 exec, exec, s[2:3]
	s_waitcnt lgkmcnt(0)
	s_barrier
	ds_read_b64 v[206:207], v224
	v_cmp_lt_u32_e32 vcc, 37, v228
	s_and_saveexec_b64 s[2:3], vcc
	s_cbranch_execz .LBB95_191
; %bb.190:
	ds_read2_b64 v[208:211], v225 offset0:38 offset1:39
	s_waitcnt vmcnt(10) lgkmcnt(1)
	v_mul_f64 v[108:109], v[206:207], v[108:109]
	s_waitcnt vmcnt(9) lgkmcnt(0)
	v_fma_f64 v[154:155], -v[108:109], v[208:209], v[154:155]
	s_waitcnt vmcnt(8)
	v_fma_f64 v[106:107], -v[108:109], v[210:211], v[106:107]
	ds_read2_b64 v[208:211], v225 offset0:40 offset1:41
	s_waitcnt vmcnt(7) lgkmcnt(0)
	v_fma_f64 v[152:153], -v[108:109], v[208:209], v[152:153]
	s_waitcnt vmcnt(6)
	v_fma_f64 v[104:105], -v[108:109], v[210:211], v[104:105]
	ds_read2_b64 v[208:211], v225 offset0:42 offset1:43
	;; [unrolled: 5-line block ×4, first 2 shown]
	s_waitcnt vmcnt(1) lgkmcnt(0)
	v_fma_f64 v[146:147], -v[108:109], v[208:209], v[146:147]
	s_waitcnt vmcnt(0)
	v_fma_f64 v[192:193], -v[108:109], v[210:211], v[192:193]
.LBB95_191:
	s_or_b64 exec, exec, s[2:3]
	v_cmp_eq_u32_e32 vcc, 38, v228
	s_waitcnt lgkmcnt(0)
	s_barrier
	s_and_saveexec_b64 s[2:3], vcc
	s_cbranch_execz .LBB95_194
; %bb.192:
	s_waitcnt vmcnt(9)
	ds_write_b64 v224, v[154:155]
	s_waitcnt vmcnt(7)
	ds_write2_b64 v225, v[106:107], v[152:153] offset0:39 offset1:40
	s_waitcnt vmcnt(5)
	ds_write2_b64 v225, v[104:105], v[150:151] offset0:41 offset1:42
	;; [unrolled: 2-line block ×4, first 2 shown]
	s_waitcnt vmcnt(0)
	ds_write_b64 v225, v[192:193] offset:376
	ds_read_b64 v[2:3], v224
	s_waitcnt lgkmcnt(0)
	v_cmp_neq_f64_e32 vcc, 0, v[2:3]
	s_and_b64 exec, exec, vcc
	s_cbranch_execz .LBB95_194
; %bb.193:
	v_div_scale_f64 v[208:209], s[6:7], v[2:3], v[2:3], 1.0
	v_rcp_f64_e32 v[210:211], v[208:209]
	v_div_scale_f64 v[212:213], vcc, 1.0, v[2:3], 1.0
	v_fma_f64 v[214:215], -v[208:209], v[210:211], 1.0
	v_fmac_f64_e32 v[210:211], v[210:211], v[214:215]
	v_fma_f64 v[214:215], -v[208:209], v[210:211], 1.0
	v_fmac_f64_e32 v[210:211], v[210:211], v[214:215]
	v_mul_f64 v[214:215], v[212:213], v[210:211]
	v_fma_f64 v[208:209], -v[208:209], v[214:215], v[212:213]
	v_div_fmas_f64 v[208:209], v[208:209], v[210:211], v[214:215]
	v_div_fixup_f64 v[2:3], v[208:209], v[2:3], 1.0
	ds_write_b64 v224, v[2:3]
.LBB95_194:
	s_or_b64 exec, exec, s[2:3]
	s_waitcnt lgkmcnt(0)
	s_barrier
	ds_read_b64 v[208:209], v224
	v_cmp_lt_u32_e32 vcc, 38, v228
	s_and_saveexec_b64 s[2:3], vcc
	s_cbranch_execz .LBB95_196
; %bb.195:
	ds_read2_b64 v[210:213], v225 offset0:39 offset1:40
	ds_read_b64 v[2:3], v225 offset:376
	s_waitcnt vmcnt(9) lgkmcnt(2)
	v_mul_f64 v[154:155], v[208:209], v[154:155]
	s_waitcnt vmcnt(8) lgkmcnt(1)
	v_fma_f64 v[106:107], -v[154:155], v[210:211], v[106:107]
	s_waitcnt vmcnt(7)
	v_fma_f64 v[152:153], -v[154:155], v[212:213], v[152:153]
	ds_read2_b64 v[210:213], v225 offset0:41 offset1:42
	s_waitcnt vmcnt(0) lgkmcnt(1)
	v_fma_f64 v[192:193], -v[154:155], v[2:3], v[192:193]
	s_waitcnt lgkmcnt(0)
	v_fma_f64 v[104:105], -v[154:155], v[210:211], v[104:105]
	v_fma_f64 v[150:151], -v[154:155], v[212:213], v[150:151]
	ds_read2_b64 v[210:213], v225 offset0:43 offset1:44
	s_waitcnt lgkmcnt(0)
	v_fma_f64 v[102:103], -v[154:155], v[210:211], v[102:103]
	v_fma_f64 v[148:149], -v[154:155], v[212:213], v[148:149]
	ds_read2_b64 v[210:213], v225 offset0:45 offset1:46
	s_waitcnt lgkmcnt(0)
	v_fma_f64 v[100:101], -v[154:155], v[210:211], v[100:101]
	v_fma_f64 v[146:147], -v[154:155], v[212:213], v[146:147]
.LBB95_196:
	s_or_b64 exec, exec, s[2:3]
	v_cmp_eq_u32_e32 vcc, 39, v228
	s_waitcnt lgkmcnt(0)
	s_barrier
	s_and_saveexec_b64 s[2:3], vcc
	s_cbranch_execz .LBB95_199
; %bb.197:
	s_waitcnt vmcnt(7)
	v_mov_b32_e32 v2, v152
	v_mov_b32_e32 v3, v153
	s_waitcnt vmcnt(6)
	v_mov_b32_e32 v210, v104
	v_mov_b32_e32 v211, v105
	ds_write_b64 v224, v[106:107]
	ds_write2_b64 v225, v[2:3], v[210:211] offset0:40 offset1:41
	s_waitcnt vmcnt(5)
	v_mov_b32_e32 v2, v150
	v_mov_b32_e32 v3, v151
	s_waitcnt vmcnt(4)
	v_mov_b32_e32 v210, v102
	v_mov_b32_e32 v211, v103
	ds_write2_b64 v225, v[2:3], v[210:211] offset0:42 offset1:43
	s_waitcnt vmcnt(3)
	v_mov_b32_e32 v2, v148
	v_mov_b32_e32 v3, v149
	s_waitcnt vmcnt(2)
	v_mov_b32_e32 v210, v100
	v_mov_b32_e32 v211, v101
	ds_write2_b64 v225, v[2:3], v[210:211] offset0:44 offset1:45
	s_waitcnt vmcnt(1)
	v_mov_b32_e32 v2, v146
	v_mov_b32_e32 v3, v147
	s_waitcnt vmcnt(0)
	ds_write2_b64 v225, v[2:3], v[192:193] offset0:46 offset1:47
	ds_read_b64 v[2:3], v224
	s_waitcnt lgkmcnt(0)
	v_cmp_neq_f64_e32 vcc, 0, v[2:3]
	s_and_b64 exec, exec, vcc
	s_cbranch_execz .LBB95_199
; %bb.198:
	v_div_scale_f64 v[210:211], s[6:7], v[2:3], v[2:3], 1.0
	v_rcp_f64_e32 v[212:213], v[210:211]
	v_div_scale_f64 v[214:215], vcc, 1.0, v[2:3], 1.0
	v_fma_f64 v[216:217], -v[210:211], v[212:213], 1.0
	v_fmac_f64_e32 v[212:213], v[212:213], v[216:217]
	v_fma_f64 v[216:217], -v[210:211], v[212:213], 1.0
	v_fmac_f64_e32 v[212:213], v[212:213], v[216:217]
	v_mul_f64 v[216:217], v[214:215], v[212:213]
	v_fma_f64 v[210:211], -v[210:211], v[216:217], v[214:215]
	v_div_fmas_f64 v[210:211], v[210:211], v[212:213], v[216:217]
	v_div_fixup_f64 v[2:3], v[210:211], v[2:3], 1.0
	ds_write_b64 v224, v[2:3]
.LBB95_199:
	s_or_b64 exec, exec, s[2:3]
	s_waitcnt lgkmcnt(0)
	s_barrier
	ds_read_b64 v[210:211], v224
	v_cmp_lt_u32_e32 vcc, 39, v228
	s_and_saveexec_b64 s[2:3], vcc
	s_cbranch_execz .LBB95_201
; %bb.200:
	ds_read2_b64 v[212:215], v225 offset0:40 offset1:41
	s_waitcnt vmcnt(8) lgkmcnt(1)
	v_mul_f64 v[106:107], v[210:211], v[106:107]
	s_waitcnt vmcnt(7) lgkmcnt(0)
	v_fma_f64 v[152:153], -v[106:107], v[212:213], v[152:153]
	s_waitcnt vmcnt(6)
	v_fma_f64 v[104:105], -v[106:107], v[214:215], v[104:105]
	ds_read2_b64 v[212:215], v225 offset0:42 offset1:43
	s_waitcnt vmcnt(5) lgkmcnt(0)
	v_fma_f64 v[150:151], -v[106:107], v[212:213], v[150:151]
	s_waitcnt vmcnt(4)
	v_fma_f64 v[102:103], -v[106:107], v[214:215], v[102:103]
	ds_read2_b64 v[212:215], v225 offset0:44 offset1:45
	;; [unrolled: 5-line block ×3, first 2 shown]
	s_waitcnt vmcnt(1) lgkmcnt(0)
	v_fma_f64 v[146:147], -v[106:107], v[212:213], v[146:147]
	s_waitcnt vmcnt(0)
	v_fma_f64 v[192:193], -v[106:107], v[214:215], v[192:193]
.LBB95_201:
	s_or_b64 exec, exec, s[2:3]
	v_cmp_eq_u32_e32 vcc, 40, v228
	s_waitcnt lgkmcnt(0)
	s_barrier
	s_and_saveexec_b64 s[2:3], vcc
	s_cbranch_execz .LBB95_204
; %bb.202:
	s_waitcnt vmcnt(7)
	ds_write_b64 v224, v[152:153]
	s_waitcnt vmcnt(5)
	ds_write2_b64 v225, v[104:105], v[150:151] offset0:41 offset1:42
	s_waitcnt vmcnt(3)
	ds_write2_b64 v225, v[102:103], v[148:149] offset0:43 offset1:44
	s_waitcnt vmcnt(1)
	ds_write2_b64 v225, v[100:101], v[146:147] offset0:45 offset1:46
	s_waitcnt vmcnt(0)
	ds_write_b64 v225, v[192:193] offset:376
	ds_read_b64 v[2:3], v224
	s_waitcnt lgkmcnt(0)
	v_cmp_neq_f64_e32 vcc, 0, v[2:3]
	s_and_b64 exec, exec, vcc
	s_cbranch_execz .LBB95_204
; %bb.203:
	v_div_scale_f64 v[212:213], s[6:7], v[2:3], v[2:3], 1.0
	v_rcp_f64_e32 v[214:215], v[212:213]
	v_div_scale_f64 v[216:217], vcc, 1.0, v[2:3], 1.0
	v_fma_f64 v[218:219], -v[212:213], v[214:215], 1.0
	v_fmac_f64_e32 v[214:215], v[214:215], v[218:219]
	v_fma_f64 v[218:219], -v[212:213], v[214:215], 1.0
	v_fmac_f64_e32 v[214:215], v[214:215], v[218:219]
	v_mul_f64 v[218:219], v[216:217], v[214:215]
	v_fma_f64 v[212:213], -v[212:213], v[218:219], v[216:217]
	v_div_fmas_f64 v[212:213], v[212:213], v[214:215], v[218:219]
	v_div_fixup_f64 v[2:3], v[212:213], v[2:3], 1.0
	ds_write_b64 v224, v[2:3]
.LBB95_204:
	s_or_b64 exec, exec, s[2:3]
	s_waitcnt lgkmcnt(0)
	s_barrier
	ds_read_b64 v[212:213], v224
	v_cmp_lt_u32_e32 vcc, 40, v228
	s_and_saveexec_b64 s[2:3], vcc
	s_cbranch_execz .LBB95_206
; %bb.205:
	ds_read2_b64 v[214:217], v225 offset0:41 offset1:42
	ds_read_b64 v[2:3], v225 offset:376
	s_waitcnt vmcnt(7) lgkmcnt(2)
	v_mul_f64 v[152:153], v[212:213], v[152:153]
	s_waitcnt vmcnt(6) lgkmcnt(1)
	v_fma_f64 v[104:105], -v[152:153], v[214:215], v[104:105]
	s_waitcnt vmcnt(5)
	v_fma_f64 v[150:151], -v[152:153], v[216:217], v[150:151]
	ds_read2_b64 v[214:217], v225 offset0:43 offset1:44
	s_waitcnt vmcnt(0) lgkmcnt(1)
	v_fma_f64 v[192:193], -v[152:153], v[2:3], v[192:193]
	s_waitcnt lgkmcnt(0)
	v_fma_f64 v[102:103], -v[152:153], v[214:215], v[102:103]
	v_fma_f64 v[148:149], -v[152:153], v[216:217], v[148:149]
	ds_read2_b64 v[214:217], v225 offset0:45 offset1:46
	s_waitcnt lgkmcnt(0)
	v_fma_f64 v[100:101], -v[152:153], v[214:215], v[100:101]
	v_fma_f64 v[146:147], -v[152:153], v[216:217], v[146:147]
.LBB95_206:
	s_or_b64 exec, exec, s[2:3]
	v_cmp_eq_u32_e32 vcc, 41, v228
	s_waitcnt lgkmcnt(0)
	s_barrier
	s_and_saveexec_b64 s[2:3], vcc
	s_cbranch_execz .LBB95_209
; %bb.207:
	s_waitcnt vmcnt(5)
	v_mov_b32_e32 v2, v150
	v_mov_b32_e32 v3, v151
	s_waitcnt vmcnt(4)
	v_mov_b32_e32 v214, v102
	v_mov_b32_e32 v215, v103
	ds_write_b64 v224, v[104:105]
	ds_write2_b64 v225, v[2:3], v[214:215] offset0:42 offset1:43
	s_waitcnt vmcnt(3)
	v_mov_b32_e32 v2, v148
	v_mov_b32_e32 v3, v149
	s_waitcnt vmcnt(2)
	v_mov_b32_e32 v214, v100
	v_mov_b32_e32 v215, v101
	ds_write2_b64 v225, v[2:3], v[214:215] offset0:44 offset1:45
	s_waitcnt vmcnt(1)
	v_mov_b32_e32 v2, v146
	v_mov_b32_e32 v3, v147
	s_waitcnt vmcnt(0)
	ds_write2_b64 v225, v[2:3], v[192:193] offset0:46 offset1:47
	ds_read_b64 v[2:3], v224
	s_waitcnt lgkmcnt(0)
	v_cmp_neq_f64_e32 vcc, 0, v[2:3]
	s_and_b64 exec, exec, vcc
	s_cbranch_execz .LBB95_209
; %bb.208:
	v_div_scale_f64 v[214:215], s[6:7], v[2:3], v[2:3], 1.0
	v_rcp_f64_e32 v[216:217], v[214:215]
	v_div_scale_f64 v[218:219], vcc, 1.0, v[2:3], 1.0
	v_fma_f64 v[220:221], -v[214:215], v[216:217], 1.0
	v_fmac_f64_e32 v[216:217], v[216:217], v[220:221]
	v_fma_f64 v[220:221], -v[214:215], v[216:217], 1.0
	v_fmac_f64_e32 v[216:217], v[216:217], v[220:221]
	v_mul_f64 v[220:221], v[218:219], v[216:217]
	v_fma_f64 v[214:215], -v[214:215], v[220:221], v[218:219]
	v_div_fmas_f64 v[214:215], v[214:215], v[216:217], v[220:221]
	v_div_fixup_f64 v[2:3], v[214:215], v[2:3], 1.0
	ds_write_b64 v224, v[2:3]
.LBB95_209:
	s_or_b64 exec, exec, s[2:3]
	s_waitcnt lgkmcnt(0)
	s_barrier
	ds_read_b64 v[214:215], v224
	v_cmp_lt_u32_e32 vcc, 41, v228
	s_and_saveexec_b64 s[2:3], vcc
	s_cbranch_execz .LBB95_211
; %bb.210:
	ds_read2_b64 v[216:219], v225 offset0:42 offset1:43
	s_waitcnt vmcnt(6) lgkmcnt(1)
	v_mul_f64 v[104:105], v[214:215], v[104:105]
	s_waitcnt vmcnt(5) lgkmcnt(0)
	v_fma_f64 v[150:151], -v[104:105], v[216:217], v[150:151]
	s_waitcnt vmcnt(4)
	v_fma_f64 v[102:103], -v[104:105], v[218:219], v[102:103]
	ds_read2_b64 v[216:219], v225 offset0:44 offset1:45
	s_waitcnt vmcnt(3) lgkmcnt(0)
	v_fma_f64 v[148:149], -v[104:105], v[216:217], v[148:149]
	s_waitcnt vmcnt(2)
	v_fma_f64 v[100:101], -v[104:105], v[218:219], v[100:101]
	ds_read2_b64 v[216:219], v225 offset0:46 offset1:47
	s_waitcnt vmcnt(1) lgkmcnt(0)
	v_fma_f64 v[146:147], -v[104:105], v[216:217], v[146:147]
	s_waitcnt vmcnt(0)
	v_fma_f64 v[192:193], -v[104:105], v[218:219], v[192:193]
.LBB95_211:
	s_or_b64 exec, exec, s[2:3]
	v_cmp_eq_u32_e32 vcc, 42, v228
	s_waitcnt lgkmcnt(0)
	s_barrier
	s_and_saveexec_b64 s[2:3], vcc
	s_cbranch_execz .LBB95_214
; %bb.212:
	s_waitcnt vmcnt(5)
	ds_write_b64 v224, v[150:151]
	s_waitcnt vmcnt(3)
	ds_write2_b64 v225, v[102:103], v[148:149] offset0:43 offset1:44
	s_waitcnt vmcnt(1)
	ds_write2_b64 v225, v[100:101], v[146:147] offset0:45 offset1:46
	s_waitcnt vmcnt(0)
	ds_write_b64 v225, v[192:193] offset:376
	ds_read_b64 v[2:3], v224
	s_waitcnt lgkmcnt(0)
	v_cmp_neq_f64_e32 vcc, 0, v[2:3]
	s_and_b64 exec, exec, vcc
	s_cbranch_execz .LBB95_214
; %bb.213:
	v_div_scale_f64 v[216:217], s[6:7], v[2:3], v[2:3], 1.0
	v_rcp_f64_e32 v[218:219], v[216:217]
	v_div_scale_f64 v[220:221], vcc, 1.0, v[2:3], 1.0
	v_fma_f64 v[222:223], -v[216:217], v[218:219], 1.0
	v_fmac_f64_e32 v[218:219], v[218:219], v[222:223]
	v_fma_f64 v[222:223], -v[216:217], v[218:219], 1.0
	v_fmac_f64_e32 v[218:219], v[218:219], v[222:223]
	v_mul_f64 v[222:223], v[220:221], v[218:219]
	v_fma_f64 v[216:217], -v[216:217], v[222:223], v[220:221]
	v_div_fmas_f64 v[216:217], v[216:217], v[218:219], v[222:223]
	v_div_fixup_f64 v[2:3], v[216:217], v[2:3], 1.0
	ds_write_b64 v224, v[2:3]
.LBB95_214:
	s_or_b64 exec, exec, s[2:3]
	s_waitcnt lgkmcnt(0)
	s_barrier
	ds_read_b64 v[216:217], v224
	v_cmp_lt_u32_e32 vcc, 42, v228
	s_and_saveexec_b64 s[2:3], vcc
	s_cbranch_execz .LBB95_216
; %bb.215:
	ds_read2_b64 v[218:221], v225 offset0:43 offset1:44
	ds_read_b64 v[2:3], v225 offset:376
	s_waitcnt vmcnt(5) lgkmcnt(2)
	v_mul_f64 v[150:151], v[216:217], v[150:151]
	s_waitcnt vmcnt(4) lgkmcnt(1)
	v_fma_f64 v[102:103], -v[150:151], v[218:219], v[102:103]
	s_waitcnt vmcnt(3)
	v_fma_f64 v[148:149], -v[150:151], v[220:221], v[148:149]
	ds_read2_b64 v[218:221], v225 offset0:45 offset1:46
	s_waitcnt vmcnt(0) lgkmcnt(1)
	v_fma_f64 v[192:193], -v[150:151], v[2:3], v[192:193]
	s_waitcnt lgkmcnt(0)
	v_fma_f64 v[100:101], -v[150:151], v[218:219], v[100:101]
	v_fma_f64 v[146:147], -v[150:151], v[220:221], v[146:147]
.LBB95_216:
	s_or_b64 exec, exec, s[2:3]
	v_cmp_eq_u32_e32 vcc, 43, v228
	s_waitcnt lgkmcnt(0)
	s_barrier
	s_and_saveexec_b64 s[2:3], vcc
	s_cbranch_execz .LBB95_219
; %bb.217:
	s_waitcnt vmcnt(3)
	v_mov_b32_e32 v2, v148
	v_mov_b32_e32 v3, v149
	s_waitcnt vmcnt(2)
	v_mov_b32_e32 v218, v100
	v_mov_b32_e32 v219, v101
	ds_write_b64 v224, v[102:103]
	ds_write2_b64 v225, v[2:3], v[218:219] offset0:44 offset1:45
	s_waitcnt vmcnt(1)
	v_mov_b32_e32 v2, v146
	v_mov_b32_e32 v3, v147
	s_waitcnt vmcnt(0)
	ds_write2_b64 v225, v[2:3], v[192:193] offset0:46 offset1:47
	ds_read_b64 v[2:3], v224
	s_waitcnt lgkmcnt(0)
	v_cmp_neq_f64_e32 vcc, 0, v[2:3]
	s_and_b64 exec, exec, vcc
	s_cbranch_execz .LBB95_219
; %bb.218:
	v_div_scale_f64 v[218:219], s[6:7], v[2:3], v[2:3], 1.0
	v_rcp_f64_e32 v[220:221], v[218:219]
	v_div_scale_f64 v[222:223], vcc, 1.0, v[2:3], 1.0
	v_fma_f64 v[230:231], -v[218:219], v[220:221], 1.0
	v_fmac_f64_e32 v[220:221], v[220:221], v[230:231]
	v_fma_f64 v[230:231], -v[218:219], v[220:221], 1.0
	v_fmac_f64_e32 v[220:221], v[220:221], v[230:231]
	v_mul_f64 v[230:231], v[222:223], v[220:221]
	v_fma_f64 v[218:219], -v[218:219], v[230:231], v[222:223]
	v_div_fmas_f64 v[218:219], v[218:219], v[220:221], v[230:231]
	v_div_fixup_f64 v[2:3], v[218:219], v[2:3], 1.0
	ds_write_b64 v224, v[2:3]
.LBB95_219:
	s_or_b64 exec, exec, s[2:3]
	s_waitcnt lgkmcnt(0)
	s_barrier
	ds_read_b64 v[218:219], v224
	v_cmp_lt_u32_e32 vcc, 43, v228
	s_and_saveexec_b64 s[2:3], vcc
	s_cbranch_execz .LBB95_221
; %bb.220:
	ds_read2_b64 v[220:223], v225 offset0:44 offset1:45
	s_waitcnt vmcnt(4) lgkmcnt(1)
	v_mul_f64 v[102:103], v[218:219], v[102:103]
	s_waitcnt vmcnt(3) lgkmcnt(0)
	v_fma_f64 v[148:149], -v[102:103], v[220:221], v[148:149]
	s_waitcnt vmcnt(2)
	v_fma_f64 v[100:101], -v[102:103], v[222:223], v[100:101]
	ds_read2_b64 v[220:223], v225 offset0:46 offset1:47
	s_waitcnt vmcnt(1) lgkmcnt(0)
	v_fma_f64 v[146:147], -v[102:103], v[220:221], v[146:147]
	s_waitcnt vmcnt(0)
	v_fma_f64 v[192:193], -v[102:103], v[222:223], v[192:193]
.LBB95_221:
	s_or_b64 exec, exec, s[2:3]
	v_cmp_eq_u32_e32 vcc, 44, v228
	s_waitcnt lgkmcnt(0)
	s_barrier
	s_and_saveexec_b64 s[2:3], vcc
	s_cbranch_execz .LBB95_224
; %bb.222:
	s_waitcnt vmcnt(3)
	ds_write_b64 v224, v[148:149]
	s_waitcnt vmcnt(1)
	ds_write2_b64 v225, v[100:101], v[146:147] offset0:45 offset1:46
	s_waitcnt vmcnt(0)
	ds_write_b64 v225, v[192:193] offset:376
	ds_read_b64 v[2:3], v224
	s_waitcnt lgkmcnt(0)
	v_cmp_neq_f64_e32 vcc, 0, v[2:3]
	s_and_b64 exec, exec, vcc
	s_cbranch_execz .LBB95_224
; %bb.223:
	v_div_scale_f64 v[220:221], s[6:7], v[2:3], v[2:3], 1.0
	v_rcp_f64_e32 v[222:223], v[220:221]
	v_div_scale_f64 v[230:231], vcc, 1.0, v[2:3], 1.0
	v_fma_f64 v[232:233], -v[220:221], v[222:223], 1.0
	v_fmac_f64_e32 v[222:223], v[222:223], v[232:233]
	v_fma_f64 v[232:233], -v[220:221], v[222:223], 1.0
	v_fmac_f64_e32 v[222:223], v[222:223], v[232:233]
	v_mul_f64 v[232:233], v[230:231], v[222:223]
	v_fma_f64 v[220:221], -v[220:221], v[232:233], v[230:231]
	v_div_fmas_f64 v[220:221], v[220:221], v[222:223], v[232:233]
	v_div_fixup_f64 v[2:3], v[220:221], v[2:3], 1.0
	ds_write_b64 v224, v[2:3]
.LBB95_224:
	s_or_b64 exec, exec, s[2:3]
	s_waitcnt lgkmcnt(0)
	s_barrier
	ds_read_b64 v[220:221], v224
	v_cmp_lt_u32_e32 vcc, 44, v228
	s_and_saveexec_b64 s[2:3], vcc
	s_cbranch_execz .LBB95_226
; %bb.225:
	ds_read2_b64 v[230:233], v225 offset0:45 offset1:46
	ds_read_b64 v[2:3], v225 offset:376
	s_waitcnt vmcnt(3) lgkmcnt(2)
	v_mul_f64 v[148:149], v[220:221], v[148:149]
	s_waitcnt vmcnt(2) lgkmcnt(1)
	v_fma_f64 v[100:101], -v[148:149], v[230:231], v[100:101]
	s_waitcnt vmcnt(1)
	v_fma_f64 v[146:147], -v[148:149], v[232:233], v[146:147]
	s_waitcnt vmcnt(0) lgkmcnt(0)
	v_fma_f64 v[192:193], -v[148:149], v[2:3], v[192:193]
.LBB95_226:
	s_or_b64 exec, exec, s[2:3]
	v_cmp_eq_u32_e32 vcc, 45, v228
	s_waitcnt lgkmcnt(0)
	s_barrier
	s_and_saveexec_b64 s[2:3], vcc
	s_cbranch_execz .LBB95_229
; %bb.227:
	s_waitcnt vmcnt(1)
	v_mov_b32_e32 v2, v146
	v_mov_b32_e32 v3, v147
	ds_write_b64 v224, v[100:101]
	s_waitcnt vmcnt(0)
	ds_write2_b64 v225, v[2:3], v[192:193] offset0:46 offset1:47
	ds_read_b64 v[2:3], v224
	s_waitcnt lgkmcnt(0)
	v_cmp_neq_f64_e32 vcc, 0, v[2:3]
	s_and_b64 exec, exec, vcc
	s_cbranch_execz .LBB95_229
; %bb.228:
	v_div_scale_f64 v[222:223], s[6:7], v[2:3], v[2:3], 1.0
	v_rcp_f64_e32 v[230:231], v[222:223]
	v_pk_mov_b32 v[0:1], v[226:227], v[226:227] op_sel:[0,1]
	v_div_scale_f64 v[232:233], vcc, 1.0, v[2:3], 1.0
	v_fma_f64 v[226:227], -v[222:223], v[230:231], 1.0
	v_fmac_f64_e32 v[230:231], v[230:231], v[226:227]
	v_fma_f64 v[226:227], -v[222:223], v[230:231], 1.0
	v_fmac_f64_e32 v[230:231], v[230:231], v[226:227]
	v_mul_f64 v[226:227], v[232:233], v[230:231]
	v_fma_f64 v[222:223], -v[222:223], v[226:227], v[232:233]
	v_div_fmas_f64 v[222:223], v[222:223], v[230:231], v[226:227]
	v_pk_mov_b32 v[226:227], v[0:1], v[0:1] op_sel:[0,1]
	v_div_fixup_f64 v[2:3], v[222:223], v[2:3], 1.0
	ds_write_b64 v224, v[2:3]
.LBB95_229:
	s_or_b64 exec, exec, s[2:3]
	s_waitcnt lgkmcnt(0)
	s_barrier
	ds_read_b64 v[2:3], v224
	v_cmp_lt_u32_e32 vcc, 45, v228
	s_and_saveexec_b64 s[2:3], vcc
	s_cbranch_execz .LBB95_231
; %bb.230:
	ds_read2_b64 v[230:233], v225 offset0:46 offset1:47
	s_waitcnt vmcnt(2) lgkmcnt(1)
	v_mul_f64 v[100:101], v[2:3], v[100:101]
	s_waitcnt vmcnt(1) lgkmcnt(0)
	v_fma_f64 v[146:147], -v[100:101], v[230:231], v[146:147]
	s_waitcnt vmcnt(0)
	v_fma_f64 v[192:193], -v[100:101], v[232:233], v[192:193]
.LBB95_231:
	s_or_b64 exec, exec, s[2:3]
	v_cmp_eq_u32_e32 vcc, 46, v228
	s_waitcnt lgkmcnt(0)
	s_barrier
	s_and_saveexec_b64 s[2:3], vcc
	s_cbranch_execz .LBB95_234
; %bb.232:
	s_waitcnt vmcnt(1)
	ds_write_b64 v224, v[146:147]
	s_waitcnt vmcnt(0)
	ds_write_b64 v225, v[192:193] offset:376
	ds_read_b64 v[222:223], v224
	s_waitcnt lgkmcnt(0)
	v_cmp_neq_f64_e32 vcc, 0, v[222:223]
	s_and_b64 exec, exec, vcc
	s_cbranch_execz .LBB95_234
; %bb.233:
	v_pk_mov_b32 v[234:235], v[58:59], v[58:59] op_sel:[0,1]
	v_pk_mov_b32 v[58:59], v[56:57], v[56:57] op_sel:[0,1]
	;; [unrolled: 1-line block ×29, first 2 shown]
	v_div_scale_f64 v[226:227], s[6:7], v[222:223], v[222:223], 1.0
	v_rcp_f64_e32 v[230:231], v[226:227]
	v_div_scale_f64 v[232:233], vcc, 1.0, v[222:223], 1.0
	v_fma_f64 v[0:1], -v[226:227], v[230:231], 1.0
	v_fmac_f64_e32 v[230:231], v[230:231], v[0:1]
	v_fma_f64 v[0:1], -v[226:227], v[230:231], 1.0
	v_fmac_f64_e32 v[230:231], v[230:231], v[0:1]
	v_mul_f64 v[0:1], v[232:233], v[230:231]
	v_fma_f64 v[226:227], -v[226:227], v[0:1], v[232:233]
	v_div_fmas_f64 v[0:1], v[226:227], v[230:231], v[0:1]
	v_pk_mov_b32 v[226:227], v[4:5], v[4:5] op_sel:[0,1]
	v_pk_mov_b32 v[4:5], v[6:7], v[6:7] op_sel:[0,1]
	;; [unrolled: 1-line block ×29, first 2 shown]
	v_div_fixup_f64 v[0:1], v[0:1], v[222:223], 1.0
	ds_write_b64 v224, v[0:1]
.LBB95_234:
	s_or_b64 exec, exec, s[2:3]
	s_waitcnt lgkmcnt(0)
	s_barrier
	ds_read_b64 v[222:223], v224
	v_cmp_lt_u32_e32 vcc, 46, v228
	s_and_saveexec_b64 s[2:3], vcc
	s_cbranch_execz .LBB95_236
; %bb.235:
	ds_read_b64 v[0:1], v225 offset:376
	s_waitcnt vmcnt(1) lgkmcnt(1)
	v_mul_f64 v[146:147], v[222:223], v[146:147]
	s_waitcnt vmcnt(0) lgkmcnt(0)
	v_fma_f64 v[192:193], -v[146:147], v[0:1], v[192:193]
.LBB95_236:
	s_or_b64 exec, exec, s[2:3]
	v_cmp_eq_u32_e32 vcc, 47, v228
	s_waitcnt lgkmcnt(0)
	s_barrier
	s_and_saveexec_b64 s[2:3], vcc
	s_cbranch_execz .LBB95_239
; %bb.237:
	s_waitcnt vmcnt(0)
	v_cmp_neq_f64_e32 vcc, 0, v[192:193]
	ds_write_b64 v224, v[192:193]
	s_and_b64 exec, exec, vcc
	s_cbranch_execz .LBB95_239
; %bb.238:
	v_div_scale_f64 v[0:1], s[6:7], v[192:193], v[192:193], 1.0
	v_pk_mov_b32 v[234:235], v[58:59], v[58:59] op_sel:[0,1]
	v_pk_mov_b32 v[58:59], v[56:57], v[56:57] op_sel:[0,1]
	;; [unrolled: 1-line block ×29, first 2 shown]
	v_rcp_f64_e32 v[226:227], v[0:1]
	v_div_scale_f64 v[230:231], vcc, 1.0, v[192:193], 1.0
	v_fma_f64 v[232:233], -v[0:1], v[226:227], 1.0
	v_fmac_f64_e32 v[226:227], v[226:227], v[232:233]
	v_fma_f64 v[232:233], -v[0:1], v[226:227], 1.0
	v_fmac_f64_e32 v[226:227], v[226:227], v[232:233]
	v_mul_f64 v[232:233], v[230:231], v[226:227]
	v_fma_f64 v[0:1], -v[0:1], v[232:233], v[230:231]
	v_div_fmas_f64 v[0:1], v[0:1], v[226:227], v[232:233]
	v_pk_mov_b32 v[226:227], v[4:5], v[4:5] op_sel:[0,1]
	v_pk_mov_b32 v[4:5], v[6:7], v[6:7] op_sel:[0,1]
	v_pk_mov_b32 v[6:7], v[8:9], v[8:9] op_sel:[0,1]
	v_pk_mov_b32 v[8:9], v[10:11], v[10:11] op_sel:[0,1]
	v_pk_mov_b32 v[10:11], v[12:13], v[12:13] op_sel:[0,1]
	v_pk_mov_b32 v[12:13], v[14:15], v[14:15] op_sel:[0,1]
	v_pk_mov_b32 v[14:15], v[16:17], v[16:17] op_sel:[0,1]
	v_pk_mov_b32 v[16:17], v[18:19], v[18:19] op_sel:[0,1]
	v_pk_mov_b32 v[18:19], v[20:21], v[20:21] op_sel:[0,1]
	v_pk_mov_b32 v[20:21], v[22:23], v[22:23] op_sel:[0,1]
	v_pk_mov_b32 v[22:23], v[24:25], v[24:25] op_sel:[0,1]
	v_pk_mov_b32 v[24:25], v[26:27], v[26:27] op_sel:[0,1]
	v_pk_mov_b32 v[26:27], v[28:29], v[28:29] op_sel:[0,1]
	v_pk_mov_b32 v[28:29], v[30:31], v[30:31] op_sel:[0,1]
	v_pk_mov_b32 v[30:31], v[32:33], v[32:33] op_sel:[0,1]
	v_pk_mov_b32 v[32:33], v[34:35], v[34:35] op_sel:[0,1]
	v_pk_mov_b32 v[34:35], v[36:37], v[36:37] op_sel:[0,1]
	v_pk_mov_b32 v[36:37], v[38:39], v[38:39] op_sel:[0,1]
	v_pk_mov_b32 v[38:39], v[40:41], v[40:41] op_sel:[0,1]
	v_pk_mov_b32 v[40:41], v[42:43], v[42:43] op_sel:[0,1]
	v_pk_mov_b32 v[42:43], v[44:45], v[44:45] op_sel:[0,1]
	v_pk_mov_b32 v[44:45], v[46:47], v[46:47] op_sel:[0,1]
	v_pk_mov_b32 v[46:47], v[48:49], v[48:49] op_sel:[0,1]
	v_pk_mov_b32 v[48:49], v[50:51], v[50:51] op_sel:[0,1]
	v_pk_mov_b32 v[50:51], v[52:53], v[52:53] op_sel:[0,1]
	v_pk_mov_b32 v[52:53], v[54:55], v[54:55] op_sel:[0,1]
	v_pk_mov_b32 v[54:55], v[56:57], v[56:57] op_sel:[0,1]
	v_pk_mov_b32 v[56:57], v[58:59], v[58:59] op_sel:[0,1]
	v_pk_mov_b32 v[58:59], v[234:235], v[234:235] op_sel:[0,1]
	v_div_fixup_f64 v[0:1], v[0:1], v[192:193], 1.0
	ds_write_b64 v224, v[0:1]
.LBB95_239:
	s_or_b64 exec, exec, s[2:3]
	s_waitcnt lgkmcnt(0)
	s_barrier
	ds_read_b64 v[224:225], v224
	s_waitcnt lgkmcnt(0)
	s_barrier
	s_and_saveexec_b64 s[2:3], s[0:1]
	s_cbranch_execz .LBB95_242
; %bb.240:
	v_cmp_eq_f64_e32 vcc, 0, v[226:227]
	v_cmp_neq_f64_e64 s[0:1], 0, v[22:23]
	v_cndmask_b32_e64 v0, 0, 1, vcc
	s_or_b64 vcc, s[0:1], vcc
	v_cndmask_b32_e32 v0, 2, v0, vcc
	v_cmp_eq_f64_e32 vcc, 0, v[24:25]
	v_cmp_eq_u32_e64 s[0:1], 0, v0
	s_and_b64 s[0:1], vcc, s[0:1]
	v_cndmask_b32_e64 v0, v0, 3, s[0:1]
	v_cmp_eq_f64_e32 vcc, 0, v[26:27]
	v_cmp_eq_u32_e64 s[0:1], 0, v0
	s_and_b64 s[0:1], vcc, s[0:1]
	v_cndmask_b32_e64 v0, v0, 4, s[0:1]
	v_cmp_eq_f64_e32 vcc, 0, v[28:29]
	v_cmp_eq_u32_e64 s[0:1], 0, v0
	s_and_b64 s[0:1], vcc, s[0:1]
	v_cndmask_b32_e64 v0, v0, 5, s[0:1]
	v_cmp_eq_f64_e32 vcc, 0, v[30:31]
	v_cmp_eq_u32_e64 s[0:1], 0, v0
	s_and_b64 s[0:1], vcc, s[0:1]
	v_cndmask_b32_e64 v0, v0, 6, s[0:1]
	v_cmp_eq_f64_e32 vcc, 0, v[32:33]
	v_cmp_eq_u32_e64 s[0:1], 0, v0
	s_and_b64 s[0:1], vcc, s[0:1]
	v_cndmask_b32_e64 v0, v0, 7, s[0:1]
	v_cmp_eq_f64_e32 vcc, 0, v[34:35]
	v_cmp_eq_u32_e64 s[0:1], 0, v0
	s_and_b64 s[0:1], vcc, s[0:1]
	v_cndmask_b32_e64 v0, v0, 8, s[0:1]
	v_cmp_eq_f64_e32 vcc, 0, v[36:37]
	v_cmp_eq_u32_e64 s[0:1], 0, v0
	s_and_b64 s[0:1], vcc, s[0:1]
	v_cndmask_b32_e64 v0, v0, 9, s[0:1]
	v_cmp_eq_f64_e32 vcc, 0, v[38:39]
	v_cmp_eq_u32_e64 s[0:1], 0, v0
	s_and_b64 s[0:1], vcc, s[0:1]
	v_cndmask_b32_e64 v0, v0, 10, s[0:1]
	v_cmp_eq_f64_e32 vcc, 0, v[40:41]
	v_cmp_eq_u32_e64 s[0:1], 0, v0
	s_and_b64 s[0:1], vcc, s[0:1]
	v_cndmask_b32_e64 v0, v0, 11, s[0:1]
	v_cmp_eq_f64_e32 vcc, 0, v[42:43]
	v_cmp_eq_u32_e64 s[0:1], 0, v0
	s_and_b64 s[0:1], vcc, s[0:1]
	v_cndmask_b32_e64 v0, v0, 12, s[0:1]
	v_cmp_eq_f64_e32 vcc, 0, v[44:45]
	v_cmp_eq_u32_e64 s[0:1], 0, v0
	s_and_b64 s[0:1], vcc, s[0:1]
	v_cndmask_b32_e64 v0, v0, 13, s[0:1]
	v_cmp_eq_f64_e32 vcc, 0, v[46:47]
	v_cmp_eq_u32_e64 s[0:1], 0, v0
	s_and_b64 s[0:1], vcc, s[0:1]
	v_cndmask_b32_e64 v0, v0, 14, s[0:1]
	v_cmp_eq_f64_e32 vcc, 0, v[48:49]
	v_cmp_eq_u32_e64 s[0:1], 0, v0
	s_and_b64 s[0:1], vcc, s[0:1]
	v_cndmask_b32_e64 v0, v0, 15, s[0:1]
	v_cmp_eq_f64_e32 vcc, 0, v[50:51]
	v_cmp_eq_u32_e64 s[0:1], 0, v0
	s_and_b64 s[0:1], vcc, s[0:1]
	v_cndmask_b32_e64 v0, v0, 16, s[0:1]
	v_cmp_eq_f64_e32 vcc, 0, v[52:53]
	v_cmp_eq_u32_e64 s[0:1], 0, v0
	s_and_b64 s[0:1], vcc, s[0:1]
	v_cndmask_b32_e64 v0, v0, 17, s[0:1]
	v_cmp_eq_f64_e32 vcc, 0, v[54:55]
	v_cmp_eq_u32_e64 s[0:1], 0, v0
	s_and_b64 s[0:1], vcc, s[0:1]
	v_cndmask_b32_e64 v0, v0, 18, s[0:1]
	v_cmp_eq_f64_e32 vcc, 0, v[56:57]
	v_cmp_eq_u32_e64 s[0:1], 0, v0
	s_and_b64 s[0:1], vcc, s[0:1]
	v_cndmask_b32_e64 v0, v0, 19, s[0:1]
	v_cmp_eq_f64_e32 vcc, 0, v[58:59]
	v_cmp_eq_u32_e64 s[0:1], 0, v0
	s_and_b64 s[0:1], vcc, s[0:1]
	v_cndmask_b32_e64 v0, v0, 20, s[0:1]
	v_cmp_eq_f64_e32 vcc, 0, v[60:61]
	v_cmp_eq_u32_e64 s[0:1], 0, v0
	s_and_b64 s[0:1], vcc, s[0:1]
	v_cndmask_b32_e64 v0, v0, 21, s[0:1]
	v_cmp_eq_f64_e32 vcc, 0, v[236:237]
	v_cmp_eq_u32_e64 s[0:1], 0, v0
	s_and_b64 s[0:1], vcc, s[0:1]
	v_cndmask_b32_e64 v0, v0, 22, s[0:1]
	v_cmp_eq_f64_e32 vcc, 0, v[238:239]
	v_cmp_eq_u32_e64 s[0:1], 0, v0
	s_and_b64 s[0:1], vcc, s[0:1]
	v_cndmask_b32_e64 v0, v0, 23, s[0:1]
	v_cmp_eq_f64_e32 vcc, 0, v[240:241]
	v_cmp_eq_u32_e64 s[0:1], 0, v0
	s_and_b64 s[0:1], vcc, s[0:1]
	v_cndmask_b32_e64 v0, v0, 24, s[0:1]
	v_cmp_eq_f64_e32 vcc, 0, v[242:243]
	v_cmp_eq_u32_e64 s[0:1], 0, v0
	s_and_b64 s[0:1], vcc, s[0:1]
	v_cndmask_b32_e64 v0, v0, 25, s[0:1]
	v_cmp_eq_f64_e32 vcc, 0, v[244:245]
	v_cmp_eq_u32_e64 s[0:1], 0, v0
	s_and_b64 s[0:1], vcc, s[0:1]
	v_cndmask_b32_e64 v0, v0, 26, s[0:1]
	v_cmp_eq_f64_e32 vcc, 0, v[246:247]
	v_cmp_eq_u32_e64 s[0:1], 0, v0
	s_and_b64 s[0:1], vcc, s[0:1]
	v_cndmask_b32_e64 v0, v0, 27, s[0:1]
	v_cmp_eq_f64_e32 vcc, 0, v[248:249]
	v_cmp_eq_u32_e64 s[0:1], 0, v0
	s_and_b64 s[0:1], vcc, s[0:1]
	v_cndmask_b32_e64 v229, v0, 28, s[0:1]
	buffer_load_dword v0, off, s[16:19], 0 offset:168 ; 4-byte Folded Reload
	buffer_load_dword v1, off, s[16:19], 0 offset:172 ; 4-byte Folded Reload
	s_load_dwordx2 s[4:5], s[4:5], 0x28
	v_cmp_eq_f64_e32 vcc, 0, v[250:251]
	s_waitcnt lgkmcnt(0)
	v_mov_b32_e32 v227, s5
	s_waitcnt vmcnt(0)
	v_lshlrev_b64 v[0:1], 2, v[0:1]
	v_add_co_u32_e64 v226, s[0:1], s4, v0
	v_addc_co_u32_e64 v227, s[0:1], v227, v1, s[0:1]
	global_load_dword v0, v[226:227], off
	v_cmp_eq_u32_e64 s[0:1], 0, v229
	s_and_b64 s[0:1], vcc, s[0:1]
	v_cndmask_b32_e64 v1, v229, 29, s[0:1]
	v_cmp_eq_f64_e32 vcc, 0, v[252:253]
	v_cmp_eq_u32_e64 s[0:1], 0, v1
	s_and_b64 s[0:1], vcc, s[0:1]
	v_cndmask_b32_e64 v1, v1, 30, s[0:1]
	v_cmp_eq_f64_e32 vcc, 0, v[254:255]
	;; [unrolled: 4-line block ×19, first 2 shown]
	v_cmp_eq_u32_e64 s[0:1], 0, v1
	s_and_b64 s[0:1], vcc, s[0:1]
	v_cndmask_b32_e64 v2, v1, 48, s[0:1]
	s_waitcnt vmcnt(0)
	v_cmp_eq_u32_e32 vcc, 0, v0
	v_cmp_ne_u32_e64 s[0:1], 0, v2
	s_and_b64 s[0:1], vcc, s[0:1]
	s_and_b64 exec, exec, s[0:1]
	s_cbranch_execz .LBB95_242
; %bb.241:
	v_add_u32_e32 v0, s9, v2
	global_store_dword v[226:227], v0, off
.LBB95_242:
	s_or_b64 exec, exec, s[2:3]
	global_store_dwordx2 v[94:95], v[98:99], off
	global_store_dwordx2 v[96:97], v[144:145], off
	buffer_load_dword v2, off, s[16:19], 0  ; 4-byte Folded Reload
	buffer_load_dword v3, off, s[16:19], 0 offset:4 ; 4-byte Folded Reload
	s_waitcnt vmcnt(4)
	v_mul_f64 v[0:1], v[224:225], v[192:193]
	v_cmp_lt_u32_e32 vcc, 47, v228
	v_cndmask_b32_e32 v1, v193, v1, vcc
	v_cndmask_b32_e32 v0, v192, v0, vcc
	s_waitcnt vmcnt(0)
	global_store_dwordx2 v[2:3], v[190:191], off
	global_store_dwordx2 v[4:5], v[142:143], off
	;; [unrolled: 1-line block ×10, first 2 shown]
	buffer_load_dword v2, off, s[16:19], 0 offset:8 ; 4-byte Folded Reload
	buffer_load_dword v3, off, s[16:19], 0 offset:12 ; 4-byte Folded Reload
	s_waitcnt vmcnt(0)
	global_store_dwordx2 v[2:3], v[180:181], off
	buffer_load_dword v2, off, s[16:19], 0 offset:16 ; 4-byte Folded Reload
	s_nop 0
	buffer_load_dword v3, off, s[16:19], 0 offset:20 ; 4-byte Folded Reload
	s_waitcnt vmcnt(0)
	global_store_dwordx2 v[2:3], v[132:133], off
	buffer_load_dword v2, off, s[16:19], 0 offset:24 ; 4-byte Folded Reload
	s_nop 0
	;; [unrolled: 5-line block ×19, first 2 shown]
	buffer_load_dword v3, off, s[16:19], 0 offset:164 ; 4-byte Folded Reload
	s_waitcnt vmcnt(0)
	global_store_dwordx2 v[2:3], v[114:115], off
	global_store_dwordx2 v[62:63], v[160:161], off
	;; [unrolled: 1-line block ×17, first 2 shown]
.LBB95_243:
	s_endpgm
	.section	.rodata,"a",@progbits
	.p2align	6, 0x0
	.amdhsa_kernel _ZN9rocsolver6v33100L23getf2_npvt_small_kernelILi48EdiiPKPdEEvT1_T3_lS5_lPT2_S5_S5_
		.amdhsa_group_segment_fixed_size 0
		.amdhsa_private_segment_fixed_size 180
		.amdhsa_kernarg_size 312
		.amdhsa_user_sgpr_count 6
		.amdhsa_user_sgpr_private_segment_buffer 1
		.amdhsa_user_sgpr_dispatch_ptr 0
		.amdhsa_user_sgpr_queue_ptr 0
		.amdhsa_user_sgpr_kernarg_segment_ptr 1
		.amdhsa_user_sgpr_dispatch_id 0
		.amdhsa_user_sgpr_flat_scratch_init 0
		.amdhsa_user_sgpr_kernarg_preload_length 0
		.amdhsa_user_sgpr_kernarg_preload_offset 0
		.amdhsa_user_sgpr_private_segment_size 0
		.amdhsa_uses_dynamic_stack 0
		.amdhsa_system_sgpr_private_segment_wavefront_offset 1
		.amdhsa_system_sgpr_workgroup_id_x 1
		.amdhsa_system_sgpr_workgroup_id_y 1
		.amdhsa_system_sgpr_workgroup_id_z 0
		.amdhsa_system_sgpr_workgroup_info 0
		.amdhsa_system_vgpr_workitem_id 1
		.amdhsa_next_free_vgpr 256
		.amdhsa_next_free_sgpr 20
		.amdhsa_accum_offset 256
		.amdhsa_reserve_vcc 1
		.amdhsa_reserve_flat_scratch 0
		.amdhsa_float_round_mode_32 0
		.amdhsa_float_round_mode_16_64 0
		.amdhsa_float_denorm_mode_32 3
		.amdhsa_float_denorm_mode_16_64 3
		.amdhsa_dx10_clamp 1
		.amdhsa_ieee_mode 1
		.amdhsa_fp16_overflow 0
		.amdhsa_tg_split 0
		.amdhsa_exception_fp_ieee_invalid_op 0
		.amdhsa_exception_fp_denorm_src 0
		.amdhsa_exception_fp_ieee_div_zero 0
		.amdhsa_exception_fp_ieee_overflow 0
		.amdhsa_exception_fp_ieee_underflow 0
		.amdhsa_exception_fp_ieee_inexact 0
		.amdhsa_exception_int_div_zero 0
	.end_amdhsa_kernel
	.section	.text._ZN9rocsolver6v33100L23getf2_npvt_small_kernelILi48EdiiPKPdEEvT1_T3_lS5_lPT2_S5_S5_,"axG",@progbits,_ZN9rocsolver6v33100L23getf2_npvt_small_kernelILi48EdiiPKPdEEvT1_T3_lS5_lPT2_S5_S5_,comdat
.Lfunc_end95:
	.size	_ZN9rocsolver6v33100L23getf2_npvt_small_kernelILi48EdiiPKPdEEvT1_T3_lS5_lPT2_S5_S5_, .Lfunc_end95-_ZN9rocsolver6v33100L23getf2_npvt_small_kernelILi48EdiiPKPdEEvT1_T3_lS5_lPT2_S5_S5_
                                        ; -- End function
	.section	.AMDGPU.csdata,"",@progbits
; Kernel info:
; codeLenInByte = 43748
; NumSgprs: 24
; NumVgprs: 256
; NumAgprs: 0
; TotalNumVgprs: 256
; ScratchSize: 180
; MemoryBound: 0
; FloatMode: 240
; IeeeMode: 1
; LDSByteSize: 0 bytes/workgroup (compile time only)
; SGPRBlocks: 2
; VGPRBlocks: 31
; NumSGPRsForWavesPerEU: 24
; NumVGPRsForWavesPerEU: 256
; AccumOffset: 256
; Occupancy: 2
; WaveLimiterHint : 1
; COMPUTE_PGM_RSRC2:SCRATCH_EN: 1
; COMPUTE_PGM_RSRC2:USER_SGPR: 6
; COMPUTE_PGM_RSRC2:TRAP_HANDLER: 0
; COMPUTE_PGM_RSRC2:TGID_X_EN: 1
; COMPUTE_PGM_RSRC2:TGID_Y_EN: 1
; COMPUTE_PGM_RSRC2:TGID_Z_EN: 0
; COMPUTE_PGM_RSRC2:TIDIG_COMP_CNT: 1
; COMPUTE_PGM_RSRC3_GFX90A:ACCUM_OFFSET: 63
; COMPUTE_PGM_RSRC3_GFX90A:TG_SPLIT: 0
	.section	.text._ZN9rocsolver6v33100L18getf2_small_kernelILi49EdiiPKPdEEvT1_T3_lS5_lPS5_llPT2_S5_S5_S7_l,"axG",@progbits,_ZN9rocsolver6v33100L18getf2_small_kernelILi49EdiiPKPdEEvT1_T3_lS5_lPS5_llPT2_S5_S5_S7_l,comdat
	.globl	_ZN9rocsolver6v33100L18getf2_small_kernelILi49EdiiPKPdEEvT1_T3_lS5_lPS5_llPT2_S5_S5_S7_l ; -- Begin function _ZN9rocsolver6v33100L18getf2_small_kernelILi49EdiiPKPdEEvT1_T3_lS5_lPS5_llPT2_S5_S5_S7_l
	.p2align	8
	.type	_ZN9rocsolver6v33100L18getf2_small_kernelILi49EdiiPKPdEEvT1_T3_lS5_lPS5_llPT2_S5_S5_S7_l,@function
_ZN9rocsolver6v33100L18getf2_small_kernelILi49EdiiPKPdEEvT1_T3_lS5_lPS5_llPT2_S5_S5_S7_l: ; @_ZN9rocsolver6v33100L18getf2_small_kernelILi49EdiiPKPdEEvT1_T3_lS5_lPS5_llPT2_S5_S5_S7_l
; %bb.0:
	s_load_dword s0, s[4:5], 0x6c
	s_load_dwordx2 s[12:13], s[4:5], 0x48
	v_bfe_u32 v102, v0, 10, 10
	s_waitcnt lgkmcnt(0)
	s_lshr_b32 s0, s0, 16
	s_mul_i32 s7, s7, s0
	v_add_u32_e32 v2, s7, v102
	v_cmp_gt_i32_e32 vcc, s12, v2
	s_and_saveexec_b64 s[0:1], vcc
	s_cbranch_execz .LBB96_830
; %bb.1:
	s_load_dwordx4 s[0:3], s[4:5], 0x8
	s_load_dwordx4 s[8:11], s[4:5], 0x50
	v_ashrrev_i32_e32 v3, 31, v2
	v_lshlrev_b64 v[4:5], 3, v[2:3]
	s_waitcnt lgkmcnt(0)
	v_mov_b32_e32 v1, s1
	v_add_co_u32_e32 v4, vcc, s0, v4
	v_addc_co_u32_e32 v5, vcc, v1, v5, vcc
	global_load_dwordx2 v[6:7], v[4:5], off
	s_cmp_eq_u64 s[8:9], 0
	s_cselect_b64 s[6:7], -1, 0
	s_and_b64 vcc, exec, s[6:7]
	v_pk_mov_b32 v[4:5], 0, 0
	s_cbranch_vccnz .LBB96_3
; %bb.2:
	v_mul_lo_u32 v1, v3, s10
	v_mul_lo_u32 v8, v2, s11
	v_mad_u64_u32 v[4:5], s[0:1], v2, s10, 0
	v_add3_u32 v5, v5, v8, v1
	v_lshlrev_b64 v[4:5], 2, v[4:5]
	v_mov_b32_e32 v1, s9
	v_add_co_u32_e32 v4, vcc, s8, v4
	v_addc_co_u32_e32 v5, vcc, v1, v5, vcc
.LBB96_3:
	s_load_dword s8, s[4:5], 0x18
	s_load_dword s18, s[4:5], 0x0
	s_lshl_b64 s[0:1], s[2:3], 3
	v_and_b32_e32 v110, 0x3ff, v0
	v_mov_b32_e32 v1, s1
	s_waitcnt lgkmcnt(0)
	s_add_i32 s12, s8, s8
	s_waitcnt vmcnt(0)
	v_add_co_u32_e32 v108, vcc, s0, v6
	v_add_u32_e32 v6, s12, v110
	v_addc_co_u32_e32 v109, vcc, v7, v1, vcc
	v_ashrrev_i32_e32 v7, 31, v6
	v_lshlrev_b64 v[0:1], 3, v[6:7]
	v_add_u32_e32 v6, s8, v6
	v_add_co_u32_e32 v0, vcc, v108, v0
	v_ashrrev_i32_e32 v7, 31, v6
	v_addc_co_u32_e32 v1, vcc, v109, v1, vcc
	v_lshlrev_b64 v[8:9], 3, v[6:7]
	v_add_u32_e32 v10, s8, v6
	v_add_co_u32_e32 v8, vcc, v108, v8
	v_ashrrev_i32_e32 v11, 31, v10
	v_addc_co_u32_e32 v9, vcc, v109, v9, vcc
	;; [unrolled: 5-line block ×46, first 2 shown]
	v_lshlrev_b64 v[10:11], 3, v[10:11]
	v_add_co_u32_e32 v162, vcc, v108, v10
	v_addc_co_u32_e32 v163, vcc, v109, v11, vcc
	v_lshlrev_b32_e32 v103, 3, v110
	v_add_co_u32_e32 v10, vcc, v108, v103
	s_ashr_i32 s9, s8, 31
	v_addc_co_u32_e32 v11, vcc, 0, v109, vcc
	s_lshl_b64 s[10:11], s[8:9], 3
	v_mov_b32_e32 v43, s11
	v_add_co_u32_e32 v42, vcc, s10, v10
	v_addc_co_u32_e32 v43, vcc, v11, v43, vcc
	s_max_i32 s0, s18, 49
	global_load_dwordx2 v[96:97], v[10:11], off
	global_load_dwordx2 v[98:99], v[42:43], off
	;; [unrolled: 1-line block ×10, first 2 shown]
                                        ; kill: killed $vgpr8 killed $vgpr9
                                        ; kill: killed $vgpr12 killed $vgpr13
                                        ; kill: killed $vgpr16 killed $vgpr17
                                        ; kill: killed $vgpr20 killed $vgpr21
                                        ; kill: killed $vgpr10 killed $vgpr11
                                        ; kill: killed $vgpr0 killed $vgpr1
                                        ; kill: killed $vgpr42 killed $vgpr43
                                        ; kill: killed $vgpr6 killed $vgpr7
                                        ; kill: killed $vgpr14 killed $vgpr15
                                        ; kill: killed $vgpr18 killed $vgpr19
	global_load_dwordx2 v[80:81], v[22:23], off
	global_load_dwordx2 v[76:77], v[24:25], off
	;; [unrolled: 1-line block ×10, first 2 shown]
                                        ; kill: killed $vgpr24 killed $vgpr25
                                        ; kill: killed $vgpr28 killed $vgpr29
                                        ; kill: killed $vgpr32 killed $vgpr33
                                        ; kill: killed $vgpr36 killed $vgpr37
                                        ; kill: killed $vgpr40 killed $vgpr41
                                        ; kill: killed $vgpr22 killed $vgpr23
                                        ; kill: killed $vgpr26 killed $vgpr27
                                        ; kill: killed $vgpr30 killed $vgpr31
                                        ; kill: killed $vgpr34 killed $vgpr35
                                        ; kill: killed $vgpr38 killed $vgpr39
	global_load_dwordx2 v[60:61], v[100:101], off
	global_load_dwordx2 v[56:57], v[104:105], off
	;; [unrolled: 1-line block ×10, first 2 shown]
                                        ; kill: killed $vgpr100 killed $vgpr101
                                        ; kill: killed $vgpr106 killed $vgpr107
                                        ; kill: killed $vgpr114 killed $vgpr115
                                        ; kill: killed $vgpr118 killed $vgpr119
                                        ; kill: killed $vgpr122 killed $vgpr123
                                        ; kill: killed $vgpr104 killed $vgpr105
                                        ; kill: killed $vgpr112 killed $vgpr113
                                        ; kill: killed $vgpr116 killed $vgpr117
                                        ; kill: killed $vgpr120 killed $vgpr121
                                        ; kill: killed $vgpr124 killed $vgpr125
	global_load_dwordx2 v[40:41], v[126:127], off
	global_load_dwordx2 v[36:37], v[128:129], off
	;; [unrolled: 1-line block ×10, first 2 shown]
                                        ; kill: killed $vgpr136 killed $vgpr137
                                        ; kill: killed $vgpr140 killed $vgpr141
                                        ; kill: killed $vgpr144 killed $vgpr145
                                        ; kill: killed $vgpr126 killed $vgpr127
                                        ; kill: killed $vgpr130 killed $vgpr131
                                        ; kill: killed $vgpr134 killed $vgpr135
                                        ; kill: killed $vgpr138 killed $vgpr139
                                        ; kill: killed $vgpr142 killed $vgpr143
                                        ; kill: killed $vgpr128 killed $vgpr129
                                        ; kill: killed $vgpr132 killed $vgpr133
	global_load_dwordx2 v[20:21], v[146:147], off
	global_load_dwordx2 v[16:17], v[148:149], off
	;; [unrolled: 1-line block ×9, first 2 shown]
	v_mul_lo_u32 v104, s0, v102
	v_lshl_add_u32 v106, v104, 3, 0
	v_add_u32_e32 v102, v106, v103
	s_waitcnt vmcnt(48)
	ds_write_b64 v102, v[96:97]
	s_waitcnt lgkmcnt(0)
	s_barrier
	ds_read_b64 v[102:103], v106
	s_cmp_lt_i32 s18, 2
	v_lshlrev_b32_e32 v111, 3, v104
	v_mov_b32_e32 v104, 0
	s_cbranch_scc1 .LBB96_6
; %bb.4:
	v_add3_u32 v105, v111, 0, 8
	s_mov_b32 s0, 1
	v_mov_b32_e32 v104, 0
.LBB96_5:                               ; =>This Inner Loop Header: Depth=1
	ds_read_b64 v[112:113], v105
	v_mov_b32_e32 v107, s0
	s_add_i32 s0, s0, 1
	v_add_u32_e32 v105, 8, v105
	s_cmp_eq_u32 s18, s0
	s_waitcnt lgkmcnt(0)
	v_cmp_lt_f64_e64 vcc, |v[102:103]|, |v[112:113]|
	v_cndmask_b32_e32 v103, v103, v113, vcc
	v_cndmask_b32_e32 v102, v102, v112, vcc
	;; [unrolled: 1-line block ×3, first 2 shown]
	s_cbranch_scc0 .LBB96_5
.LBB96_6:
	v_cmp_ne_u32_e32 vcc, v110, v104
                                        ; implicit-def: $vgpr107
	s_and_saveexec_b64 s[0:1], vcc
	s_xor_b64 s[0:1], exec, s[0:1]
	s_cbranch_execz .LBB96_12
; %bb.7:
	v_cmp_eq_u32_e32 vcc, 0, v110
	s_and_saveexec_b64 s[2:3], vcc
	s_cbranch_execz .LBB96_11
; %bb.8:
	v_cmp_ne_u32_e32 vcc, 0, v104
	s_xor_b64 s[14:15], s[6:7], -1
	s_and_b64 s[16:17], s[14:15], vcc
	s_and_saveexec_b64 s[14:15], s[16:17]
	s_cbranch_execz .LBB96_10
; %bb.9:
	v_ashrrev_i32_e32 v105, 31, v104
	v_lshlrev_b64 v[112:113], 2, v[104:105]
	v_add_co_u32_e32 v112, vcc, v4, v112
	v_addc_co_u32_e32 v113, vcc, v5, v113, vcc
	flat_load_dword v105, v[112:113]
	flat_load_dword v107, v[4:5]
	s_waitcnt vmcnt(0) lgkmcnt(0)
	flat_store_dword v[4:5], v105
	flat_store_dword v[112:113], v107
.LBB96_10:
	s_or_b64 exec, exec, s[14:15]
	v_mov_b32_e32 v110, v104
.LBB96_11:
	s_or_b64 exec, exec, s[2:3]
	v_mov_b32_e32 v107, v110
                                        ; implicit-def: $vgpr110
.LBB96_12:
	s_or_saveexec_b64 s[0:1], s[0:1]
	v_mov_b32_e32 v105, v107
	s_xor_b64 exec, exec, s[0:1]
	s_cbranch_execz .LBB96_14
; %bb.13:
	v_mov_b32_e32 v107, 0
	v_mov_b32_e32 v105, v110
	s_waitcnt vmcnt(0)
	ds_write2_b64 v106, v[98:99], v[94:95] offset0:1 offset1:2
	ds_write2_b64 v106, v[92:93], v[90:91] offset0:3 offset1:4
	;; [unrolled: 1-line block ×24, first 2 shown]
.LBB96_14:
	s_or_b64 exec, exec, s[0:1]
	s_waitcnt lgkmcnt(0)
	v_cmp_eq_f64_e64 s[0:1], 0, v[102:103]
	v_cmp_lt_i32_e32 vcc, 0, v107
	s_barrier
	s_and_saveexec_b64 s[2:3], vcc
	s_cbranch_execz .LBB96_16
; %bb.15:
	v_div_scale_f64 v[112:113], s[14:15], v[102:103], v[102:103], 1.0
	v_rcp_f64_e32 v[114:115], v[112:113]
	v_div_scale_f64 v[116:117], vcc, 1.0, v[102:103], 1.0
	ds_read2_b64 v[120:123], v106 offset0:5 offset1:6
	v_fma_f64 v[118:119], -v[112:113], v[114:115], 1.0
	v_fmac_f64_e32 v[114:115], v[114:115], v[118:119]
	v_fma_f64 v[118:119], -v[112:113], v[114:115], 1.0
	v_fmac_f64_e32 v[114:115], v[114:115], v[118:119]
	v_mul_f64 v[118:119], v[116:117], v[114:115]
	v_fma_f64 v[112:113], -v[112:113], v[118:119], v[116:117]
	v_div_fmas_f64 v[112:113], v[112:113], v[114:115], v[118:119]
	v_div_fixup_f64 v[116:117], v[112:113], v[102:103], 1.0
	ds_read2_b64 v[112:115], v106 offset0:1 offset1:2
	v_cndmask_b32_e64 v103, v117, v103, s[0:1]
	v_cndmask_b32_e64 v102, v116, v102, s[0:1]
	ds_read2_b64 v[116:119], v106 offset0:3 offset1:4
	v_mul_f64 v[96:97], v[102:103], v[96:97]
	s_waitcnt vmcnt(0) lgkmcnt(0)
	v_fma_f64 v[98:99], -v[96:97], v[112:113], v[98:99]
	v_fma_f64 v[94:95], -v[96:97], v[114:115], v[94:95]
	ds_read2_b64 v[112:115], v106 offset0:7 offset1:8
	v_fma_f64 v[92:93], -v[96:97], v[116:117], v[92:93]
	v_fma_f64 v[90:91], -v[96:97], v[118:119], v[90:91]
	v_fma_f64 v[88:89], -v[96:97], v[120:121], v[88:89]
	ds_read2_b64 v[116:119], v106 offset0:9 offset1:10
	v_fma_f64 v[86:87], -v[96:97], v[122:123], v[86:87]
	ds_read2_b64 v[120:123], v106 offset0:11 offset1:12
	s_waitcnt lgkmcnt(2)
	v_fma_f64 v[84:85], -v[96:97], v[112:113], v[84:85]
	v_fma_f64 v[82:83], -v[96:97], v[114:115], v[82:83]
	s_waitcnt lgkmcnt(1)
	v_fma_f64 v[78:79], -v[96:97], v[116:117], v[78:79]
	ds_read2_b64 v[112:115], v106 offset0:13 offset1:14
	v_fma_f64 v[80:81], -v[96:97], v[118:119], v[80:81]
	ds_read2_b64 v[116:119], v106 offset0:15 offset1:16
	s_waitcnt lgkmcnt(2)
	v_fma_f64 v[76:77], -v[96:97], v[120:121], v[76:77]
	v_fma_f64 v[74:75], -v[96:97], v[122:123], v[74:75]
	ds_read2_b64 v[120:123], v106 offset0:17 offset1:18
	s_waitcnt lgkmcnt(2)
	v_fma_f64 v[72:73], -v[96:97], v[112:113], v[72:73]
	v_fma_f64 v[70:71], -v[96:97], v[114:115], v[70:71]
	ds_read2_b64 v[112:115], v106 offset0:19 offset1:20
	s_waitcnt lgkmcnt(2)
	v_fma_f64 v[68:69], -v[96:97], v[116:117], v[68:69]
	v_fma_f64 v[66:67], -v[96:97], v[118:119], v[66:67]
	s_waitcnt lgkmcnt(1)
	v_fma_f64 v[64:65], -v[96:97], v[120:121], v[64:65]
	ds_read2_b64 v[116:119], v106 offset0:21 offset1:22
	v_fma_f64 v[62:63], -v[96:97], v[122:123], v[62:63]
	ds_read2_b64 v[120:123], v106 offset0:23 offset1:24
	s_waitcnt lgkmcnt(2)
	v_fma_f64 v[58:59], -v[96:97], v[112:113], v[58:59]
	v_fma_f64 v[60:61], -v[96:97], v[114:115], v[60:61]
	s_waitcnt lgkmcnt(1)
	v_fma_f64 v[56:57], -v[96:97], v[116:117], v[56:57]
	ds_read2_b64 v[112:115], v106 offset0:25 offset1:26
	v_fma_f64 v[54:55], -v[96:97], v[118:119], v[54:55]
	ds_read2_b64 v[116:119], v106 offset0:27 offset1:28
	s_waitcnt lgkmcnt(2)
	v_fma_f64 v[52:53], -v[96:97], v[120:121], v[52:53]
	v_fma_f64 v[50:51], -v[96:97], v[122:123], v[50:51]
	ds_read2_b64 v[120:123], v106 offset0:29 offset1:30
	s_waitcnt lgkmcnt(2)
	v_fma_f64 v[48:49], -v[96:97], v[112:113], v[48:49]
	v_fma_f64 v[46:47], -v[96:97], v[114:115], v[46:47]
	ds_read2_b64 v[112:115], v106 offset0:31 offset1:32
	s_waitcnt lgkmcnt(2)
	v_fma_f64 v[44:45], -v[96:97], v[116:117], v[44:45]
	v_fma_f64 v[42:43], -v[96:97], v[118:119], v[42:43]
	s_waitcnt lgkmcnt(1)
	v_fma_f64 v[38:39], -v[96:97], v[120:121], v[38:39]
	;; [unrolled: 24-line block ×3, first 2 shown]
	ds_read2_b64 v[116:119], v106 offset0:45 offset1:46
	v_fma_f64 v[14:15], -v[96:97], v[122:123], v[14:15]
	ds_read2_b64 v[120:123], v106 offset0:47 offset1:48
	s_waitcnt lgkmcnt(2)
	v_fma_f64 v[12:13], -v[96:97], v[112:113], v[12:13]
	v_fma_f64 v[10:11], -v[96:97], v[114:115], v[10:11]
	s_waitcnt lgkmcnt(1)
	v_fma_f64 v[8:9], -v[96:97], v[116:117], v[8:9]
	v_fma_f64 v[6:7], -v[96:97], v[118:119], v[6:7]
	;; [unrolled: 3-line block ×3, first 2 shown]
.LBB96_16:
	s_or_b64 exec, exec, s[2:3]
	v_lshl_add_u32 v102, v107, 3, v106
	s_barrier
	s_waitcnt vmcnt(0)
	ds_write_b64 v102, v[98:99]
	s_waitcnt lgkmcnt(0)
	s_barrier
	ds_read_b64 v[102:103], v106 offset:8
	s_cmp_lt_i32 s18, 3
	v_mov_b32_e32 v104, 1
	s_cbranch_scc1 .LBB96_19
; %bb.17:
	v_add3_u32 v110, v111, 0, 16
	s_mov_b32 s2, 2
	v_mov_b32_e32 v104, 1
.LBB96_18:                              ; =>This Inner Loop Header: Depth=1
	ds_read_b64 v[112:113], v110
	v_mov_b32_e32 v114, s2
	s_add_i32 s2, s2, 1
	v_add_u32_e32 v110, 8, v110
	s_cmp_lg_u32 s18, s2
	s_waitcnt lgkmcnt(0)
	v_cmp_lt_f64_e64 vcc, |v[102:103]|, |v[112:113]|
	v_cndmask_b32_e32 v103, v103, v113, vcc
	v_cndmask_b32_e32 v102, v102, v112, vcc
	;; [unrolled: 1-line block ×3, first 2 shown]
	s_cbranch_scc1 .LBB96_18
.LBB96_19:
	v_cmp_ne_u32_e32 vcc, v107, v104
	s_and_saveexec_b64 s[2:3], vcc
	s_xor_b64 s[2:3], exec, s[2:3]
	s_cbranch_execz .LBB96_25
; %bb.20:
	v_cmp_eq_u32_e32 vcc, 1, v107
	s_and_saveexec_b64 s[14:15], vcc
	s_cbranch_execz .LBB96_24
; %bb.21:
	v_cmp_ne_u32_e32 vcc, 1, v104
	s_xor_b64 s[16:17], s[6:7], -1
	s_and_b64 s[20:21], s[16:17], vcc
	s_and_saveexec_b64 s[16:17], s[20:21]
	s_cbranch_execz .LBB96_23
; %bb.22:
	v_ashrrev_i32_e32 v105, 31, v104
	v_lshlrev_b64 v[112:113], 2, v[104:105]
	v_add_co_u32_e32 v112, vcc, v4, v112
	v_addc_co_u32_e32 v113, vcc, v5, v113, vcc
	flat_load_dword v105, v[112:113]
	flat_load_dword v107, v[4:5] offset:4
	s_waitcnt vmcnt(0) lgkmcnt(0)
	flat_store_dword v[4:5], v105 offset:4
	flat_store_dword v[112:113], v107
.LBB96_23:
	s_or_b64 exec, exec, s[16:17]
	v_mov_b32_e32 v105, v104
	v_mov_b32_e32 v107, v104
.LBB96_24:
	s_or_b64 exec, exec, s[14:15]
.LBB96_25:
	s_andn2_saveexec_b64 s[2:3], s[2:3]
	s_cbranch_execz .LBB96_27
; %bb.26:
	v_mov_b32_e32 v112, v94
	v_mov_b32_e32 v113, v95
	v_mov_b32_e32 v114, v92
	v_mov_b32_e32 v115, v93
	ds_write2_b64 v106, v[112:113], v[114:115] offset0:2 offset1:3
	v_mov_b32_e32 v112, v90
	v_mov_b32_e32 v113, v91
	v_mov_b32_e32 v114, v88
	v_mov_b32_e32 v115, v89
	ds_write2_b64 v106, v[112:113], v[114:115] offset0:4 offset1:5
	v_mov_b32_e32 v112, v86
	v_mov_b32_e32 v113, v87
	v_mov_b32_e32 v114, v84
	v_mov_b32_e32 v115, v85
	ds_write2_b64 v106, v[112:113], v[114:115] offset0:6 offset1:7
	v_mov_b32_e32 v112, v82
	v_mov_b32_e32 v113, v83
	v_mov_b32_e32 v114, v78
	v_mov_b32_e32 v115, v79
	ds_write2_b64 v106, v[112:113], v[114:115] offset0:8 offset1:9
	v_mov_b32_e32 v112, v80
	v_mov_b32_e32 v113, v81
	v_mov_b32_e32 v114, v76
	v_mov_b32_e32 v115, v77
	ds_write2_b64 v106, v[112:113], v[114:115] offset0:10 offset1:11
	v_mov_b32_e32 v112, v74
	v_mov_b32_e32 v113, v75
	v_mov_b32_e32 v114, v72
	v_mov_b32_e32 v115, v73
	ds_write2_b64 v106, v[112:113], v[114:115] offset0:12 offset1:13
	v_mov_b32_e32 v112, v70
	v_mov_b32_e32 v113, v71
	v_mov_b32_e32 v114, v68
	v_mov_b32_e32 v115, v69
	ds_write2_b64 v106, v[112:113], v[114:115] offset0:14 offset1:15
	v_mov_b32_e32 v112, v66
	v_mov_b32_e32 v113, v67
	v_mov_b32_e32 v114, v64
	v_mov_b32_e32 v115, v65
	ds_write2_b64 v106, v[112:113], v[114:115] offset0:16 offset1:17
	v_mov_b32_e32 v112, v62
	v_mov_b32_e32 v113, v63
	v_mov_b32_e32 v114, v58
	v_mov_b32_e32 v115, v59
	ds_write2_b64 v106, v[112:113], v[114:115] offset0:18 offset1:19
	v_mov_b32_e32 v112, v60
	v_mov_b32_e32 v113, v61
	v_mov_b32_e32 v114, v56
	v_mov_b32_e32 v115, v57
	ds_write2_b64 v106, v[112:113], v[114:115] offset0:20 offset1:21
	v_mov_b32_e32 v112, v54
	v_mov_b32_e32 v113, v55
	v_mov_b32_e32 v114, v52
	v_mov_b32_e32 v115, v53
	ds_write2_b64 v106, v[112:113], v[114:115] offset0:22 offset1:23
	v_mov_b32_e32 v112, v50
	v_mov_b32_e32 v113, v51
	v_mov_b32_e32 v114, v48
	v_mov_b32_e32 v115, v49
	ds_write2_b64 v106, v[112:113], v[114:115] offset0:24 offset1:25
	v_mov_b32_e32 v112, v46
	v_mov_b32_e32 v113, v47
	v_mov_b32_e32 v114, v44
	v_mov_b32_e32 v115, v45
	ds_write2_b64 v106, v[112:113], v[114:115] offset0:26 offset1:27
	v_mov_b32_e32 v112, v42
	v_mov_b32_e32 v113, v43
	v_mov_b32_e32 v114, v38
	v_mov_b32_e32 v115, v39
	ds_write2_b64 v106, v[112:113], v[114:115] offset0:28 offset1:29
	v_mov_b32_e32 v112, v40
	v_mov_b32_e32 v113, v41
	v_mov_b32_e32 v114, v36
	v_mov_b32_e32 v115, v37
	ds_write2_b64 v106, v[112:113], v[114:115] offset0:30 offset1:31
	v_mov_b32_e32 v112, v34
	v_mov_b32_e32 v113, v35
	v_mov_b32_e32 v114, v32
	v_mov_b32_e32 v115, v33
	ds_write2_b64 v106, v[112:113], v[114:115] offset0:32 offset1:33
	v_mov_b32_e32 v112, v30
	v_mov_b32_e32 v113, v31
	v_mov_b32_e32 v114, v28
	v_mov_b32_e32 v115, v29
	ds_write2_b64 v106, v[112:113], v[114:115] offset0:34 offset1:35
	v_mov_b32_e32 v112, v26
	v_mov_b32_e32 v113, v27
	v_mov_b32_e32 v114, v24
	v_mov_b32_e32 v115, v25
	ds_write2_b64 v106, v[112:113], v[114:115] offset0:36 offset1:37
	v_mov_b32_e32 v112, v22
	v_mov_b32_e32 v113, v23
	v_mov_b32_e32 v114, v18
	v_mov_b32_e32 v115, v19
	ds_write2_b64 v106, v[112:113], v[114:115] offset0:38 offset1:39
	v_mov_b32_e32 v112, v20
	v_mov_b32_e32 v113, v21
	v_mov_b32_e32 v114, v16
	v_mov_b32_e32 v115, v17
	ds_write2_b64 v106, v[112:113], v[114:115] offset0:40 offset1:41
	v_mov_b32_e32 v112, v14
	v_mov_b32_e32 v113, v15
	v_mov_b32_e32 v114, v12
	v_mov_b32_e32 v115, v13
	ds_write2_b64 v106, v[112:113], v[114:115] offset0:42 offset1:43
	v_mov_b32_e32 v112, v10
	v_mov_b32_e32 v113, v11
	v_mov_b32_e32 v114, v8
	v_mov_b32_e32 v115, v9
	ds_write2_b64 v106, v[112:113], v[114:115] offset0:44 offset1:45
	v_mov_b32_e32 v112, v6
	v_mov_b32_e32 v113, v7
	;; [unrolled: 1-line block ×5, first 2 shown]
	ds_write2_b64 v106, v[112:113], v[114:115] offset0:46 offset1:47
	ds_write_b64 v106, v[100:101] offset:384
.LBB96_27:
	s_or_b64 exec, exec, s[2:3]
	s_waitcnt lgkmcnt(0)
	v_cmp_neq_f64_e64 s[2:3], 0, v[102:103]
	v_cmp_lt_i32_e32 vcc, 1, v107
	s_barrier
	s_and_saveexec_b64 s[14:15], vcc
	s_cbranch_execz .LBB96_29
; %bb.28:
	v_div_scale_f64 v[112:113], s[16:17], v[102:103], v[102:103], 1.0
	v_rcp_f64_e32 v[114:115], v[112:113]
	v_div_scale_f64 v[116:117], vcc, 1.0, v[102:103], 1.0
	ds_read2_b64 v[120:123], v106 offset0:6 offset1:7
	v_fma_f64 v[118:119], -v[112:113], v[114:115], 1.0
	v_fmac_f64_e32 v[114:115], v[114:115], v[118:119]
	v_fma_f64 v[118:119], -v[112:113], v[114:115], 1.0
	v_fmac_f64_e32 v[114:115], v[114:115], v[118:119]
	v_mul_f64 v[118:119], v[116:117], v[114:115]
	v_fma_f64 v[112:113], -v[112:113], v[118:119], v[116:117]
	v_div_fmas_f64 v[112:113], v[112:113], v[114:115], v[118:119]
	v_div_fixup_f64 v[116:117], v[112:113], v[102:103], 1.0
	ds_read2_b64 v[112:115], v106 offset0:2 offset1:3
	v_cndmask_b32_e64 v103, v103, v117, s[2:3]
	v_cndmask_b32_e64 v102, v102, v116, s[2:3]
	ds_read2_b64 v[116:119], v106 offset0:4 offset1:5
	v_mul_f64 v[98:99], v[102:103], v[98:99]
	s_waitcnt lgkmcnt(0)
	v_fma_f64 v[94:95], -v[98:99], v[112:113], v[94:95]
	v_fma_f64 v[92:93], -v[98:99], v[114:115], v[92:93]
	ds_read2_b64 v[112:115], v106 offset0:8 offset1:9
	v_fma_f64 v[90:91], -v[98:99], v[116:117], v[90:91]
	v_fma_f64 v[88:89], -v[98:99], v[118:119], v[88:89]
	ds_read2_b64 v[116:119], v106 offset0:10 offset1:11
	;; [unrolled: 3-line block ×3, first 2 shown]
	s_waitcnt lgkmcnt(0)
	v_fma_f64 v[82:83], -v[98:99], v[112:113], v[82:83]
	v_fma_f64 v[78:79], -v[98:99], v[114:115], v[78:79]
	;; [unrolled: 1-line block ×3, first 2 shown]
	ds_read2_b64 v[112:115], v106 offset0:14 offset1:15
	v_fma_f64 v[76:77], -v[98:99], v[118:119], v[76:77]
	ds_read2_b64 v[116:119], v106 offset0:16 offset1:17
	v_fma_f64 v[74:75], -v[98:99], v[120:121], v[74:75]
	v_fma_f64 v[72:73], -v[98:99], v[122:123], v[72:73]
	s_waitcnt lgkmcnt(0)
	v_fma_f64 v[70:71], -v[98:99], v[112:113], v[70:71]
	ds_read2_b64 v[120:123], v106 offset0:18 offset1:19
	v_fma_f64 v[68:69], -v[98:99], v[114:115], v[68:69]
	ds_read2_b64 v[112:115], v106 offset0:20 offset1:21
	v_fma_f64 v[66:67], -v[98:99], v[116:117], v[66:67]
	v_fma_f64 v[64:65], -v[98:99], v[118:119], v[64:65]
	ds_read2_b64 v[116:119], v106 offset0:22 offset1:23
	s_waitcnt lgkmcnt(0)
	v_fma_f64 v[62:63], -v[98:99], v[120:121], v[62:63]
	v_fma_f64 v[58:59], -v[98:99], v[122:123], v[58:59]
	ds_read2_b64 v[120:123], v106 offset0:24 offset1:25
	v_fma_f64 v[60:61], -v[98:99], v[112:113], v[60:61]
	v_fma_f64 v[56:57], -v[98:99], v[114:115], v[56:57]
	;; [unrolled: 1-line block ×3, first 2 shown]
	ds_read2_b64 v[112:115], v106 offset0:26 offset1:27
	v_fma_f64 v[52:53], -v[98:99], v[118:119], v[52:53]
	ds_read2_b64 v[116:119], v106 offset0:28 offset1:29
	s_waitcnt lgkmcnt(0)
	v_fma_f64 v[50:51], -v[98:99], v[120:121], v[50:51]
	v_fma_f64 v[48:49], -v[98:99], v[122:123], v[48:49]
	;; [unrolled: 1-line block ×3, first 2 shown]
	ds_read2_b64 v[120:123], v106 offset0:30 offset1:31
	v_fma_f64 v[44:45], -v[98:99], v[114:115], v[44:45]
	ds_read2_b64 v[112:115], v106 offset0:32 offset1:33
	v_fma_f64 v[42:43], -v[98:99], v[116:117], v[42:43]
	v_fma_f64 v[38:39], -v[98:99], v[118:119], v[38:39]
	ds_read2_b64 v[116:119], v106 offset0:34 offset1:35
	s_waitcnt lgkmcnt(0)
	v_fma_f64 v[40:41], -v[98:99], v[120:121], v[40:41]
	v_fma_f64 v[36:37], -v[98:99], v[122:123], v[36:37]
	ds_read2_b64 v[120:123], v106 offset0:36 offset1:37
	v_fma_f64 v[34:35], -v[98:99], v[112:113], v[34:35]
	v_fma_f64 v[32:33], -v[98:99], v[114:115], v[32:33]
	;; [unrolled: 1-line block ×3, first 2 shown]
	ds_read2_b64 v[112:115], v106 offset0:38 offset1:39
	v_fma_f64 v[28:29], -v[98:99], v[118:119], v[28:29]
	ds_read2_b64 v[116:119], v106 offset0:40 offset1:41
	s_waitcnt lgkmcnt(0)
	v_fma_f64 v[26:27], -v[98:99], v[120:121], v[26:27]
	v_fma_f64 v[24:25], -v[98:99], v[122:123], v[24:25]
	;; [unrolled: 1-line block ×3, first 2 shown]
	ds_read2_b64 v[120:123], v106 offset0:42 offset1:43
	v_fma_f64 v[18:19], -v[98:99], v[114:115], v[18:19]
	ds_read2_b64 v[112:115], v106 offset0:44 offset1:45
	v_fma_f64 v[20:21], -v[98:99], v[116:117], v[20:21]
	v_fma_f64 v[16:17], -v[98:99], v[118:119], v[16:17]
	ds_read2_b64 v[116:119], v106 offset0:46 offset1:47
	ds_read_b64 v[102:103], v106 offset:384
	s_waitcnt lgkmcnt(0)
	v_fma_f64 v[14:15], -v[98:99], v[120:121], v[14:15]
	v_fma_f64 v[12:13], -v[98:99], v[122:123], v[12:13]
	;; [unrolled: 1-line block ×7, first 2 shown]
.LBB96_29:
	s_or_b64 exec, exec, s[14:15]
	v_lshl_add_u32 v102, v107, 3, v106
	s_barrier
	ds_write_b64 v102, v[94:95]
	s_waitcnt lgkmcnt(0)
	s_barrier
	ds_read_b64 v[102:103], v106 offset:16
	s_mov_b32 s9, 3
	s_cmp_lt_i32 s18, 4
	v_mov_b32_e32 v104, 2
	s_cbranch_scc1 .LBB96_32
; %bb.30:
	v_add3_u32 v110, v111, 0, 24
	v_mov_b32_e32 v104, 2
.LBB96_31:                              ; =>This Inner Loop Header: Depth=1
	ds_read_b64 v[112:113], v110
	v_mov_b32_e32 v114, s9
	s_add_i32 s9, s9, 1
	v_add_u32_e32 v110, 8, v110
	s_cmp_lg_u32 s18, s9
	s_waitcnt lgkmcnt(0)
	v_cmp_lt_f64_e64 vcc, |v[102:103]|, |v[112:113]|
	v_cndmask_b32_e32 v103, v103, v113, vcc
	v_cndmask_b32_e32 v102, v102, v112, vcc
	;; [unrolled: 1-line block ×3, first 2 shown]
	s_cbranch_scc1 .LBB96_31
.LBB96_32:
	v_cndmask_b32_e64 v110, 2, 1, s[0:1]
	v_cndmask_b32_e64 v112, 0, 1, s[0:1]
	;; [unrolled: 1-line block ×3, first 2 shown]
	s_waitcnt lgkmcnt(0)
	v_cmp_eq_f64_e32 vcc, 0, v[102:103]
	s_and_saveexec_b64 s[0:1], vcc
	s_xor_b64 s[0:1], exec, s[0:1]
; %bb.33:
	v_cmp_ne_u32_e32 vcc, 0, v110
	v_cndmask_b32_e32 v110, 3, v110, vcc
; %bb.34:
	s_andn2_saveexec_b64 s[0:1], s[0:1]
; %bb.35:
	v_div_scale_f64 v[112:113], s[2:3], v[102:103], v[102:103], 1.0
	v_rcp_f64_e32 v[114:115], v[112:113]
	v_div_scale_f64 v[116:117], vcc, 1.0, v[102:103], 1.0
	v_fma_f64 v[118:119], -v[112:113], v[114:115], 1.0
	v_fmac_f64_e32 v[114:115], v[114:115], v[118:119]
	v_fma_f64 v[118:119], -v[112:113], v[114:115], 1.0
	v_fmac_f64_e32 v[114:115], v[114:115], v[118:119]
	v_mul_f64 v[118:119], v[116:117], v[114:115]
	v_fma_f64 v[112:113], -v[112:113], v[118:119], v[116:117]
	v_div_fmas_f64 v[112:113], v[112:113], v[114:115], v[118:119]
	v_div_fixup_f64 v[102:103], v[112:113], v[102:103], 1.0
; %bb.36:
	s_or_b64 exec, exec, s[0:1]
	v_cmp_ne_u32_e32 vcc, v107, v104
	s_and_saveexec_b64 s[0:1], vcc
	s_xor_b64 s[0:1], exec, s[0:1]
	s_cbranch_execz .LBB96_42
; %bb.37:
	v_cmp_eq_u32_e32 vcc, 2, v107
	s_and_saveexec_b64 s[2:3], vcc
	s_cbranch_execz .LBB96_41
; %bb.38:
	v_cmp_ne_u32_e32 vcc, 2, v104
	s_xor_b64 s[14:15], s[6:7], -1
	s_and_b64 s[16:17], s[14:15], vcc
	s_and_saveexec_b64 s[14:15], s[16:17]
	s_cbranch_execz .LBB96_40
; %bb.39:
	v_ashrrev_i32_e32 v105, 31, v104
	v_lshlrev_b64 v[112:113], 2, v[104:105]
	v_add_co_u32_e32 v112, vcc, v4, v112
	v_addc_co_u32_e32 v113, vcc, v5, v113, vcc
	flat_load_dword v105, v[112:113]
	flat_load_dword v107, v[4:5] offset:8
	s_waitcnt vmcnt(0) lgkmcnt(0)
	flat_store_dword v[4:5], v105 offset:8
	flat_store_dword v[112:113], v107
.LBB96_40:
	s_or_b64 exec, exec, s[14:15]
	v_mov_b32_e32 v105, v104
	v_mov_b32_e32 v107, v104
.LBB96_41:
	s_or_b64 exec, exec, s[2:3]
.LBB96_42:
	s_andn2_saveexec_b64 s[0:1], s[0:1]
	s_cbranch_execz .LBB96_44
; %bb.43:
	v_mov_b32_e32 v107, 2
	ds_write2_b64 v106, v[92:93], v[90:91] offset0:3 offset1:4
	ds_write2_b64 v106, v[88:89], v[86:87] offset0:5 offset1:6
	ds_write2_b64 v106, v[84:85], v[82:83] offset0:7 offset1:8
	ds_write2_b64 v106, v[78:79], v[80:81] offset0:9 offset1:10
	ds_write2_b64 v106, v[76:77], v[74:75] offset0:11 offset1:12
	ds_write2_b64 v106, v[72:73], v[70:71] offset0:13 offset1:14
	ds_write2_b64 v106, v[68:69], v[66:67] offset0:15 offset1:16
	ds_write2_b64 v106, v[64:65], v[62:63] offset0:17 offset1:18
	ds_write2_b64 v106, v[58:59], v[60:61] offset0:19 offset1:20
	ds_write2_b64 v106, v[56:57], v[54:55] offset0:21 offset1:22
	ds_write2_b64 v106, v[52:53], v[50:51] offset0:23 offset1:24
	ds_write2_b64 v106, v[48:49], v[46:47] offset0:25 offset1:26
	ds_write2_b64 v106, v[44:45], v[42:43] offset0:27 offset1:28
	ds_write2_b64 v106, v[38:39], v[40:41] offset0:29 offset1:30
	ds_write2_b64 v106, v[36:37], v[34:35] offset0:31 offset1:32
	ds_write2_b64 v106, v[32:33], v[30:31] offset0:33 offset1:34
	ds_write2_b64 v106, v[28:29], v[26:27] offset0:35 offset1:36
	ds_write2_b64 v106, v[24:25], v[22:23] offset0:37 offset1:38
	ds_write2_b64 v106, v[18:19], v[20:21] offset0:39 offset1:40
	ds_write2_b64 v106, v[16:17], v[14:15] offset0:41 offset1:42
	ds_write2_b64 v106, v[12:13], v[10:11] offset0:43 offset1:44
	ds_write2_b64 v106, v[8:9], v[6:7] offset0:45 offset1:46
	ds_write2_b64 v106, v[0:1], v[100:101] offset0:47 offset1:48
.LBB96_44:
	s_or_b64 exec, exec, s[0:1]
	v_cmp_lt_i32_e32 vcc, 2, v107
	s_waitcnt lgkmcnt(0)
	s_barrier
	s_and_saveexec_b64 s[0:1], vcc
	s_cbranch_execz .LBB96_46
; %bb.45:
	ds_read2_b64 v[112:115], v106 offset0:3 offset1:4
	ds_read2_b64 v[116:119], v106 offset0:5 offset1:6
	v_mul_f64 v[94:95], v[102:103], v[94:95]
	ds_read2_b64 v[120:123], v106 offset0:7 offset1:8
	s_waitcnt lgkmcnt(0)
	v_fma_f64 v[92:93], -v[94:95], v[112:113], v[92:93]
	v_fma_f64 v[90:91], -v[94:95], v[114:115], v[90:91]
	ds_read2_b64 v[112:115], v106 offset0:9 offset1:10
	v_fma_f64 v[88:89], -v[94:95], v[116:117], v[88:89]
	v_fma_f64 v[86:87], -v[94:95], v[118:119], v[86:87]
	ds_read2_b64 v[116:119], v106 offset0:11 offset1:12
	;; [unrolled: 3-line block ×3, first 2 shown]
	s_waitcnt lgkmcnt(0)
	v_fma_f64 v[78:79], -v[94:95], v[112:113], v[78:79]
	v_fma_f64 v[80:81], -v[94:95], v[114:115], v[80:81]
	;; [unrolled: 1-line block ×3, first 2 shown]
	ds_read2_b64 v[112:115], v106 offset0:15 offset1:16
	v_fma_f64 v[74:75], -v[94:95], v[118:119], v[74:75]
	ds_read2_b64 v[116:119], v106 offset0:17 offset1:18
	v_fma_f64 v[72:73], -v[94:95], v[120:121], v[72:73]
	v_fma_f64 v[70:71], -v[94:95], v[122:123], v[70:71]
	s_waitcnt lgkmcnt(0)
	v_fma_f64 v[68:69], -v[94:95], v[112:113], v[68:69]
	ds_read2_b64 v[120:123], v106 offset0:19 offset1:20
	v_fma_f64 v[66:67], -v[94:95], v[114:115], v[66:67]
	ds_read2_b64 v[112:115], v106 offset0:21 offset1:22
	v_fma_f64 v[64:65], -v[94:95], v[116:117], v[64:65]
	v_fma_f64 v[62:63], -v[94:95], v[118:119], v[62:63]
	ds_read2_b64 v[116:119], v106 offset0:23 offset1:24
	s_waitcnt lgkmcnt(0)
	v_fma_f64 v[58:59], -v[94:95], v[120:121], v[58:59]
	v_fma_f64 v[60:61], -v[94:95], v[122:123], v[60:61]
	ds_read2_b64 v[120:123], v106 offset0:25 offset1:26
	v_fma_f64 v[56:57], -v[94:95], v[112:113], v[56:57]
	v_fma_f64 v[54:55], -v[94:95], v[114:115], v[54:55]
	;; [unrolled: 1-line block ×3, first 2 shown]
	ds_read2_b64 v[112:115], v106 offset0:27 offset1:28
	v_fma_f64 v[50:51], -v[94:95], v[118:119], v[50:51]
	ds_read2_b64 v[116:119], v106 offset0:29 offset1:30
	s_waitcnt lgkmcnt(0)
	v_fma_f64 v[48:49], -v[94:95], v[120:121], v[48:49]
	v_fma_f64 v[46:47], -v[94:95], v[122:123], v[46:47]
	;; [unrolled: 1-line block ×3, first 2 shown]
	ds_read2_b64 v[120:123], v106 offset0:31 offset1:32
	v_fma_f64 v[42:43], -v[94:95], v[114:115], v[42:43]
	ds_read2_b64 v[112:115], v106 offset0:33 offset1:34
	v_fma_f64 v[38:39], -v[94:95], v[116:117], v[38:39]
	v_fma_f64 v[40:41], -v[94:95], v[118:119], v[40:41]
	ds_read2_b64 v[116:119], v106 offset0:35 offset1:36
	s_waitcnt lgkmcnt(0)
	v_fma_f64 v[36:37], -v[94:95], v[120:121], v[36:37]
	v_fma_f64 v[34:35], -v[94:95], v[122:123], v[34:35]
	ds_read2_b64 v[120:123], v106 offset0:37 offset1:38
	v_fma_f64 v[32:33], -v[94:95], v[112:113], v[32:33]
	v_fma_f64 v[30:31], -v[94:95], v[114:115], v[30:31]
	;; [unrolled: 1-line block ×3, first 2 shown]
	ds_read2_b64 v[112:115], v106 offset0:39 offset1:40
	v_fma_f64 v[26:27], -v[94:95], v[118:119], v[26:27]
	ds_read2_b64 v[116:119], v106 offset0:41 offset1:42
	s_waitcnt lgkmcnt(0)
	v_fma_f64 v[24:25], -v[94:95], v[120:121], v[24:25]
	v_fma_f64 v[22:23], -v[94:95], v[122:123], v[22:23]
	;; [unrolled: 1-line block ×4, first 2 shown]
	ds_read2_b64 v[112:115], v106 offset0:43 offset1:44
	ds_read2_b64 v[120:123], v106 offset0:45 offset1:46
	v_fma_f64 v[16:17], -v[94:95], v[116:117], v[16:17]
	v_fma_f64 v[14:15], -v[94:95], v[118:119], v[14:15]
	ds_read2_b64 v[116:119], v106 offset0:47 offset1:48
	s_waitcnt lgkmcnt(0)
	v_fma_f64 v[12:13], -v[94:95], v[112:113], v[12:13]
	v_fma_f64 v[10:11], -v[94:95], v[114:115], v[10:11]
	;; [unrolled: 1-line block ×6, first 2 shown]
.LBB96_46:
	s_or_b64 exec, exec, s[0:1]
	v_lshl_add_u32 v102, v107, 3, v106
	s_barrier
	ds_write_b64 v102, v[92:93]
	s_waitcnt lgkmcnt(0)
	s_barrier
	ds_read_b64 v[102:103], v106 offset:24
	s_cmp_lt_i32 s18, 5
	v_mov_b32_e32 v104, 3
	s_cbranch_scc1 .LBB96_49
; %bb.47:
	v_add3_u32 v112, v111, 0, 32
	s_mov_b32 s0, 4
	v_mov_b32_e32 v104, 3
.LBB96_48:                              ; =>This Inner Loop Header: Depth=1
	ds_read_b64 v[114:115], v112
	v_mov_b32_e32 v113, s0
	s_add_i32 s0, s0, 1
	v_add_u32_e32 v112, 8, v112
	s_cmp_lg_u32 s18, s0
	s_waitcnt lgkmcnt(0)
	v_cmp_lt_f64_e64 vcc, |v[102:103]|, |v[114:115]|
	v_cndmask_b32_e32 v103, v103, v115, vcc
	v_cndmask_b32_e32 v102, v102, v114, vcc
	;; [unrolled: 1-line block ×3, first 2 shown]
	s_cbranch_scc1 .LBB96_48
.LBB96_49:
	s_waitcnt lgkmcnt(0)
	v_cmp_eq_f64_e32 vcc, 0, v[102:103]
	s_and_saveexec_b64 s[0:1], vcc
	s_xor_b64 s[0:1], exec, s[0:1]
; %bb.50:
	v_cmp_ne_u32_e32 vcc, 0, v110
	v_cndmask_b32_e32 v110, 4, v110, vcc
; %bb.51:
	s_andn2_saveexec_b64 s[0:1], s[0:1]
; %bb.52:
	v_div_scale_f64 v[112:113], s[2:3], v[102:103], v[102:103], 1.0
	v_rcp_f64_e32 v[114:115], v[112:113]
	v_div_scale_f64 v[116:117], vcc, 1.0, v[102:103], 1.0
	v_fma_f64 v[118:119], -v[112:113], v[114:115], 1.0
	v_fmac_f64_e32 v[114:115], v[114:115], v[118:119]
	v_fma_f64 v[118:119], -v[112:113], v[114:115], 1.0
	v_fmac_f64_e32 v[114:115], v[114:115], v[118:119]
	v_mul_f64 v[118:119], v[116:117], v[114:115]
	v_fma_f64 v[112:113], -v[112:113], v[118:119], v[116:117]
	v_div_fmas_f64 v[112:113], v[112:113], v[114:115], v[118:119]
	v_div_fixup_f64 v[102:103], v[112:113], v[102:103], 1.0
; %bb.53:
	s_or_b64 exec, exec, s[0:1]
	v_cmp_ne_u32_e32 vcc, v107, v104
	s_and_saveexec_b64 s[0:1], vcc
	s_xor_b64 s[0:1], exec, s[0:1]
	s_cbranch_execz .LBB96_59
; %bb.54:
	v_cmp_eq_u32_e32 vcc, 3, v107
	s_and_saveexec_b64 s[2:3], vcc
	s_cbranch_execz .LBB96_58
; %bb.55:
	v_cmp_ne_u32_e32 vcc, 3, v104
	s_xor_b64 s[14:15], s[6:7], -1
	s_and_b64 s[16:17], s[14:15], vcc
	s_and_saveexec_b64 s[14:15], s[16:17]
	s_cbranch_execz .LBB96_57
; %bb.56:
	v_ashrrev_i32_e32 v105, 31, v104
	v_lshlrev_b64 v[112:113], 2, v[104:105]
	v_add_co_u32_e32 v112, vcc, v4, v112
	v_addc_co_u32_e32 v113, vcc, v5, v113, vcc
	flat_load_dword v105, v[112:113]
	flat_load_dword v107, v[4:5] offset:12
	s_waitcnt vmcnt(0) lgkmcnt(0)
	flat_store_dword v[4:5], v105 offset:12
	flat_store_dword v[112:113], v107
.LBB96_57:
	s_or_b64 exec, exec, s[14:15]
	v_mov_b32_e32 v105, v104
	v_mov_b32_e32 v107, v104
.LBB96_58:
	s_or_b64 exec, exec, s[2:3]
.LBB96_59:
	s_andn2_saveexec_b64 s[0:1], s[0:1]
	s_cbranch_execz .LBB96_61
; %bb.60:
	v_mov_b32_e32 v112, v90
	v_mov_b32_e32 v113, v91
	v_mov_b32_e32 v114, v88
	v_mov_b32_e32 v115, v89
	ds_write2_b64 v106, v[112:113], v[114:115] offset0:4 offset1:5
	v_mov_b32_e32 v112, v86
	v_mov_b32_e32 v113, v87
	v_mov_b32_e32 v114, v84
	v_mov_b32_e32 v115, v85
	ds_write2_b64 v106, v[112:113], v[114:115] offset0:6 offset1:7
	;; [unrolled: 5-line block ×21, first 2 shown]
	v_mov_b32_e32 v112, v6
	v_mov_b32_e32 v113, v7
	;; [unrolled: 1-line block ×5, first 2 shown]
	ds_write2_b64 v106, v[112:113], v[114:115] offset0:46 offset1:47
	ds_write_b64 v106, v[100:101] offset:384
.LBB96_61:
	s_or_b64 exec, exec, s[0:1]
	v_cmp_lt_i32_e32 vcc, 3, v107
	s_waitcnt lgkmcnt(0)
	s_barrier
	s_and_saveexec_b64 s[0:1], vcc
	s_cbranch_execz .LBB96_63
; %bb.62:
	ds_read2_b64 v[112:115], v106 offset0:4 offset1:5
	ds_read2_b64 v[116:119], v106 offset0:6 offset1:7
	v_mul_f64 v[92:93], v[102:103], v[92:93]
	ds_read2_b64 v[120:123], v106 offset0:8 offset1:9
	ds_read_b64 v[102:103], v106 offset:384
	s_waitcnt lgkmcnt(0)
	v_fma_f64 v[90:91], -v[92:93], v[112:113], v[90:91]
	v_fma_f64 v[88:89], -v[92:93], v[114:115], v[88:89]
	ds_read2_b64 v[112:115], v106 offset0:10 offset1:11
	v_fma_f64 v[86:87], -v[92:93], v[116:117], v[86:87]
	v_fma_f64 v[84:85], -v[92:93], v[118:119], v[84:85]
	;; [unrolled: 1-line block ×3, first 2 shown]
	ds_read2_b64 v[116:119], v106 offset0:12 offset1:13
	v_fma_f64 v[78:79], -v[92:93], v[122:123], v[78:79]
	ds_read2_b64 v[120:123], v106 offset0:14 offset1:15
	s_waitcnt lgkmcnt(0)
	v_fma_f64 v[80:81], -v[92:93], v[112:113], v[80:81]
	v_fma_f64 v[76:77], -v[92:93], v[114:115], v[76:77]
	ds_read2_b64 v[112:115], v106 offset0:16 offset1:17
	v_fma_f64 v[74:75], -v[92:93], v[116:117], v[74:75]
	v_fma_f64 v[72:73], -v[92:93], v[118:119], v[72:73]
	ds_read2_b64 v[116:119], v106 offset0:18 offset1:19
	v_fma_f64 v[70:71], -v[92:93], v[120:121], v[70:71]
	v_fma_f64 v[68:69], -v[92:93], v[122:123], v[68:69]
	s_waitcnt lgkmcnt(0)
	v_fma_f64 v[66:67], -v[92:93], v[112:113], v[66:67]
	ds_read2_b64 v[120:123], v106 offset0:20 offset1:21
	v_fma_f64 v[64:65], -v[92:93], v[114:115], v[64:65]
	ds_read2_b64 v[112:115], v106 offset0:22 offset1:23
	v_fma_f64 v[62:63], -v[92:93], v[116:117], v[62:63]
	v_fma_f64 v[58:59], -v[92:93], v[118:119], v[58:59]
	s_waitcnt lgkmcnt(0)
	v_fma_f64 v[60:61], -v[92:93], v[120:121], v[60:61]
	ds_read2_b64 v[116:119], v106 offset0:24 offset1:25
	v_fma_f64 v[56:57], -v[92:93], v[122:123], v[56:57]
	ds_read2_b64 v[120:123], v106 offset0:26 offset1:27
	v_fma_f64 v[54:55], -v[92:93], v[112:113], v[54:55]
	v_fma_f64 v[52:53], -v[92:93], v[114:115], v[52:53]
	ds_read2_b64 v[112:115], v106 offset0:28 offset1:29
	s_waitcnt lgkmcnt(0)
	v_fma_f64 v[50:51], -v[92:93], v[116:117], v[50:51]
	v_fma_f64 v[48:49], -v[92:93], v[118:119], v[48:49]
	ds_read2_b64 v[116:119], v106 offset0:30 offset1:31
	v_fma_f64 v[46:47], -v[92:93], v[120:121], v[46:47]
	v_fma_f64 v[44:45], -v[92:93], v[122:123], v[44:45]
	;; [unrolled: 1-line block ×3, first 2 shown]
	ds_read2_b64 v[120:123], v106 offset0:32 offset1:33
	v_fma_f64 v[38:39], -v[92:93], v[114:115], v[38:39]
	ds_read2_b64 v[112:115], v106 offset0:34 offset1:35
	s_waitcnt lgkmcnt(0)
	v_fma_f64 v[40:41], -v[92:93], v[116:117], v[40:41]
	v_fma_f64 v[36:37], -v[92:93], v[118:119], v[36:37]
	;; [unrolled: 1-line block ×3, first 2 shown]
	ds_read2_b64 v[116:119], v106 offset0:36 offset1:37
	v_fma_f64 v[32:33], -v[92:93], v[122:123], v[32:33]
	ds_read2_b64 v[120:123], v106 offset0:38 offset1:39
	v_fma_f64 v[30:31], -v[92:93], v[112:113], v[30:31]
	v_fma_f64 v[28:29], -v[92:93], v[114:115], v[28:29]
	ds_read2_b64 v[112:115], v106 offset0:40 offset1:41
	s_waitcnt lgkmcnt(0)
	v_fma_f64 v[26:27], -v[92:93], v[116:117], v[26:27]
	v_fma_f64 v[24:25], -v[92:93], v[118:119], v[24:25]
	ds_read2_b64 v[116:119], v106 offset0:42 offset1:43
	v_fma_f64 v[22:23], -v[92:93], v[120:121], v[22:23]
	v_fma_f64 v[18:19], -v[92:93], v[122:123], v[18:19]
	;; [unrolled: 1-line block ×4, first 2 shown]
	ds_read2_b64 v[112:115], v106 offset0:44 offset1:45
	ds_read2_b64 v[120:123], v106 offset0:46 offset1:47
	s_waitcnt lgkmcnt(0)
	v_fma_f64 v[14:15], -v[92:93], v[116:117], v[14:15]
	v_fma_f64 v[12:13], -v[92:93], v[118:119], v[12:13]
	;; [unrolled: 1-line block ×7, first 2 shown]
.LBB96_63:
	s_or_b64 exec, exec, s[0:1]
	v_lshl_add_u32 v102, v107, 3, v106
	s_barrier
	ds_write_b64 v102, v[90:91]
	s_waitcnt lgkmcnt(0)
	s_barrier
	ds_read_b64 v[102:103], v106 offset:32
	s_cmp_lt_i32 s18, 6
	v_mov_b32_e32 v104, 4
	s_cbranch_scc1 .LBB96_66
; %bb.64:
	v_add3_u32 v112, v111, 0, 40
	s_mov_b32 s0, 5
	v_mov_b32_e32 v104, 4
.LBB96_65:                              ; =>This Inner Loop Header: Depth=1
	ds_read_b64 v[114:115], v112
	v_mov_b32_e32 v113, s0
	s_add_i32 s0, s0, 1
	v_add_u32_e32 v112, 8, v112
	s_cmp_lg_u32 s18, s0
	s_waitcnt lgkmcnt(0)
	v_cmp_lt_f64_e64 vcc, |v[102:103]|, |v[114:115]|
	v_cndmask_b32_e32 v103, v103, v115, vcc
	v_cndmask_b32_e32 v102, v102, v114, vcc
	v_cndmask_b32_e32 v104, v104, v113, vcc
	s_cbranch_scc1 .LBB96_65
.LBB96_66:
	s_waitcnt lgkmcnt(0)
	v_cmp_eq_f64_e32 vcc, 0, v[102:103]
	s_and_saveexec_b64 s[0:1], vcc
	s_xor_b64 s[0:1], exec, s[0:1]
; %bb.67:
	v_cmp_ne_u32_e32 vcc, 0, v110
	v_cndmask_b32_e32 v110, 5, v110, vcc
; %bb.68:
	s_andn2_saveexec_b64 s[0:1], s[0:1]
; %bb.69:
	v_div_scale_f64 v[112:113], s[2:3], v[102:103], v[102:103], 1.0
	v_rcp_f64_e32 v[114:115], v[112:113]
	v_div_scale_f64 v[116:117], vcc, 1.0, v[102:103], 1.0
	v_fma_f64 v[118:119], -v[112:113], v[114:115], 1.0
	v_fmac_f64_e32 v[114:115], v[114:115], v[118:119]
	v_fma_f64 v[118:119], -v[112:113], v[114:115], 1.0
	v_fmac_f64_e32 v[114:115], v[114:115], v[118:119]
	v_mul_f64 v[118:119], v[116:117], v[114:115]
	v_fma_f64 v[112:113], -v[112:113], v[118:119], v[116:117]
	v_div_fmas_f64 v[112:113], v[112:113], v[114:115], v[118:119]
	v_div_fixup_f64 v[102:103], v[112:113], v[102:103], 1.0
; %bb.70:
	s_or_b64 exec, exec, s[0:1]
	v_cmp_ne_u32_e32 vcc, v107, v104
	s_and_saveexec_b64 s[0:1], vcc
	s_xor_b64 s[0:1], exec, s[0:1]
	s_cbranch_execz .LBB96_76
; %bb.71:
	v_cmp_eq_u32_e32 vcc, 4, v107
	s_and_saveexec_b64 s[2:3], vcc
	s_cbranch_execz .LBB96_75
; %bb.72:
	v_cmp_ne_u32_e32 vcc, 4, v104
	s_xor_b64 s[14:15], s[6:7], -1
	s_and_b64 s[16:17], s[14:15], vcc
	s_and_saveexec_b64 s[14:15], s[16:17]
	s_cbranch_execz .LBB96_74
; %bb.73:
	v_ashrrev_i32_e32 v105, 31, v104
	v_lshlrev_b64 v[112:113], 2, v[104:105]
	v_add_co_u32_e32 v112, vcc, v4, v112
	v_addc_co_u32_e32 v113, vcc, v5, v113, vcc
	flat_load_dword v105, v[112:113]
	flat_load_dword v107, v[4:5] offset:16
	s_waitcnt vmcnt(0) lgkmcnt(0)
	flat_store_dword v[4:5], v105 offset:16
	flat_store_dword v[112:113], v107
.LBB96_74:
	s_or_b64 exec, exec, s[14:15]
	v_mov_b32_e32 v105, v104
	v_mov_b32_e32 v107, v104
.LBB96_75:
	s_or_b64 exec, exec, s[2:3]
.LBB96_76:
	s_andn2_saveexec_b64 s[0:1], s[0:1]
	s_cbranch_execz .LBB96_78
; %bb.77:
	v_mov_b32_e32 v107, 4
	ds_write2_b64 v106, v[88:89], v[86:87] offset0:5 offset1:6
	ds_write2_b64 v106, v[84:85], v[82:83] offset0:7 offset1:8
	;; [unrolled: 1-line block ×22, first 2 shown]
.LBB96_78:
	s_or_b64 exec, exec, s[0:1]
	v_cmp_lt_i32_e32 vcc, 4, v107
	s_waitcnt lgkmcnt(0)
	s_barrier
	s_and_saveexec_b64 s[0:1], vcc
	s_cbranch_execz .LBB96_80
; %bb.79:
	ds_read2_b64 v[112:115], v106 offset0:5 offset1:6
	ds_read2_b64 v[116:119], v106 offset0:7 offset1:8
	v_mul_f64 v[90:91], v[102:103], v[90:91]
	ds_read2_b64 v[120:123], v106 offset0:9 offset1:10
	s_waitcnt lgkmcnt(0)
	v_fma_f64 v[88:89], -v[90:91], v[112:113], v[88:89]
	v_fma_f64 v[86:87], -v[90:91], v[114:115], v[86:87]
	ds_read2_b64 v[112:115], v106 offset0:11 offset1:12
	v_fma_f64 v[84:85], -v[90:91], v[116:117], v[84:85]
	v_fma_f64 v[82:83], -v[90:91], v[118:119], v[82:83]
	;; [unrolled: 1-line block ×3, first 2 shown]
	ds_read2_b64 v[116:119], v106 offset0:13 offset1:14
	v_fma_f64 v[80:81], -v[90:91], v[122:123], v[80:81]
	ds_read2_b64 v[120:123], v106 offset0:15 offset1:16
	s_waitcnt lgkmcnt(0)
	v_fma_f64 v[76:77], -v[90:91], v[112:113], v[76:77]
	v_fma_f64 v[74:75], -v[90:91], v[114:115], v[74:75]
	ds_read2_b64 v[112:115], v106 offset0:17 offset1:18
	v_fma_f64 v[72:73], -v[90:91], v[116:117], v[72:73]
	v_fma_f64 v[70:71], -v[90:91], v[118:119], v[70:71]
	ds_read2_b64 v[116:119], v106 offset0:19 offset1:20
	v_fma_f64 v[68:69], -v[90:91], v[120:121], v[68:69]
	v_fma_f64 v[66:67], -v[90:91], v[122:123], v[66:67]
	s_waitcnt lgkmcnt(0)
	v_fma_f64 v[64:65], -v[90:91], v[112:113], v[64:65]
	ds_read2_b64 v[120:123], v106 offset0:21 offset1:22
	v_fma_f64 v[62:63], -v[90:91], v[114:115], v[62:63]
	ds_read2_b64 v[112:115], v106 offset0:23 offset1:24
	v_fma_f64 v[58:59], -v[90:91], v[116:117], v[58:59]
	v_fma_f64 v[60:61], -v[90:91], v[118:119], v[60:61]
	s_waitcnt lgkmcnt(0)
	v_fma_f64 v[56:57], -v[90:91], v[120:121], v[56:57]
	ds_read2_b64 v[116:119], v106 offset0:25 offset1:26
	v_fma_f64 v[54:55], -v[90:91], v[122:123], v[54:55]
	ds_read2_b64 v[120:123], v106 offset0:27 offset1:28
	v_fma_f64 v[52:53], -v[90:91], v[112:113], v[52:53]
	v_fma_f64 v[50:51], -v[90:91], v[114:115], v[50:51]
	ds_read2_b64 v[112:115], v106 offset0:29 offset1:30
	s_waitcnt lgkmcnt(0)
	v_fma_f64 v[48:49], -v[90:91], v[116:117], v[48:49]
	v_fma_f64 v[46:47], -v[90:91], v[118:119], v[46:47]
	ds_read2_b64 v[116:119], v106 offset0:31 offset1:32
	v_fma_f64 v[44:45], -v[90:91], v[120:121], v[44:45]
	v_fma_f64 v[42:43], -v[90:91], v[122:123], v[42:43]
	;; [unrolled: 1-line block ×3, first 2 shown]
	ds_read2_b64 v[120:123], v106 offset0:33 offset1:34
	v_fma_f64 v[40:41], -v[90:91], v[114:115], v[40:41]
	ds_read2_b64 v[112:115], v106 offset0:35 offset1:36
	s_waitcnt lgkmcnt(0)
	v_fma_f64 v[36:37], -v[90:91], v[116:117], v[36:37]
	v_fma_f64 v[34:35], -v[90:91], v[118:119], v[34:35]
	;; [unrolled: 1-line block ×3, first 2 shown]
	ds_read2_b64 v[116:119], v106 offset0:37 offset1:38
	v_fma_f64 v[30:31], -v[90:91], v[122:123], v[30:31]
	ds_read2_b64 v[120:123], v106 offset0:39 offset1:40
	v_fma_f64 v[28:29], -v[90:91], v[112:113], v[28:29]
	v_fma_f64 v[26:27], -v[90:91], v[114:115], v[26:27]
	ds_read2_b64 v[112:115], v106 offset0:41 offset1:42
	s_waitcnt lgkmcnt(0)
	v_fma_f64 v[24:25], -v[90:91], v[116:117], v[24:25]
	v_fma_f64 v[22:23], -v[90:91], v[118:119], v[22:23]
	ds_read2_b64 v[116:119], v106 offset0:43 offset1:44
	v_fma_f64 v[18:19], -v[90:91], v[120:121], v[18:19]
	v_fma_f64 v[20:21], -v[90:91], v[122:123], v[20:21]
	;; [unrolled: 1-line block ×3, first 2 shown]
	ds_read2_b64 v[120:123], v106 offset0:45 offset1:46
	v_fma_f64 v[14:15], -v[90:91], v[114:115], v[14:15]
	ds_read2_b64 v[112:115], v106 offset0:47 offset1:48
	s_waitcnt lgkmcnt(0)
	v_fma_f64 v[12:13], -v[90:91], v[116:117], v[12:13]
	v_fma_f64 v[10:11], -v[90:91], v[118:119], v[10:11]
	;; [unrolled: 1-line block ×6, first 2 shown]
.LBB96_80:
	s_or_b64 exec, exec, s[0:1]
	v_lshl_add_u32 v102, v107, 3, v106
	s_barrier
	ds_write_b64 v102, v[88:89]
	s_waitcnt lgkmcnt(0)
	s_barrier
	ds_read_b64 v[102:103], v106 offset:40
	s_cmp_lt_i32 s18, 7
	v_mov_b32_e32 v104, 5
	s_cbranch_scc1 .LBB96_83
; %bb.81:
	v_add3_u32 v112, v111, 0, 48
	s_mov_b32 s0, 6
	v_mov_b32_e32 v104, 5
.LBB96_82:                              ; =>This Inner Loop Header: Depth=1
	ds_read_b64 v[114:115], v112
	v_mov_b32_e32 v113, s0
	s_add_i32 s0, s0, 1
	v_add_u32_e32 v112, 8, v112
	s_cmp_lg_u32 s18, s0
	s_waitcnt lgkmcnt(0)
	v_cmp_lt_f64_e64 vcc, |v[102:103]|, |v[114:115]|
	v_cndmask_b32_e32 v103, v103, v115, vcc
	v_cndmask_b32_e32 v102, v102, v114, vcc
	;; [unrolled: 1-line block ×3, first 2 shown]
	s_cbranch_scc1 .LBB96_82
.LBB96_83:
	s_waitcnt lgkmcnt(0)
	v_cmp_eq_f64_e32 vcc, 0, v[102:103]
	s_and_saveexec_b64 s[0:1], vcc
	s_xor_b64 s[0:1], exec, s[0:1]
; %bb.84:
	v_cmp_ne_u32_e32 vcc, 0, v110
	v_cndmask_b32_e32 v110, 6, v110, vcc
; %bb.85:
	s_andn2_saveexec_b64 s[0:1], s[0:1]
; %bb.86:
	v_div_scale_f64 v[112:113], s[2:3], v[102:103], v[102:103], 1.0
	v_rcp_f64_e32 v[114:115], v[112:113]
	v_div_scale_f64 v[116:117], vcc, 1.0, v[102:103], 1.0
	v_fma_f64 v[118:119], -v[112:113], v[114:115], 1.0
	v_fmac_f64_e32 v[114:115], v[114:115], v[118:119]
	v_fma_f64 v[118:119], -v[112:113], v[114:115], 1.0
	v_fmac_f64_e32 v[114:115], v[114:115], v[118:119]
	v_mul_f64 v[118:119], v[116:117], v[114:115]
	v_fma_f64 v[112:113], -v[112:113], v[118:119], v[116:117]
	v_div_fmas_f64 v[112:113], v[112:113], v[114:115], v[118:119]
	v_div_fixup_f64 v[102:103], v[112:113], v[102:103], 1.0
; %bb.87:
	s_or_b64 exec, exec, s[0:1]
	v_cmp_ne_u32_e32 vcc, v107, v104
	s_and_saveexec_b64 s[0:1], vcc
	s_xor_b64 s[0:1], exec, s[0:1]
	s_cbranch_execz .LBB96_93
; %bb.88:
	v_cmp_eq_u32_e32 vcc, 5, v107
	s_and_saveexec_b64 s[2:3], vcc
	s_cbranch_execz .LBB96_92
; %bb.89:
	v_cmp_ne_u32_e32 vcc, 5, v104
	s_xor_b64 s[14:15], s[6:7], -1
	s_and_b64 s[16:17], s[14:15], vcc
	s_and_saveexec_b64 s[14:15], s[16:17]
	s_cbranch_execz .LBB96_91
; %bb.90:
	v_ashrrev_i32_e32 v105, 31, v104
	v_lshlrev_b64 v[112:113], 2, v[104:105]
	v_add_co_u32_e32 v112, vcc, v4, v112
	v_addc_co_u32_e32 v113, vcc, v5, v113, vcc
	flat_load_dword v105, v[112:113]
	flat_load_dword v107, v[4:5] offset:20
	s_waitcnt vmcnt(0) lgkmcnt(0)
	flat_store_dword v[4:5], v105 offset:20
	flat_store_dword v[112:113], v107
.LBB96_91:
	s_or_b64 exec, exec, s[14:15]
	v_mov_b32_e32 v105, v104
	v_mov_b32_e32 v107, v104
.LBB96_92:
	s_or_b64 exec, exec, s[2:3]
.LBB96_93:
	s_andn2_saveexec_b64 s[0:1], s[0:1]
	s_cbranch_execz .LBB96_95
; %bb.94:
	v_mov_b32_e32 v112, v86
	v_mov_b32_e32 v113, v87
	v_mov_b32_e32 v114, v84
	v_mov_b32_e32 v115, v85
	ds_write2_b64 v106, v[112:113], v[114:115] offset0:6 offset1:7
	v_mov_b32_e32 v112, v82
	v_mov_b32_e32 v113, v83
	v_mov_b32_e32 v114, v78
	v_mov_b32_e32 v115, v79
	ds_write2_b64 v106, v[112:113], v[114:115] offset0:8 offset1:9
	;; [unrolled: 5-line block ×20, first 2 shown]
	v_mov_b32_e32 v112, v6
	v_mov_b32_e32 v113, v7
	;; [unrolled: 1-line block ×5, first 2 shown]
	ds_write2_b64 v106, v[112:113], v[114:115] offset0:46 offset1:47
	ds_write_b64 v106, v[100:101] offset:384
.LBB96_95:
	s_or_b64 exec, exec, s[0:1]
	v_cmp_lt_i32_e32 vcc, 5, v107
	s_waitcnt lgkmcnt(0)
	s_barrier
	s_and_saveexec_b64 s[0:1], vcc
	s_cbranch_execz .LBB96_97
; %bb.96:
	ds_read2_b64 v[112:115], v106 offset0:6 offset1:7
	ds_read2_b64 v[116:119], v106 offset0:8 offset1:9
	;; [unrolled: 1-line block ×3, first 2 shown]
	v_mul_f64 v[88:89], v[102:103], v[88:89]
	ds_read_b64 v[102:103], v106 offset:384
	s_waitcnt lgkmcnt(0)
	v_fma_f64 v[86:87], -v[88:89], v[112:113], v[86:87]
	v_fma_f64 v[84:85], -v[88:89], v[114:115], v[84:85]
	ds_read2_b64 v[112:115], v106 offset0:12 offset1:13
	v_fma_f64 v[82:83], -v[88:89], v[116:117], v[82:83]
	v_fma_f64 v[78:79], -v[88:89], v[118:119], v[78:79]
	v_fma_f64 v[80:81], -v[88:89], v[120:121], v[80:81]
	ds_read2_b64 v[116:119], v106 offset0:14 offset1:15
	v_fma_f64 v[76:77], -v[88:89], v[122:123], v[76:77]
	ds_read2_b64 v[120:123], v106 offset0:16 offset1:17
	s_waitcnt lgkmcnt(0)
	v_fma_f64 v[74:75], -v[88:89], v[112:113], v[74:75]
	v_fma_f64 v[72:73], -v[88:89], v[114:115], v[72:73]
	v_fma_f64 v[70:71], -v[88:89], v[116:117], v[70:71]
	ds_read2_b64 v[112:115], v106 offset0:18 offset1:19
	v_fma_f64 v[68:69], -v[88:89], v[118:119], v[68:69]
	ds_read2_b64 v[116:119], v106 offset0:20 offset1:21
	v_fma_f64 v[66:67], -v[88:89], v[120:121], v[66:67]
	v_fma_f64 v[64:65], -v[88:89], v[122:123], v[64:65]
	ds_read2_b64 v[120:123], v106 offset0:22 offset1:23
	s_waitcnt lgkmcnt(0)
	v_fma_f64 v[62:63], -v[88:89], v[112:113], v[62:63]
	v_fma_f64 v[58:59], -v[88:89], v[114:115], v[58:59]
	ds_read2_b64 v[112:115], v106 offset0:24 offset1:25
	v_fma_f64 v[60:61], -v[88:89], v[116:117], v[60:61]
	v_fma_f64 v[56:57], -v[88:89], v[118:119], v[56:57]
	v_fma_f64 v[54:55], -v[88:89], v[120:121], v[54:55]
	ds_read2_b64 v[116:119], v106 offset0:26 offset1:27
	v_fma_f64 v[52:53], -v[88:89], v[122:123], v[52:53]
	ds_read2_b64 v[120:123], v106 offset0:28 offset1:29
	s_waitcnt lgkmcnt(0)
	v_fma_f64 v[50:51], -v[88:89], v[112:113], v[50:51]
	v_fma_f64 v[48:49], -v[88:89], v[114:115], v[48:49]
	v_fma_f64 v[46:47], -v[88:89], v[116:117], v[46:47]
	ds_read2_b64 v[112:115], v106 offset0:30 offset1:31
	v_fma_f64 v[44:45], -v[88:89], v[118:119], v[44:45]
	ds_read2_b64 v[116:119], v106 offset0:32 offset1:33
	v_fma_f64 v[42:43], -v[88:89], v[120:121], v[42:43]
	v_fma_f64 v[38:39], -v[88:89], v[122:123], v[38:39]
	ds_read2_b64 v[120:123], v106 offset0:34 offset1:35
	;; [unrolled: 20-line block ×3, first 2 shown]
	s_waitcnt lgkmcnt(0)
	v_fma_f64 v[14:15], -v[88:89], v[112:113], v[14:15]
	v_fma_f64 v[12:13], -v[88:89], v[114:115], v[12:13]
	;; [unrolled: 1-line block ×7, first 2 shown]
.LBB96_97:
	s_or_b64 exec, exec, s[0:1]
	v_lshl_add_u32 v102, v107, 3, v106
	s_barrier
	ds_write_b64 v102, v[86:87]
	s_waitcnt lgkmcnt(0)
	s_barrier
	ds_read_b64 v[102:103], v106 offset:48
	s_cmp_lt_i32 s18, 8
	v_mov_b32_e32 v104, 6
	s_cbranch_scc1 .LBB96_100
; %bb.98:
	v_add3_u32 v112, v111, 0, 56
	s_mov_b32 s0, 7
	v_mov_b32_e32 v104, 6
.LBB96_99:                              ; =>This Inner Loop Header: Depth=1
	ds_read_b64 v[114:115], v112
	v_mov_b32_e32 v113, s0
	s_add_i32 s0, s0, 1
	v_add_u32_e32 v112, 8, v112
	s_cmp_lg_u32 s18, s0
	s_waitcnt lgkmcnt(0)
	v_cmp_lt_f64_e64 vcc, |v[102:103]|, |v[114:115]|
	v_cndmask_b32_e32 v103, v103, v115, vcc
	v_cndmask_b32_e32 v102, v102, v114, vcc
	;; [unrolled: 1-line block ×3, first 2 shown]
	s_cbranch_scc1 .LBB96_99
.LBB96_100:
	s_waitcnt lgkmcnt(0)
	v_cmp_eq_f64_e32 vcc, 0, v[102:103]
	s_and_saveexec_b64 s[0:1], vcc
	s_xor_b64 s[0:1], exec, s[0:1]
; %bb.101:
	v_cmp_ne_u32_e32 vcc, 0, v110
	v_cndmask_b32_e32 v110, 7, v110, vcc
; %bb.102:
	s_andn2_saveexec_b64 s[0:1], s[0:1]
; %bb.103:
	v_div_scale_f64 v[112:113], s[2:3], v[102:103], v[102:103], 1.0
	v_rcp_f64_e32 v[114:115], v[112:113]
	v_div_scale_f64 v[116:117], vcc, 1.0, v[102:103], 1.0
	v_fma_f64 v[118:119], -v[112:113], v[114:115], 1.0
	v_fmac_f64_e32 v[114:115], v[114:115], v[118:119]
	v_fma_f64 v[118:119], -v[112:113], v[114:115], 1.0
	v_fmac_f64_e32 v[114:115], v[114:115], v[118:119]
	v_mul_f64 v[118:119], v[116:117], v[114:115]
	v_fma_f64 v[112:113], -v[112:113], v[118:119], v[116:117]
	v_div_fmas_f64 v[112:113], v[112:113], v[114:115], v[118:119]
	v_div_fixup_f64 v[102:103], v[112:113], v[102:103], 1.0
; %bb.104:
	s_or_b64 exec, exec, s[0:1]
	v_cmp_ne_u32_e32 vcc, v107, v104
	s_and_saveexec_b64 s[0:1], vcc
	s_xor_b64 s[0:1], exec, s[0:1]
	s_cbranch_execz .LBB96_110
; %bb.105:
	v_cmp_eq_u32_e32 vcc, 6, v107
	s_and_saveexec_b64 s[2:3], vcc
	s_cbranch_execz .LBB96_109
; %bb.106:
	v_cmp_ne_u32_e32 vcc, 6, v104
	s_xor_b64 s[14:15], s[6:7], -1
	s_and_b64 s[16:17], s[14:15], vcc
	s_and_saveexec_b64 s[14:15], s[16:17]
	s_cbranch_execz .LBB96_108
; %bb.107:
	v_ashrrev_i32_e32 v105, 31, v104
	v_lshlrev_b64 v[112:113], 2, v[104:105]
	v_add_co_u32_e32 v112, vcc, v4, v112
	v_addc_co_u32_e32 v113, vcc, v5, v113, vcc
	flat_load_dword v105, v[112:113]
	flat_load_dword v107, v[4:5] offset:24
	s_waitcnt vmcnt(0) lgkmcnt(0)
	flat_store_dword v[4:5], v105 offset:24
	flat_store_dword v[112:113], v107
.LBB96_108:
	s_or_b64 exec, exec, s[14:15]
	v_mov_b32_e32 v105, v104
	v_mov_b32_e32 v107, v104
.LBB96_109:
	s_or_b64 exec, exec, s[2:3]
.LBB96_110:
	s_andn2_saveexec_b64 s[0:1], s[0:1]
	s_cbranch_execz .LBB96_112
; %bb.111:
	v_mov_b32_e32 v107, 6
	ds_write2_b64 v106, v[84:85], v[82:83] offset0:7 offset1:8
	ds_write2_b64 v106, v[78:79], v[80:81] offset0:9 offset1:10
	;; [unrolled: 1-line block ×21, first 2 shown]
.LBB96_112:
	s_or_b64 exec, exec, s[0:1]
	v_cmp_lt_i32_e32 vcc, 6, v107
	s_waitcnt lgkmcnt(0)
	s_barrier
	s_and_saveexec_b64 s[0:1], vcc
	s_cbranch_execz .LBB96_114
; %bb.113:
	ds_read2_b64 v[112:115], v106 offset0:7 offset1:8
	ds_read2_b64 v[116:119], v106 offset0:9 offset1:10
	;; [unrolled: 1-line block ×3, first 2 shown]
	v_mul_f64 v[86:87], v[102:103], v[86:87]
	s_waitcnt lgkmcnt(0)
	v_fma_f64 v[84:85], -v[86:87], v[112:113], v[84:85]
	v_fma_f64 v[82:83], -v[86:87], v[114:115], v[82:83]
	ds_read2_b64 v[112:115], v106 offset0:13 offset1:14
	v_fma_f64 v[78:79], -v[86:87], v[116:117], v[78:79]
	v_fma_f64 v[80:81], -v[86:87], v[118:119], v[80:81]
	;; [unrolled: 1-line block ×3, first 2 shown]
	ds_read2_b64 v[116:119], v106 offset0:15 offset1:16
	v_fma_f64 v[74:75], -v[86:87], v[122:123], v[74:75]
	ds_read2_b64 v[120:123], v106 offset0:17 offset1:18
	s_waitcnt lgkmcnt(0)
	v_fma_f64 v[72:73], -v[86:87], v[112:113], v[72:73]
	v_fma_f64 v[70:71], -v[86:87], v[114:115], v[70:71]
	;; [unrolled: 1-line block ×3, first 2 shown]
	ds_read2_b64 v[112:115], v106 offset0:19 offset1:20
	v_fma_f64 v[66:67], -v[86:87], v[118:119], v[66:67]
	ds_read2_b64 v[116:119], v106 offset0:21 offset1:22
	v_fma_f64 v[64:65], -v[86:87], v[120:121], v[64:65]
	v_fma_f64 v[62:63], -v[86:87], v[122:123], v[62:63]
	ds_read2_b64 v[120:123], v106 offset0:23 offset1:24
	s_waitcnt lgkmcnt(0)
	v_fma_f64 v[58:59], -v[86:87], v[112:113], v[58:59]
	v_fma_f64 v[60:61], -v[86:87], v[114:115], v[60:61]
	ds_read2_b64 v[112:115], v106 offset0:25 offset1:26
	v_fma_f64 v[56:57], -v[86:87], v[116:117], v[56:57]
	v_fma_f64 v[54:55], -v[86:87], v[118:119], v[54:55]
	;; [unrolled: 1-line block ×3, first 2 shown]
	ds_read2_b64 v[116:119], v106 offset0:27 offset1:28
	v_fma_f64 v[50:51], -v[86:87], v[122:123], v[50:51]
	ds_read2_b64 v[120:123], v106 offset0:29 offset1:30
	s_waitcnt lgkmcnt(0)
	v_fma_f64 v[48:49], -v[86:87], v[112:113], v[48:49]
	v_fma_f64 v[46:47], -v[86:87], v[114:115], v[46:47]
	v_fma_f64 v[44:45], -v[86:87], v[116:117], v[44:45]
	ds_read2_b64 v[112:115], v106 offset0:31 offset1:32
	v_fma_f64 v[42:43], -v[86:87], v[118:119], v[42:43]
	ds_read2_b64 v[116:119], v106 offset0:33 offset1:34
	v_fma_f64 v[38:39], -v[86:87], v[120:121], v[38:39]
	v_fma_f64 v[40:41], -v[86:87], v[122:123], v[40:41]
	ds_read2_b64 v[120:123], v106 offset0:35 offset1:36
	s_waitcnt lgkmcnt(0)
	v_fma_f64 v[36:37], -v[86:87], v[112:113], v[36:37]
	v_fma_f64 v[34:35], -v[86:87], v[114:115], v[34:35]
	ds_read2_b64 v[112:115], v106 offset0:37 offset1:38
	v_fma_f64 v[32:33], -v[86:87], v[116:117], v[32:33]
	v_fma_f64 v[30:31], -v[86:87], v[118:119], v[30:31]
	;; [unrolled: 1-line block ×3, first 2 shown]
	ds_read2_b64 v[116:119], v106 offset0:39 offset1:40
	v_fma_f64 v[26:27], -v[86:87], v[122:123], v[26:27]
	ds_read2_b64 v[120:123], v106 offset0:41 offset1:42
	s_waitcnt lgkmcnt(0)
	v_fma_f64 v[24:25], -v[86:87], v[112:113], v[24:25]
	v_fma_f64 v[22:23], -v[86:87], v[114:115], v[22:23]
	;; [unrolled: 1-line block ×4, first 2 shown]
	ds_read2_b64 v[112:115], v106 offset0:43 offset1:44
	ds_read2_b64 v[116:119], v106 offset0:45 offset1:46
	v_fma_f64 v[16:17], -v[86:87], v[120:121], v[16:17]
	v_fma_f64 v[14:15], -v[86:87], v[122:123], v[14:15]
	ds_read2_b64 v[120:123], v106 offset0:47 offset1:48
	s_waitcnt lgkmcnt(0)
	v_fma_f64 v[12:13], -v[86:87], v[112:113], v[12:13]
	v_fma_f64 v[10:11], -v[86:87], v[114:115], v[10:11]
	;; [unrolled: 1-line block ×6, first 2 shown]
.LBB96_114:
	s_or_b64 exec, exec, s[0:1]
	v_lshl_add_u32 v102, v107, 3, v106
	s_barrier
	ds_write_b64 v102, v[84:85]
	s_waitcnt lgkmcnt(0)
	s_barrier
	ds_read_b64 v[102:103], v106 offset:56
	s_cmp_lt_i32 s18, 9
	v_mov_b32_e32 v104, 7
	s_cbranch_scc1 .LBB96_117
; %bb.115:
	v_add3_u32 v111, v111, 0, 64
	s_mov_b32 s0, 8
	v_mov_b32_e32 v104, 7
.LBB96_116:                             ; =>This Inner Loop Header: Depth=1
	ds_read_b64 v[112:113], v111
	v_mov_b32_e32 v114, s0
	s_add_i32 s0, s0, 1
	v_add_u32_e32 v111, 8, v111
	s_cmp_lg_u32 s18, s0
	s_waitcnt lgkmcnt(0)
	v_cmp_lt_f64_e64 vcc, |v[102:103]|, |v[112:113]|
	v_cndmask_b32_e32 v103, v103, v113, vcc
	v_cndmask_b32_e32 v102, v102, v112, vcc
	;; [unrolled: 1-line block ×3, first 2 shown]
	s_cbranch_scc1 .LBB96_116
.LBB96_117:
	s_waitcnt lgkmcnt(0)
	v_cmp_eq_f64_e32 vcc, 0, v[102:103]
	s_and_saveexec_b64 s[0:1], vcc
	s_xor_b64 s[0:1], exec, s[0:1]
; %bb.118:
	v_cmp_ne_u32_e32 vcc, 0, v110
	v_cndmask_b32_e32 v110, 8, v110, vcc
; %bb.119:
	s_andn2_saveexec_b64 s[0:1], s[0:1]
; %bb.120:
	v_div_scale_f64 v[112:113], s[2:3], v[102:103], v[102:103], 1.0
	v_rcp_f64_e32 v[114:115], v[112:113]
	v_div_scale_f64 v[116:117], vcc, 1.0, v[102:103], 1.0
	v_fma_f64 v[118:119], -v[112:113], v[114:115], 1.0
	v_fmac_f64_e32 v[114:115], v[114:115], v[118:119]
	v_fma_f64 v[118:119], -v[112:113], v[114:115], 1.0
	v_fmac_f64_e32 v[114:115], v[114:115], v[118:119]
	v_mul_f64 v[118:119], v[116:117], v[114:115]
	v_fma_f64 v[112:113], -v[112:113], v[118:119], v[116:117]
	v_div_fmas_f64 v[112:113], v[112:113], v[114:115], v[118:119]
	v_div_fixup_f64 v[102:103], v[112:113], v[102:103], 1.0
; %bb.121:
	s_or_b64 exec, exec, s[0:1]
	v_cmp_ne_u32_e32 vcc, v107, v104
	s_and_saveexec_b64 s[0:1], vcc
	s_xor_b64 s[0:1], exec, s[0:1]
	s_cbranch_execz .LBB96_127
; %bb.122:
	v_cmp_eq_u32_e32 vcc, 7, v107
	s_and_saveexec_b64 s[2:3], vcc
	s_cbranch_execz .LBB96_126
; %bb.123:
	v_cmp_ne_u32_e32 vcc, 7, v104
	s_xor_b64 s[14:15], s[6:7], -1
	s_and_b64 s[16:17], s[14:15], vcc
	s_and_saveexec_b64 s[14:15], s[16:17]
	s_cbranch_execz .LBB96_125
; %bb.124:
	v_ashrrev_i32_e32 v105, 31, v104
	v_lshlrev_b64 v[112:113], 2, v[104:105]
	v_add_co_u32_e32 v112, vcc, v4, v112
	v_addc_co_u32_e32 v113, vcc, v5, v113, vcc
	flat_load_dword v105, v[112:113]
	flat_load_dword v107, v[4:5] offset:28
	s_waitcnt vmcnt(0) lgkmcnt(0)
	flat_store_dword v[4:5], v105 offset:28
	flat_store_dword v[112:113], v107
.LBB96_125:
	s_or_b64 exec, exec, s[14:15]
	v_mov_b32_e32 v105, v104
	v_mov_b32_e32 v107, v104
.LBB96_126:
	s_or_b64 exec, exec, s[2:3]
.LBB96_127:
	s_andn2_saveexec_b64 s[0:1], s[0:1]
	s_cbranch_execz .LBB96_129
; %bb.128:
	v_mov_b32_e32 v112, v82
	v_mov_b32_e32 v113, v83
	v_mov_b32_e32 v114, v78
	v_mov_b32_e32 v115, v79
	ds_write2_b64 v106, v[112:113], v[114:115] offset0:8 offset1:9
	v_mov_b32_e32 v112, v80
	v_mov_b32_e32 v113, v81
	v_mov_b32_e32 v114, v76
	v_mov_b32_e32 v115, v77
	ds_write2_b64 v106, v[112:113], v[114:115] offset0:10 offset1:11
	;; [unrolled: 5-line block ×19, first 2 shown]
	v_mov_b32_e32 v112, v6
	v_mov_b32_e32 v113, v7
	;; [unrolled: 1-line block ×5, first 2 shown]
	ds_write2_b64 v106, v[112:113], v[114:115] offset0:46 offset1:47
	ds_write_b64 v106, v[100:101] offset:384
.LBB96_129:
	s_or_b64 exec, exec, s[0:1]
	v_cmp_lt_i32_e32 vcc, 7, v107
	s_waitcnt lgkmcnt(0)
	s_barrier
	s_and_saveexec_b64 s[0:1], vcc
	s_cbranch_execz .LBB96_131
; %bb.130:
	ds_read2_b64 v[112:115], v106 offset0:8 offset1:9
	ds_read2_b64 v[116:119], v106 offset0:10 offset1:11
	v_mul_f64 v[84:85], v[102:103], v[84:85]
	ds_read2_b64 v[120:123], v106 offset0:12 offset1:13
	ds_read_b64 v[102:103], v106 offset:384
	s_waitcnt lgkmcnt(0)
	v_fma_f64 v[82:83], -v[84:85], v[112:113], v[82:83]
	v_fma_f64 v[78:79], -v[84:85], v[114:115], v[78:79]
	ds_read2_b64 v[112:115], v106 offset0:14 offset1:15
	v_fma_f64 v[80:81], -v[84:85], v[116:117], v[80:81]
	v_fma_f64 v[76:77], -v[84:85], v[118:119], v[76:77]
	ds_read2_b64 v[116:119], v106 offset0:16 offset1:17
	;; [unrolled: 3-line block ×3, first 2 shown]
	s_waitcnt lgkmcnt(0)
	v_fma_f64 v[70:71], -v[84:85], v[112:113], v[70:71]
	v_fma_f64 v[68:69], -v[84:85], v[114:115], v[68:69]
	;; [unrolled: 1-line block ×3, first 2 shown]
	ds_read2_b64 v[112:115], v106 offset0:20 offset1:21
	v_fma_f64 v[64:65], -v[84:85], v[118:119], v[64:65]
	ds_read2_b64 v[116:119], v106 offset0:22 offset1:23
	v_fma_f64 v[62:63], -v[84:85], v[120:121], v[62:63]
	v_fma_f64 v[58:59], -v[84:85], v[122:123], v[58:59]
	s_waitcnt lgkmcnt(0)
	v_fma_f64 v[60:61], -v[84:85], v[112:113], v[60:61]
	ds_read2_b64 v[120:123], v106 offset0:24 offset1:25
	v_fma_f64 v[56:57], -v[84:85], v[114:115], v[56:57]
	ds_read2_b64 v[112:115], v106 offset0:26 offset1:27
	v_fma_f64 v[54:55], -v[84:85], v[116:117], v[54:55]
	v_fma_f64 v[52:53], -v[84:85], v[118:119], v[52:53]
	ds_read2_b64 v[116:119], v106 offset0:28 offset1:29
	s_waitcnt lgkmcnt(0)
	v_fma_f64 v[50:51], -v[84:85], v[120:121], v[50:51]
	v_fma_f64 v[48:49], -v[84:85], v[122:123], v[48:49]
	ds_read2_b64 v[120:123], v106 offset0:30 offset1:31
	v_fma_f64 v[46:47], -v[84:85], v[112:113], v[46:47]
	v_fma_f64 v[44:45], -v[84:85], v[114:115], v[44:45]
	;; [unrolled: 1-line block ×3, first 2 shown]
	ds_read2_b64 v[112:115], v106 offset0:32 offset1:33
	v_fma_f64 v[38:39], -v[84:85], v[118:119], v[38:39]
	ds_read2_b64 v[116:119], v106 offset0:34 offset1:35
	s_waitcnt lgkmcnt(0)
	v_fma_f64 v[40:41], -v[84:85], v[120:121], v[40:41]
	v_fma_f64 v[36:37], -v[84:85], v[122:123], v[36:37]
	v_fma_f64 v[34:35], -v[84:85], v[112:113], v[34:35]
	ds_read2_b64 v[120:123], v106 offset0:36 offset1:37
	v_fma_f64 v[32:33], -v[84:85], v[114:115], v[32:33]
	ds_read2_b64 v[112:115], v106 offset0:38 offset1:39
	v_fma_f64 v[30:31], -v[84:85], v[116:117], v[30:31]
	v_fma_f64 v[28:29], -v[84:85], v[118:119], v[28:29]
	ds_read2_b64 v[116:119], v106 offset0:40 offset1:41
	s_waitcnt lgkmcnt(0)
	v_fma_f64 v[26:27], -v[84:85], v[120:121], v[26:27]
	v_fma_f64 v[24:25], -v[84:85], v[122:123], v[24:25]
	ds_read2_b64 v[120:123], v106 offset0:42 offset1:43
	v_fma_f64 v[22:23], -v[84:85], v[112:113], v[22:23]
	v_fma_f64 v[18:19], -v[84:85], v[114:115], v[18:19]
	;; [unrolled: 1-line block ×4, first 2 shown]
	ds_read2_b64 v[112:115], v106 offset0:44 offset1:45
	ds_read2_b64 v[116:119], v106 offset0:46 offset1:47
	s_waitcnt lgkmcnt(0)
	v_fma_f64 v[14:15], -v[84:85], v[120:121], v[14:15]
	v_fma_f64 v[12:13], -v[84:85], v[122:123], v[12:13]
	;; [unrolled: 1-line block ×7, first 2 shown]
.LBB96_131:
	s_or_b64 exec, exec, s[0:1]
	v_lshl_add_u32 v102, v107, 3, v106
	s_barrier
	ds_write_b64 v102, v[82:83]
	s_waitcnt lgkmcnt(0)
	s_barrier
	ds_read_b64 v[102:103], v106 offset:64
	s_cmp_lt_i32 s18, 10
	v_mov_b32_e32 v104, 8
	s_cbranch_scc1 .LBB96_134
; %bb.132:
	v_add_u32_e32 v111, 0x48, v106
	s_mov_b32 s0, 9
	v_mov_b32_e32 v104, 8
.LBB96_133:                             ; =>This Inner Loop Header: Depth=1
	ds_read_b64 v[112:113], v111
	v_mov_b32_e32 v114, s0
	s_add_i32 s0, s0, 1
	v_add_u32_e32 v111, 8, v111
	s_cmp_lg_u32 s18, s0
	s_waitcnt lgkmcnt(0)
	v_cmp_lt_f64_e64 vcc, |v[102:103]|, |v[112:113]|
	v_cndmask_b32_e32 v103, v103, v113, vcc
	v_cndmask_b32_e32 v102, v102, v112, vcc
	;; [unrolled: 1-line block ×3, first 2 shown]
	s_cbranch_scc1 .LBB96_133
.LBB96_134:
	s_waitcnt lgkmcnt(0)
	v_cmp_eq_f64_e32 vcc, 0, v[102:103]
	s_and_saveexec_b64 s[0:1], vcc
	s_xor_b64 s[0:1], exec, s[0:1]
; %bb.135:
	v_cmp_ne_u32_e32 vcc, 0, v110
	v_cndmask_b32_e32 v110, 9, v110, vcc
; %bb.136:
	s_andn2_saveexec_b64 s[0:1], s[0:1]
; %bb.137:
	v_div_scale_f64 v[112:113], s[2:3], v[102:103], v[102:103], 1.0
	v_rcp_f64_e32 v[114:115], v[112:113]
	v_div_scale_f64 v[116:117], vcc, 1.0, v[102:103], 1.0
	v_fma_f64 v[118:119], -v[112:113], v[114:115], 1.0
	v_fmac_f64_e32 v[114:115], v[114:115], v[118:119]
	v_fma_f64 v[118:119], -v[112:113], v[114:115], 1.0
	v_fmac_f64_e32 v[114:115], v[114:115], v[118:119]
	v_mul_f64 v[118:119], v[116:117], v[114:115]
	v_fma_f64 v[112:113], -v[112:113], v[118:119], v[116:117]
	v_div_fmas_f64 v[112:113], v[112:113], v[114:115], v[118:119]
	v_div_fixup_f64 v[102:103], v[112:113], v[102:103], 1.0
; %bb.138:
	s_or_b64 exec, exec, s[0:1]
	v_cmp_ne_u32_e32 vcc, v107, v104
	s_and_saveexec_b64 s[0:1], vcc
	s_xor_b64 s[0:1], exec, s[0:1]
	s_cbranch_execz .LBB96_144
; %bb.139:
	v_cmp_eq_u32_e32 vcc, 8, v107
	s_and_saveexec_b64 s[2:3], vcc
	s_cbranch_execz .LBB96_143
; %bb.140:
	v_cmp_ne_u32_e32 vcc, 8, v104
	s_xor_b64 s[14:15], s[6:7], -1
	s_and_b64 s[16:17], s[14:15], vcc
	s_and_saveexec_b64 s[14:15], s[16:17]
	s_cbranch_execz .LBB96_142
; %bb.141:
	v_ashrrev_i32_e32 v105, 31, v104
	v_lshlrev_b64 v[112:113], 2, v[104:105]
	v_add_co_u32_e32 v112, vcc, v4, v112
	v_addc_co_u32_e32 v113, vcc, v5, v113, vcc
	flat_load_dword v105, v[112:113]
	flat_load_dword v107, v[4:5] offset:32
	s_waitcnt vmcnt(0) lgkmcnt(0)
	flat_store_dword v[4:5], v105 offset:32
	flat_store_dword v[112:113], v107
.LBB96_142:
	s_or_b64 exec, exec, s[14:15]
	v_mov_b32_e32 v105, v104
	v_mov_b32_e32 v107, v104
.LBB96_143:
	s_or_b64 exec, exec, s[2:3]
.LBB96_144:
	s_andn2_saveexec_b64 s[0:1], s[0:1]
	s_cbranch_execz .LBB96_146
; %bb.145:
	v_mov_b32_e32 v107, 8
	ds_write2_b64 v106, v[78:79], v[80:81] offset0:9 offset1:10
	ds_write2_b64 v106, v[76:77], v[74:75] offset0:11 offset1:12
	;; [unrolled: 1-line block ×20, first 2 shown]
.LBB96_146:
	s_or_b64 exec, exec, s[0:1]
	v_cmp_lt_i32_e32 vcc, 8, v107
	s_waitcnt lgkmcnt(0)
	s_barrier
	s_and_saveexec_b64 s[0:1], vcc
	s_cbranch_execz .LBB96_148
; %bb.147:
	ds_read2_b64 v[112:115], v106 offset0:9 offset1:10
	ds_read2_b64 v[116:119], v106 offset0:11 offset1:12
	v_mul_f64 v[82:83], v[102:103], v[82:83]
	ds_read2_b64 v[120:123], v106 offset0:13 offset1:14
	s_waitcnt lgkmcnt(0)
	v_fma_f64 v[78:79], -v[82:83], v[112:113], v[78:79]
	v_fma_f64 v[80:81], -v[82:83], v[114:115], v[80:81]
	ds_read2_b64 v[112:115], v106 offset0:15 offset1:16
	v_fma_f64 v[76:77], -v[82:83], v[116:117], v[76:77]
	v_fma_f64 v[74:75], -v[82:83], v[118:119], v[74:75]
	ds_read2_b64 v[116:119], v106 offset0:17 offset1:18
	v_fma_f64 v[72:73], -v[82:83], v[120:121], v[72:73]
	v_fma_f64 v[70:71], -v[82:83], v[122:123], v[70:71]
	ds_read2_b64 v[120:123], v106 offset0:19 offset1:20
	s_waitcnt lgkmcnt(0)
	v_fma_f64 v[68:69], -v[82:83], v[112:113], v[68:69]
	v_fma_f64 v[66:67], -v[82:83], v[114:115], v[66:67]
	;; [unrolled: 1-line block ×3, first 2 shown]
	ds_read2_b64 v[112:115], v106 offset0:21 offset1:22
	v_fma_f64 v[62:63], -v[82:83], v[118:119], v[62:63]
	ds_read2_b64 v[116:119], v106 offset0:23 offset1:24
	v_fma_f64 v[58:59], -v[82:83], v[120:121], v[58:59]
	v_fma_f64 v[60:61], -v[82:83], v[122:123], v[60:61]
	s_waitcnt lgkmcnt(0)
	v_fma_f64 v[56:57], -v[82:83], v[112:113], v[56:57]
	ds_read2_b64 v[120:123], v106 offset0:25 offset1:26
	v_fma_f64 v[54:55], -v[82:83], v[114:115], v[54:55]
	ds_read2_b64 v[112:115], v106 offset0:27 offset1:28
	v_fma_f64 v[52:53], -v[82:83], v[116:117], v[52:53]
	v_fma_f64 v[50:51], -v[82:83], v[118:119], v[50:51]
	ds_read2_b64 v[116:119], v106 offset0:29 offset1:30
	s_waitcnt lgkmcnt(0)
	v_fma_f64 v[48:49], -v[82:83], v[120:121], v[48:49]
	v_fma_f64 v[46:47], -v[82:83], v[122:123], v[46:47]
	ds_read2_b64 v[120:123], v106 offset0:31 offset1:32
	v_fma_f64 v[44:45], -v[82:83], v[112:113], v[44:45]
	v_fma_f64 v[42:43], -v[82:83], v[114:115], v[42:43]
	;; [unrolled: 1-line block ×3, first 2 shown]
	ds_read2_b64 v[112:115], v106 offset0:33 offset1:34
	v_fma_f64 v[40:41], -v[82:83], v[118:119], v[40:41]
	ds_read2_b64 v[116:119], v106 offset0:35 offset1:36
	s_waitcnt lgkmcnt(0)
	v_fma_f64 v[36:37], -v[82:83], v[120:121], v[36:37]
	v_fma_f64 v[34:35], -v[82:83], v[122:123], v[34:35]
	;; [unrolled: 1-line block ×3, first 2 shown]
	ds_read2_b64 v[120:123], v106 offset0:37 offset1:38
	v_fma_f64 v[30:31], -v[82:83], v[114:115], v[30:31]
	ds_read2_b64 v[112:115], v106 offset0:39 offset1:40
	v_fma_f64 v[28:29], -v[82:83], v[116:117], v[28:29]
	v_fma_f64 v[26:27], -v[82:83], v[118:119], v[26:27]
	ds_read2_b64 v[116:119], v106 offset0:41 offset1:42
	s_waitcnt lgkmcnt(0)
	v_fma_f64 v[24:25], -v[82:83], v[120:121], v[24:25]
	v_fma_f64 v[22:23], -v[82:83], v[122:123], v[22:23]
	;; [unrolled: 1-line block ×4, first 2 shown]
	ds_read2_b64 v[112:115], v106 offset0:43 offset1:44
	v_fma_f64 v[16:17], -v[82:83], v[116:117], v[16:17]
	ds_read2_b64 v[120:123], v106 offset0:45 offset1:46
	v_fma_f64 v[14:15], -v[82:83], v[118:119], v[14:15]
	ds_read2_b64 v[116:119], v106 offset0:47 offset1:48
	s_waitcnt lgkmcnt(0)
	v_fma_f64 v[12:13], -v[82:83], v[112:113], v[12:13]
	v_fma_f64 v[10:11], -v[82:83], v[114:115], v[10:11]
	;; [unrolled: 1-line block ×6, first 2 shown]
.LBB96_148:
	s_or_b64 exec, exec, s[0:1]
	v_lshl_add_u32 v102, v107, 3, v106
	s_barrier
	ds_write_b64 v102, v[78:79]
	s_waitcnt lgkmcnt(0)
	s_barrier
	ds_read_b64 v[102:103], v106 offset:72
	s_cmp_lt_i32 s18, 11
	v_mov_b32_e32 v104, 9
	s_cbranch_scc1 .LBB96_151
; %bb.149:
	v_add_u32_e32 v111, 0x50, v106
	s_mov_b32 s0, 10
	v_mov_b32_e32 v104, 9
.LBB96_150:                             ; =>This Inner Loop Header: Depth=1
	ds_read_b64 v[112:113], v111
	v_mov_b32_e32 v114, s0
	s_add_i32 s0, s0, 1
	v_add_u32_e32 v111, 8, v111
	s_cmp_lg_u32 s18, s0
	s_waitcnt lgkmcnt(0)
	v_cmp_lt_f64_e64 vcc, |v[102:103]|, |v[112:113]|
	v_cndmask_b32_e32 v103, v103, v113, vcc
	v_cndmask_b32_e32 v102, v102, v112, vcc
	;; [unrolled: 1-line block ×3, first 2 shown]
	s_cbranch_scc1 .LBB96_150
.LBB96_151:
	s_waitcnt lgkmcnt(0)
	v_cmp_eq_f64_e32 vcc, 0, v[102:103]
	s_and_saveexec_b64 s[0:1], vcc
	s_xor_b64 s[0:1], exec, s[0:1]
; %bb.152:
	v_cmp_ne_u32_e32 vcc, 0, v110
	v_cndmask_b32_e32 v110, 10, v110, vcc
; %bb.153:
	s_andn2_saveexec_b64 s[0:1], s[0:1]
; %bb.154:
	v_div_scale_f64 v[112:113], s[2:3], v[102:103], v[102:103], 1.0
	v_rcp_f64_e32 v[114:115], v[112:113]
	v_div_scale_f64 v[116:117], vcc, 1.0, v[102:103], 1.0
	v_fma_f64 v[118:119], -v[112:113], v[114:115], 1.0
	v_fmac_f64_e32 v[114:115], v[114:115], v[118:119]
	v_fma_f64 v[118:119], -v[112:113], v[114:115], 1.0
	v_fmac_f64_e32 v[114:115], v[114:115], v[118:119]
	v_mul_f64 v[118:119], v[116:117], v[114:115]
	v_fma_f64 v[112:113], -v[112:113], v[118:119], v[116:117]
	v_div_fmas_f64 v[112:113], v[112:113], v[114:115], v[118:119]
	v_div_fixup_f64 v[102:103], v[112:113], v[102:103], 1.0
; %bb.155:
	s_or_b64 exec, exec, s[0:1]
	v_cmp_ne_u32_e32 vcc, v107, v104
	s_and_saveexec_b64 s[0:1], vcc
	s_xor_b64 s[0:1], exec, s[0:1]
	s_cbranch_execz .LBB96_161
; %bb.156:
	v_cmp_eq_u32_e32 vcc, 9, v107
	s_and_saveexec_b64 s[2:3], vcc
	s_cbranch_execz .LBB96_160
; %bb.157:
	v_cmp_ne_u32_e32 vcc, 9, v104
	s_xor_b64 s[14:15], s[6:7], -1
	s_and_b64 s[16:17], s[14:15], vcc
	s_and_saveexec_b64 s[14:15], s[16:17]
	s_cbranch_execz .LBB96_159
; %bb.158:
	v_ashrrev_i32_e32 v105, 31, v104
	v_lshlrev_b64 v[112:113], 2, v[104:105]
	v_add_co_u32_e32 v112, vcc, v4, v112
	v_addc_co_u32_e32 v113, vcc, v5, v113, vcc
	flat_load_dword v105, v[112:113]
	flat_load_dword v107, v[4:5] offset:36
	s_waitcnt vmcnt(0) lgkmcnt(0)
	flat_store_dword v[4:5], v105 offset:36
	flat_store_dword v[112:113], v107
.LBB96_159:
	s_or_b64 exec, exec, s[14:15]
	v_mov_b32_e32 v105, v104
	v_mov_b32_e32 v107, v104
.LBB96_160:
	s_or_b64 exec, exec, s[2:3]
.LBB96_161:
	s_andn2_saveexec_b64 s[0:1], s[0:1]
	s_cbranch_execz .LBB96_163
; %bb.162:
	v_mov_b32_e32 v112, v80
	v_mov_b32_e32 v113, v81
	v_mov_b32_e32 v114, v76
	v_mov_b32_e32 v115, v77
	ds_write2_b64 v106, v[112:113], v[114:115] offset0:10 offset1:11
	v_mov_b32_e32 v112, v74
	v_mov_b32_e32 v113, v75
	v_mov_b32_e32 v114, v72
	v_mov_b32_e32 v115, v73
	ds_write2_b64 v106, v[112:113], v[114:115] offset0:12 offset1:13
	;; [unrolled: 5-line block ×18, first 2 shown]
	v_mov_b32_e32 v112, v6
	v_mov_b32_e32 v113, v7
	;; [unrolled: 1-line block ×5, first 2 shown]
	ds_write2_b64 v106, v[112:113], v[114:115] offset0:46 offset1:47
	ds_write_b64 v106, v[100:101] offset:384
.LBB96_163:
	s_or_b64 exec, exec, s[0:1]
	v_cmp_lt_i32_e32 vcc, 9, v107
	s_waitcnt lgkmcnt(0)
	s_barrier
	s_and_saveexec_b64 s[0:1], vcc
	s_cbranch_execz .LBB96_165
; %bb.164:
	ds_read2_b64 v[112:115], v106 offset0:10 offset1:11
	ds_read2_b64 v[116:119], v106 offset0:12 offset1:13
	v_mul_f64 v[78:79], v[102:103], v[78:79]
	ds_read2_b64 v[120:123], v106 offset0:14 offset1:15
	ds_read_b64 v[102:103], v106 offset:384
	s_waitcnt lgkmcnt(0)
	v_fma_f64 v[80:81], -v[78:79], v[112:113], v[80:81]
	v_fma_f64 v[76:77], -v[78:79], v[114:115], v[76:77]
	ds_read2_b64 v[112:115], v106 offset0:16 offset1:17
	v_fma_f64 v[74:75], -v[78:79], v[116:117], v[74:75]
	v_fma_f64 v[72:73], -v[78:79], v[118:119], v[72:73]
	;; [unrolled: 1-line block ×3, first 2 shown]
	ds_read2_b64 v[116:119], v106 offset0:18 offset1:19
	v_fma_f64 v[68:69], -v[78:79], v[122:123], v[68:69]
	ds_read2_b64 v[120:123], v106 offset0:20 offset1:21
	s_waitcnt lgkmcnt(0)
	v_fma_f64 v[66:67], -v[78:79], v[112:113], v[66:67]
	v_fma_f64 v[64:65], -v[78:79], v[114:115], v[64:65]
	ds_read2_b64 v[112:115], v106 offset0:22 offset1:23
	v_fma_f64 v[62:63], -v[78:79], v[116:117], v[62:63]
	v_fma_f64 v[58:59], -v[78:79], v[118:119], v[58:59]
	ds_read2_b64 v[116:119], v106 offset0:24 offset1:25
	v_fma_f64 v[60:61], -v[78:79], v[120:121], v[60:61]
	v_fma_f64 v[56:57], -v[78:79], v[122:123], v[56:57]
	s_waitcnt lgkmcnt(0)
	v_fma_f64 v[54:55], -v[78:79], v[112:113], v[54:55]
	ds_read2_b64 v[120:123], v106 offset0:26 offset1:27
	v_fma_f64 v[52:53], -v[78:79], v[114:115], v[52:53]
	ds_read2_b64 v[112:115], v106 offset0:28 offset1:29
	v_fma_f64 v[50:51], -v[78:79], v[116:117], v[50:51]
	v_fma_f64 v[48:49], -v[78:79], v[118:119], v[48:49]
	s_waitcnt lgkmcnt(0)
	v_fma_f64 v[46:47], -v[78:79], v[120:121], v[46:47]
	ds_read2_b64 v[116:119], v106 offset0:30 offset1:31
	v_fma_f64 v[44:45], -v[78:79], v[122:123], v[44:45]
	ds_read2_b64 v[120:123], v106 offset0:32 offset1:33
	v_fma_f64 v[42:43], -v[78:79], v[112:113], v[42:43]
	v_fma_f64 v[38:39], -v[78:79], v[114:115], v[38:39]
	ds_read2_b64 v[112:115], v106 offset0:34 offset1:35
	s_waitcnt lgkmcnt(0)
	v_fma_f64 v[40:41], -v[78:79], v[116:117], v[40:41]
	v_fma_f64 v[36:37], -v[78:79], v[118:119], v[36:37]
	ds_read2_b64 v[116:119], v106 offset0:36 offset1:37
	v_fma_f64 v[34:35], -v[78:79], v[120:121], v[34:35]
	v_fma_f64 v[32:33], -v[78:79], v[122:123], v[32:33]
	;; [unrolled: 1-line block ×3, first 2 shown]
	ds_read2_b64 v[120:123], v106 offset0:38 offset1:39
	v_fma_f64 v[28:29], -v[78:79], v[114:115], v[28:29]
	ds_read2_b64 v[112:115], v106 offset0:40 offset1:41
	s_waitcnt lgkmcnt(0)
	v_fma_f64 v[26:27], -v[78:79], v[116:117], v[26:27]
	v_fma_f64 v[24:25], -v[78:79], v[118:119], v[24:25]
	;; [unrolled: 1-line block ×3, first 2 shown]
	ds_read2_b64 v[116:119], v106 offset0:42 offset1:43
	v_fma_f64 v[18:19], -v[78:79], v[122:123], v[18:19]
	v_fma_f64 v[20:21], -v[78:79], v[112:113], v[20:21]
	;; [unrolled: 1-line block ×3, first 2 shown]
	ds_read2_b64 v[112:115], v106 offset0:44 offset1:45
	ds_read2_b64 v[120:123], v106 offset0:46 offset1:47
	s_waitcnt lgkmcnt(0)
	v_fma_f64 v[14:15], -v[78:79], v[116:117], v[14:15]
	v_fma_f64 v[12:13], -v[78:79], v[118:119], v[12:13]
	;; [unrolled: 1-line block ×7, first 2 shown]
.LBB96_165:
	s_or_b64 exec, exec, s[0:1]
	v_lshl_add_u32 v102, v107, 3, v106
	s_barrier
	ds_write_b64 v102, v[80:81]
	s_waitcnt lgkmcnt(0)
	s_barrier
	ds_read_b64 v[102:103], v106 offset:80
	s_cmp_lt_i32 s18, 12
	v_mov_b32_e32 v104, 10
	s_cbranch_scc1 .LBB96_168
; %bb.166:
	v_add_u32_e32 v111, 0x58, v106
	s_mov_b32 s0, 11
	v_mov_b32_e32 v104, 10
.LBB96_167:                             ; =>This Inner Loop Header: Depth=1
	ds_read_b64 v[112:113], v111
	v_mov_b32_e32 v114, s0
	s_add_i32 s0, s0, 1
	v_add_u32_e32 v111, 8, v111
	s_cmp_lg_u32 s18, s0
	s_waitcnt lgkmcnt(0)
	v_cmp_lt_f64_e64 vcc, |v[102:103]|, |v[112:113]|
	v_cndmask_b32_e32 v103, v103, v113, vcc
	v_cndmask_b32_e32 v102, v102, v112, vcc
	;; [unrolled: 1-line block ×3, first 2 shown]
	s_cbranch_scc1 .LBB96_167
.LBB96_168:
	s_waitcnt lgkmcnt(0)
	v_cmp_eq_f64_e32 vcc, 0, v[102:103]
	s_and_saveexec_b64 s[0:1], vcc
	s_xor_b64 s[0:1], exec, s[0:1]
; %bb.169:
	v_cmp_ne_u32_e32 vcc, 0, v110
	v_cndmask_b32_e32 v110, 11, v110, vcc
; %bb.170:
	s_andn2_saveexec_b64 s[0:1], s[0:1]
; %bb.171:
	v_div_scale_f64 v[112:113], s[2:3], v[102:103], v[102:103], 1.0
	v_rcp_f64_e32 v[114:115], v[112:113]
	v_div_scale_f64 v[116:117], vcc, 1.0, v[102:103], 1.0
	v_fma_f64 v[118:119], -v[112:113], v[114:115], 1.0
	v_fmac_f64_e32 v[114:115], v[114:115], v[118:119]
	v_fma_f64 v[118:119], -v[112:113], v[114:115], 1.0
	v_fmac_f64_e32 v[114:115], v[114:115], v[118:119]
	v_mul_f64 v[118:119], v[116:117], v[114:115]
	v_fma_f64 v[112:113], -v[112:113], v[118:119], v[116:117]
	v_div_fmas_f64 v[112:113], v[112:113], v[114:115], v[118:119]
	v_div_fixup_f64 v[102:103], v[112:113], v[102:103], 1.0
; %bb.172:
	s_or_b64 exec, exec, s[0:1]
	v_cmp_ne_u32_e32 vcc, v107, v104
	s_and_saveexec_b64 s[0:1], vcc
	s_xor_b64 s[0:1], exec, s[0:1]
	s_cbranch_execz .LBB96_178
; %bb.173:
	v_cmp_eq_u32_e32 vcc, 10, v107
	s_and_saveexec_b64 s[2:3], vcc
	s_cbranch_execz .LBB96_177
; %bb.174:
	v_cmp_ne_u32_e32 vcc, 10, v104
	s_xor_b64 s[14:15], s[6:7], -1
	s_and_b64 s[16:17], s[14:15], vcc
	s_and_saveexec_b64 s[14:15], s[16:17]
	s_cbranch_execz .LBB96_176
; %bb.175:
	v_ashrrev_i32_e32 v105, 31, v104
	v_lshlrev_b64 v[112:113], 2, v[104:105]
	v_add_co_u32_e32 v112, vcc, v4, v112
	v_addc_co_u32_e32 v113, vcc, v5, v113, vcc
	flat_load_dword v105, v[112:113]
	flat_load_dword v107, v[4:5] offset:40
	s_waitcnt vmcnt(0) lgkmcnt(0)
	flat_store_dword v[4:5], v105 offset:40
	flat_store_dword v[112:113], v107
.LBB96_176:
	s_or_b64 exec, exec, s[14:15]
	v_mov_b32_e32 v105, v104
	v_mov_b32_e32 v107, v104
.LBB96_177:
	s_or_b64 exec, exec, s[2:3]
.LBB96_178:
	s_andn2_saveexec_b64 s[0:1], s[0:1]
	s_cbranch_execz .LBB96_180
; %bb.179:
	v_mov_b32_e32 v107, 10
	ds_write2_b64 v106, v[76:77], v[74:75] offset0:11 offset1:12
	ds_write2_b64 v106, v[72:73], v[70:71] offset0:13 offset1:14
	;; [unrolled: 1-line block ×19, first 2 shown]
.LBB96_180:
	s_or_b64 exec, exec, s[0:1]
	v_cmp_lt_i32_e32 vcc, 10, v107
	s_waitcnt lgkmcnt(0)
	s_barrier
	s_and_saveexec_b64 s[0:1], vcc
	s_cbranch_execz .LBB96_182
; %bb.181:
	ds_read2_b64 v[112:115], v106 offset0:11 offset1:12
	ds_read2_b64 v[116:119], v106 offset0:13 offset1:14
	v_mul_f64 v[80:81], v[102:103], v[80:81]
	ds_read2_b64 v[120:123], v106 offset0:15 offset1:16
	s_waitcnt lgkmcnt(0)
	v_fma_f64 v[76:77], -v[80:81], v[112:113], v[76:77]
	v_fma_f64 v[74:75], -v[80:81], v[114:115], v[74:75]
	ds_read2_b64 v[112:115], v106 offset0:17 offset1:18
	v_fma_f64 v[72:73], -v[80:81], v[116:117], v[72:73]
	v_fma_f64 v[70:71], -v[80:81], v[118:119], v[70:71]
	;; [unrolled: 1-line block ×3, first 2 shown]
	ds_read2_b64 v[116:119], v106 offset0:19 offset1:20
	v_fma_f64 v[66:67], -v[80:81], v[122:123], v[66:67]
	ds_read2_b64 v[120:123], v106 offset0:21 offset1:22
	s_waitcnt lgkmcnt(0)
	v_fma_f64 v[64:65], -v[80:81], v[112:113], v[64:65]
	v_fma_f64 v[62:63], -v[80:81], v[114:115], v[62:63]
	ds_read2_b64 v[112:115], v106 offset0:23 offset1:24
	v_fma_f64 v[58:59], -v[80:81], v[116:117], v[58:59]
	v_fma_f64 v[60:61], -v[80:81], v[118:119], v[60:61]
	ds_read2_b64 v[116:119], v106 offset0:25 offset1:26
	v_fma_f64 v[56:57], -v[80:81], v[120:121], v[56:57]
	v_fma_f64 v[54:55], -v[80:81], v[122:123], v[54:55]
	s_waitcnt lgkmcnt(0)
	v_fma_f64 v[52:53], -v[80:81], v[112:113], v[52:53]
	ds_read2_b64 v[120:123], v106 offset0:27 offset1:28
	v_fma_f64 v[50:51], -v[80:81], v[114:115], v[50:51]
	ds_read2_b64 v[112:115], v106 offset0:29 offset1:30
	v_fma_f64 v[48:49], -v[80:81], v[116:117], v[48:49]
	v_fma_f64 v[46:47], -v[80:81], v[118:119], v[46:47]
	s_waitcnt lgkmcnt(0)
	v_fma_f64 v[44:45], -v[80:81], v[120:121], v[44:45]
	ds_read2_b64 v[116:119], v106 offset0:31 offset1:32
	v_fma_f64 v[42:43], -v[80:81], v[122:123], v[42:43]
	ds_read2_b64 v[120:123], v106 offset0:33 offset1:34
	v_fma_f64 v[38:39], -v[80:81], v[112:113], v[38:39]
	v_fma_f64 v[40:41], -v[80:81], v[114:115], v[40:41]
	ds_read2_b64 v[112:115], v106 offset0:35 offset1:36
	s_waitcnt lgkmcnt(0)
	v_fma_f64 v[36:37], -v[80:81], v[116:117], v[36:37]
	v_fma_f64 v[34:35], -v[80:81], v[118:119], v[34:35]
	ds_read2_b64 v[116:119], v106 offset0:37 offset1:38
	v_fma_f64 v[32:33], -v[80:81], v[120:121], v[32:33]
	v_fma_f64 v[30:31], -v[80:81], v[122:123], v[30:31]
	v_fma_f64 v[28:29], -v[80:81], v[112:113], v[28:29]
	ds_read2_b64 v[120:123], v106 offset0:39 offset1:40
	v_fma_f64 v[26:27], -v[80:81], v[114:115], v[26:27]
	ds_read2_b64 v[112:115], v106 offset0:41 offset1:42
	s_waitcnt lgkmcnt(0)
	v_fma_f64 v[24:25], -v[80:81], v[116:117], v[24:25]
	v_fma_f64 v[22:23], -v[80:81], v[118:119], v[22:23]
	;; [unrolled: 1-line block ×4, first 2 shown]
	ds_read2_b64 v[116:119], v106 offset0:43 offset1:44
	ds_read2_b64 v[120:123], v106 offset0:45 offset1:46
	v_fma_f64 v[16:17], -v[80:81], v[112:113], v[16:17]
	v_fma_f64 v[14:15], -v[80:81], v[114:115], v[14:15]
	ds_read2_b64 v[112:115], v106 offset0:47 offset1:48
	s_waitcnt lgkmcnt(0)
	v_fma_f64 v[12:13], -v[80:81], v[116:117], v[12:13]
	v_fma_f64 v[10:11], -v[80:81], v[118:119], v[10:11]
	;; [unrolled: 1-line block ×6, first 2 shown]
.LBB96_182:
	s_or_b64 exec, exec, s[0:1]
	v_lshl_add_u32 v102, v107, 3, v106
	s_barrier
	ds_write_b64 v102, v[76:77]
	s_waitcnt lgkmcnt(0)
	s_barrier
	ds_read_b64 v[102:103], v106 offset:88
	s_cmp_lt_i32 s18, 13
	v_mov_b32_e32 v104, 11
	s_cbranch_scc1 .LBB96_185
; %bb.183:
	v_add_u32_e32 v111, 0x60, v106
	s_mov_b32 s0, 12
	v_mov_b32_e32 v104, 11
.LBB96_184:                             ; =>This Inner Loop Header: Depth=1
	ds_read_b64 v[112:113], v111
	v_mov_b32_e32 v114, s0
	s_add_i32 s0, s0, 1
	v_add_u32_e32 v111, 8, v111
	s_cmp_lg_u32 s18, s0
	s_waitcnt lgkmcnt(0)
	v_cmp_lt_f64_e64 vcc, |v[102:103]|, |v[112:113]|
	v_cndmask_b32_e32 v103, v103, v113, vcc
	v_cndmask_b32_e32 v102, v102, v112, vcc
	v_cndmask_b32_e32 v104, v104, v114, vcc
	s_cbranch_scc1 .LBB96_184
.LBB96_185:
	s_waitcnt lgkmcnt(0)
	v_cmp_eq_f64_e32 vcc, 0, v[102:103]
	s_and_saveexec_b64 s[0:1], vcc
	s_xor_b64 s[0:1], exec, s[0:1]
; %bb.186:
	v_cmp_ne_u32_e32 vcc, 0, v110
	v_cndmask_b32_e32 v110, 12, v110, vcc
; %bb.187:
	s_andn2_saveexec_b64 s[0:1], s[0:1]
; %bb.188:
	v_div_scale_f64 v[112:113], s[2:3], v[102:103], v[102:103], 1.0
	v_rcp_f64_e32 v[114:115], v[112:113]
	v_div_scale_f64 v[116:117], vcc, 1.0, v[102:103], 1.0
	v_fma_f64 v[118:119], -v[112:113], v[114:115], 1.0
	v_fmac_f64_e32 v[114:115], v[114:115], v[118:119]
	v_fma_f64 v[118:119], -v[112:113], v[114:115], 1.0
	v_fmac_f64_e32 v[114:115], v[114:115], v[118:119]
	v_mul_f64 v[118:119], v[116:117], v[114:115]
	v_fma_f64 v[112:113], -v[112:113], v[118:119], v[116:117]
	v_div_fmas_f64 v[112:113], v[112:113], v[114:115], v[118:119]
	v_div_fixup_f64 v[102:103], v[112:113], v[102:103], 1.0
; %bb.189:
	s_or_b64 exec, exec, s[0:1]
	v_cmp_ne_u32_e32 vcc, v107, v104
	s_and_saveexec_b64 s[0:1], vcc
	s_xor_b64 s[0:1], exec, s[0:1]
	s_cbranch_execz .LBB96_195
; %bb.190:
	v_cmp_eq_u32_e32 vcc, 11, v107
	s_and_saveexec_b64 s[2:3], vcc
	s_cbranch_execz .LBB96_194
; %bb.191:
	v_cmp_ne_u32_e32 vcc, 11, v104
	s_xor_b64 s[14:15], s[6:7], -1
	s_and_b64 s[16:17], s[14:15], vcc
	s_and_saveexec_b64 s[14:15], s[16:17]
	s_cbranch_execz .LBB96_193
; %bb.192:
	v_ashrrev_i32_e32 v105, 31, v104
	v_lshlrev_b64 v[112:113], 2, v[104:105]
	v_add_co_u32_e32 v112, vcc, v4, v112
	v_addc_co_u32_e32 v113, vcc, v5, v113, vcc
	flat_load_dword v105, v[112:113]
	flat_load_dword v107, v[4:5] offset:44
	s_waitcnt vmcnt(0) lgkmcnt(0)
	flat_store_dword v[4:5], v105 offset:44
	flat_store_dword v[112:113], v107
.LBB96_193:
	s_or_b64 exec, exec, s[14:15]
	v_mov_b32_e32 v105, v104
	v_mov_b32_e32 v107, v104
.LBB96_194:
	s_or_b64 exec, exec, s[2:3]
.LBB96_195:
	s_andn2_saveexec_b64 s[0:1], s[0:1]
	s_cbranch_execz .LBB96_197
; %bb.196:
	v_mov_b32_e32 v112, v74
	v_mov_b32_e32 v113, v75
	v_mov_b32_e32 v114, v72
	v_mov_b32_e32 v115, v73
	ds_write2_b64 v106, v[112:113], v[114:115] offset0:12 offset1:13
	v_mov_b32_e32 v112, v70
	v_mov_b32_e32 v113, v71
	v_mov_b32_e32 v114, v68
	v_mov_b32_e32 v115, v69
	ds_write2_b64 v106, v[112:113], v[114:115] offset0:14 offset1:15
	;; [unrolled: 5-line block ×17, first 2 shown]
	v_mov_b32_e32 v112, v6
	v_mov_b32_e32 v113, v7
	;; [unrolled: 1-line block ×5, first 2 shown]
	ds_write2_b64 v106, v[112:113], v[114:115] offset0:46 offset1:47
	ds_write_b64 v106, v[100:101] offset:384
.LBB96_197:
	s_or_b64 exec, exec, s[0:1]
	v_cmp_lt_i32_e32 vcc, 11, v107
	s_waitcnt lgkmcnt(0)
	s_barrier
	s_and_saveexec_b64 s[0:1], vcc
	s_cbranch_execz .LBB96_199
; %bb.198:
	ds_read2_b64 v[112:115], v106 offset0:12 offset1:13
	ds_read2_b64 v[116:119], v106 offset0:14 offset1:15
	;; [unrolled: 1-line block ×3, first 2 shown]
	v_mul_f64 v[76:77], v[102:103], v[76:77]
	ds_read_b64 v[102:103], v106 offset:384
	s_waitcnt lgkmcnt(0)
	v_fma_f64 v[74:75], -v[76:77], v[112:113], v[74:75]
	v_fma_f64 v[72:73], -v[76:77], v[114:115], v[72:73]
	ds_read2_b64 v[112:115], v106 offset0:18 offset1:19
	v_fma_f64 v[70:71], -v[76:77], v[116:117], v[70:71]
	v_fma_f64 v[68:69], -v[76:77], v[118:119], v[68:69]
	;; [unrolled: 1-line block ×3, first 2 shown]
	ds_read2_b64 v[116:119], v106 offset0:20 offset1:21
	v_fma_f64 v[64:65], -v[76:77], v[122:123], v[64:65]
	ds_read2_b64 v[120:123], v106 offset0:22 offset1:23
	s_waitcnt lgkmcnt(0)
	v_fma_f64 v[62:63], -v[76:77], v[112:113], v[62:63]
	v_fma_f64 v[58:59], -v[76:77], v[114:115], v[58:59]
	;; [unrolled: 1-line block ×3, first 2 shown]
	ds_read2_b64 v[112:115], v106 offset0:24 offset1:25
	v_fma_f64 v[56:57], -v[76:77], v[118:119], v[56:57]
	ds_read2_b64 v[116:119], v106 offset0:26 offset1:27
	v_fma_f64 v[54:55], -v[76:77], v[120:121], v[54:55]
	v_fma_f64 v[52:53], -v[76:77], v[122:123], v[52:53]
	ds_read2_b64 v[120:123], v106 offset0:28 offset1:29
	s_waitcnt lgkmcnt(0)
	v_fma_f64 v[50:51], -v[76:77], v[112:113], v[50:51]
	v_fma_f64 v[48:49], -v[76:77], v[114:115], v[48:49]
	ds_read2_b64 v[112:115], v106 offset0:30 offset1:31
	v_fma_f64 v[46:47], -v[76:77], v[116:117], v[46:47]
	v_fma_f64 v[44:45], -v[76:77], v[118:119], v[44:45]
	;; [unrolled: 1-line block ×3, first 2 shown]
	ds_read2_b64 v[116:119], v106 offset0:32 offset1:33
	v_fma_f64 v[38:39], -v[76:77], v[122:123], v[38:39]
	ds_read2_b64 v[120:123], v106 offset0:34 offset1:35
	s_waitcnt lgkmcnt(0)
	v_fma_f64 v[40:41], -v[76:77], v[112:113], v[40:41]
	v_fma_f64 v[36:37], -v[76:77], v[114:115], v[36:37]
	;; [unrolled: 1-line block ×3, first 2 shown]
	ds_read2_b64 v[112:115], v106 offset0:36 offset1:37
	v_fma_f64 v[32:33], -v[76:77], v[118:119], v[32:33]
	ds_read2_b64 v[116:119], v106 offset0:38 offset1:39
	v_fma_f64 v[30:31], -v[76:77], v[120:121], v[30:31]
	v_fma_f64 v[28:29], -v[76:77], v[122:123], v[28:29]
	ds_read2_b64 v[120:123], v106 offset0:40 offset1:41
	s_waitcnt lgkmcnt(0)
	v_fma_f64 v[26:27], -v[76:77], v[112:113], v[26:27]
	v_fma_f64 v[24:25], -v[76:77], v[114:115], v[24:25]
	ds_read2_b64 v[112:115], v106 offset0:42 offset1:43
	v_fma_f64 v[22:23], -v[76:77], v[116:117], v[22:23]
	v_fma_f64 v[18:19], -v[76:77], v[118:119], v[18:19]
	;; [unrolled: 1-line block ×4, first 2 shown]
	ds_read2_b64 v[116:119], v106 offset0:44 offset1:45
	ds_read2_b64 v[120:123], v106 offset0:46 offset1:47
	s_waitcnt lgkmcnt(0)
	v_fma_f64 v[14:15], -v[76:77], v[112:113], v[14:15]
	v_fma_f64 v[12:13], -v[76:77], v[114:115], v[12:13]
	;; [unrolled: 1-line block ×7, first 2 shown]
.LBB96_199:
	s_or_b64 exec, exec, s[0:1]
	v_lshl_add_u32 v102, v107, 3, v106
	s_barrier
	ds_write_b64 v102, v[74:75]
	s_waitcnt lgkmcnt(0)
	s_barrier
	ds_read_b64 v[102:103], v106 offset:96
	s_cmp_lt_i32 s18, 14
	v_mov_b32_e32 v104, 12
	s_cbranch_scc1 .LBB96_202
; %bb.200:
	v_add_u32_e32 v111, 0x68, v106
	s_mov_b32 s0, 13
	v_mov_b32_e32 v104, 12
.LBB96_201:                             ; =>This Inner Loop Header: Depth=1
	ds_read_b64 v[112:113], v111
	v_mov_b32_e32 v114, s0
	s_add_i32 s0, s0, 1
	v_add_u32_e32 v111, 8, v111
	s_cmp_lg_u32 s18, s0
	s_waitcnt lgkmcnt(0)
	v_cmp_lt_f64_e64 vcc, |v[102:103]|, |v[112:113]|
	v_cndmask_b32_e32 v103, v103, v113, vcc
	v_cndmask_b32_e32 v102, v102, v112, vcc
	;; [unrolled: 1-line block ×3, first 2 shown]
	s_cbranch_scc1 .LBB96_201
.LBB96_202:
	s_waitcnt lgkmcnt(0)
	v_cmp_eq_f64_e32 vcc, 0, v[102:103]
	s_and_saveexec_b64 s[0:1], vcc
	s_xor_b64 s[0:1], exec, s[0:1]
; %bb.203:
	v_cmp_ne_u32_e32 vcc, 0, v110
	v_cndmask_b32_e32 v110, 13, v110, vcc
; %bb.204:
	s_andn2_saveexec_b64 s[0:1], s[0:1]
; %bb.205:
	v_div_scale_f64 v[112:113], s[2:3], v[102:103], v[102:103], 1.0
	v_rcp_f64_e32 v[114:115], v[112:113]
	v_div_scale_f64 v[116:117], vcc, 1.0, v[102:103], 1.0
	v_fma_f64 v[118:119], -v[112:113], v[114:115], 1.0
	v_fmac_f64_e32 v[114:115], v[114:115], v[118:119]
	v_fma_f64 v[118:119], -v[112:113], v[114:115], 1.0
	v_fmac_f64_e32 v[114:115], v[114:115], v[118:119]
	v_mul_f64 v[118:119], v[116:117], v[114:115]
	v_fma_f64 v[112:113], -v[112:113], v[118:119], v[116:117]
	v_div_fmas_f64 v[112:113], v[112:113], v[114:115], v[118:119]
	v_div_fixup_f64 v[102:103], v[112:113], v[102:103], 1.0
; %bb.206:
	s_or_b64 exec, exec, s[0:1]
	v_cmp_ne_u32_e32 vcc, v107, v104
	s_and_saveexec_b64 s[0:1], vcc
	s_xor_b64 s[0:1], exec, s[0:1]
	s_cbranch_execz .LBB96_212
; %bb.207:
	v_cmp_eq_u32_e32 vcc, 12, v107
	s_and_saveexec_b64 s[2:3], vcc
	s_cbranch_execz .LBB96_211
; %bb.208:
	v_cmp_ne_u32_e32 vcc, 12, v104
	s_xor_b64 s[14:15], s[6:7], -1
	s_and_b64 s[16:17], s[14:15], vcc
	s_and_saveexec_b64 s[14:15], s[16:17]
	s_cbranch_execz .LBB96_210
; %bb.209:
	v_ashrrev_i32_e32 v105, 31, v104
	v_lshlrev_b64 v[112:113], 2, v[104:105]
	v_add_co_u32_e32 v112, vcc, v4, v112
	v_addc_co_u32_e32 v113, vcc, v5, v113, vcc
	flat_load_dword v105, v[112:113]
	flat_load_dword v107, v[4:5] offset:48
	s_waitcnt vmcnt(0) lgkmcnt(0)
	flat_store_dword v[4:5], v105 offset:48
	flat_store_dword v[112:113], v107
.LBB96_210:
	s_or_b64 exec, exec, s[14:15]
	v_mov_b32_e32 v105, v104
	v_mov_b32_e32 v107, v104
.LBB96_211:
	s_or_b64 exec, exec, s[2:3]
.LBB96_212:
	s_andn2_saveexec_b64 s[0:1], s[0:1]
	s_cbranch_execz .LBB96_214
; %bb.213:
	v_mov_b32_e32 v107, 12
	ds_write2_b64 v106, v[72:73], v[70:71] offset0:13 offset1:14
	ds_write2_b64 v106, v[68:69], v[66:67] offset0:15 offset1:16
	;; [unrolled: 1-line block ×18, first 2 shown]
.LBB96_214:
	s_or_b64 exec, exec, s[0:1]
	v_cmp_lt_i32_e32 vcc, 12, v107
	s_waitcnt lgkmcnt(0)
	s_barrier
	s_and_saveexec_b64 s[0:1], vcc
	s_cbranch_execz .LBB96_216
; %bb.215:
	ds_read2_b64 v[112:115], v106 offset0:13 offset1:14
	ds_read2_b64 v[116:119], v106 offset0:15 offset1:16
	;; [unrolled: 1-line block ×3, first 2 shown]
	v_mul_f64 v[74:75], v[102:103], v[74:75]
	s_waitcnt lgkmcnt(0)
	v_fma_f64 v[72:73], -v[74:75], v[112:113], v[72:73]
	v_fma_f64 v[70:71], -v[74:75], v[114:115], v[70:71]
	ds_read2_b64 v[112:115], v106 offset0:19 offset1:20
	v_fma_f64 v[68:69], -v[74:75], v[116:117], v[68:69]
	v_fma_f64 v[66:67], -v[74:75], v[118:119], v[66:67]
	v_fma_f64 v[64:65], -v[74:75], v[120:121], v[64:65]
	ds_read2_b64 v[116:119], v106 offset0:21 offset1:22
	v_fma_f64 v[62:63], -v[74:75], v[122:123], v[62:63]
	ds_read2_b64 v[120:123], v106 offset0:23 offset1:24
	s_waitcnt lgkmcnt(0)
	v_fma_f64 v[58:59], -v[74:75], v[112:113], v[58:59]
	v_fma_f64 v[60:61], -v[74:75], v[114:115], v[60:61]
	;; [unrolled: 1-line block ×3, first 2 shown]
	ds_read2_b64 v[112:115], v106 offset0:25 offset1:26
	v_fma_f64 v[54:55], -v[74:75], v[118:119], v[54:55]
	ds_read2_b64 v[116:119], v106 offset0:27 offset1:28
	v_fma_f64 v[52:53], -v[74:75], v[120:121], v[52:53]
	v_fma_f64 v[50:51], -v[74:75], v[122:123], v[50:51]
	ds_read2_b64 v[120:123], v106 offset0:29 offset1:30
	s_waitcnt lgkmcnt(0)
	v_fma_f64 v[48:49], -v[74:75], v[112:113], v[48:49]
	v_fma_f64 v[46:47], -v[74:75], v[114:115], v[46:47]
	ds_read2_b64 v[112:115], v106 offset0:31 offset1:32
	v_fma_f64 v[44:45], -v[74:75], v[116:117], v[44:45]
	v_fma_f64 v[42:43], -v[74:75], v[118:119], v[42:43]
	;; [unrolled: 1-line block ×3, first 2 shown]
	ds_read2_b64 v[116:119], v106 offset0:33 offset1:34
	v_fma_f64 v[40:41], -v[74:75], v[122:123], v[40:41]
	ds_read2_b64 v[120:123], v106 offset0:35 offset1:36
	s_waitcnt lgkmcnt(0)
	v_fma_f64 v[36:37], -v[74:75], v[112:113], v[36:37]
	v_fma_f64 v[34:35], -v[74:75], v[114:115], v[34:35]
	;; [unrolled: 1-line block ×3, first 2 shown]
	ds_read2_b64 v[112:115], v106 offset0:37 offset1:38
	v_fma_f64 v[30:31], -v[74:75], v[118:119], v[30:31]
	ds_read2_b64 v[116:119], v106 offset0:39 offset1:40
	v_fma_f64 v[28:29], -v[74:75], v[120:121], v[28:29]
	v_fma_f64 v[26:27], -v[74:75], v[122:123], v[26:27]
	ds_read2_b64 v[120:123], v106 offset0:41 offset1:42
	s_waitcnt lgkmcnt(0)
	v_fma_f64 v[24:25], -v[74:75], v[112:113], v[24:25]
	v_fma_f64 v[22:23], -v[74:75], v[114:115], v[22:23]
	ds_read2_b64 v[112:115], v106 offset0:43 offset1:44
	v_fma_f64 v[18:19], -v[74:75], v[116:117], v[18:19]
	v_fma_f64 v[20:21], -v[74:75], v[118:119], v[20:21]
	;; [unrolled: 1-line block ×3, first 2 shown]
	ds_read2_b64 v[116:119], v106 offset0:45 offset1:46
	v_fma_f64 v[14:15], -v[74:75], v[122:123], v[14:15]
	ds_read2_b64 v[120:123], v106 offset0:47 offset1:48
	s_waitcnt lgkmcnt(0)
	v_fma_f64 v[12:13], -v[74:75], v[112:113], v[12:13]
	v_fma_f64 v[10:11], -v[74:75], v[114:115], v[10:11]
	;; [unrolled: 1-line block ×6, first 2 shown]
.LBB96_216:
	s_or_b64 exec, exec, s[0:1]
	v_lshl_add_u32 v102, v107, 3, v106
	s_barrier
	ds_write_b64 v102, v[72:73]
	s_waitcnt lgkmcnt(0)
	s_barrier
	ds_read_b64 v[102:103], v106 offset:104
	s_cmp_lt_i32 s18, 15
	v_mov_b32_e32 v104, 13
	s_cbranch_scc1 .LBB96_219
; %bb.217:
	v_add_u32_e32 v111, 0x70, v106
	s_mov_b32 s0, 14
	v_mov_b32_e32 v104, 13
.LBB96_218:                             ; =>This Inner Loop Header: Depth=1
	ds_read_b64 v[112:113], v111
	v_mov_b32_e32 v114, s0
	s_add_i32 s0, s0, 1
	v_add_u32_e32 v111, 8, v111
	s_cmp_lg_u32 s18, s0
	s_waitcnt lgkmcnt(0)
	v_cmp_lt_f64_e64 vcc, |v[102:103]|, |v[112:113]|
	v_cndmask_b32_e32 v103, v103, v113, vcc
	v_cndmask_b32_e32 v102, v102, v112, vcc
	;; [unrolled: 1-line block ×3, first 2 shown]
	s_cbranch_scc1 .LBB96_218
.LBB96_219:
	s_waitcnt lgkmcnt(0)
	v_cmp_eq_f64_e32 vcc, 0, v[102:103]
	s_and_saveexec_b64 s[0:1], vcc
	s_xor_b64 s[0:1], exec, s[0:1]
; %bb.220:
	v_cmp_ne_u32_e32 vcc, 0, v110
	v_cndmask_b32_e32 v110, 14, v110, vcc
; %bb.221:
	s_andn2_saveexec_b64 s[0:1], s[0:1]
; %bb.222:
	v_div_scale_f64 v[112:113], s[2:3], v[102:103], v[102:103], 1.0
	v_rcp_f64_e32 v[114:115], v[112:113]
	v_div_scale_f64 v[116:117], vcc, 1.0, v[102:103], 1.0
	v_fma_f64 v[118:119], -v[112:113], v[114:115], 1.0
	v_fmac_f64_e32 v[114:115], v[114:115], v[118:119]
	v_fma_f64 v[118:119], -v[112:113], v[114:115], 1.0
	v_fmac_f64_e32 v[114:115], v[114:115], v[118:119]
	v_mul_f64 v[118:119], v[116:117], v[114:115]
	v_fma_f64 v[112:113], -v[112:113], v[118:119], v[116:117]
	v_div_fmas_f64 v[112:113], v[112:113], v[114:115], v[118:119]
	v_div_fixup_f64 v[102:103], v[112:113], v[102:103], 1.0
; %bb.223:
	s_or_b64 exec, exec, s[0:1]
	v_cmp_ne_u32_e32 vcc, v107, v104
	s_and_saveexec_b64 s[0:1], vcc
	s_xor_b64 s[0:1], exec, s[0:1]
	s_cbranch_execz .LBB96_229
; %bb.224:
	v_cmp_eq_u32_e32 vcc, 13, v107
	s_and_saveexec_b64 s[2:3], vcc
	s_cbranch_execz .LBB96_228
; %bb.225:
	v_cmp_ne_u32_e32 vcc, 13, v104
	s_xor_b64 s[14:15], s[6:7], -1
	s_and_b64 s[16:17], s[14:15], vcc
	s_and_saveexec_b64 s[14:15], s[16:17]
	s_cbranch_execz .LBB96_227
; %bb.226:
	v_ashrrev_i32_e32 v105, 31, v104
	v_lshlrev_b64 v[112:113], 2, v[104:105]
	v_add_co_u32_e32 v112, vcc, v4, v112
	v_addc_co_u32_e32 v113, vcc, v5, v113, vcc
	flat_load_dword v105, v[112:113]
	flat_load_dword v107, v[4:5] offset:52
	s_waitcnt vmcnt(0) lgkmcnt(0)
	flat_store_dword v[4:5], v105 offset:52
	flat_store_dword v[112:113], v107
.LBB96_227:
	s_or_b64 exec, exec, s[14:15]
	v_mov_b32_e32 v105, v104
	v_mov_b32_e32 v107, v104
.LBB96_228:
	s_or_b64 exec, exec, s[2:3]
.LBB96_229:
	s_andn2_saveexec_b64 s[0:1], s[0:1]
	s_cbranch_execz .LBB96_231
; %bb.230:
	v_mov_b32_e32 v112, v70
	v_mov_b32_e32 v113, v71
	v_mov_b32_e32 v114, v68
	v_mov_b32_e32 v115, v69
	ds_write2_b64 v106, v[112:113], v[114:115] offset0:14 offset1:15
	v_mov_b32_e32 v112, v66
	v_mov_b32_e32 v113, v67
	v_mov_b32_e32 v114, v64
	v_mov_b32_e32 v115, v65
	ds_write2_b64 v106, v[112:113], v[114:115] offset0:16 offset1:17
	;; [unrolled: 5-line block ×16, first 2 shown]
	v_mov_b32_e32 v112, v6
	v_mov_b32_e32 v113, v7
	;; [unrolled: 1-line block ×5, first 2 shown]
	ds_write2_b64 v106, v[112:113], v[114:115] offset0:46 offset1:47
	ds_write_b64 v106, v[100:101] offset:384
.LBB96_231:
	s_or_b64 exec, exec, s[0:1]
	v_cmp_lt_i32_e32 vcc, 13, v107
	s_waitcnt lgkmcnt(0)
	s_barrier
	s_and_saveexec_b64 s[0:1], vcc
	s_cbranch_execz .LBB96_233
; %bb.232:
	ds_read2_b64 v[112:115], v106 offset0:14 offset1:15
	ds_read2_b64 v[116:119], v106 offset0:16 offset1:17
	v_mul_f64 v[72:73], v[102:103], v[72:73]
	ds_read2_b64 v[120:123], v106 offset0:18 offset1:19
	ds_read_b64 v[102:103], v106 offset:384
	s_waitcnt lgkmcnt(0)
	v_fma_f64 v[70:71], -v[72:73], v[112:113], v[70:71]
	v_fma_f64 v[68:69], -v[72:73], v[114:115], v[68:69]
	ds_read2_b64 v[112:115], v106 offset0:20 offset1:21
	v_fma_f64 v[66:67], -v[72:73], v[116:117], v[66:67]
	v_fma_f64 v[64:65], -v[72:73], v[118:119], v[64:65]
	ds_read2_b64 v[116:119], v106 offset0:22 offset1:23
	;; [unrolled: 3-line block ×3, first 2 shown]
	s_waitcnt lgkmcnt(0)
	v_fma_f64 v[60:61], -v[72:73], v[112:113], v[60:61]
	v_fma_f64 v[56:57], -v[72:73], v[114:115], v[56:57]
	;; [unrolled: 1-line block ×3, first 2 shown]
	ds_read2_b64 v[112:115], v106 offset0:26 offset1:27
	v_fma_f64 v[52:53], -v[72:73], v[118:119], v[52:53]
	ds_read2_b64 v[116:119], v106 offset0:28 offset1:29
	v_fma_f64 v[50:51], -v[72:73], v[120:121], v[50:51]
	v_fma_f64 v[48:49], -v[72:73], v[122:123], v[48:49]
	s_waitcnt lgkmcnt(0)
	v_fma_f64 v[46:47], -v[72:73], v[112:113], v[46:47]
	ds_read2_b64 v[120:123], v106 offset0:30 offset1:31
	v_fma_f64 v[44:45], -v[72:73], v[114:115], v[44:45]
	ds_read2_b64 v[112:115], v106 offset0:32 offset1:33
	v_fma_f64 v[42:43], -v[72:73], v[116:117], v[42:43]
	v_fma_f64 v[38:39], -v[72:73], v[118:119], v[38:39]
	ds_read2_b64 v[116:119], v106 offset0:34 offset1:35
	s_waitcnt lgkmcnt(0)
	v_fma_f64 v[40:41], -v[72:73], v[120:121], v[40:41]
	v_fma_f64 v[36:37], -v[72:73], v[122:123], v[36:37]
	ds_read2_b64 v[120:123], v106 offset0:36 offset1:37
	v_fma_f64 v[34:35], -v[72:73], v[112:113], v[34:35]
	v_fma_f64 v[32:33], -v[72:73], v[114:115], v[32:33]
	;; [unrolled: 1-line block ×3, first 2 shown]
	ds_read2_b64 v[112:115], v106 offset0:38 offset1:39
	v_fma_f64 v[28:29], -v[72:73], v[118:119], v[28:29]
	ds_read2_b64 v[116:119], v106 offset0:40 offset1:41
	s_waitcnt lgkmcnt(0)
	v_fma_f64 v[26:27], -v[72:73], v[120:121], v[26:27]
	v_fma_f64 v[24:25], -v[72:73], v[122:123], v[24:25]
	;; [unrolled: 1-line block ×3, first 2 shown]
	ds_read2_b64 v[120:123], v106 offset0:42 offset1:43
	v_fma_f64 v[18:19], -v[72:73], v[114:115], v[18:19]
	ds_read2_b64 v[112:115], v106 offset0:44 offset1:45
	v_fma_f64 v[20:21], -v[72:73], v[116:117], v[20:21]
	v_fma_f64 v[16:17], -v[72:73], v[118:119], v[16:17]
	ds_read2_b64 v[116:119], v106 offset0:46 offset1:47
	s_waitcnt lgkmcnt(0)
	v_fma_f64 v[14:15], -v[72:73], v[120:121], v[14:15]
	v_fma_f64 v[12:13], -v[72:73], v[122:123], v[12:13]
	;; [unrolled: 1-line block ×7, first 2 shown]
.LBB96_233:
	s_or_b64 exec, exec, s[0:1]
	v_lshl_add_u32 v102, v107, 3, v106
	s_barrier
	ds_write_b64 v102, v[70:71]
	s_waitcnt lgkmcnt(0)
	s_barrier
	ds_read_b64 v[102:103], v106 offset:112
	s_cmp_lt_i32 s18, 16
	v_mov_b32_e32 v104, 14
	s_cbranch_scc1 .LBB96_236
; %bb.234:
	v_add_u32_e32 v111, 0x78, v106
	s_mov_b32 s0, 15
	v_mov_b32_e32 v104, 14
.LBB96_235:                             ; =>This Inner Loop Header: Depth=1
	ds_read_b64 v[112:113], v111
	v_mov_b32_e32 v114, s0
	s_add_i32 s0, s0, 1
	v_add_u32_e32 v111, 8, v111
	s_cmp_lg_u32 s18, s0
	s_waitcnt lgkmcnt(0)
	v_cmp_lt_f64_e64 vcc, |v[102:103]|, |v[112:113]|
	v_cndmask_b32_e32 v103, v103, v113, vcc
	v_cndmask_b32_e32 v102, v102, v112, vcc
	;; [unrolled: 1-line block ×3, first 2 shown]
	s_cbranch_scc1 .LBB96_235
.LBB96_236:
	s_waitcnt lgkmcnt(0)
	v_cmp_eq_f64_e32 vcc, 0, v[102:103]
	s_and_saveexec_b64 s[0:1], vcc
	s_xor_b64 s[0:1], exec, s[0:1]
; %bb.237:
	v_cmp_ne_u32_e32 vcc, 0, v110
	v_cndmask_b32_e32 v110, 15, v110, vcc
; %bb.238:
	s_andn2_saveexec_b64 s[0:1], s[0:1]
; %bb.239:
	v_div_scale_f64 v[112:113], s[2:3], v[102:103], v[102:103], 1.0
	v_rcp_f64_e32 v[114:115], v[112:113]
	v_div_scale_f64 v[116:117], vcc, 1.0, v[102:103], 1.0
	v_fma_f64 v[118:119], -v[112:113], v[114:115], 1.0
	v_fmac_f64_e32 v[114:115], v[114:115], v[118:119]
	v_fma_f64 v[118:119], -v[112:113], v[114:115], 1.0
	v_fmac_f64_e32 v[114:115], v[114:115], v[118:119]
	v_mul_f64 v[118:119], v[116:117], v[114:115]
	v_fma_f64 v[112:113], -v[112:113], v[118:119], v[116:117]
	v_div_fmas_f64 v[112:113], v[112:113], v[114:115], v[118:119]
	v_div_fixup_f64 v[102:103], v[112:113], v[102:103], 1.0
; %bb.240:
	s_or_b64 exec, exec, s[0:1]
	v_cmp_ne_u32_e32 vcc, v107, v104
	s_and_saveexec_b64 s[0:1], vcc
	s_xor_b64 s[0:1], exec, s[0:1]
	s_cbranch_execz .LBB96_246
; %bb.241:
	v_cmp_eq_u32_e32 vcc, 14, v107
	s_and_saveexec_b64 s[2:3], vcc
	s_cbranch_execz .LBB96_245
; %bb.242:
	v_cmp_ne_u32_e32 vcc, 14, v104
	s_xor_b64 s[14:15], s[6:7], -1
	s_and_b64 s[16:17], s[14:15], vcc
	s_and_saveexec_b64 s[14:15], s[16:17]
	s_cbranch_execz .LBB96_244
; %bb.243:
	v_ashrrev_i32_e32 v105, 31, v104
	v_lshlrev_b64 v[112:113], 2, v[104:105]
	v_add_co_u32_e32 v112, vcc, v4, v112
	v_addc_co_u32_e32 v113, vcc, v5, v113, vcc
	flat_load_dword v105, v[112:113]
	flat_load_dword v107, v[4:5] offset:56
	s_waitcnt vmcnt(0) lgkmcnt(0)
	flat_store_dword v[4:5], v105 offset:56
	flat_store_dword v[112:113], v107
.LBB96_244:
	s_or_b64 exec, exec, s[14:15]
	v_mov_b32_e32 v105, v104
	v_mov_b32_e32 v107, v104
.LBB96_245:
	s_or_b64 exec, exec, s[2:3]
.LBB96_246:
	s_andn2_saveexec_b64 s[0:1], s[0:1]
	s_cbranch_execz .LBB96_248
; %bb.247:
	v_mov_b32_e32 v107, 14
	ds_write2_b64 v106, v[68:69], v[66:67] offset0:15 offset1:16
	ds_write2_b64 v106, v[64:65], v[62:63] offset0:17 offset1:18
	;; [unrolled: 1-line block ×17, first 2 shown]
.LBB96_248:
	s_or_b64 exec, exec, s[0:1]
	v_cmp_lt_i32_e32 vcc, 14, v107
	s_waitcnt lgkmcnt(0)
	s_barrier
	s_and_saveexec_b64 s[0:1], vcc
	s_cbranch_execz .LBB96_250
; %bb.249:
	ds_read2_b64 v[112:115], v106 offset0:15 offset1:16
	ds_read2_b64 v[116:119], v106 offset0:17 offset1:18
	v_mul_f64 v[70:71], v[102:103], v[70:71]
	ds_read2_b64 v[120:123], v106 offset0:19 offset1:20
	s_waitcnt lgkmcnt(0)
	v_fma_f64 v[68:69], -v[70:71], v[112:113], v[68:69]
	v_fma_f64 v[66:67], -v[70:71], v[114:115], v[66:67]
	ds_read2_b64 v[112:115], v106 offset0:21 offset1:22
	v_fma_f64 v[64:65], -v[70:71], v[116:117], v[64:65]
	v_fma_f64 v[62:63], -v[70:71], v[118:119], v[62:63]
	ds_read2_b64 v[116:119], v106 offset0:23 offset1:24
	;; [unrolled: 3-line block ×3, first 2 shown]
	s_waitcnt lgkmcnt(0)
	v_fma_f64 v[56:57], -v[70:71], v[112:113], v[56:57]
	v_fma_f64 v[54:55], -v[70:71], v[114:115], v[54:55]
	;; [unrolled: 1-line block ×3, first 2 shown]
	ds_read2_b64 v[112:115], v106 offset0:27 offset1:28
	v_fma_f64 v[50:51], -v[70:71], v[118:119], v[50:51]
	ds_read2_b64 v[116:119], v106 offset0:29 offset1:30
	v_fma_f64 v[48:49], -v[70:71], v[120:121], v[48:49]
	v_fma_f64 v[46:47], -v[70:71], v[122:123], v[46:47]
	s_waitcnt lgkmcnt(0)
	v_fma_f64 v[44:45], -v[70:71], v[112:113], v[44:45]
	ds_read2_b64 v[120:123], v106 offset0:31 offset1:32
	v_fma_f64 v[42:43], -v[70:71], v[114:115], v[42:43]
	ds_read2_b64 v[112:115], v106 offset0:33 offset1:34
	v_fma_f64 v[38:39], -v[70:71], v[116:117], v[38:39]
	v_fma_f64 v[40:41], -v[70:71], v[118:119], v[40:41]
	ds_read2_b64 v[116:119], v106 offset0:35 offset1:36
	s_waitcnt lgkmcnt(0)
	v_fma_f64 v[36:37], -v[70:71], v[120:121], v[36:37]
	v_fma_f64 v[34:35], -v[70:71], v[122:123], v[34:35]
	ds_read2_b64 v[120:123], v106 offset0:37 offset1:38
	v_fma_f64 v[32:33], -v[70:71], v[112:113], v[32:33]
	v_fma_f64 v[30:31], -v[70:71], v[114:115], v[30:31]
	;; [unrolled: 1-line block ×3, first 2 shown]
	ds_read2_b64 v[112:115], v106 offset0:39 offset1:40
	v_fma_f64 v[26:27], -v[70:71], v[118:119], v[26:27]
	ds_read2_b64 v[116:119], v106 offset0:41 offset1:42
	s_waitcnt lgkmcnt(0)
	v_fma_f64 v[24:25], -v[70:71], v[120:121], v[24:25]
	v_fma_f64 v[22:23], -v[70:71], v[122:123], v[22:23]
	;; [unrolled: 1-line block ×4, first 2 shown]
	ds_read2_b64 v[112:115], v106 offset0:43 offset1:44
	ds_read2_b64 v[120:123], v106 offset0:45 offset1:46
	v_fma_f64 v[16:17], -v[70:71], v[116:117], v[16:17]
	v_fma_f64 v[14:15], -v[70:71], v[118:119], v[14:15]
	ds_read2_b64 v[116:119], v106 offset0:47 offset1:48
	s_waitcnt lgkmcnt(0)
	v_fma_f64 v[12:13], -v[70:71], v[112:113], v[12:13]
	v_fma_f64 v[10:11], -v[70:71], v[114:115], v[10:11]
	;; [unrolled: 1-line block ×6, first 2 shown]
.LBB96_250:
	s_or_b64 exec, exec, s[0:1]
	v_lshl_add_u32 v102, v107, 3, v106
	s_barrier
	ds_write_b64 v102, v[68:69]
	s_waitcnt lgkmcnt(0)
	s_barrier
	ds_read_b64 v[102:103], v106 offset:120
	s_cmp_lt_i32 s18, 17
	v_mov_b32_e32 v104, 15
	s_cbranch_scc1 .LBB96_253
; %bb.251:
	v_add_u32_e32 v111, 0x80, v106
	s_mov_b32 s0, 16
	v_mov_b32_e32 v104, 15
.LBB96_252:                             ; =>This Inner Loop Header: Depth=1
	ds_read_b64 v[112:113], v111
	v_mov_b32_e32 v114, s0
	s_add_i32 s0, s0, 1
	v_add_u32_e32 v111, 8, v111
	s_cmp_lg_u32 s18, s0
	s_waitcnt lgkmcnt(0)
	v_cmp_lt_f64_e64 vcc, |v[102:103]|, |v[112:113]|
	v_cndmask_b32_e32 v103, v103, v113, vcc
	v_cndmask_b32_e32 v102, v102, v112, vcc
	;; [unrolled: 1-line block ×3, first 2 shown]
	s_cbranch_scc1 .LBB96_252
.LBB96_253:
	s_waitcnt lgkmcnt(0)
	v_cmp_eq_f64_e32 vcc, 0, v[102:103]
	s_and_saveexec_b64 s[0:1], vcc
	s_xor_b64 s[0:1], exec, s[0:1]
; %bb.254:
	v_cmp_ne_u32_e32 vcc, 0, v110
	v_cndmask_b32_e32 v110, 16, v110, vcc
; %bb.255:
	s_andn2_saveexec_b64 s[0:1], s[0:1]
; %bb.256:
	v_div_scale_f64 v[112:113], s[2:3], v[102:103], v[102:103], 1.0
	v_rcp_f64_e32 v[114:115], v[112:113]
	v_div_scale_f64 v[116:117], vcc, 1.0, v[102:103], 1.0
	v_fma_f64 v[118:119], -v[112:113], v[114:115], 1.0
	v_fmac_f64_e32 v[114:115], v[114:115], v[118:119]
	v_fma_f64 v[118:119], -v[112:113], v[114:115], 1.0
	v_fmac_f64_e32 v[114:115], v[114:115], v[118:119]
	v_mul_f64 v[118:119], v[116:117], v[114:115]
	v_fma_f64 v[112:113], -v[112:113], v[118:119], v[116:117]
	v_div_fmas_f64 v[112:113], v[112:113], v[114:115], v[118:119]
	v_div_fixup_f64 v[102:103], v[112:113], v[102:103], 1.0
; %bb.257:
	s_or_b64 exec, exec, s[0:1]
	v_cmp_ne_u32_e32 vcc, v107, v104
	s_and_saveexec_b64 s[0:1], vcc
	s_xor_b64 s[0:1], exec, s[0:1]
	s_cbranch_execz .LBB96_263
; %bb.258:
	v_cmp_eq_u32_e32 vcc, 15, v107
	s_and_saveexec_b64 s[2:3], vcc
	s_cbranch_execz .LBB96_262
; %bb.259:
	v_cmp_ne_u32_e32 vcc, 15, v104
	s_xor_b64 s[14:15], s[6:7], -1
	s_and_b64 s[16:17], s[14:15], vcc
	s_and_saveexec_b64 s[14:15], s[16:17]
	s_cbranch_execz .LBB96_261
; %bb.260:
	v_ashrrev_i32_e32 v105, 31, v104
	v_lshlrev_b64 v[112:113], 2, v[104:105]
	v_add_co_u32_e32 v112, vcc, v4, v112
	v_addc_co_u32_e32 v113, vcc, v5, v113, vcc
	flat_load_dword v105, v[112:113]
	flat_load_dword v107, v[4:5] offset:60
	s_waitcnt vmcnt(0) lgkmcnt(0)
	flat_store_dword v[4:5], v105 offset:60
	flat_store_dword v[112:113], v107
.LBB96_261:
	s_or_b64 exec, exec, s[14:15]
	v_mov_b32_e32 v105, v104
	v_mov_b32_e32 v107, v104
.LBB96_262:
	s_or_b64 exec, exec, s[2:3]
.LBB96_263:
	s_andn2_saveexec_b64 s[0:1], s[0:1]
	s_cbranch_execz .LBB96_265
; %bb.264:
	v_mov_b32_e32 v112, v66
	v_mov_b32_e32 v113, v67
	v_mov_b32_e32 v114, v64
	v_mov_b32_e32 v115, v65
	ds_write2_b64 v106, v[112:113], v[114:115] offset0:16 offset1:17
	v_mov_b32_e32 v112, v62
	v_mov_b32_e32 v113, v63
	v_mov_b32_e32 v114, v58
	v_mov_b32_e32 v115, v59
	ds_write2_b64 v106, v[112:113], v[114:115] offset0:18 offset1:19
	;; [unrolled: 5-line block ×15, first 2 shown]
	v_mov_b32_e32 v112, v6
	v_mov_b32_e32 v113, v7
	;; [unrolled: 1-line block ×5, first 2 shown]
	ds_write2_b64 v106, v[112:113], v[114:115] offset0:46 offset1:47
	ds_write_b64 v106, v[100:101] offset:384
.LBB96_265:
	s_or_b64 exec, exec, s[0:1]
	v_cmp_lt_i32_e32 vcc, 15, v107
	s_waitcnt lgkmcnt(0)
	s_barrier
	s_and_saveexec_b64 s[0:1], vcc
	s_cbranch_execz .LBB96_267
; %bb.266:
	ds_read2_b64 v[112:115], v106 offset0:16 offset1:17
	ds_read2_b64 v[116:119], v106 offset0:18 offset1:19
	v_mul_f64 v[68:69], v[102:103], v[68:69]
	ds_read2_b64 v[120:123], v106 offset0:20 offset1:21
	ds_read_b64 v[102:103], v106 offset:384
	s_waitcnt lgkmcnt(0)
	v_fma_f64 v[66:67], -v[68:69], v[112:113], v[66:67]
	v_fma_f64 v[64:65], -v[68:69], v[114:115], v[64:65]
	ds_read2_b64 v[112:115], v106 offset0:22 offset1:23
	v_fma_f64 v[62:63], -v[68:69], v[116:117], v[62:63]
	v_fma_f64 v[58:59], -v[68:69], v[118:119], v[58:59]
	;; [unrolled: 1-line block ×3, first 2 shown]
	ds_read2_b64 v[116:119], v106 offset0:24 offset1:25
	v_fma_f64 v[56:57], -v[68:69], v[122:123], v[56:57]
	ds_read2_b64 v[120:123], v106 offset0:26 offset1:27
	s_waitcnt lgkmcnt(0)
	v_fma_f64 v[54:55], -v[68:69], v[112:113], v[54:55]
	v_fma_f64 v[52:53], -v[68:69], v[114:115], v[52:53]
	ds_read2_b64 v[112:115], v106 offset0:28 offset1:29
	v_fma_f64 v[50:51], -v[68:69], v[116:117], v[50:51]
	v_fma_f64 v[48:49], -v[68:69], v[118:119], v[48:49]
	ds_read2_b64 v[116:119], v106 offset0:30 offset1:31
	v_fma_f64 v[46:47], -v[68:69], v[120:121], v[46:47]
	v_fma_f64 v[44:45], -v[68:69], v[122:123], v[44:45]
	s_waitcnt lgkmcnt(0)
	v_fma_f64 v[42:43], -v[68:69], v[112:113], v[42:43]
	ds_read2_b64 v[120:123], v106 offset0:32 offset1:33
	v_fma_f64 v[38:39], -v[68:69], v[114:115], v[38:39]
	ds_read2_b64 v[112:115], v106 offset0:34 offset1:35
	v_fma_f64 v[40:41], -v[68:69], v[116:117], v[40:41]
	v_fma_f64 v[36:37], -v[68:69], v[118:119], v[36:37]
	s_waitcnt lgkmcnt(0)
	v_fma_f64 v[34:35], -v[68:69], v[120:121], v[34:35]
	ds_read2_b64 v[116:119], v106 offset0:36 offset1:37
	v_fma_f64 v[32:33], -v[68:69], v[122:123], v[32:33]
	ds_read2_b64 v[120:123], v106 offset0:38 offset1:39
	v_fma_f64 v[30:31], -v[68:69], v[112:113], v[30:31]
	v_fma_f64 v[28:29], -v[68:69], v[114:115], v[28:29]
	ds_read2_b64 v[112:115], v106 offset0:40 offset1:41
	s_waitcnt lgkmcnt(0)
	v_fma_f64 v[26:27], -v[68:69], v[116:117], v[26:27]
	v_fma_f64 v[24:25], -v[68:69], v[118:119], v[24:25]
	ds_read2_b64 v[116:119], v106 offset0:42 offset1:43
	v_fma_f64 v[22:23], -v[68:69], v[120:121], v[22:23]
	v_fma_f64 v[18:19], -v[68:69], v[122:123], v[18:19]
	;; [unrolled: 1-line block ×4, first 2 shown]
	ds_read2_b64 v[112:115], v106 offset0:44 offset1:45
	ds_read2_b64 v[120:123], v106 offset0:46 offset1:47
	s_waitcnt lgkmcnt(0)
	v_fma_f64 v[14:15], -v[68:69], v[116:117], v[14:15]
	v_fma_f64 v[12:13], -v[68:69], v[118:119], v[12:13]
	;; [unrolled: 1-line block ×7, first 2 shown]
.LBB96_267:
	s_or_b64 exec, exec, s[0:1]
	v_lshl_add_u32 v102, v107, 3, v106
	s_barrier
	ds_write_b64 v102, v[66:67]
	s_waitcnt lgkmcnt(0)
	s_barrier
	ds_read_b64 v[102:103], v106 offset:128
	s_cmp_lt_i32 s18, 18
	v_mov_b32_e32 v104, 16
	s_cbranch_scc1 .LBB96_270
; %bb.268:
	v_add_u32_e32 v111, 0x88, v106
	s_mov_b32 s0, 17
	v_mov_b32_e32 v104, 16
.LBB96_269:                             ; =>This Inner Loop Header: Depth=1
	ds_read_b64 v[112:113], v111
	v_mov_b32_e32 v114, s0
	s_add_i32 s0, s0, 1
	v_add_u32_e32 v111, 8, v111
	s_cmp_lg_u32 s18, s0
	s_waitcnt lgkmcnt(0)
	v_cmp_lt_f64_e64 vcc, |v[102:103]|, |v[112:113]|
	v_cndmask_b32_e32 v103, v103, v113, vcc
	v_cndmask_b32_e32 v102, v102, v112, vcc
	;; [unrolled: 1-line block ×3, first 2 shown]
	s_cbranch_scc1 .LBB96_269
.LBB96_270:
	s_waitcnt lgkmcnt(0)
	v_cmp_eq_f64_e32 vcc, 0, v[102:103]
	s_and_saveexec_b64 s[0:1], vcc
	s_xor_b64 s[0:1], exec, s[0:1]
; %bb.271:
	v_cmp_ne_u32_e32 vcc, 0, v110
	v_cndmask_b32_e32 v110, 17, v110, vcc
; %bb.272:
	s_andn2_saveexec_b64 s[0:1], s[0:1]
; %bb.273:
	v_div_scale_f64 v[112:113], s[2:3], v[102:103], v[102:103], 1.0
	v_rcp_f64_e32 v[114:115], v[112:113]
	v_div_scale_f64 v[116:117], vcc, 1.0, v[102:103], 1.0
	v_fma_f64 v[118:119], -v[112:113], v[114:115], 1.0
	v_fmac_f64_e32 v[114:115], v[114:115], v[118:119]
	v_fma_f64 v[118:119], -v[112:113], v[114:115], 1.0
	v_fmac_f64_e32 v[114:115], v[114:115], v[118:119]
	v_mul_f64 v[118:119], v[116:117], v[114:115]
	v_fma_f64 v[112:113], -v[112:113], v[118:119], v[116:117]
	v_div_fmas_f64 v[112:113], v[112:113], v[114:115], v[118:119]
	v_div_fixup_f64 v[102:103], v[112:113], v[102:103], 1.0
; %bb.274:
	s_or_b64 exec, exec, s[0:1]
	v_cmp_ne_u32_e32 vcc, v107, v104
	s_and_saveexec_b64 s[0:1], vcc
	s_xor_b64 s[0:1], exec, s[0:1]
	s_cbranch_execz .LBB96_280
; %bb.275:
	v_cmp_eq_u32_e32 vcc, 16, v107
	s_and_saveexec_b64 s[2:3], vcc
	s_cbranch_execz .LBB96_279
; %bb.276:
	v_cmp_ne_u32_e32 vcc, 16, v104
	s_xor_b64 s[14:15], s[6:7], -1
	s_and_b64 s[16:17], s[14:15], vcc
	s_and_saveexec_b64 s[14:15], s[16:17]
	s_cbranch_execz .LBB96_278
; %bb.277:
	v_ashrrev_i32_e32 v105, 31, v104
	v_lshlrev_b64 v[112:113], 2, v[104:105]
	v_add_co_u32_e32 v112, vcc, v4, v112
	v_addc_co_u32_e32 v113, vcc, v5, v113, vcc
	flat_load_dword v105, v[112:113]
	flat_load_dword v107, v[4:5] offset:64
	s_waitcnt vmcnt(0) lgkmcnt(0)
	flat_store_dword v[4:5], v105 offset:64
	flat_store_dword v[112:113], v107
.LBB96_278:
	s_or_b64 exec, exec, s[14:15]
	v_mov_b32_e32 v105, v104
	v_mov_b32_e32 v107, v104
.LBB96_279:
	s_or_b64 exec, exec, s[2:3]
.LBB96_280:
	s_andn2_saveexec_b64 s[0:1], s[0:1]
	s_cbranch_execz .LBB96_282
; %bb.281:
	v_mov_b32_e32 v107, 16
	ds_write2_b64 v106, v[64:65], v[62:63] offset0:17 offset1:18
	ds_write2_b64 v106, v[58:59], v[60:61] offset0:19 offset1:20
	;; [unrolled: 1-line block ×16, first 2 shown]
.LBB96_282:
	s_or_b64 exec, exec, s[0:1]
	v_cmp_lt_i32_e32 vcc, 16, v107
	s_waitcnt lgkmcnt(0)
	s_barrier
	s_and_saveexec_b64 s[0:1], vcc
	s_cbranch_execz .LBB96_284
; %bb.283:
	ds_read2_b64 v[112:115], v106 offset0:17 offset1:18
	ds_read2_b64 v[116:119], v106 offset0:19 offset1:20
	v_mul_f64 v[66:67], v[102:103], v[66:67]
	ds_read2_b64 v[120:123], v106 offset0:21 offset1:22
	s_waitcnt lgkmcnt(0)
	v_fma_f64 v[64:65], -v[66:67], v[112:113], v[64:65]
	v_fma_f64 v[62:63], -v[66:67], v[114:115], v[62:63]
	ds_read2_b64 v[112:115], v106 offset0:23 offset1:24
	v_fma_f64 v[58:59], -v[66:67], v[116:117], v[58:59]
	v_fma_f64 v[60:61], -v[66:67], v[118:119], v[60:61]
	;; [unrolled: 1-line block ×3, first 2 shown]
	ds_read2_b64 v[116:119], v106 offset0:25 offset1:26
	v_fma_f64 v[54:55], -v[66:67], v[122:123], v[54:55]
	ds_read2_b64 v[120:123], v106 offset0:27 offset1:28
	s_waitcnt lgkmcnt(0)
	v_fma_f64 v[52:53], -v[66:67], v[112:113], v[52:53]
	v_fma_f64 v[50:51], -v[66:67], v[114:115], v[50:51]
	ds_read2_b64 v[112:115], v106 offset0:29 offset1:30
	v_fma_f64 v[48:49], -v[66:67], v[116:117], v[48:49]
	v_fma_f64 v[46:47], -v[66:67], v[118:119], v[46:47]
	ds_read2_b64 v[116:119], v106 offset0:31 offset1:32
	v_fma_f64 v[44:45], -v[66:67], v[120:121], v[44:45]
	v_fma_f64 v[42:43], -v[66:67], v[122:123], v[42:43]
	s_waitcnt lgkmcnt(0)
	v_fma_f64 v[38:39], -v[66:67], v[112:113], v[38:39]
	ds_read2_b64 v[120:123], v106 offset0:33 offset1:34
	v_fma_f64 v[40:41], -v[66:67], v[114:115], v[40:41]
	ds_read2_b64 v[112:115], v106 offset0:35 offset1:36
	v_fma_f64 v[36:37], -v[66:67], v[116:117], v[36:37]
	v_fma_f64 v[34:35], -v[66:67], v[118:119], v[34:35]
	s_waitcnt lgkmcnt(0)
	v_fma_f64 v[32:33], -v[66:67], v[120:121], v[32:33]
	ds_read2_b64 v[116:119], v106 offset0:37 offset1:38
	v_fma_f64 v[30:31], -v[66:67], v[122:123], v[30:31]
	ds_read2_b64 v[120:123], v106 offset0:39 offset1:40
	v_fma_f64 v[28:29], -v[66:67], v[112:113], v[28:29]
	v_fma_f64 v[26:27], -v[66:67], v[114:115], v[26:27]
	ds_read2_b64 v[112:115], v106 offset0:41 offset1:42
	s_waitcnt lgkmcnt(0)
	v_fma_f64 v[24:25], -v[66:67], v[116:117], v[24:25]
	v_fma_f64 v[22:23], -v[66:67], v[118:119], v[22:23]
	ds_read2_b64 v[116:119], v106 offset0:43 offset1:44
	v_fma_f64 v[18:19], -v[66:67], v[120:121], v[18:19]
	v_fma_f64 v[20:21], -v[66:67], v[122:123], v[20:21]
	;; [unrolled: 1-line block ×3, first 2 shown]
	ds_read2_b64 v[120:123], v106 offset0:45 offset1:46
	v_fma_f64 v[14:15], -v[66:67], v[114:115], v[14:15]
	ds_read2_b64 v[112:115], v106 offset0:47 offset1:48
	s_waitcnt lgkmcnt(0)
	v_fma_f64 v[12:13], -v[66:67], v[116:117], v[12:13]
	v_fma_f64 v[10:11], -v[66:67], v[118:119], v[10:11]
	;; [unrolled: 1-line block ×6, first 2 shown]
.LBB96_284:
	s_or_b64 exec, exec, s[0:1]
	v_lshl_add_u32 v102, v107, 3, v106
	s_barrier
	ds_write_b64 v102, v[64:65]
	s_waitcnt lgkmcnt(0)
	s_barrier
	ds_read_b64 v[102:103], v106 offset:136
	s_cmp_lt_i32 s18, 19
	v_mov_b32_e32 v104, 17
	s_cbranch_scc1 .LBB96_287
; %bb.285:
	v_add_u32_e32 v111, 0x90, v106
	s_mov_b32 s0, 18
	v_mov_b32_e32 v104, 17
.LBB96_286:                             ; =>This Inner Loop Header: Depth=1
	ds_read_b64 v[112:113], v111
	v_mov_b32_e32 v114, s0
	s_add_i32 s0, s0, 1
	v_add_u32_e32 v111, 8, v111
	s_cmp_lg_u32 s18, s0
	s_waitcnt lgkmcnt(0)
	v_cmp_lt_f64_e64 vcc, |v[102:103]|, |v[112:113]|
	v_cndmask_b32_e32 v103, v103, v113, vcc
	v_cndmask_b32_e32 v102, v102, v112, vcc
	;; [unrolled: 1-line block ×3, first 2 shown]
	s_cbranch_scc1 .LBB96_286
.LBB96_287:
	s_waitcnt lgkmcnt(0)
	v_cmp_eq_f64_e32 vcc, 0, v[102:103]
	s_and_saveexec_b64 s[0:1], vcc
	s_xor_b64 s[0:1], exec, s[0:1]
; %bb.288:
	v_cmp_ne_u32_e32 vcc, 0, v110
	v_cndmask_b32_e32 v110, 18, v110, vcc
; %bb.289:
	s_andn2_saveexec_b64 s[0:1], s[0:1]
; %bb.290:
	v_div_scale_f64 v[112:113], s[2:3], v[102:103], v[102:103], 1.0
	v_rcp_f64_e32 v[114:115], v[112:113]
	v_div_scale_f64 v[116:117], vcc, 1.0, v[102:103], 1.0
	v_fma_f64 v[118:119], -v[112:113], v[114:115], 1.0
	v_fmac_f64_e32 v[114:115], v[114:115], v[118:119]
	v_fma_f64 v[118:119], -v[112:113], v[114:115], 1.0
	v_fmac_f64_e32 v[114:115], v[114:115], v[118:119]
	v_mul_f64 v[118:119], v[116:117], v[114:115]
	v_fma_f64 v[112:113], -v[112:113], v[118:119], v[116:117]
	v_div_fmas_f64 v[112:113], v[112:113], v[114:115], v[118:119]
	v_div_fixup_f64 v[102:103], v[112:113], v[102:103], 1.0
; %bb.291:
	s_or_b64 exec, exec, s[0:1]
	v_cmp_ne_u32_e32 vcc, v107, v104
	s_and_saveexec_b64 s[0:1], vcc
	s_xor_b64 s[0:1], exec, s[0:1]
	s_cbranch_execz .LBB96_297
; %bb.292:
	v_cmp_eq_u32_e32 vcc, 17, v107
	s_and_saveexec_b64 s[2:3], vcc
	s_cbranch_execz .LBB96_296
; %bb.293:
	v_cmp_ne_u32_e32 vcc, 17, v104
	s_xor_b64 s[14:15], s[6:7], -1
	s_and_b64 s[16:17], s[14:15], vcc
	s_and_saveexec_b64 s[14:15], s[16:17]
	s_cbranch_execz .LBB96_295
; %bb.294:
	v_ashrrev_i32_e32 v105, 31, v104
	v_lshlrev_b64 v[112:113], 2, v[104:105]
	v_add_co_u32_e32 v112, vcc, v4, v112
	v_addc_co_u32_e32 v113, vcc, v5, v113, vcc
	flat_load_dword v105, v[112:113]
	flat_load_dword v107, v[4:5] offset:68
	s_waitcnt vmcnt(0) lgkmcnt(0)
	flat_store_dword v[4:5], v105 offset:68
	flat_store_dword v[112:113], v107
.LBB96_295:
	s_or_b64 exec, exec, s[14:15]
	v_mov_b32_e32 v105, v104
	v_mov_b32_e32 v107, v104
.LBB96_296:
	s_or_b64 exec, exec, s[2:3]
.LBB96_297:
	s_andn2_saveexec_b64 s[0:1], s[0:1]
	s_cbranch_execz .LBB96_299
; %bb.298:
	v_mov_b32_e32 v112, v62
	v_mov_b32_e32 v113, v63
	v_mov_b32_e32 v114, v58
	v_mov_b32_e32 v115, v59
	ds_write2_b64 v106, v[112:113], v[114:115] offset0:18 offset1:19
	v_mov_b32_e32 v112, v60
	v_mov_b32_e32 v113, v61
	v_mov_b32_e32 v114, v56
	v_mov_b32_e32 v115, v57
	ds_write2_b64 v106, v[112:113], v[114:115] offset0:20 offset1:21
	;; [unrolled: 5-line block ×14, first 2 shown]
	v_mov_b32_e32 v112, v6
	v_mov_b32_e32 v113, v7
	v_mov_b32_e32 v114, v0
	v_mov_b32_e32 v115, v1
	v_mov_b32_e32 v107, 17
	ds_write2_b64 v106, v[112:113], v[114:115] offset0:46 offset1:47
	ds_write_b64 v106, v[100:101] offset:384
.LBB96_299:
	s_or_b64 exec, exec, s[0:1]
	v_cmp_lt_i32_e32 vcc, 17, v107
	s_waitcnt lgkmcnt(0)
	s_barrier
	s_and_saveexec_b64 s[0:1], vcc
	s_cbranch_execz .LBB96_301
; %bb.300:
	ds_read2_b64 v[112:115], v106 offset0:18 offset1:19
	ds_read2_b64 v[116:119], v106 offset0:20 offset1:21
	;; [unrolled: 1-line block ×3, first 2 shown]
	v_mul_f64 v[64:65], v[102:103], v[64:65]
	ds_read_b64 v[102:103], v106 offset:384
	s_waitcnt lgkmcnt(0)
	v_fma_f64 v[62:63], -v[64:65], v[112:113], v[62:63]
	v_fma_f64 v[58:59], -v[64:65], v[114:115], v[58:59]
	ds_read2_b64 v[112:115], v106 offset0:24 offset1:25
	v_fma_f64 v[60:61], -v[64:65], v[116:117], v[60:61]
	v_fma_f64 v[56:57], -v[64:65], v[118:119], v[56:57]
	;; [unrolled: 1-line block ×3, first 2 shown]
	ds_read2_b64 v[116:119], v106 offset0:26 offset1:27
	v_fma_f64 v[52:53], -v[64:65], v[122:123], v[52:53]
	ds_read2_b64 v[120:123], v106 offset0:28 offset1:29
	s_waitcnt lgkmcnt(0)
	v_fma_f64 v[50:51], -v[64:65], v[112:113], v[50:51]
	v_fma_f64 v[48:49], -v[64:65], v[114:115], v[48:49]
	v_fma_f64 v[46:47], -v[64:65], v[116:117], v[46:47]
	ds_read2_b64 v[112:115], v106 offset0:30 offset1:31
	v_fma_f64 v[44:45], -v[64:65], v[118:119], v[44:45]
	ds_read2_b64 v[116:119], v106 offset0:32 offset1:33
	v_fma_f64 v[42:43], -v[64:65], v[120:121], v[42:43]
	v_fma_f64 v[38:39], -v[64:65], v[122:123], v[38:39]
	ds_read2_b64 v[120:123], v106 offset0:34 offset1:35
	s_waitcnt lgkmcnt(0)
	v_fma_f64 v[40:41], -v[64:65], v[112:113], v[40:41]
	v_fma_f64 v[36:37], -v[64:65], v[114:115], v[36:37]
	ds_read2_b64 v[112:115], v106 offset0:36 offset1:37
	v_fma_f64 v[34:35], -v[64:65], v[116:117], v[34:35]
	v_fma_f64 v[32:33], -v[64:65], v[118:119], v[32:33]
	;; [unrolled: 1-line block ×3, first 2 shown]
	ds_read2_b64 v[116:119], v106 offset0:38 offset1:39
	v_fma_f64 v[28:29], -v[64:65], v[122:123], v[28:29]
	ds_read2_b64 v[120:123], v106 offset0:40 offset1:41
	s_waitcnt lgkmcnt(0)
	v_fma_f64 v[26:27], -v[64:65], v[112:113], v[26:27]
	v_fma_f64 v[24:25], -v[64:65], v[114:115], v[24:25]
	;; [unrolled: 1-line block ×3, first 2 shown]
	ds_read2_b64 v[112:115], v106 offset0:42 offset1:43
	v_fma_f64 v[18:19], -v[64:65], v[118:119], v[18:19]
	ds_read2_b64 v[116:119], v106 offset0:44 offset1:45
	v_fma_f64 v[20:21], -v[64:65], v[120:121], v[20:21]
	v_fma_f64 v[16:17], -v[64:65], v[122:123], v[16:17]
	ds_read2_b64 v[120:123], v106 offset0:46 offset1:47
	s_waitcnt lgkmcnt(0)
	v_fma_f64 v[14:15], -v[64:65], v[112:113], v[14:15]
	v_fma_f64 v[12:13], -v[64:65], v[114:115], v[12:13]
	;; [unrolled: 1-line block ×7, first 2 shown]
.LBB96_301:
	s_or_b64 exec, exec, s[0:1]
	v_lshl_add_u32 v102, v107, 3, v106
	s_barrier
	ds_write_b64 v102, v[62:63]
	s_waitcnt lgkmcnt(0)
	s_barrier
	ds_read_b64 v[102:103], v106 offset:144
	s_cmp_lt_i32 s18, 20
	v_mov_b32_e32 v104, 18
	s_cbranch_scc1 .LBB96_304
; %bb.302:
	v_add_u32_e32 v111, 0x98, v106
	s_mov_b32 s0, 19
	v_mov_b32_e32 v104, 18
.LBB96_303:                             ; =>This Inner Loop Header: Depth=1
	ds_read_b64 v[112:113], v111
	v_mov_b32_e32 v114, s0
	s_add_i32 s0, s0, 1
	v_add_u32_e32 v111, 8, v111
	s_cmp_lg_u32 s18, s0
	s_waitcnt lgkmcnt(0)
	v_cmp_lt_f64_e64 vcc, |v[102:103]|, |v[112:113]|
	v_cndmask_b32_e32 v103, v103, v113, vcc
	v_cndmask_b32_e32 v102, v102, v112, vcc
	;; [unrolled: 1-line block ×3, first 2 shown]
	s_cbranch_scc1 .LBB96_303
.LBB96_304:
	s_waitcnt lgkmcnt(0)
	v_cmp_eq_f64_e32 vcc, 0, v[102:103]
	s_and_saveexec_b64 s[0:1], vcc
	s_xor_b64 s[0:1], exec, s[0:1]
; %bb.305:
	v_cmp_ne_u32_e32 vcc, 0, v110
	v_cndmask_b32_e32 v110, 19, v110, vcc
; %bb.306:
	s_andn2_saveexec_b64 s[0:1], s[0:1]
; %bb.307:
	v_div_scale_f64 v[112:113], s[2:3], v[102:103], v[102:103], 1.0
	v_rcp_f64_e32 v[114:115], v[112:113]
	v_div_scale_f64 v[116:117], vcc, 1.0, v[102:103], 1.0
	v_fma_f64 v[118:119], -v[112:113], v[114:115], 1.0
	v_fmac_f64_e32 v[114:115], v[114:115], v[118:119]
	v_fma_f64 v[118:119], -v[112:113], v[114:115], 1.0
	v_fmac_f64_e32 v[114:115], v[114:115], v[118:119]
	v_mul_f64 v[118:119], v[116:117], v[114:115]
	v_fma_f64 v[112:113], -v[112:113], v[118:119], v[116:117]
	v_div_fmas_f64 v[112:113], v[112:113], v[114:115], v[118:119]
	v_div_fixup_f64 v[102:103], v[112:113], v[102:103], 1.0
; %bb.308:
	s_or_b64 exec, exec, s[0:1]
	v_cmp_ne_u32_e32 vcc, v107, v104
	s_and_saveexec_b64 s[0:1], vcc
	s_xor_b64 s[0:1], exec, s[0:1]
	s_cbranch_execz .LBB96_314
; %bb.309:
	v_cmp_eq_u32_e32 vcc, 18, v107
	s_and_saveexec_b64 s[2:3], vcc
	s_cbranch_execz .LBB96_313
; %bb.310:
	v_cmp_ne_u32_e32 vcc, 18, v104
	s_xor_b64 s[14:15], s[6:7], -1
	s_and_b64 s[16:17], s[14:15], vcc
	s_and_saveexec_b64 s[14:15], s[16:17]
	s_cbranch_execz .LBB96_312
; %bb.311:
	v_ashrrev_i32_e32 v105, 31, v104
	v_lshlrev_b64 v[112:113], 2, v[104:105]
	v_add_co_u32_e32 v112, vcc, v4, v112
	v_addc_co_u32_e32 v113, vcc, v5, v113, vcc
	flat_load_dword v105, v[112:113]
	flat_load_dword v107, v[4:5] offset:72
	s_waitcnt vmcnt(0) lgkmcnt(0)
	flat_store_dword v[4:5], v105 offset:72
	flat_store_dword v[112:113], v107
.LBB96_312:
	s_or_b64 exec, exec, s[14:15]
	v_mov_b32_e32 v105, v104
	v_mov_b32_e32 v107, v104
.LBB96_313:
	s_or_b64 exec, exec, s[2:3]
.LBB96_314:
	s_andn2_saveexec_b64 s[0:1], s[0:1]
	s_cbranch_execz .LBB96_316
; %bb.315:
	v_mov_b32_e32 v107, 18
	ds_write2_b64 v106, v[58:59], v[60:61] offset0:19 offset1:20
	ds_write2_b64 v106, v[56:57], v[54:55] offset0:21 offset1:22
	;; [unrolled: 1-line block ×15, first 2 shown]
.LBB96_316:
	s_or_b64 exec, exec, s[0:1]
	v_cmp_lt_i32_e32 vcc, 18, v107
	s_waitcnt lgkmcnt(0)
	s_barrier
	s_and_saveexec_b64 s[0:1], vcc
	s_cbranch_execz .LBB96_318
; %bb.317:
	ds_read2_b64 v[112:115], v106 offset0:19 offset1:20
	ds_read2_b64 v[116:119], v106 offset0:21 offset1:22
	;; [unrolled: 1-line block ×3, first 2 shown]
	v_mul_f64 v[62:63], v[102:103], v[62:63]
	s_waitcnt lgkmcnt(0)
	v_fma_f64 v[58:59], -v[62:63], v[112:113], v[58:59]
	v_fma_f64 v[60:61], -v[62:63], v[114:115], v[60:61]
	ds_read2_b64 v[112:115], v106 offset0:25 offset1:26
	v_fma_f64 v[56:57], -v[62:63], v[116:117], v[56:57]
	v_fma_f64 v[54:55], -v[62:63], v[118:119], v[54:55]
	;; [unrolled: 1-line block ×3, first 2 shown]
	ds_read2_b64 v[116:119], v106 offset0:27 offset1:28
	v_fma_f64 v[50:51], -v[62:63], v[122:123], v[50:51]
	ds_read2_b64 v[120:123], v106 offset0:29 offset1:30
	s_waitcnt lgkmcnt(0)
	v_fma_f64 v[48:49], -v[62:63], v[112:113], v[48:49]
	v_fma_f64 v[46:47], -v[62:63], v[114:115], v[46:47]
	;; [unrolled: 1-line block ×3, first 2 shown]
	ds_read2_b64 v[112:115], v106 offset0:31 offset1:32
	v_fma_f64 v[42:43], -v[62:63], v[118:119], v[42:43]
	ds_read2_b64 v[116:119], v106 offset0:33 offset1:34
	v_fma_f64 v[38:39], -v[62:63], v[120:121], v[38:39]
	v_fma_f64 v[40:41], -v[62:63], v[122:123], v[40:41]
	ds_read2_b64 v[120:123], v106 offset0:35 offset1:36
	s_waitcnt lgkmcnt(0)
	v_fma_f64 v[36:37], -v[62:63], v[112:113], v[36:37]
	v_fma_f64 v[34:35], -v[62:63], v[114:115], v[34:35]
	ds_read2_b64 v[112:115], v106 offset0:37 offset1:38
	v_fma_f64 v[32:33], -v[62:63], v[116:117], v[32:33]
	v_fma_f64 v[30:31], -v[62:63], v[118:119], v[30:31]
	;; [unrolled: 1-line block ×3, first 2 shown]
	ds_read2_b64 v[116:119], v106 offset0:39 offset1:40
	v_fma_f64 v[26:27], -v[62:63], v[122:123], v[26:27]
	ds_read2_b64 v[120:123], v106 offset0:41 offset1:42
	s_waitcnt lgkmcnt(0)
	v_fma_f64 v[24:25], -v[62:63], v[112:113], v[24:25]
	v_fma_f64 v[22:23], -v[62:63], v[114:115], v[22:23]
	;; [unrolled: 1-line block ×4, first 2 shown]
	ds_read2_b64 v[112:115], v106 offset0:43 offset1:44
	ds_read2_b64 v[116:119], v106 offset0:45 offset1:46
	v_fma_f64 v[16:17], -v[62:63], v[120:121], v[16:17]
	v_fma_f64 v[14:15], -v[62:63], v[122:123], v[14:15]
	ds_read2_b64 v[120:123], v106 offset0:47 offset1:48
	s_waitcnt lgkmcnt(0)
	v_fma_f64 v[12:13], -v[62:63], v[112:113], v[12:13]
	v_fma_f64 v[10:11], -v[62:63], v[114:115], v[10:11]
	;; [unrolled: 1-line block ×6, first 2 shown]
.LBB96_318:
	s_or_b64 exec, exec, s[0:1]
	v_lshl_add_u32 v102, v107, 3, v106
	s_barrier
	ds_write_b64 v102, v[58:59]
	s_waitcnt lgkmcnt(0)
	s_barrier
	ds_read_b64 v[102:103], v106 offset:152
	s_cmp_lt_i32 s18, 21
	v_mov_b32_e32 v104, 19
	s_cbranch_scc1 .LBB96_321
; %bb.319:
	v_add_u32_e32 v111, 0xa0, v106
	s_mov_b32 s0, 20
	v_mov_b32_e32 v104, 19
.LBB96_320:                             ; =>This Inner Loop Header: Depth=1
	ds_read_b64 v[112:113], v111
	v_mov_b32_e32 v114, s0
	s_add_i32 s0, s0, 1
	v_add_u32_e32 v111, 8, v111
	s_cmp_lg_u32 s18, s0
	s_waitcnt lgkmcnt(0)
	v_cmp_lt_f64_e64 vcc, |v[102:103]|, |v[112:113]|
	v_cndmask_b32_e32 v103, v103, v113, vcc
	v_cndmask_b32_e32 v102, v102, v112, vcc
	;; [unrolled: 1-line block ×3, first 2 shown]
	s_cbranch_scc1 .LBB96_320
.LBB96_321:
	s_waitcnt lgkmcnt(0)
	v_cmp_eq_f64_e32 vcc, 0, v[102:103]
	s_and_saveexec_b64 s[0:1], vcc
	s_xor_b64 s[0:1], exec, s[0:1]
; %bb.322:
	v_cmp_ne_u32_e32 vcc, 0, v110
	v_cndmask_b32_e32 v110, 20, v110, vcc
; %bb.323:
	s_andn2_saveexec_b64 s[0:1], s[0:1]
; %bb.324:
	v_div_scale_f64 v[112:113], s[2:3], v[102:103], v[102:103], 1.0
	v_rcp_f64_e32 v[114:115], v[112:113]
	v_div_scale_f64 v[116:117], vcc, 1.0, v[102:103], 1.0
	v_fma_f64 v[118:119], -v[112:113], v[114:115], 1.0
	v_fmac_f64_e32 v[114:115], v[114:115], v[118:119]
	v_fma_f64 v[118:119], -v[112:113], v[114:115], 1.0
	v_fmac_f64_e32 v[114:115], v[114:115], v[118:119]
	v_mul_f64 v[118:119], v[116:117], v[114:115]
	v_fma_f64 v[112:113], -v[112:113], v[118:119], v[116:117]
	v_div_fmas_f64 v[112:113], v[112:113], v[114:115], v[118:119]
	v_div_fixup_f64 v[102:103], v[112:113], v[102:103], 1.0
; %bb.325:
	s_or_b64 exec, exec, s[0:1]
	v_cmp_ne_u32_e32 vcc, v107, v104
	s_and_saveexec_b64 s[0:1], vcc
	s_xor_b64 s[0:1], exec, s[0:1]
	s_cbranch_execz .LBB96_331
; %bb.326:
	v_cmp_eq_u32_e32 vcc, 19, v107
	s_and_saveexec_b64 s[2:3], vcc
	s_cbranch_execz .LBB96_330
; %bb.327:
	v_cmp_ne_u32_e32 vcc, 19, v104
	s_xor_b64 s[14:15], s[6:7], -1
	s_and_b64 s[16:17], s[14:15], vcc
	s_and_saveexec_b64 s[14:15], s[16:17]
	s_cbranch_execz .LBB96_329
; %bb.328:
	v_ashrrev_i32_e32 v105, 31, v104
	v_lshlrev_b64 v[112:113], 2, v[104:105]
	v_add_co_u32_e32 v112, vcc, v4, v112
	v_addc_co_u32_e32 v113, vcc, v5, v113, vcc
	flat_load_dword v105, v[112:113]
	flat_load_dword v107, v[4:5] offset:76
	s_waitcnt vmcnt(0) lgkmcnt(0)
	flat_store_dword v[4:5], v105 offset:76
	flat_store_dword v[112:113], v107
.LBB96_329:
	s_or_b64 exec, exec, s[14:15]
	v_mov_b32_e32 v105, v104
	v_mov_b32_e32 v107, v104
.LBB96_330:
	s_or_b64 exec, exec, s[2:3]
.LBB96_331:
	s_andn2_saveexec_b64 s[0:1], s[0:1]
	s_cbranch_execz .LBB96_333
; %bb.332:
	v_mov_b32_e32 v112, v60
	v_mov_b32_e32 v113, v61
	v_mov_b32_e32 v114, v56
	v_mov_b32_e32 v115, v57
	ds_write2_b64 v106, v[112:113], v[114:115] offset0:20 offset1:21
	v_mov_b32_e32 v112, v54
	v_mov_b32_e32 v113, v55
	v_mov_b32_e32 v114, v52
	v_mov_b32_e32 v115, v53
	ds_write2_b64 v106, v[112:113], v[114:115] offset0:22 offset1:23
	;; [unrolled: 5-line block ×13, first 2 shown]
	v_mov_b32_e32 v112, v6
	v_mov_b32_e32 v113, v7
	;; [unrolled: 1-line block ×5, first 2 shown]
	ds_write2_b64 v106, v[112:113], v[114:115] offset0:46 offset1:47
	ds_write_b64 v106, v[100:101] offset:384
.LBB96_333:
	s_or_b64 exec, exec, s[0:1]
	v_cmp_lt_i32_e32 vcc, 19, v107
	s_waitcnt lgkmcnt(0)
	s_barrier
	s_and_saveexec_b64 s[0:1], vcc
	s_cbranch_execz .LBB96_335
; %bb.334:
	ds_read2_b64 v[112:115], v106 offset0:20 offset1:21
	ds_read2_b64 v[116:119], v106 offset0:22 offset1:23
	v_mul_f64 v[58:59], v[102:103], v[58:59]
	ds_read2_b64 v[120:123], v106 offset0:24 offset1:25
	ds_read_b64 v[102:103], v106 offset:384
	s_waitcnt lgkmcnt(0)
	v_fma_f64 v[60:61], -v[58:59], v[112:113], v[60:61]
	v_fma_f64 v[56:57], -v[58:59], v[114:115], v[56:57]
	ds_read2_b64 v[112:115], v106 offset0:26 offset1:27
	v_fma_f64 v[54:55], -v[58:59], v[116:117], v[54:55]
	v_fma_f64 v[52:53], -v[58:59], v[118:119], v[52:53]
	ds_read2_b64 v[116:119], v106 offset0:28 offset1:29
	;; [unrolled: 3-line block ×3, first 2 shown]
	s_waitcnt lgkmcnt(0)
	v_fma_f64 v[46:47], -v[58:59], v[112:113], v[46:47]
	v_fma_f64 v[44:45], -v[58:59], v[114:115], v[44:45]
	;; [unrolled: 1-line block ×3, first 2 shown]
	ds_read2_b64 v[112:115], v106 offset0:32 offset1:33
	v_fma_f64 v[38:39], -v[58:59], v[118:119], v[38:39]
	ds_read2_b64 v[116:119], v106 offset0:34 offset1:35
	v_fma_f64 v[40:41], -v[58:59], v[120:121], v[40:41]
	v_fma_f64 v[36:37], -v[58:59], v[122:123], v[36:37]
	s_waitcnt lgkmcnt(0)
	v_fma_f64 v[34:35], -v[58:59], v[112:113], v[34:35]
	ds_read2_b64 v[120:123], v106 offset0:36 offset1:37
	v_fma_f64 v[32:33], -v[58:59], v[114:115], v[32:33]
	ds_read2_b64 v[112:115], v106 offset0:38 offset1:39
	v_fma_f64 v[30:31], -v[58:59], v[116:117], v[30:31]
	v_fma_f64 v[28:29], -v[58:59], v[118:119], v[28:29]
	ds_read2_b64 v[116:119], v106 offset0:40 offset1:41
	s_waitcnt lgkmcnt(0)
	v_fma_f64 v[26:27], -v[58:59], v[120:121], v[26:27]
	v_fma_f64 v[24:25], -v[58:59], v[122:123], v[24:25]
	ds_read2_b64 v[120:123], v106 offset0:42 offset1:43
	v_fma_f64 v[22:23], -v[58:59], v[112:113], v[22:23]
	v_fma_f64 v[18:19], -v[58:59], v[114:115], v[18:19]
	;; [unrolled: 1-line block ×4, first 2 shown]
	ds_read2_b64 v[112:115], v106 offset0:44 offset1:45
	ds_read2_b64 v[116:119], v106 offset0:46 offset1:47
	s_waitcnt lgkmcnt(0)
	v_fma_f64 v[14:15], -v[58:59], v[120:121], v[14:15]
	v_fma_f64 v[12:13], -v[58:59], v[122:123], v[12:13]
	;; [unrolled: 1-line block ×7, first 2 shown]
.LBB96_335:
	s_or_b64 exec, exec, s[0:1]
	v_lshl_add_u32 v102, v107, 3, v106
	s_barrier
	ds_write_b64 v102, v[60:61]
	s_waitcnt lgkmcnt(0)
	s_barrier
	ds_read_b64 v[102:103], v106 offset:160
	s_cmp_lt_i32 s18, 22
	v_mov_b32_e32 v104, 20
	s_cbranch_scc1 .LBB96_338
; %bb.336:
	v_add_u32_e32 v111, 0xa8, v106
	s_mov_b32 s0, 21
	v_mov_b32_e32 v104, 20
.LBB96_337:                             ; =>This Inner Loop Header: Depth=1
	ds_read_b64 v[112:113], v111
	v_mov_b32_e32 v114, s0
	s_add_i32 s0, s0, 1
	v_add_u32_e32 v111, 8, v111
	s_cmp_lg_u32 s18, s0
	s_waitcnt lgkmcnt(0)
	v_cmp_lt_f64_e64 vcc, |v[102:103]|, |v[112:113]|
	v_cndmask_b32_e32 v103, v103, v113, vcc
	v_cndmask_b32_e32 v102, v102, v112, vcc
	;; [unrolled: 1-line block ×3, first 2 shown]
	s_cbranch_scc1 .LBB96_337
.LBB96_338:
	s_waitcnt lgkmcnt(0)
	v_cmp_eq_f64_e32 vcc, 0, v[102:103]
	s_and_saveexec_b64 s[0:1], vcc
	s_xor_b64 s[0:1], exec, s[0:1]
; %bb.339:
	v_cmp_ne_u32_e32 vcc, 0, v110
	v_cndmask_b32_e32 v110, 21, v110, vcc
; %bb.340:
	s_andn2_saveexec_b64 s[0:1], s[0:1]
; %bb.341:
	v_div_scale_f64 v[112:113], s[2:3], v[102:103], v[102:103], 1.0
	v_rcp_f64_e32 v[114:115], v[112:113]
	v_div_scale_f64 v[116:117], vcc, 1.0, v[102:103], 1.0
	v_fma_f64 v[118:119], -v[112:113], v[114:115], 1.0
	v_fmac_f64_e32 v[114:115], v[114:115], v[118:119]
	v_fma_f64 v[118:119], -v[112:113], v[114:115], 1.0
	v_fmac_f64_e32 v[114:115], v[114:115], v[118:119]
	v_mul_f64 v[118:119], v[116:117], v[114:115]
	v_fma_f64 v[112:113], -v[112:113], v[118:119], v[116:117]
	v_div_fmas_f64 v[112:113], v[112:113], v[114:115], v[118:119]
	v_div_fixup_f64 v[102:103], v[112:113], v[102:103], 1.0
; %bb.342:
	s_or_b64 exec, exec, s[0:1]
	v_cmp_ne_u32_e32 vcc, v107, v104
	s_and_saveexec_b64 s[0:1], vcc
	s_xor_b64 s[0:1], exec, s[0:1]
	s_cbranch_execz .LBB96_348
; %bb.343:
	v_cmp_eq_u32_e32 vcc, 20, v107
	s_and_saveexec_b64 s[2:3], vcc
	s_cbranch_execz .LBB96_347
; %bb.344:
	v_cmp_ne_u32_e32 vcc, 20, v104
	s_xor_b64 s[14:15], s[6:7], -1
	s_and_b64 s[16:17], s[14:15], vcc
	s_and_saveexec_b64 s[14:15], s[16:17]
	s_cbranch_execz .LBB96_346
; %bb.345:
	v_ashrrev_i32_e32 v105, 31, v104
	v_lshlrev_b64 v[112:113], 2, v[104:105]
	v_add_co_u32_e32 v112, vcc, v4, v112
	v_addc_co_u32_e32 v113, vcc, v5, v113, vcc
	flat_load_dword v105, v[112:113]
	flat_load_dword v107, v[4:5] offset:80
	s_waitcnt vmcnt(0) lgkmcnt(0)
	flat_store_dword v[4:5], v105 offset:80
	flat_store_dword v[112:113], v107
.LBB96_346:
	s_or_b64 exec, exec, s[14:15]
	v_mov_b32_e32 v105, v104
	v_mov_b32_e32 v107, v104
.LBB96_347:
	s_or_b64 exec, exec, s[2:3]
.LBB96_348:
	s_andn2_saveexec_b64 s[0:1], s[0:1]
	s_cbranch_execz .LBB96_350
; %bb.349:
	v_mov_b32_e32 v107, 20
	ds_write2_b64 v106, v[56:57], v[54:55] offset0:21 offset1:22
	ds_write2_b64 v106, v[52:53], v[50:51] offset0:23 offset1:24
	;; [unrolled: 1-line block ×14, first 2 shown]
.LBB96_350:
	s_or_b64 exec, exec, s[0:1]
	v_cmp_lt_i32_e32 vcc, 20, v107
	s_waitcnt lgkmcnt(0)
	s_barrier
	s_and_saveexec_b64 s[0:1], vcc
	s_cbranch_execz .LBB96_352
; %bb.351:
	ds_read2_b64 v[112:115], v106 offset0:21 offset1:22
	ds_read2_b64 v[116:119], v106 offset0:23 offset1:24
	v_mul_f64 v[60:61], v[102:103], v[60:61]
	ds_read2_b64 v[120:123], v106 offset0:25 offset1:26
	s_waitcnt lgkmcnt(0)
	v_fma_f64 v[56:57], -v[60:61], v[112:113], v[56:57]
	v_fma_f64 v[54:55], -v[60:61], v[114:115], v[54:55]
	ds_read2_b64 v[112:115], v106 offset0:27 offset1:28
	v_fma_f64 v[52:53], -v[60:61], v[116:117], v[52:53]
	v_fma_f64 v[50:51], -v[60:61], v[118:119], v[50:51]
	ds_read2_b64 v[116:119], v106 offset0:29 offset1:30
	;; [unrolled: 3-line block ×3, first 2 shown]
	s_waitcnt lgkmcnt(0)
	v_fma_f64 v[44:45], -v[60:61], v[112:113], v[44:45]
	v_fma_f64 v[42:43], -v[60:61], v[114:115], v[42:43]
	;; [unrolled: 1-line block ×3, first 2 shown]
	ds_read2_b64 v[112:115], v106 offset0:33 offset1:34
	v_fma_f64 v[40:41], -v[60:61], v[118:119], v[40:41]
	ds_read2_b64 v[116:119], v106 offset0:35 offset1:36
	v_fma_f64 v[36:37], -v[60:61], v[120:121], v[36:37]
	v_fma_f64 v[34:35], -v[60:61], v[122:123], v[34:35]
	s_waitcnt lgkmcnt(0)
	v_fma_f64 v[32:33], -v[60:61], v[112:113], v[32:33]
	ds_read2_b64 v[120:123], v106 offset0:37 offset1:38
	v_fma_f64 v[30:31], -v[60:61], v[114:115], v[30:31]
	ds_read2_b64 v[112:115], v106 offset0:39 offset1:40
	v_fma_f64 v[28:29], -v[60:61], v[116:117], v[28:29]
	v_fma_f64 v[26:27], -v[60:61], v[118:119], v[26:27]
	ds_read2_b64 v[116:119], v106 offset0:41 offset1:42
	s_waitcnt lgkmcnt(0)
	v_fma_f64 v[24:25], -v[60:61], v[120:121], v[24:25]
	v_fma_f64 v[22:23], -v[60:61], v[122:123], v[22:23]
	;; [unrolled: 1-line block ×4, first 2 shown]
	ds_read2_b64 v[112:115], v106 offset0:43 offset1:44
	v_fma_f64 v[16:17], -v[60:61], v[116:117], v[16:17]
	ds_read2_b64 v[120:123], v106 offset0:45 offset1:46
	v_fma_f64 v[14:15], -v[60:61], v[118:119], v[14:15]
	ds_read2_b64 v[116:119], v106 offset0:47 offset1:48
	s_waitcnt lgkmcnt(0)
	v_fma_f64 v[12:13], -v[60:61], v[112:113], v[12:13]
	v_fma_f64 v[10:11], -v[60:61], v[114:115], v[10:11]
	v_fma_f64 v[8:9], -v[60:61], v[120:121], v[8:9]
	v_fma_f64 v[6:7], -v[60:61], v[122:123], v[6:7]
	v_fma_f64 v[0:1], -v[60:61], v[116:117], v[0:1]
	v_fma_f64 v[100:101], -v[60:61], v[118:119], v[100:101]
.LBB96_352:
	s_or_b64 exec, exec, s[0:1]
	v_lshl_add_u32 v102, v107, 3, v106
	s_barrier
	ds_write_b64 v102, v[56:57]
	s_waitcnt lgkmcnt(0)
	s_barrier
	ds_read_b64 v[102:103], v106 offset:168
	s_cmp_lt_i32 s18, 23
	v_mov_b32_e32 v104, 21
	s_cbranch_scc1 .LBB96_355
; %bb.353:
	v_add_u32_e32 v111, 0xb0, v106
	s_mov_b32 s0, 22
	v_mov_b32_e32 v104, 21
.LBB96_354:                             ; =>This Inner Loop Header: Depth=1
	ds_read_b64 v[112:113], v111
	v_mov_b32_e32 v114, s0
	s_add_i32 s0, s0, 1
	v_add_u32_e32 v111, 8, v111
	s_cmp_lg_u32 s18, s0
	s_waitcnt lgkmcnt(0)
	v_cmp_lt_f64_e64 vcc, |v[102:103]|, |v[112:113]|
	v_cndmask_b32_e32 v103, v103, v113, vcc
	v_cndmask_b32_e32 v102, v102, v112, vcc
	;; [unrolled: 1-line block ×3, first 2 shown]
	s_cbranch_scc1 .LBB96_354
.LBB96_355:
	s_waitcnt lgkmcnt(0)
	v_cmp_eq_f64_e32 vcc, 0, v[102:103]
	s_and_saveexec_b64 s[0:1], vcc
	s_xor_b64 s[0:1], exec, s[0:1]
; %bb.356:
	v_cmp_ne_u32_e32 vcc, 0, v110
	v_cndmask_b32_e32 v110, 22, v110, vcc
; %bb.357:
	s_andn2_saveexec_b64 s[0:1], s[0:1]
; %bb.358:
	v_div_scale_f64 v[112:113], s[2:3], v[102:103], v[102:103], 1.0
	v_rcp_f64_e32 v[114:115], v[112:113]
	v_div_scale_f64 v[116:117], vcc, 1.0, v[102:103], 1.0
	v_fma_f64 v[118:119], -v[112:113], v[114:115], 1.0
	v_fmac_f64_e32 v[114:115], v[114:115], v[118:119]
	v_fma_f64 v[118:119], -v[112:113], v[114:115], 1.0
	v_fmac_f64_e32 v[114:115], v[114:115], v[118:119]
	v_mul_f64 v[118:119], v[116:117], v[114:115]
	v_fma_f64 v[112:113], -v[112:113], v[118:119], v[116:117]
	v_div_fmas_f64 v[112:113], v[112:113], v[114:115], v[118:119]
	v_div_fixup_f64 v[102:103], v[112:113], v[102:103], 1.0
; %bb.359:
	s_or_b64 exec, exec, s[0:1]
	v_cmp_ne_u32_e32 vcc, v107, v104
	s_and_saveexec_b64 s[0:1], vcc
	s_xor_b64 s[0:1], exec, s[0:1]
	s_cbranch_execz .LBB96_365
; %bb.360:
	v_cmp_eq_u32_e32 vcc, 21, v107
	s_and_saveexec_b64 s[2:3], vcc
	s_cbranch_execz .LBB96_364
; %bb.361:
	v_cmp_ne_u32_e32 vcc, 21, v104
	s_xor_b64 s[14:15], s[6:7], -1
	s_and_b64 s[16:17], s[14:15], vcc
	s_and_saveexec_b64 s[14:15], s[16:17]
	s_cbranch_execz .LBB96_363
; %bb.362:
	v_ashrrev_i32_e32 v105, 31, v104
	v_lshlrev_b64 v[112:113], 2, v[104:105]
	v_add_co_u32_e32 v112, vcc, v4, v112
	v_addc_co_u32_e32 v113, vcc, v5, v113, vcc
	flat_load_dword v105, v[112:113]
	flat_load_dword v107, v[4:5] offset:84
	s_waitcnt vmcnt(0) lgkmcnt(0)
	flat_store_dword v[4:5], v105 offset:84
	flat_store_dword v[112:113], v107
.LBB96_363:
	s_or_b64 exec, exec, s[14:15]
	v_mov_b32_e32 v105, v104
	v_mov_b32_e32 v107, v104
.LBB96_364:
	s_or_b64 exec, exec, s[2:3]
.LBB96_365:
	s_andn2_saveexec_b64 s[0:1], s[0:1]
	s_cbranch_execz .LBB96_367
; %bb.366:
	v_mov_b32_e32 v112, v54
	v_mov_b32_e32 v113, v55
	v_mov_b32_e32 v114, v52
	v_mov_b32_e32 v115, v53
	ds_write2_b64 v106, v[112:113], v[114:115] offset0:22 offset1:23
	v_mov_b32_e32 v112, v50
	v_mov_b32_e32 v113, v51
	v_mov_b32_e32 v114, v48
	v_mov_b32_e32 v115, v49
	ds_write2_b64 v106, v[112:113], v[114:115] offset0:24 offset1:25
	;; [unrolled: 5-line block ×12, first 2 shown]
	v_mov_b32_e32 v112, v6
	v_mov_b32_e32 v113, v7
	;; [unrolled: 1-line block ×5, first 2 shown]
	ds_write2_b64 v106, v[112:113], v[114:115] offset0:46 offset1:47
	ds_write_b64 v106, v[100:101] offset:384
.LBB96_367:
	s_or_b64 exec, exec, s[0:1]
	v_cmp_lt_i32_e32 vcc, 21, v107
	s_waitcnt lgkmcnt(0)
	s_barrier
	s_and_saveexec_b64 s[0:1], vcc
	s_cbranch_execz .LBB96_369
; %bb.368:
	ds_read2_b64 v[112:115], v106 offset0:22 offset1:23
	ds_read2_b64 v[116:119], v106 offset0:24 offset1:25
	v_mul_f64 v[56:57], v[102:103], v[56:57]
	ds_read2_b64 v[120:123], v106 offset0:26 offset1:27
	ds_read_b64 v[102:103], v106 offset:384
	s_waitcnt lgkmcnt(0)
	v_fma_f64 v[54:55], -v[56:57], v[112:113], v[54:55]
	v_fma_f64 v[52:53], -v[56:57], v[114:115], v[52:53]
	ds_read2_b64 v[112:115], v106 offset0:28 offset1:29
	v_fma_f64 v[50:51], -v[56:57], v[116:117], v[50:51]
	v_fma_f64 v[48:49], -v[56:57], v[118:119], v[48:49]
	;; [unrolled: 1-line block ×3, first 2 shown]
	ds_read2_b64 v[116:119], v106 offset0:30 offset1:31
	v_fma_f64 v[44:45], -v[56:57], v[122:123], v[44:45]
	ds_read2_b64 v[120:123], v106 offset0:32 offset1:33
	s_waitcnt lgkmcnt(0)
	v_fma_f64 v[42:43], -v[56:57], v[112:113], v[42:43]
	v_fma_f64 v[38:39], -v[56:57], v[114:115], v[38:39]
	ds_read2_b64 v[112:115], v106 offset0:34 offset1:35
	v_fma_f64 v[40:41], -v[56:57], v[116:117], v[40:41]
	v_fma_f64 v[36:37], -v[56:57], v[118:119], v[36:37]
	ds_read2_b64 v[116:119], v106 offset0:36 offset1:37
	v_fma_f64 v[34:35], -v[56:57], v[120:121], v[34:35]
	v_fma_f64 v[32:33], -v[56:57], v[122:123], v[32:33]
	s_waitcnt lgkmcnt(0)
	v_fma_f64 v[30:31], -v[56:57], v[112:113], v[30:31]
	ds_read2_b64 v[120:123], v106 offset0:38 offset1:39
	v_fma_f64 v[28:29], -v[56:57], v[114:115], v[28:29]
	ds_read2_b64 v[112:115], v106 offset0:40 offset1:41
	v_fma_f64 v[26:27], -v[56:57], v[116:117], v[26:27]
	v_fma_f64 v[24:25], -v[56:57], v[118:119], v[24:25]
	s_waitcnt lgkmcnt(0)
	v_fma_f64 v[22:23], -v[56:57], v[120:121], v[22:23]
	ds_read2_b64 v[116:119], v106 offset0:42 offset1:43
	v_fma_f64 v[18:19], -v[56:57], v[122:123], v[18:19]
	v_fma_f64 v[20:21], -v[56:57], v[112:113], v[20:21]
	;; [unrolled: 1-line block ×3, first 2 shown]
	ds_read2_b64 v[112:115], v106 offset0:44 offset1:45
	ds_read2_b64 v[120:123], v106 offset0:46 offset1:47
	s_waitcnt lgkmcnt(0)
	v_fma_f64 v[14:15], -v[56:57], v[116:117], v[14:15]
	v_fma_f64 v[12:13], -v[56:57], v[118:119], v[12:13]
	;; [unrolled: 1-line block ×7, first 2 shown]
.LBB96_369:
	s_or_b64 exec, exec, s[0:1]
	v_lshl_add_u32 v102, v107, 3, v106
	s_barrier
	ds_write_b64 v102, v[54:55]
	s_waitcnt lgkmcnt(0)
	s_barrier
	ds_read_b64 v[102:103], v106 offset:176
	s_cmp_lt_i32 s18, 24
	v_mov_b32_e32 v104, 22
	s_cbranch_scc1 .LBB96_372
; %bb.370:
	v_add_u32_e32 v111, 0xb8, v106
	s_mov_b32 s0, 23
	v_mov_b32_e32 v104, 22
.LBB96_371:                             ; =>This Inner Loop Header: Depth=1
	ds_read_b64 v[112:113], v111
	v_mov_b32_e32 v114, s0
	s_add_i32 s0, s0, 1
	v_add_u32_e32 v111, 8, v111
	s_cmp_lg_u32 s18, s0
	s_waitcnt lgkmcnt(0)
	v_cmp_lt_f64_e64 vcc, |v[102:103]|, |v[112:113]|
	v_cndmask_b32_e32 v103, v103, v113, vcc
	v_cndmask_b32_e32 v102, v102, v112, vcc
	;; [unrolled: 1-line block ×3, first 2 shown]
	s_cbranch_scc1 .LBB96_371
.LBB96_372:
	s_waitcnt lgkmcnt(0)
	v_cmp_eq_f64_e32 vcc, 0, v[102:103]
	s_and_saveexec_b64 s[0:1], vcc
	s_xor_b64 s[0:1], exec, s[0:1]
; %bb.373:
	v_cmp_ne_u32_e32 vcc, 0, v110
	v_cndmask_b32_e32 v110, 23, v110, vcc
; %bb.374:
	s_andn2_saveexec_b64 s[0:1], s[0:1]
; %bb.375:
	v_div_scale_f64 v[112:113], s[2:3], v[102:103], v[102:103], 1.0
	v_rcp_f64_e32 v[114:115], v[112:113]
	v_div_scale_f64 v[116:117], vcc, 1.0, v[102:103], 1.0
	v_fma_f64 v[118:119], -v[112:113], v[114:115], 1.0
	v_fmac_f64_e32 v[114:115], v[114:115], v[118:119]
	v_fma_f64 v[118:119], -v[112:113], v[114:115], 1.0
	v_fmac_f64_e32 v[114:115], v[114:115], v[118:119]
	v_mul_f64 v[118:119], v[116:117], v[114:115]
	v_fma_f64 v[112:113], -v[112:113], v[118:119], v[116:117]
	v_div_fmas_f64 v[112:113], v[112:113], v[114:115], v[118:119]
	v_div_fixup_f64 v[102:103], v[112:113], v[102:103], 1.0
; %bb.376:
	s_or_b64 exec, exec, s[0:1]
	v_cmp_ne_u32_e32 vcc, v107, v104
	s_and_saveexec_b64 s[0:1], vcc
	s_xor_b64 s[0:1], exec, s[0:1]
	s_cbranch_execz .LBB96_382
; %bb.377:
	v_cmp_eq_u32_e32 vcc, 22, v107
	s_and_saveexec_b64 s[2:3], vcc
	s_cbranch_execz .LBB96_381
; %bb.378:
	v_cmp_ne_u32_e32 vcc, 22, v104
	s_xor_b64 s[14:15], s[6:7], -1
	s_and_b64 s[16:17], s[14:15], vcc
	s_and_saveexec_b64 s[14:15], s[16:17]
	s_cbranch_execz .LBB96_380
; %bb.379:
	v_ashrrev_i32_e32 v105, 31, v104
	v_lshlrev_b64 v[112:113], 2, v[104:105]
	v_add_co_u32_e32 v112, vcc, v4, v112
	v_addc_co_u32_e32 v113, vcc, v5, v113, vcc
	flat_load_dword v105, v[112:113]
	flat_load_dword v107, v[4:5] offset:88
	s_waitcnt vmcnt(0) lgkmcnt(0)
	flat_store_dword v[4:5], v105 offset:88
	flat_store_dword v[112:113], v107
.LBB96_380:
	s_or_b64 exec, exec, s[14:15]
	v_mov_b32_e32 v105, v104
	v_mov_b32_e32 v107, v104
.LBB96_381:
	s_or_b64 exec, exec, s[2:3]
.LBB96_382:
	s_andn2_saveexec_b64 s[0:1], s[0:1]
	s_cbranch_execz .LBB96_384
; %bb.383:
	v_mov_b32_e32 v107, 22
	ds_write2_b64 v106, v[52:53], v[50:51] offset0:23 offset1:24
	ds_write2_b64 v106, v[48:49], v[46:47] offset0:25 offset1:26
	;; [unrolled: 1-line block ×13, first 2 shown]
.LBB96_384:
	s_or_b64 exec, exec, s[0:1]
	v_cmp_lt_i32_e32 vcc, 22, v107
	s_waitcnt lgkmcnt(0)
	s_barrier
	s_and_saveexec_b64 s[0:1], vcc
	s_cbranch_execz .LBB96_386
; %bb.385:
	ds_read2_b64 v[112:115], v106 offset0:23 offset1:24
	ds_read2_b64 v[116:119], v106 offset0:25 offset1:26
	v_mul_f64 v[54:55], v[102:103], v[54:55]
	ds_read2_b64 v[120:123], v106 offset0:27 offset1:28
	s_waitcnt lgkmcnt(0)
	v_fma_f64 v[52:53], -v[54:55], v[112:113], v[52:53]
	v_fma_f64 v[50:51], -v[54:55], v[114:115], v[50:51]
	ds_read2_b64 v[112:115], v106 offset0:29 offset1:30
	v_fma_f64 v[48:49], -v[54:55], v[116:117], v[48:49]
	v_fma_f64 v[46:47], -v[54:55], v[118:119], v[46:47]
	;; [unrolled: 1-line block ×3, first 2 shown]
	ds_read2_b64 v[116:119], v106 offset0:31 offset1:32
	v_fma_f64 v[42:43], -v[54:55], v[122:123], v[42:43]
	ds_read2_b64 v[120:123], v106 offset0:33 offset1:34
	s_waitcnt lgkmcnt(0)
	v_fma_f64 v[38:39], -v[54:55], v[112:113], v[38:39]
	v_fma_f64 v[40:41], -v[54:55], v[114:115], v[40:41]
	ds_read2_b64 v[112:115], v106 offset0:35 offset1:36
	v_fma_f64 v[36:37], -v[54:55], v[116:117], v[36:37]
	v_fma_f64 v[34:35], -v[54:55], v[118:119], v[34:35]
	ds_read2_b64 v[116:119], v106 offset0:37 offset1:38
	v_fma_f64 v[32:33], -v[54:55], v[120:121], v[32:33]
	v_fma_f64 v[30:31], -v[54:55], v[122:123], v[30:31]
	s_waitcnt lgkmcnt(0)
	v_fma_f64 v[28:29], -v[54:55], v[112:113], v[28:29]
	ds_read2_b64 v[120:123], v106 offset0:39 offset1:40
	v_fma_f64 v[26:27], -v[54:55], v[114:115], v[26:27]
	ds_read2_b64 v[112:115], v106 offset0:41 offset1:42
	v_fma_f64 v[24:25], -v[54:55], v[116:117], v[24:25]
	v_fma_f64 v[22:23], -v[54:55], v[118:119], v[22:23]
	s_waitcnt lgkmcnt(0)
	v_fma_f64 v[18:19], -v[54:55], v[120:121], v[18:19]
	v_fma_f64 v[20:21], -v[54:55], v[122:123], v[20:21]
	ds_read2_b64 v[116:119], v106 offset0:43 offset1:44
	ds_read2_b64 v[120:123], v106 offset0:45 offset1:46
	v_fma_f64 v[16:17], -v[54:55], v[112:113], v[16:17]
	v_fma_f64 v[14:15], -v[54:55], v[114:115], v[14:15]
	ds_read2_b64 v[112:115], v106 offset0:47 offset1:48
	s_waitcnt lgkmcnt(0)
	v_fma_f64 v[12:13], -v[54:55], v[116:117], v[12:13]
	v_fma_f64 v[10:11], -v[54:55], v[118:119], v[10:11]
	;; [unrolled: 1-line block ×6, first 2 shown]
.LBB96_386:
	s_or_b64 exec, exec, s[0:1]
	v_lshl_add_u32 v102, v107, 3, v106
	s_barrier
	ds_write_b64 v102, v[52:53]
	s_waitcnt lgkmcnt(0)
	s_barrier
	ds_read_b64 v[102:103], v106 offset:184
	s_cmp_lt_i32 s18, 25
	v_mov_b32_e32 v104, 23
	s_cbranch_scc1 .LBB96_389
; %bb.387:
	v_add_u32_e32 v111, 0xc0, v106
	s_mov_b32 s0, 24
	v_mov_b32_e32 v104, 23
.LBB96_388:                             ; =>This Inner Loop Header: Depth=1
	ds_read_b64 v[112:113], v111
	v_mov_b32_e32 v114, s0
	s_add_i32 s0, s0, 1
	v_add_u32_e32 v111, 8, v111
	s_cmp_lg_u32 s18, s0
	s_waitcnt lgkmcnt(0)
	v_cmp_lt_f64_e64 vcc, |v[102:103]|, |v[112:113]|
	v_cndmask_b32_e32 v103, v103, v113, vcc
	v_cndmask_b32_e32 v102, v102, v112, vcc
	;; [unrolled: 1-line block ×3, first 2 shown]
	s_cbranch_scc1 .LBB96_388
.LBB96_389:
	s_waitcnt lgkmcnt(0)
	v_cmp_eq_f64_e32 vcc, 0, v[102:103]
	s_and_saveexec_b64 s[0:1], vcc
	s_xor_b64 s[0:1], exec, s[0:1]
; %bb.390:
	v_cmp_ne_u32_e32 vcc, 0, v110
	v_cndmask_b32_e32 v110, 24, v110, vcc
; %bb.391:
	s_andn2_saveexec_b64 s[0:1], s[0:1]
; %bb.392:
	v_div_scale_f64 v[112:113], s[2:3], v[102:103], v[102:103], 1.0
	v_rcp_f64_e32 v[114:115], v[112:113]
	v_div_scale_f64 v[116:117], vcc, 1.0, v[102:103], 1.0
	v_fma_f64 v[118:119], -v[112:113], v[114:115], 1.0
	v_fmac_f64_e32 v[114:115], v[114:115], v[118:119]
	v_fma_f64 v[118:119], -v[112:113], v[114:115], 1.0
	v_fmac_f64_e32 v[114:115], v[114:115], v[118:119]
	v_mul_f64 v[118:119], v[116:117], v[114:115]
	v_fma_f64 v[112:113], -v[112:113], v[118:119], v[116:117]
	v_div_fmas_f64 v[112:113], v[112:113], v[114:115], v[118:119]
	v_div_fixup_f64 v[102:103], v[112:113], v[102:103], 1.0
; %bb.393:
	s_or_b64 exec, exec, s[0:1]
	v_cmp_ne_u32_e32 vcc, v107, v104
	s_and_saveexec_b64 s[0:1], vcc
	s_xor_b64 s[0:1], exec, s[0:1]
	s_cbranch_execz .LBB96_399
; %bb.394:
	v_cmp_eq_u32_e32 vcc, 23, v107
	s_and_saveexec_b64 s[2:3], vcc
	s_cbranch_execz .LBB96_398
; %bb.395:
	v_cmp_ne_u32_e32 vcc, 23, v104
	s_xor_b64 s[14:15], s[6:7], -1
	s_and_b64 s[16:17], s[14:15], vcc
	s_and_saveexec_b64 s[14:15], s[16:17]
	s_cbranch_execz .LBB96_397
; %bb.396:
	v_ashrrev_i32_e32 v105, 31, v104
	v_lshlrev_b64 v[112:113], 2, v[104:105]
	v_add_co_u32_e32 v112, vcc, v4, v112
	v_addc_co_u32_e32 v113, vcc, v5, v113, vcc
	flat_load_dword v105, v[112:113]
	flat_load_dword v107, v[4:5] offset:92
	s_waitcnt vmcnt(0) lgkmcnt(0)
	flat_store_dword v[4:5], v105 offset:92
	flat_store_dword v[112:113], v107
.LBB96_397:
	s_or_b64 exec, exec, s[14:15]
	v_mov_b32_e32 v105, v104
	v_mov_b32_e32 v107, v104
.LBB96_398:
	s_or_b64 exec, exec, s[2:3]
.LBB96_399:
	s_andn2_saveexec_b64 s[0:1], s[0:1]
	s_cbranch_execz .LBB96_401
; %bb.400:
	v_mov_b32_e32 v112, v50
	v_mov_b32_e32 v113, v51
	v_mov_b32_e32 v114, v48
	v_mov_b32_e32 v115, v49
	ds_write2_b64 v106, v[112:113], v[114:115] offset0:24 offset1:25
	v_mov_b32_e32 v112, v46
	v_mov_b32_e32 v113, v47
	v_mov_b32_e32 v114, v44
	v_mov_b32_e32 v115, v45
	ds_write2_b64 v106, v[112:113], v[114:115] offset0:26 offset1:27
	;; [unrolled: 5-line block ×11, first 2 shown]
	v_mov_b32_e32 v112, v6
	v_mov_b32_e32 v113, v7
	;; [unrolled: 1-line block ×5, first 2 shown]
	ds_write2_b64 v106, v[112:113], v[114:115] offset0:46 offset1:47
	ds_write_b64 v106, v[100:101] offset:384
.LBB96_401:
	s_or_b64 exec, exec, s[0:1]
	v_cmp_lt_i32_e32 vcc, 23, v107
	s_waitcnt lgkmcnt(0)
	s_barrier
	s_and_saveexec_b64 s[0:1], vcc
	s_cbranch_execz .LBB96_403
; %bb.402:
	ds_read2_b64 v[112:115], v106 offset0:24 offset1:25
	ds_read2_b64 v[116:119], v106 offset0:26 offset1:27
	;; [unrolled: 1-line block ×3, first 2 shown]
	v_mul_f64 v[52:53], v[102:103], v[52:53]
	ds_read_b64 v[102:103], v106 offset:384
	s_waitcnt lgkmcnt(0)
	v_fma_f64 v[50:51], -v[52:53], v[112:113], v[50:51]
	v_fma_f64 v[48:49], -v[52:53], v[114:115], v[48:49]
	ds_read2_b64 v[112:115], v106 offset0:30 offset1:31
	v_fma_f64 v[46:47], -v[52:53], v[116:117], v[46:47]
	v_fma_f64 v[44:45], -v[52:53], v[118:119], v[44:45]
	;; [unrolled: 1-line block ×3, first 2 shown]
	ds_read2_b64 v[116:119], v106 offset0:32 offset1:33
	v_fma_f64 v[38:39], -v[52:53], v[122:123], v[38:39]
	ds_read2_b64 v[120:123], v106 offset0:34 offset1:35
	s_waitcnt lgkmcnt(0)
	v_fma_f64 v[40:41], -v[52:53], v[112:113], v[40:41]
	v_fma_f64 v[36:37], -v[52:53], v[114:115], v[36:37]
	;; [unrolled: 1-line block ×3, first 2 shown]
	ds_read2_b64 v[112:115], v106 offset0:36 offset1:37
	v_fma_f64 v[32:33], -v[52:53], v[118:119], v[32:33]
	ds_read2_b64 v[116:119], v106 offset0:38 offset1:39
	v_fma_f64 v[30:31], -v[52:53], v[120:121], v[30:31]
	v_fma_f64 v[28:29], -v[52:53], v[122:123], v[28:29]
	ds_read2_b64 v[120:123], v106 offset0:40 offset1:41
	s_waitcnt lgkmcnt(0)
	v_fma_f64 v[26:27], -v[52:53], v[112:113], v[26:27]
	v_fma_f64 v[24:25], -v[52:53], v[114:115], v[24:25]
	ds_read2_b64 v[112:115], v106 offset0:42 offset1:43
	v_fma_f64 v[22:23], -v[52:53], v[116:117], v[22:23]
	v_fma_f64 v[18:19], -v[52:53], v[118:119], v[18:19]
	;; [unrolled: 1-line block ×4, first 2 shown]
	ds_read2_b64 v[116:119], v106 offset0:44 offset1:45
	ds_read2_b64 v[120:123], v106 offset0:46 offset1:47
	s_waitcnt lgkmcnt(0)
	v_fma_f64 v[14:15], -v[52:53], v[112:113], v[14:15]
	v_fma_f64 v[12:13], -v[52:53], v[114:115], v[12:13]
	;; [unrolled: 1-line block ×7, first 2 shown]
.LBB96_403:
	s_or_b64 exec, exec, s[0:1]
	v_lshl_add_u32 v102, v107, 3, v106
	s_barrier
	ds_write_b64 v102, v[50:51]
	s_waitcnt lgkmcnt(0)
	s_barrier
	ds_read_b64 v[102:103], v106 offset:192
	s_cmp_lt_i32 s18, 26
	v_mov_b32_e32 v104, 24
	s_cbranch_scc1 .LBB96_406
; %bb.404:
	v_add_u32_e32 v111, 0xc8, v106
	s_mov_b32 s0, 25
	v_mov_b32_e32 v104, 24
.LBB96_405:                             ; =>This Inner Loop Header: Depth=1
	ds_read_b64 v[112:113], v111
	v_mov_b32_e32 v114, s0
	s_add_i32 s0, s0, 1
	v_add_u32_e32 v111, 8, v111
	s_cmp_lg_u32 s18, s0
	s_waitcnt lgkmcnt(0)
	v_cmp_lt_f64_e64 vcc, |v[102:103]|, |v[112:113]|
	v_cndmask_b32_e32 v103, v103, v113, vcc
	v_cndmask_b32_e32 v102, v102, v112, vcc
	;; [unrolled: 1-line block ×3, first 2 shown]
	s_cbranch_scc1 .LBB96_405
.LBB96_406:
	s_waitcnt lgkmcnt(0)
	v_cmp_eq_f64_e32 vcc, 0, v[102:103]
	s_and_saveexec_b64 s[0:1], vcc
	s_xor_b64 s[0:1], exec, s[0:1]
; %bb.407:
	v_cmp_ne_u32_e32 vcc, 0, v110
	v_cndmask_b32_e32 v110, 25, v110, vcc
; %bb.408:
	s_andn2_saveexec_b64 s[0:1], s[0:1]
; %bb.409:
	v_div_scale_f64 v[112:113], s[2:3], v[102:103], v[102:103], 1.0
	v_rcp_f64_e32 v[114:115], v[112:113]
	v_div_scale_f64 v[116:117], vcc, 1.0, v[102:103], 1.0
	v_fma_f64 v[118:119], -v[112:113], v[114:115], 1.0
	v_fmac_f64_e32 v[114:115], v[114:115], v[118:119]
	v_fma_f64 v[118:119], -v[112:113], v[114:115], 1.0
	v_fmac_f64_e32 v[114:115], v[114:115], v[118:119]
	v_mul_f64 v[118:119], v[116:117], v[114:115]
	v_fma_f64 v[112:113], -v[112:113], v[118:119], v[116:117]
	v_div_fmas_f64 v[112:113], v[112:113], v[114:115], v[118:119]
	v_div_fixup_f64 v[102:103], v[112:113], v[102:103], 1.0
; %bb.410:
	s_or_b64 exec, exec, s[0:1]
	v_cmp_ne_u32_e32 vcc, v107, v104
	s_and_saveexec_b64 s[0:1], vcc
	s_xor_b64 s[0:1], exec, s[0:1]
	s_cbranch_execz .LBB96_416
; %bb.411:
	v_cmp_eq_u32_e32 vcc, 24, v107
	s_and_saveexec_b64 s[2:3], vcc
	s_cbranch_execz .LBB96_415
; %bb.412:
	v_cmp_ne_u32_e32 vcc, 24, v104
	s_xor_b64 s[14:15], s[6:7], -1
	s_and_b64 s[16:17], s[14:15], vcc
	s_and_saveexec_b64 s[14:15], s[16:17]
	s_cbranch_execz .LBB96_414
; %bb.413:
	v_ashrrev_i32_e32 v105, 31, v104
	v_lshlrev_b64 v[112:113], 2, v[104:105]
	v_add_co_u32_e32 v112, vcc, v4, v112
	v_addc_co_u32_e32 v113, vcc, v5, v113, vcc
	flat_load_dword v105, v[112:113]
	flat_load_dword v107, v[4:5] offset:96
	s_waitcnt vmcnt(0) lgkmcnt(0)
	flat_store_dword v[4:5], v105 offset:96
	flat_store_dword v[112:113], v107
.LBB96_414:
	s_or_b64 exec, exec, s[14:15]
	v_mov_b32_e32 v105, v104
	v_mov_b32_e32 v107, v104
.LBB96_415:
	s_or_b64 exec, exec, s[2:3]
.LBB96_416:
	s_andn2_saveexec_b64 s[0:1], s[0:1]
	s_cbranch_execz .LBB96_418
; %bb.417:
	v_mov_b32_e32 v107, 24
	ds_write2_b64 v106, v[48:49], v[46:47] offset0:25 offset1:26
	ds_write2_b64 v106, v[44:45], v[42:43] offset0:27 offset1:28
	;; [unrolled: 1-line block ×12, first 2 shown]
.LBB96_418:
	s_or_b64 exec, exec, s[0:1]
	v_cmp_lt_i32_e32 vcc, 24, v107
	s_waitcnt lgkmcnt(0)
	s_barrier
	s_and_saveexec_b64 s[0:1], vcc
	s_cbranch_execz .LBB96_420
; %bb.419:
	ds_read2_b64 v[112:115], v106 offset0:25 offset1:26
	ds_read2_b64 v[116:119], v106 offset0:27 offset1:28
	;; [unrolled: 1-line block ×3, first 2 shown]
	v_mul_f64 v[50:51], v[102:103], v[50:51]
	s_waitcnt lgkmcnt(0)
	v_fma_f64 v[48:49], -v[50:51], v[112:113], v[48:49]
	v_fma_f64 v[46:47], -v[50:51], v[114:115], v[46:47]
	ds_read2_b64 v[112:115], v106 offset0:31 offset1:32
	v_fma_f64 v[44:45], -v[50:51], v[116:117], v[44:45]
	v_fma_f64 v[42:43], -v[50:51], v[118:119], v[42:43]
	;; [unrolled: 1-line block ×3, first 2 shown]
	ds_read2_b64 v[116:119], v106 offset0:33 offset1:34
	v_fma_f64 v[40:41], -v[50:51], v[122:123], v[40:41]
	ds_read2_b64 v[120:123], v106 offset0:35 offset1:36
	s_waitcnt lgkmcnt(0)
	v_fma_f64 v[36:37], -v[50:51], v[112:113], v[36:37]
	v_fma_f64 v[34:35], -v[50:51], v[114:115], v[34:35]
	;; [unrolled: 1-line block ×3, first 2 shown]
	ds_read2_b64 v[112:115], v106 offset0:37 offset1:38
	v_fma_f64 v[30:31], -v[50:51], v[118:119], v[30:31]
	ds_read2_b64 v[116:119], v106 offset0:39 offset1:40
	v_fma_f64 v[28:29], -v[50:51], v[120:121], v[28:29]
	v_fma_f64 v[26:27], -v[50:51], v[122:123], v[26:27]
	ds_read2_b64 v[120:123], v106 offset0:41 offset1:42
	s_waitcnt lgkmcnt(0)
	v_fma_f64 v[24:25], -v[50:51], v[112:113], v[24:25]
	v_fma_f64 v[22:23], -v[50:51], v[114:115], v[22:23]
	ds_read2_b64 v[112:115], v106 offset0:43 offset1:44
	v_fma_f64 v[18:19], -v[50:51], v[116:117], v[18:19]
	v_fma_f64 v[20:21], -v[50:51], v[118:119], v[20:21]
	;; [unrolled: 1-line block ×3, first 2 shown]
	ds_read2_b64 v[116:119], v106 offset0:45 offset1:46
	v_fma_f64 v[14:15], -v[50:51], v[122:123], v[14:15]
	ds_read2_b64 v[120:123], v106 offset0:47 offset1:48
	s_waitcnt lgkmcnt(0)
	v_fma_f64 v[12:13], -v[50:51], v[112:113], v[12:13]
	v_fma_f64 v[10:11], -v[50:51], v[114:115], v[10:11]
	;; [unrolled: 1-line block ×6, first 2 shown]
.LBB96_420:
	s_or_b64 exec, exec, s[0:1]
	v_lshl_add_u32 v102, v107, 3, v106
	s_barrier
	ds_write_b64 v102, v[48:49]
	s_waitcnt lgkmcnt(0)
	s_barrier
	ds_read_b64 v[102:103], v106 offset:200
	s_cmp_lt_i32 s18, 27
	v_mov_b32_e32 v104, 25
	s_cbranch_scc1 .LBB96_423
; %bb.421:
	v_add_u32_e32 v111, 0xd0, v106
	s_mov_b32 s0, 26
	v_mov_b32_e32 v104, 25
.LBB96_422:                             ; =>This Inner Loop Header: Depth=1
	ds_read_b64 v[112:113], v111
	v_mov_b32_e32 v114, s0
	s_add_i32 s0, s0, 1
	v_add_u32_e32 v111, 8, v111
	s_cmp_lg_u32 s18, s0
	s_waitcnt lgkmcnt(0)
	v_cmp_lt_f64_e64 vcc, |v[102:103]|, |v[112:113]|
	v_cndmask_b32_e32 v103, v103, v113, vcc
	v_cndmask_b32_e32 v102, v102, v112, vcc
	;; [unrolled: 1-line block ×3, first 2 shown]
	s_cbranch_scc1 .LBB96_422
.LBB96_423:
	s_waitcnt lgkmcnt(0)
	v_cmp_eq_f64_e32 vcc, 0, v[102:103]
	s_and_saveexec_b64 s[0:1], vcc
	s_xor_b64 s[0:1], exec, s[0:1]
; %bb.424:
	v_cmp_ne_u32_e32 vcc, 0, v110
	v_cndmask_b32_e32 v110, 26, v110, vcc
; %bb.425:
	s_andn2_saveexec_b64 s[0:1], s[0:1]
; %bb.426:
	v_div_scale_f64 v[112:113], s[2:3], v[102:103], v[102:103], 1.0
	v_rcp_f64_e32 v[114:115], v[112:113]
	v_div_scale_f64 v[116:117], vcc, 1.0, v[102:103], 1.0
	v_fma_f64 v[118:119], -v[112:113], v[114:115], 1.0
	v_fmac_f64_e32 v[114:115], v[114:115], v[118:119]
	v_fma_f64 v[118:119], -v[112:113], v[114:115], 1.0
	v_fmac_f64_e32 v[114:115], v[114:115], v[118:119]
	v_mul_f64 v[118:119], v[116:117], v[114:115]
	v_fma_f64 v[112:113], -v[112:113], v[118:119], v[116:117]
	v_div_fmas_f64 v[112:113], v[112:113], v[114:115], v[118:119]
	v_div_fixup_f64 v[102:103], v[112:113], v[102:103], 1.0
; %bb.427:
	s_or_b64 exec, exec, s[0:1]
	v_cmp_ne_u32_e32 vcc, v107, v104
	s_and_saveexec_b64 s[0:1], vcc
	s_xor_b64 s[0:1], exec, s[0:1]
	s_cbranch_execz .LBB96_433
; %bb.428:
	v_cmp_eq_u32_e32 vcc, 25, v107
	s_and_saveexec_b64 s[2:3], vcc
	s_cbranch_execz .LBB96_432
; %bb.429:
	v_cmp_ne_u32_e32 vcc, 25, v104
	s_xor_b64 s[14:15], s[6:7], -1
	s_and_b64 s[16:17], s[14:15], vcc
	s_and_saveexec_b64 s[14:15], s[16:17]
	s_cbranch_execz .LBB96_431
; %bb.430:
	v_ashrrev_i32_e32 v105, 31, v104
	v_lshlrev_b64 v[112:113], 2, v[104:105]
	v_add_co_u32_e32 v112, vcc, v4, v112
	v_addc_co_u32_e32 v113, vcc, v5, v113, vcc
	flat_load_dword v105, v[112:113]
	flat_load_dword v107, v[4:5] offset:100
	s_waitcnt vmcnt(0) lgkmcnt(0)
	flat_store_dword v[4:5], v105 offset:100
	flat_store_dword v[112:113], v107
.LBB96_431:
	s_or_b64 exec, exec, s[14:15]
	v_mov_b32_e32 v105, v104
	v_mov_b32_e32 v107, v104
.LBB96_432:
	s_or_b64 exec, exec, s[2:3]
.LBB96_433:
	s_andn2_saveexec_b64 s[0:1], s[0:1]
	s_cbranch_execz .LBB96_435
; %bb.434:
	v_mov_b32_e32 v112, v46
	v_mov_b32_e32 v113, v47
	v_mov_b32_e32 v114, v44
	v_mov_b32_e32 v115, v45
	ds_write2_b64 v106, v[112:113], v[114:115] offset0:26 offset1:27
	v_mov_b32_e32 v112, v42
	v_mov_b32_e32 v113, v43
	v_mov_b32_e32 v114, v38
	v_mov_b32_e32 v115, v39
	ds_write2_b64 v106, v[112:113], v[114:115] offset0:28 offset1:29
	;; [unrolled: 5-line block ×10, first 2 shown]
	v_mov_b32_e32 v112, v6
	v_mov_b32_e32 v113, v7
	;; [unrolled: 1-line block ×5, first 2 shown]
	ds_write2_b64 v106, v[112:113], v[114:115] offset0:46 offset1:47
	ds_write_b64 v106, v[100:101] offset:384
.LBB96_435:
	s_or_b64 exec, exec, s[0:1]
	v_cmp_lt_i32_e32 vcc, 25, v107
	s_waitcnt lgkmcnt(0)
	s_barrier
	s_and_saveexec_b64 s[0:1], vcc
	s_cbranch_execz .LBB96_437
; %bb.436:
	ds_read2_b64 v[112:115], v106 offset0:26 offset1:27
	ds_read2_b64 v[116:119], v106 offset0:28 offset1:29
	v_mul_f64 v[48:49], v[102:103], v[48:49]
	ds_read2_b64 v[120:123], v106 offset0:30 offset1:31
	ds_read_b64 v[102:103], v106 offset:384
	s_waitcnt lgkmcnt(0)
	v_fma_f64 v[46:47], -v[48:49], v[112:113], v[46:47]
	v_fma_f64 v[44:45], -v[48:49], v[114:115], v[44:45]
	ds_read2_b64 v[112:115], v106 offset0:32 offset1:33
	v_fma_f64 v[42:43], -v[48:49], v[116:117], v[42:43]
	v_fma_f64 v[38:39], -v[48:49], v[118:119], v[38:39]
	ds_read2_b64 v[116:119], v106 offset0:34 offset1:35
	;; [unrolled: 3-line block ×3, first 2 shown]
	s_waitcnt lgkmcnt(0)
	v_fma_f64 v[34:35], -v[48:49], v[112:113], v[34:35]
	v_fma_f64 v[32:33], -v[48:49], v[114:115], v[32:33]
	v_fma_f64 v[30:31], -v[48:49], v[116:117], v[30:31]
	ds_read2_b64 v[112:115], v106 offset0:38 offset1:39
	v_fma_f64 v[28:29], -v[48:49], v[118:119], v[28:29]
	ds_read2_b64 v[116:119], v106 offset0:40 offset1:41
	v_fma_f64 v[26:27], -v[48:49], v[120:121], v[26:27]
	v_fma_f64 v[24:25], -v[48:49], v[122:123], v[24:25]
	s_waitcnt lgkmcnt(0)
	v_fma_f64 v[22:23], -v[48:49], v[112:113], v[22:23]
	ds_read2_b64 v[120:123], v106 offset0:42 offset1:43
	v_fma_f64 v[18:19], -v[48:49], v[114:115], v[18:19]
	ds_read2_b64 v[112:115], v106 offset0:44 offset1:45
	v_fma_f64 v[20:21], -v[48:49], v[116:117], v[20:21]
	v_fma_f64 v[16:17], -v[48:49], v[118:119], v[16:17]
	ds_read2_b64 v[116:119], v106 offset0:46 offset1:47
	s_waitcnt lgkmcnt(0)
	v_fma_f64 v[14:15], -v[48:49], v[120:121], v[14:15]
	v_fma_f64 v[12:13], -v[48:49], v[122:123], v[12:13]
	;; [unrolled: 1-line block ×7, first 2 shown]
.LBB96_437:
	s_or_b64 exec, exec, s[0:1]
	v_lshl_add_u32 v102, v107, 3, v106
	s_barrier
	ds_write_b64 v102, v[46:47]
	s_waitcnt lgkmcnt(0)
	s_barrier
	ds_read_b64 v[102:103], v106 offset:208
	s_cmp_lt_i32 s18, 28
	v_mov_b32_e32 v104, 26
	s_cbranch_scc1 .LBB96_440
; %bb.438:
	v_add_u32_e32 v111, 0xd8, v106
	s_mov_b32 s0, 27
	v_mov_b32_e32 v104, 26
.LBB96_439:                             ; =>This Inner Loop Header: Depth=1
	ds_read_b64 v[112:113], v111
	v_mov_b32_e32 v114, s0
	s_add_i32 s0, s0, 1
	v_add_u32_e32 v111, 8, v111
	s_cmp_lg_u32 s18, s0
	s_waitcnt lgkmcnt(0)
	v_cmp_lt_f64_e64 vcc, |v[102:103]|, |v[112:113]|
	v_cndmask_b32_e32 v103, v103, v113, vcc
	v_cndmask_b32_e32 v102, v102, v112, vcc
	;; [unrolled: 1-line block ×3, first 2 shown]
	s_cbranch_scc1 .LBB96_439
.LBB96_440:
	s_waitcnt lgkmcnt(0)
	v_cmp_eq_f64_e32 vcc, 0, v[102:103]
	s_and_saveexec_b64 s[0:1], vcc
	s_xor_b64 s[0:1], exec, s[0:1]
; %bb.441:
	v_cmp_ne_u32_e32 vcc, 0, v110
	v_cndmask_b32_e32 v110, 27, v110, vcc
; %bb.442:
	s_andn2_saveexec_b64 s[0:1], s[0:1]
; %bb.443:
	v_div_scale_f64 v[112:113], s[2:3], v[102:103], v[102:103], 1.0
	v_rcp_f64_e32 v[114:115], v[112:113]
	v_div_scale_f64 v[116:117], vcc, 1.0, v[102:103], 1.0
	v_fma_f64 v[118:119], -v[112:113], v[114:115], 1.0
	v_fmac_f64_e32 v[114:115], v[114:115], v[118:119]
	v_fma_f64 v[118:119], -v[112:113], v[114:115], 1.0
	v_fmac_f64_e32 v[114:115], v[114:115], v[118:119]
	v_mul_f64 v[118:119], v[116:117], v[114:115]
	v_fma_f64 v[112:113], -v[112:113], v[118:119], v[116:117]
	v_div_fmas_f64 v[112:113], v[112:113], v[114:115], v[118:119]
	v_div_fixup_f64 v[102:103], v[112:113], v[102:103], 1.0
; %bb.444:
	s_or_b64 exec, exec, s[0:1]
	v_cmp_ne_u32_e32 vcc, v107, v104
	s_and_saveexec_b64 s[0:1], vcc
	s_xor_b64 s[0:1], exec, s[0:1]
	s_cbranch_execz .LBB96_450
; %bb.445:
	v_cmp_eq_u32_e32 vcc, 26, v107
	s_and_saveexec_b64 s[2:3], vcc
	s_cbranch_execz .LBB96_449
; %bb.446:
	v_cmp_ne_u32_e32 vcc, 26, v104
	s_xor_b64 s[14:15], s[6:7], -1
	s_and_b64 s[16:17], s[14:15], vcc
	s_and_saveexec_b64 s[14:15], s[16:17]
	s_cbranch_execz .LBB96_448
; %bb.447:
	v_ashrrev_i32_e32 v105, 31, v104
	v_lshlrev_b64 v[112:113], 2, v[104:105]
	v_add_co_u32_e32 v112, vcc, v4, v112
	v_addc_co_u32_e32 v113, vcc, v5, v113, vcc
	flat_load_dword v105, v[112:113]
	flat_load_dword v107, v[4:5] offset:104
	s_waitcnt vmcnt(0) lgkmcnt(0)
	flat_store_dword v[4:5], v105 offset:104
	flat_store_dword v[112:113], v107
.LBB96_448:
	s_or_b64 exec, exec, s[14:15]
	v_mov_b32_e32 v105, v104
	v_mov_b32_e32 v107, v104
.LBB96_449:
	s_or_b64 exec, exec, s[2:3]
.LBB96_450:
	s_andn2_saveexec_b64 s[0:1], s[0:1]
	s_cbranch_execz .LBB96_452
; %bb.451:
	v_mov_b32_e32 v107, 26
	ds_write2_b64 v106, v[44:45], v[42:43] offset0:27 offset1:28
	ds_write2_b64 v106, v[38:39], v[40:41] offset0:29 offset1:30
	;; [unrolled: 1-line block ×11, first 2 shown]
.LBB96_452:
	s_or_b64 exec, exec, s[0:1]
	v_cmp_lt_i32_e32 vcc, 26, v107
	s_waitcnt lgkmcnt(0)
	s_barrier
	s_and_saveexec_b64 s[0:1], vcc
	s_cbranch_execz .LBB96_454
; %bb.453:
	ds_read2_b64 v[112:115], v106 offset0:27 offset1:28
	ds_read2_b64 v[116:119], v106 offset0:29 offset1:30
	v_mul_f64 v[46:47], v[102:103], v[46:47]
	ds_read2_b64 v[120:123], v106 offset0:31 offset1:32
	s_waitcnt lgkmcnt(0)
	v_fma_f64 v[44:45], -v[46:47], v[112:113], v[44:45]
	v_fma_f64 v[42:43], -v[46:47], v[114:115], v[42:43]
	ds_read2_b64 v[112:115], v106 offset0:33 offset1:34
	v_fma_f64 v[38:39], -v[46:47], v[116:117], v[38:39]
	v_fma_f64 v[40:41], -v[46:47], v[118:119], v[40:41]
	ds_read2_b64 v[116:119], v106 offset0:35 offset1:36
	v_fma_f64 v[36:37], -v[46:47], v[120:121], v[36:37]
	v_fma_f64 v[34:35], -v[46:47], v[122:123], v[34:35]
	ds_read2_b64 v[120:123], v106 offset0:37 offset1:38
	s_waitcnt lgkmcnt(0)
	v_fma_f64 v[32:33], -v[46:47], v[112:113], v[32:33]
	v_fma_f64 v[30:31], -v[46:47], v[114:115], v[30:31]
	;; [unrolled: 1-line block ×3, first 2 shown]
	ds_read2_b64 v[112:115], v106 offset0:39 offset1:40
	v_fma_f64 v[26:27], -v[46:47], v[118:119], v[26:27]
	ds_read2_b64 v[116:119], v106 offset0:41 offset1:42
	v_fma_f64 v[24:25], -v[46:47], v[120:121], v[24:25]
	v_fma_f64 v[22:23], -v[46:47], v[122:123], v[22:23]
	s_waitcnt lgkmcnt(0)
	v_fma_f64 v[18:19], -v[46:47], v[112:113], v[18:19]
	v_fma_f64 v[20:21], -v[46:47], v[114:115], v[20:21]
	ds_read2_b64 v[112:115], v106 offset0:43 offset1:44
	ds_read2_b64 v[120:123], v106 offset0:45 offset1:46
	v_fma_f64 v[16:17], -v[46:47], v[116:117], v[16:17]
	v_fma_f64 v[14:15], -v[46:47], v[118:119], v[14:15]
	ds_read2_b64 v[116:119], v106 offset0:47 offset1:48
	s_waitcnt lgkmcnt(0)
	v_fma_f64 v[12:13], -v[46:47], v[112:113], v[12:13]
	v_fma_f64 v[10:11], -v[46:47], v[114:115], v[10:11]
	;; [unrolled: 1-line block ×6, first 2 shown]
.LBB96_454:
	s_or_b64 exec, exec, s[0:1]
	v_lshl_add_u32 v102, v107, 3, v106
	s_barrier
	ds_write_b64 v102, v[44:45]
	s_waitcnt lgkmcnt(0)
	s_barrier
	ds_read_b64 v[102:103], v106 offset:216
	s_cmp_lt_i32 s18, 29
	v_mov_b32_e32 v104, 27
	s_cbranch_scc1 .LBB96_457
; %bb.455:
	v_add_u32_e32 v111, 0xe0, v106
	s_mov_b32 s0, 28
	v_mov_b32_e32 v104, 27
.LBB96_456:                             ; =>This Inner Loop Header: Depth=1
	ds_read_b64 v[112:113], v111
	v_mov_b32_e32 v114, s0
	s_add_i32 s0, s0, 1
	v_add_u32_e32 v111, 8, v111
	s_cmp_lg_u32 s18, s0
	s_waitcnt lgkmcnt(0)
	v_cmp_lt_f64_e64 vcc, |v[102:103]|, |v[112:113]|
	v_cndmask_b32_e32 v103, v103, v113, vcc
	v_cndmask_b32_e32 v102, v102, v112, vcc
	;; [unrolled: 1-line block ×3, first 2 shown]
	s_cbranch_scc1 .LBB96_456
.LBB96_457:
	s_waitcnt lgkmcnt(0)
	v_cmp_eq_f64_e32 vcc, 0, v[102:103]
	s_and_saveexec_b64 s[0:1], vcc
	s_xor_b64 s[0:1], exec, s[0:1]
; %bb.458:
	v_cmp_ne_u32_e32 vcc, 0, v110
	v_cndmask_b32_e32 v110, 28, v110, vcc
; %bb.459:
	s_andn2_saveexec_b64 s[0:1], s[0:1]
; %bb.460:
	v_div_scale_f64 v[112:113], s[2:3], v[102:103], v[102:103], 1.0
	v_rcp_f64_e32 v[114:115], v[112:113]
	v_div_scale_f64 v[116:117], vcc, 1.0, v[102:103], 1.0
	v_fma_f64 v[118:119], -v[112:113], v[114:115], 1.0
	v_fmac_f64_e32 v[114:115], v[114:115], v[118:119]
	v_fma_f64 v[118:119], -v[112:113], v[114:115], 1.0
	v_fmac_f64_e32 v[114:115], v[114:115], v[118:119]
	v_mul_f64 v[118:119], v[116:117], v[114:115]
	v_fma_f64 v[112:113], -v[112:113], v[118:119], v[116:117]
	v_div_fmas_f64 v[112:113], v[112:113], v[114:115], v[118:119]
	v_div_fixup_f64 v[102:103], v[112:113], v[102:103], 1.0
; %bb.461:
	s_or_b64 exec, exec, s[0:1]
	v_cmp_ne_u32_e32 vcc, v107, v104
	s_and_saveexec_b64 s[0:1], vcc
	s_xor_b64 s[0:1], exec, s[0:1]
	s_cbranch_execz .LBB96_467
; %bb.462:
	v_cmp_eq_u32_e32 vcc, 27, v107
	s_and_saveexec_b64 s[2:3], vcc
	s_cbranch_execz .LBB96_466
; %bb.463:
	v_cmp_ne_u32_e32 vcc, 27, v104
	s_xor_b64 s[14:15], s[6:7], -1
	s_and_b64 s[16:17], s[14:15], vcc
	s_and_saveexec_b64 s[14:15], s[16:17]
	s_cbranch_execz .LBB96_465
; %bb.464:
	v_ashrrev_i32_e32 v105, 31, v104
	v_lshlrev_b64 v[112:113], 2, v[104:105]
	v_add_co_u32_e32 v112, vcc, v4, v112
	v_addc_co_u32_e32 v113, vcc, v5, v113, vcc
	flat_load_dword v105, v[112:113]
	flat_load_dword v107, v[4:5] offset:108
	s_waitcnt vmcnt(0) lgkmcnt(0)
	flat_store_dword v[4:5], v105 offset:108
	flat_store_dword v[112:113], v107
.LBB96_465:
	s_or_b64 exec, exec, s[14:15]
	v_mov_b32_e32 v105, v104
	v_mov_b32_e32 v107, v104
.LBB96_466:
	s_or_b64 exec, exec, s[2:3]
.LBB96_467:
	s_andn2_saveexec_b64 s[0:1], s[0:1]
	s_cbranch_execz .LBB96_469
; %bb.468:
	v_mov_b32_e32 v112, v42
	v_mov_b32_e32 v113, v43
	v_mov_b32_e32 v114, v38
	v_mov_b32_e32 v115, v39
	ds_write2_b64 v106, v[112:113], v[114:115] offset0:28 offset1:29
	v_mov_b32_e32 v112, v40
	v_mov_b32_e32 v113, v41
	v_mov_b32_e32 v114, v36
	v_mov_b32_e32 v115, v37
	ds_write2_b64 v106, v[112:113], v[114:115] offset0:30 offset1:31
	;; [unrolled: 5-line block ×9, first 2 shown]
	v_mov_b32_e32 v112, v6
	v_mov_b32_e32 v113, v7
	;; [unrolled: 1-line block ×5, first 2 shown]
	ds_write2_b64 v106, v[112:113], v[114:115] offset0:46 offset1:47
	ds_write_b64 v106, v[100:101] offset:384
.LBB96_469:
	s_or_b64 exec, exec, s[0:1]
	v_cmp_lt_i32_e32 vcc, 27, v107
	s_waitcnt lgkmcnt(0)
	s_barrier
	s_and_saveexec_b64 s[0:1], vcc
	s_cbranch_execz .LBB96_471
; %bb.470:
	ds_read2_b64 v[112:115], v106 offset0:28 offset1:29
	ds_read2_b64 v[116:119], v106 offset0:30 offset1:31
	v_mul_f64 v[44:45], v[102:103], v[44:45]
	ds_read2_b64 v[120:123], v106 offset0:32 offset1:33
	ds_read_b64 v[102:103], v106 offset:384
	s_waitcnt lgkmcnt(0)
	v_fma_f64 v[42:43], -v[44:45], v[112:113], v[42:43]
	v_fma_f64 v[38:39], -v[44:45], v[114:115], v[38:39]
	ds_read2_b64 v[112:115], v106 offset0:34 offset1:35
	v_fma_f64 v[40:41], -v[44:45], v[116:117], v[40:41]
	v_fma_f64 v[36:37], -v[44:45], v[118:119], v[36:37]
	;; [unrolled: 1-line block ×3, first 2 shown]
	ds_read2_b64 v[116:119], v106 offset0:36 offset1:37
	v_fma_f64 v[32:33], -v[44:45], v[122:123], v[32:33]
	ds_read2_b64 v[120:123], v106 offset0:38 offset1:39
	s_waitcnt lgkmcnt(0)
	v_fma_f64 v[30:31], -v[44:45], v[112:113], v[30:31]
	v_fma_f64 v[28:29], -v[44:45], v[114:115], v[28:29]
	ds_read2_b64 v[112:115], v106 offset0:40 offset1:41
	v_fma_f64 v[26:27], -v[44:45], v[116:117], v[26:27]
	v_fma_f64 v[24:25], -v[44:45], v[118:119], v[24:25]
	ds_read2_b64 v[116:119], v106 offset0:42 offset1:43
	v_fma_f64 v[22:23], -v[44:45], v[120:121], v[22:23]
	v_fma_f64 v[18:19], -v[44:45], v[122:123], v[18:19]
	s_waitcnt lgkmcnt(0)
	v_fma_f64 v[20:21], -v[44:45], v[112:113], v[20:21]
	v_fma_f64 v[16:17], -v[44:45], v[114:115], v[16:17]
	ds_read2_b64 v[112:115], v106 offset0:44 offset1:45
	ds_read2_b64 v[120:123], v106 offset0:46 offset1:47
	v_fma_f64 v[14:15], -v[44:45], v[116:117], v[14:15]
	v_fma_f64 v[12:13], -v[44:45], v[118:119], v[12:13]
	;; [unrolled: 1-line block ×3, first 2 shown]
	s_waitcnt lgkmcnt(0)
	v_fma_f64 v[10:11], -v[44:45], v[112:113], v[10:11]
	v_fma_f64 v[8:9], -v[44:45], v[114:115], v[8:9]
	;; [unrolled: 1-line block ×4, first 2 shown]
.LBB96_471:
	s_or_b64 exec, exec, s[0:1]
	v_lshl_add_u32 v102, v107, 3, v106
	s_barrier
	ds_write_b64 v102, v[42:43]
	s_waitcnt lgkmcnt(0)
	s_barrier
	ds_read_b64 v[102:103], v106 offset:224
	s_cmp_lt_i32 s18, 30
	v_mov_b32_e32 v104, 28
	s_cbranch_scc1 .LBB96_474
; %bb.472:
	v_add_u32_e32 v111, 0xe8, v106
	s_mov_b32 s0, 29
	v_mov_b32_e32 v104, 28
.LBB96_473:                             ; =>This Inner Loop Header: Depth=1
	ds_read_b64 v[112:113], v111
	v_mov_b32_e32 v114, s0
	s_add_i32 s0, s0, 1
	v_add_u32_e32 v111, 8, v111
	s_cmp_lg_u32 s18, s0
	s_waitcnt lgkmcnt(0)
	v_cmp_lt_f64_e64 vcc, |v[102:103]|, |v[112:113]|
	v_cndmask_b32_e32 v103, v103, v113, vcc
	v_cndmask_b32_e32 v102, v102, v112, vcc
	;; [unrolled: 1-line block ×3, first 2 shown]
	s_cbranch_scc1 .LBB96_473
.LBB96_474:
	s_waitcnt lgkmcnt(0)
	v_cmp_eq_f64_e32 vcc, 0, v[102:103]
	s_and_saveexec_b64 s[0:1], vcc
	s_xor_b64 s[0:1], exec, s[0:1]
; %bb.475:
	v_cmp_ne_u32_e32 vcc, 0, v110
	v_cndmask_b32_e32 v110, 29, v110, vcc
; %bb.476:
	s_andn2_saveexec_b64 s[0:1], s[0:1]
; %bb.477:
	v_div_scale_f64 v[112:113], s[2:3], v[102:103], v[102:103], 1.0
	v_rcp_f64_e32 v[114:115], v[112:113]
	v_div_scale_f64 v[116:117], vcc, 1.0, v[102:103], 1.0
	v_fma_f64 v[118:119], -v[112:113], v[114:115], 1.0
	v_fmac_f64_e32 v[114:115], v[114:115], v[118:119]
	v_fma_f64 v[118:119], -v[112:113], v[114:115], 1.0
	v_fmac_f64_e32 v[114:115], v[114:115], v[118:119]
	v_mul_f64 v[118:119], v[116:117], v[114:115]
	v_fma_f64 v[112:113], -v[112:113], v[118:119], v[116:117]
	v_div_fmas_f64 v[112:113], v[112:113], v[114:115], v[118:119]
	v_div_fixup_f64 v[102:103], v[112:113], v[102:103], 1.0
; %bb.478:
	s_or_b64 exec, exec, s[0:1]
	v_cmp_ne_u32_e32 vcc, v107, v104
	s_and_saveexec_b64 s[0:1], vcc
	s_xor_b64 s[0:1], exec, s[0:1]
	s_cbranch_execz .LBB96_484
; %bb.479:
	v_cmp_eq_u32_e32 vcc, 28, v107
	s_and_saveexec_b64 s[2:3], vcc
	s_cbranch_execz .LBB96_483
; %bb.480:
	v_cmp_ne_u32_e32 vcc, 28, v104
	s_xor_b64 s[14:15], s[6:7], -1
	s_and_b64 s[16:17], s[14:15], vcc
	s_and_saveexec_b64 s[14:15], s[16:17]
	s_cbranch_execz .LBB96_482
; %bb.481:
	v_ashrrev_i32_e32 v105, 31, v104
	v_lshlrev_b64 v[112:113], 2, v[104:105]
	v_add_co_u32_e32 v112, vcc, v4, v112
	v_addc_co_u32_e32 v113, vcc, v5, v113, vcc
	flat_load_dword v105, v[112:113]
	flat_load_dword v107, v[4:5] offset:112
	s_waitcnt vmcnt(0) lgkmcnt(0)
	flat_store_dword v[4:5], v105 offset:112
	flat_store_dword v[112:113], v107
.LBB96_482:
	s_or_b64 exec, exec, s[14:15]
	v_mov_b32_e32 v105, v104
	v_mov_b32_e32 v107, v104
.LBB96_483:
	s_or_b64 exec, exec, s[2:3]
.LBB96_484:
	s_andn2_saveexec_b64 s[0:1], s[0:1]
	s_cbranch_execz .LBB96_486
; %bb.485:
	v_mov_b32_e32 v107, 28
	ds_write2_b64 v106, v[38:39], v[40:41] offset0:29 offset1:30
	ds_write2_b64 v106, v[36:37], v[34:35] offset0:31 offset1:32
	;; [unrolled: 1-line block ×10, first 2 shown]
.LBB96_486:
	s_or_b64 exec, exec, s[0:1]
	v_cmp_lt_i32_e32 vcc, 28, v107
	s_waitcnt lgkmcnt(0)
	s_barrier
	s_and_saveexec_b64 s[0:1], vcc
	s_cbranch_execz .LBB96_488
; %bb.487:
	ds_read2_b64 v[112:115], v106 offset0:29 offset1:30
	ds_read2_b64 v[116:119], v106 offset0:31 offset1:32
	v_mul_f64 v[42:43], v[102:103], v[42:43]
	ds_read2_b64 v[120:123], v106 offset0:33 offset1:34
	s_waitcnt lgkmcnt(0)
	v_fma_f64 v[38:39], -v[42:43], v[112:113], v[38:39]
	v_fma_f64 v[40:41], -v[42:43], v[114:115], v[40:41]
	ds_read2_b64 v[112:115], v106 offset0:35 offset1:36
	v_fma_f64 v[36:37], -v[42:43], v[116:117], v[36:37]
	v_fma_f64 v[34:35], -v[42:43], v[118:119], v[34:35]
	;; [unrolled: 1-line block ×3, first 2 shown]
	ds_read2_b64 v[116:119], v106 offset0:37 offset1:38
	v_fma_f64 v[30:31], -v[42:43], v[122:123], v[30:31]
	ds_read2_b64 v[120:123], v106 offset0:39 offset1:40
	s_waitcnt lgkmcnt(0)
	v_fma_f64 v[28:29], -v[42:43], v[112:113], v[28:29]
	v_fma_f64 v[26:27], -v[42:43], v[114:115], v[26:27]
	ds_read2_b64 v[112:115], v106 offset0:41 offset1:42
	v_fma_f64 v[24:25], -v[42:43], v[116:117], v[24:25]
	v_fma_f64 v[22:23], -v[42:43], v[118:119], v[22:23]
	ds_read2_b64 v[116:119], v106 offset0:43 offset1:44
	v_fma_f64 v[18:19], -v[42:43], v[120:121], v[18:19]
	v_fma_f64 v[20:21], -v[42:43], v[122:123], v[20:21]
	s_waitcnt lgkmcnt(0)
	v_fma_f64 v[16:17], -v[42:43], v[112:113], v[16:17]
	ds_read2_b64 v[120:123], v106 offset0:45 offset1:46
	v_fma_f64 v[14:15], -v[42:43], v[114:115], v[14:15]
	ds_read2_b64 v[112:115], v106 offset0:47 offset1:48
	v_fma_f64 v[12:13], -v[42:43], v[116:117], v[12:13]
	v_fma_f64 v[10:11], -v[42:43], v[118:119], v[10:11]
	s_waitcnt lgkmcnt(0)
	v_fma_f64 v[8:9], -v[42:43], v[120:121], v[8:9]
	v_fma_f64 v[6:7], -v[42:43], v[122:123], v[6:7]
	;; [unrolled: 1-line block ×4, first 2 shown]
.LBB96_488:
	s_or_b64 exec, exec, s[0:1]
	v_lshl_add_u32 v102, v107, 3, v106
	s_barrier
	ds_write_b64 v102, v[38:39]
	s_waitcnt lgkmcnt(0)
	s_barrier
	ds_read_b64 v[102:103], v106 offset:232
	s_cmp_lt_i32 s18, 31
	v_mov_b32_e32 v104, 29
	s_cbranch_scc1 .LBB96_491
; %bb.489:
	v_add_u32_e32 v111, 0xf0, v106
	s_mov_b32 s0, 30
	v_mov_b32_e32 v104, 29
.LBB96_490:                             ; =>This Inner Loop Header: Depth=1
	ds_read_b64 v[112:113], v111
	v_mov_b32_e32 v114, s0
	s_add_i32 s0, s0, 1
	v_add_u32_e32 v111, 8, v111
	s_cmp_lg_u32 s18, s0
	s_waitcnt lgkmcnt(0)
	v_cmp_lt_f64_e64 vcc, |v[102:103]|, |v[112:113]|
	v_cndmask_b32_e32 v103, v103, v113, vcc
	v_cndmask_b32_e32 v102, v102, v112, vcc
	;; [unrolled: 1-line block ×3, first 2 shown]
	s_cbranch_scc1 .LBB96_490
.LBB96_491:
	s_waitcnt lgkmcnt(0)
	v_cmp_eq_f64_e32 vcc, 0, v[102:103]
	s_and_saveexec_b64 s[0:1], vcc
	s_xor_b64 s[0:1], exec, s[0:1]
; %bb.492:
	v_cmp_ne_u32_e32 vcc, 0, v110
	v_cndmask_b32_e32 v110, 30, v110, vcc
; %bb.493:
	s_andn2_saveexec_b64 s[0:1], s[0:1]
; %bb.494:
	v_div_scale_f64 v[112:113], s[2:3], v[102:103], v[102:103], 1.0
	v_rcp_f64_e32 v[114:115], v[112:113]
	v_div_scale_f64 v[116:117], vcc, 1.0, v[102:103], 1.0
	v_fma_f64 v[118:119], -v[112:113], v[114:115], 1.0
	v_fmac_f64_e32 v[114:115], v[114:115], v[118:119]
	v_fma_f64 v[118:119], -v[112:113], v[114:115], 1.0
	v_fmac_f64_e32 v[114:115], v[114:115], v[118:119]
	v_mul_f64 v[118:119], v[116:117], v[114:115]
	v_fma_f64 v[112:113], -v[112:113], v[118:119], v[116:117]
	v_div_fmas_f64 v[112:113], v[112:113], v[114:115], v[118:119]
	v_div_fixup_f64 v[102:103], v[112:113], v[102:103], 1.0
; %bb.495:
	s_or_b64 exec, exec, s[0:1]
	v_cmp_ne_u32_e32 vcc, v107, v104
	s_and_saveexec_b64 s[0:1], vcc
	s_xor_b64 s[0:1], exec, s[0:1]
	s_cbranch_execz .LBB96_501
; %bb.496:
	v_cmp_eq_u32_e32 vcc, 29, v107
	s_and_saveexec_b64 s[2:3], vcc
	s_cbranch_execz .LBB96_500
; %bb.497:
	v_cmp_ne_u32_e32 vcc, 29, v104
	s_xor_b64 s[14:15], s[6:7], -1
	s_and_b64 s[16:17], s[14:15], vcc
	s_and_saveexec_b64 s[14:15], s[16:17]
	s_cbranch_execz .LBB96_499
; %bb.498:
	v_ashrrev_i32_e32 v105, 31, v104
	v_lshlrev_b64 v[112:113], 2, v[104:105]
	v_add_co_u32_e32 v112, vcc, v4, v112
	v_addc_co_u32_e32 v113, vcc, v5, v113, vcc
	flat_load_dword v105, v[112:113]
	flat_load_dword v107, v[4:5] offset:116
	s_waitcnt vmcnt(0) lgkmcnt(0)
	flat_store_dword v[4:5], v105 offset:116
	flat_store_dword v[112:113], v107
.LBB96_499:
	s_or_b64 exec, exec, s[14:15]
	v_mov_b32_e32 v105, v104
	v_mov_b32_e32 v107, v104
.LBB96_500:
	s_or_b64 exec, exec, s[2:3]
.LBB96_501:
	s_andn2_saveexec_b64 s[0:1], s[0:1]
	s_cbranch_execz .LBB96_503
; %bb.502:
	v_mov_b32_e32 v112, v40
	v_mov_b32_e32 v113, v41
	v_mov_b32_e32 v114, v36
	v_mov_b32_e32 v115, v37
	ds_write2_b64 v106, v[112:113], v[114:115] offset0:30 offset1:31
	v_mov_b32_e32 v112, v34
	v_mov_b32_e32 v113, v35
	v_mov_b32_e32 v114, v32
	v_mov_b32_e32 v115, v33
	ds_write2_b64 v106, v[112:113], v[114:115] offset0:32 offset1:33
	;; [unrolled: 5-line block ×8, first 2 shown]
	v_mov_b32_e32 v112, v6
	v_mov_b32_e32 v113, v7
	;; [unrolled: 1-line block ×5, first 2 shown]
	ds_write2_b64 v106, v[112:113], v[114:115] offset0:46 offset1:47
	ds_write_b64 v106, v[100:101] offset:384
.LBB96_503:
	s_or_b64 exec, exec, s[0:1]
	v_cmp_lt_i32_e32 vcc, 29, v107
	s_waitcnt lgkmcnt(0)
	s_barrier
	s_and_saveexec_b64 s[0:1], vcc
	s_cbranch_execz .LBB96_505
; %bb.504:
	ds_read2_b64 v[112:115], v106 offset0:30 offset1:31
	ds_read2_b64 v[116:119], v106 offset0:32 offset1:33
	;; [unrolled: 1-line block ×3, first 2 shown]
	v_mul_f64 v[38:39], v[102:103], v[38:39]
	ds_read_b64 v[102:103], v106 offset:384
	s_waitcnt lgkmcnt(0)
	v_fma_f64 v[40:41], -v[38:39], v[112:113], v[40:41]
	v_fma_f64 v[36:37], -v[38:39], v[114:115], v[36:37]
	ds_read2_b64 v[112:115], v106 offset0:36 offset1:37
	v_fma_f64 v[34:35], -v[38:39], v[116:117], v[34:35]
	v_fma_f64 v[32:33], -v[38:39], v[118:119], v[32:33]
	;; [unrolled: 1-line block ×3, first 2 shown]
	ds_read2_b64 v[116:119], v106 offset0:38 offset1:39
	v_fma_f64 v[28:29], -v[38:39], v[122:123], v[28:29]
	ds_read2_b64 v[120:123], v106 offset0:40 offset1:41
	s_waitcnt lgkmcnt(0)
	v_fma_f64 v[26:27], -v[38:39], v[112:113], v[26:27]
	v_fma_f64 v[24:25], -v[38:39], v[114:115], v[24:25]
	;; [unrolled: 1-line block ×3, first 2 shown]
	ds_read2_b64 v[112:115], v106 offset0:42 offset1:43
	v_fma_f64 v[18:19], -v[38:39], v[118:119], v[18:19]
	ds_read2_b64 v[116:119], v106 offset0:44 offset1:45
	v_fma_f64 v[20:21], -v[38:39], v[120:121], v[20:21]
	v_fma_f64 v[16:17], -v[38:39], v[122:123], v[16:17]
	ds_read2_b64 v[120:123], v106 offset0:46 offset1:47
	s_waitcnt lgkmcnt(0)
	v_fma_f64 v[14:15], -v[38:39], v[112:113], v[14:15]
	v_fma_f64 v[12:13], -v[38:39], v[114:115], v[12:13]
	;; [unrolled: 1-line block ×7, first 2 shown]
.LBB96_505:
	s_or_b64 exec, exec, s[0:1]
	v_lshl_add_u32 v102, v107, 3, v106
	s_barrier
	ds_write_b64 v102, v[40:41]
	s_waitcnt lgkmcnt(0)
	s_barrier
	ds_read_b64 v[102:103], v106 offset:240
	s_cmp_lt_i32 s18, 32
	v_mov_b32_e32 v104, 30
	s_cbranch_scc1 .LBB96_508
; %bb.506:
	v_add_u32_e32 v111, 0xf8, v106
	s_mov_b32 s0, 31
	v_mov_b32_e32 v104, 30
.LBB96_507:                             ; =>This Inner Loop Header: Depth=1
	ds_read_b64 v[112:113], v111
	v_mov_b32_e32 v114, s0
	s_add_i32 s0, s0, 1
	v_add_u32_e32 v111, 8, v111
	s_cmp_lg_u32 s18, s0
	s_waitcnt lgkmcnt(0)
	v_cmp_lt_f64_e64 vcc, |v[102:103]|, |v[112:113]|
	v_cndmask_b32_e32 v103, v103, v113, vcc
	v_cndmask_b32_e32 v102, v102, v112, vcc
	;; [unrolled: 1-line block ×3, first 2 shown]
	s_cbranch_scc1 .LBB96_507
.LBB96_508:
	s_waitcnt lgkmcnt(0)
	v_cmp_eq_f64_e32 vcc, 0, v[102:103]
	s_and_saveexec_b64 s[0:1], vcc
	s_xor_b64 s[0:1], exec, s[0:1]
; %bb.509:
	v_cmp_ne_u32_e32 vcc, 0, v110
	v_cndmask_b32_e32 v110, 31, v110, vcc
; %bb.510:
	s_andn2_saveexec_b64 s[0:1], s[0:1]
; %bb.511:
	v_div_scale_f64 v[112:113], s[2:3], v[102:103], v[102:103], 1.0
	v_rcp_f64_e32 v[114:115], v[112:113]
	v_div_scale_f64 v[116:117], vcc, 1.0, v[102:103], 1.0
	v_fma_f64 v[118:119], -v[112:113], v[114:115], 1.0
	v_fmac_f64_e32 v[114:115], v[114:115], v[118:119]
	v_fma_f64 v[118:119], -v[112:113], v[114:115], 1.0
	v_fmac_f64_e32 v[114:115], v[114:115], v[118:119]
	v_mul_f64 v[118:119], v[116:117], v[114:115]
	v_fma_f64 v[112:113], -v[112:113], v[118:119], v[116:117]
	v_div_fmas_f64 v[112:113], v[112:113], v[114:115], v[118:119]
	v_div_fixup_f64 v[102:103], v[112:113], v[102:103], 1.0
; %bb.512:
	s_or_b64 exec, exec, s[0:1]
	v_cmp_ne_u32_e32 vcc, v107, v104
	s_and_saveexec_b64 s[0:1], vcc
	s_xor_b64 s[0:1], exec, s[0:1]
	s_cbranch_execz .LBB96_518
; %bb.513:
	v_cmp_eq_u32_e32 vcc, 30, v107
	s_and_saveexec_b64 s[2:3], vcc
	s_cbranch_execz .LBB96_517
; %bb.514:
	v_cmp_ne_u32_e32 vcc, 30, v104
	s_xor_b64 s[14:15], s[6:7], -1
	s_and_b64 s[16:17], s[14:15], vcc
	s_and_saveexec_b64 s[14:15], s[16:17]
	s_cbranch_execz .LBB96_516
; %bb.515:
	v_ashrrev_i32_e32 v105, 31, v104
	v_lshlrev_b64 v[112:113], 2, v[104:105]
	v_add_co_u32_e32 v112, vcc, v4, v112
	v_addc_co_u32_e32 v113, vcc, v5, v113, vcc
	flat_load_dword v105, v[112:113]
	flat_load_dword v107, v[4:5] offset:120
	s_waitcnt vmcnt(0) lgkmcnt(0)
	flat_store_dword v[4:5], v105 offset:120
	flat_store_dword v[112:113], v107
.LBB96_516:
	s_or_b64 exec, exec, s[14:15]
	v_mov_b32_e32 v105, v104
	v_mov_b32_e32 v107, v104
.LBB96_517:
	s_or_b64 exec, exec, s[2:3]
.LBB96_518:
	s_andn2_saveexec_b64 s[0:1], s[0:1]
	s_cbranch_execz .LBB96_520
; %bb.519:
	v_mov_b32_e32 v107, 30
	ds_write2_b64 v106, v[36:37], v[34:35] offset0:31 offset1:32
	ds_write2_b64 v106, v[32:33], v[30:31] offset0:33 offset1:34
	;; [unrolled: 1-line block ×9, first 2 shown]
.LBB96_520:
	s_or_b64 exec, exec, s[0:1]
	v_cmp_lt_i32_e32 vcc, 30, v107
	s_waitcnt lgkmcnt(0)
	s_barrier
	s_and_saveexec_b64 s[0:1], vcc
	s_cbranch_execz .LBB96_522
; %bb.521:
	ds_read2_b64 v[112:115], v106 offset0:31 offset1:32
	ds_read2_b64 v[116:119], v106 offset0:33 offset1:34
	;; [unrolled: 1-line block ×3, first 2 shown]
	v_mul_f64 v[40:41], v[102:103], v[40:41]
	s_waitcnt lgkmcnt(0)
	v_fma_f64 v[36:37], -v[40:41], v[112:113], v[36:37]
	v_fma_f64 v[34:35], -v[40:41], v[114:115], v[34:35]
	ds_read2_b64 v[112:115], v106 offset0:37 offset1:38
	v_fma_f64 v[32:33], -v[40:41], v[116:117], v[32:33]
	v_fma_f64 v[30:31], -v[40:41], v[118:119], v[30:31]
	;; [unrolled: 1-line block ×3, first 2 shown]
	ds_read2_b64 v[116:119], v106 offset0:39 offset1:40
	v_fma_f64 v[26:27], -v[40:41], v[122:123], v[26:27]
	ds_read2_b64 v[120:123], v106 offset0:41 offset1:42
	s_waitcnt lgkmcnt(0)
	v_fma_f64 v[24:25], -v[40:41], v[112:113], v[24:25]
	v_fma_f64 v[22:23], -v[40:41], v[114:115], v[22:23]
	;; [unrolled: 1-line block ×4, first 2 shown]
	ds_read2_b64 v[112:115], v106 offset0:43 offset1:44
	ds_read2_b64 v[116:119], v106 offset0:45 offset1:46
	v_fma_f64 v[16:17], -v[40:41], v[120:121], v[16:17]
	v_fma_f64 v[14:15], -v[40:41], v[122:123], v[14:15]
	ds_read2_b64 v[120:123], v106 offset0:47 offset1:48
	s_waitcnt lgkmcnt(0)
	v_fma_f64 v[12:13], -v[40:41], v[112:113], v[12:13]
	v_fma_f64 v[10:11], -v[40:41], v[114:115], v[10:11]
	;; [unrolled: 1-line block ×6, first 2 shown]
.LBB96_522:
	s_or_b64 exec, exec, s[0:1]
	v_lshl_add_u32 v102, v107, 3, v106
	s_barrier
	ds_write_b64 v102, v[36:37]
	s_waitcnt lgkmcnt(0)
	s_barrier
	ds_read_b64 v[102:103], v106 offset:248
	s_cmp_lt_i32 s18, 33
	v_mov_b32_e32 v104, 31
	s_cbranch_scc1 .LBB96_525
; %bb.523:
	v_add_u32_e32 v111, 0x100, v106
	s_mov_b32 s0, 32
	v_mov_b32_e32 v104, 31
.LBB96_524:                             ; =>This Inner Loop Header: Depth=1
	ds_read_b64 v[112:113], v111
	v_mov_b32_e32 v114, s0
	s_add_i32 s0, s0, 1
	v_add_u32_e32 v111, 8, v111
	s_cmp_lg_u32 s18, s0
	s_waitcnt lgkmcnt(0)
	v_cmp_lt_f64_e64 vcc, |v[102:103]|, |v[112:113]|
	v_cndmask_b32_e32 v103, v103, v113, vcc
	v_cndmask_b32_e32 v102, v102, v112, vcc
	;; [unrolled: 1-line block ×3, first 2 shown]
	s_cbranch_scc1 .LBB96_524
.LBB96_525:
	s_waitcnt lgkmcnt(0)
	v_cmp_eq_f64_e32 vcc, 0, v[102:103]
	s_and_saveexec_b64 s[0:1], vcc
	s_xor_b64 s[0:1], exec, s[0:1]
; %bb.526:
	v_cmp_ne_u32_e32 vcc, 0, v110
	v_cndmask_b32_e32 v110, 32, v110, vcc
; %bb.527:
	s_andn2_saveexec_b64 s[0:1], s[0:1]
; %bb.528:
	v_div_scale_f64 v[112:113], s[2:3], v[102:103], v[102:103], 1.0
	v_rcp_f64_e32 v[114:115], v[112:113]
	v_div_scale_f64 v[116:117], vcc, 1.0, v[102:103], 1.0
	v_fma_f64 v[118:119], -v[112:113], v[114:115], 1.0
	v_fmac_f64_e32 v[114:115], v[114:115], v[118:119]
	v_fma_f64 v[118:119], -v[112:113], v[114:115], 1.0
	v_fmac_f64_e32 v[114:115], v[114:115], v[118:119]
	v_mul_f64 v[118:119], v[116:117], v[114:115]
	v_fma_f64 v[112:113], -v[112:113], v[118:119], v[116:117]
	v_div_fmas_f64 v[112:113], v[112:113], v[114:115], v[118:119]
	v_div_fixup_f64 v[102:103], v[112:113], v[102:103], 1.0
; %bb.529:
	s_or_b64 exec, exec, s[0:1]
	v_cmp_ne_u32_e32 vcc, v107, v104
	s_and_saveexec_b64 s[0:1], vcc
	s_xor_b64 s[0:1], exec, s[0:1]
	s_cbranch_execz .LBB96_535
; %bb.530:
	v_cmp_eq_u32_e32 vcc, 31, v107
	s_and_saveexec_b64 s[2:3], vcc
	s_cbranch_execz .LBB96_534
; %bb.531:
	v_cmp_ne_u32_e32 vcc, 31, v104
	s_xor_b64 s[14:15], s[6:7], -1
	s_and_b64 s[16:17], s[14:15], vcc
	s_and_saveexec_b64 s[14:15], s[16:17]
	s_cbranch_execz .LBB96_533
; %bb.532:
	v_ashrrev_i32_e32 v105, 31, v104
	v_lshlrev_b64 v[112:113], 2, v[104:105]
	v_add_co_u32_e32 v112, vcc, v4, v112
	v_addc_co_u32_e32 v113, vcc, v5, v113, vcc
	flat_load_dword v105, v[112:113]
	flat_load_dword v107, v[4:5] offset:124
	s_waitcnt vmcnt(0) lgkmcnt(0)
	flat_store_dword v[4:5], v105 offset:124
	flat_store_dword v[112:113], v107
.LBB96_533:
	s_or_b64 exec, exec, s[14:15]
	v_mov_b32_e32 v105, v104
	v_mov_b32_e32 v107, v104
.LBB96_534:
	s_or_b64 exec, exec, s[2:3]
.LBB96_535:
	s_andn2_saveexec_b64 s[0:1], s[0:1]
	s_cbranch_execz .LBB96_537
; %bb.536:
	v_mov_b32_e32 v112, v34
	v_mov_b32_e32 v113, v35
	v_mov_b32_e32 v114, v32
	v_mov_b32_e32 v115, v33
	ds_write2_b64 v106, v[112:113], v[114:115] offset0:32 offset1:33
	v_mov_b32_e32 v112, v30
	v_mov_b32_e32 v113, v31
	v_mov_b32_e32 v114, v28
	v_mov_b32_e32 v115, v29
	ds_write2_b64 v106, v[112:113], v[114:115] offset0:34 offset1:35
	;; [unrolled: 5-line block ×7, first 2 shown]
	v_mov_b32_e32 v112, v6
	v_mov_b32_e32 v113, v7
	;; [unrolled: 1-line block ×5, first 2 shown]
	ds_write2_b64 v106, v[112:113], v[114:115] offset0:46 offset1:47
	ds_write_b64 v106, v[100:101] offset:384
.LBB96_537:
	s_or_b64 exec, exec, s[0:1]
	v_cmp_lt_i32_e32 vcc, 31, v107
	s_waitcnt lgkmcnt(0)
	s_barrier
	s_and_saveexec_b64 s[0:1], vcc
	s_cbranch_execz .LBB96_539
; %bb.538:
	ds_read2_b64 v[112:115], v106 offset0:32 offset1:33
	ds_read2_b64 v[116:119], v106 offset0:34 offset1:35
	v_mul_f64 v[36:37], v[102:103], v[36:37]
	ds_read2_b64 v[120:123], v106 offset0:36 offset1:37
	ds_read_b64 v[102:103], v106 offset:384
	s_waitcnt lgkmcnt(0)
	v_fma_f64 v[34:35], -v[36:37], v[112:113], v[34:35]
	v_fma_f64 v[32:33], -v[36:37], v[114:115], v[32:33]
	ds_read2_b64 v[112:115], v106 offset0:38 offset1:39
	v_fma_f64 v[30:31], -v[36:37], v[116:117], v[30:31]
	v_fma_f64 v[28:29], -v[36:37], v[118:119], v[28:29]
	ds_read2_b64 v[116:119], v106 offset0:40 offset1:41
	;; [unrolled: 3-line block ×3, first 2 shown]
	s_waitcnt lgkmcnt(0)
	v_fma_f64 v[22:23], -v[36:37], v[112:113], v[22:23]
	v_fma_f64 v[18:19], -v[36:37], v[114:115], v[18:19]
	;; [unrolled: 1-line block ×4, first 2 shown]
	ds_read2_b64 v[112:115], v106 offset0:44 offset1:45
	ds_read2_b64 v[116:119], v106 offset0:46 offset1:47
	v_fma_f64 v[14:15], -v[36:37], v[120:121], v[14:15]
	v_fma_f64 v[12:13], -v[36:37], v[122:123], v[12:13]
	;; [unrolled: 1-line block ×3, first 2 shown]
	s_waitcnt lgkmcnt(0)
	v_fma_f64 v[10:11], -v[36:37], v[112:113], v[10:11]
	v_fma_f64 v[8:9], -v[36:37], v[114:115], v[8:9]
	;; [unrolled: 1-line block ×4, first 2 shown]
.LBB96_539:
	s_or_b64 exec, exec, s[0:1]
	v_lshl_add_u32 v102, v107, 3, v106
	s_barrier
	ds_write_b64 v102, v[34:35]
	s_waitcnt lgkmcnt(0)
	s_barrier
	ds_read_b64 v[102:103], v106 offset:256
	s_cmp_lt_i32 s18, 34
	v_mov_b32_e32 v104, 32
	s_cbranch_scc1 .LBB96_542
; %bb.540:
	v_add_u32_e32 v111, 0x108, v106
	s_mov_b32 s0, 33
	v_mov_b32_e32 v104, 32
.LBB96_541:                             ; =>This Inner Loop Header: Depth=1
	ds_read_b64 v[112:113], v111
	v_mov_b32_e32 v114, s0
	s_add_i32 s0, s0, 1
	v_add_u32_e32 v111, 8, v111
	s_cmp_lg_u32 s18, s0
	s_waitcnt lgkmcnt(0)
	v_cmp_lt_f64_e64 vcc, |v[102:103]|, |v[112:113]|
	v_cndmask_b32_e32 v103, v103, v113, vcc
	v_cndmask_b32_e32 v102, v102, v112, vcc
	;; [unrolled: 1-line block ×3, first 2 shown]
	s_cbranch_scc1 .LBB96_541
.LBB96_542:
	s_waitcnt lgkmcnt(0)
	v_cmp_eq_f64_e32 vcc, 0, v[102:103]
	s_and_saveexec_b64 s[0:1], vcc
	s_xor_b64 s[0:1], exec, s[0:1]
; %bb.543:
	v_cmp_ne_u32_e32 vcc, 0, v110
	v_cndmask_b32_e32 v110, 33, v110, vcc
; %bb.544:
	s_andn2_saveexec_b64 s[0:1], s[0:1]
; %bb.545:
	v_div_scale_f64 v[112:113], s[2:3], v[102:103], v[102:103], 1.0
	v_rcp_f64_e32 v[114:115], v[112:113]
	v_div_scale_f64 v[116:117], vcc, 1.0, v[102:103], 1.0
	v_fma_f64 v[118:119], -v[112:113], v[114:115], 1.0
	v_fmac_f64_e32 v[114:115], v[114:115], v[118:119]
	v_fma_f64 v[118:119], -v[112:113], v[114:115], 1.0
	v_fmac_f64_e32 v[114:115], v[114:115], v[118:119]
	v_mul_f64 v[118:119], v[116:117], v[114:115]
	v_fma_f64 v[112:113], -v[112:113], v[118:119], v[116:117]
	v_div_fmas_f64 v[112:113], v[112:113], v[114:115], v[118:119]
	v_div_fixup_f64 v[102:103], v[112:113], v[102:103], 1.0
; %bb.546:
	s_or_b64 exec, exec, s[0:1]
	v_cmp_ne_u32_e32 vcc, v107, v104
	s_and_saveexec_b64 s[0:1], vcc
	s_xor_b64 s[0:1], exec, s[0:1]
	s_cbranch_execz .LBB96_552
; %bb.547:
	v_cmp_eq_u32_e32 vcc, 32, v107
	s_and_saveexec_b64 s[2:3], vcc
	s_cbranch_execz .LBB96_551
; %bb.548:
	v_cmp_ne_u32_e32 vcc, 32, v104
	s_xor_b64 s[14:15], s[6:7], -1
	s_and_b64 s[16:17], s[14:15], vcc
	s_and_saveexec_b64 s[14:15], s[16:17]
	s_cbranch_execz .LBB96_550
; %bb.549:
	v_ashrrev_i32_e32 v105, 31, v104
	v_lshlrev_b64 v[112:113], 2, v[104:105]
	v_add_co_u32_e32 v112, vcc, v4, v112
	v_addc_co_u32_e32 v113, vcc, v5, v113, vcc
	flat_load_dword v105, v[112:113]
	flat_load_dword v107, v[4:5] offset:128
	s_waitcnt vmcnt(0) lgkmcnt(0)
	flat_store_dword v[4:5], v105 offset:128
	flat_store_dword v[112:113], v107
.LBB96_550:
	s_or_b64 exec, exec, s[14:15]
	v_mov_b32_e32 v105, v104
	v_mov_b32_e32 v107, v104
.LBB96_551:
	s_or_b64 exec, exec, s[2:3]
.LBB96_552:
	s_andn2_saveexec_b64 s[0:1], s[0:1]
	s_cbranch_execz .LBB96_554
; %bb.553:
	v_mov_b32_e32 v107, 32
	ds_write2_b64 v106, v[32:33], v[30:31] offset0:33 offset1:34
	ds_write2_b64 v106, v[28:29], v[26:27] offset0:35 offset1:36
	;; [unrolled: 1-line block ×8, first 2 shown]
.LBB96_554:
	s_or_b64 exec, exec, s[0:1]
	v_cmp_lt_i32_e32 vcc, 32, v107
	s_waitcnt lgkmcnt(0)
	s_barrier
	s_and_saveexec_b64 s[0:1], vcc
	s_cbranch_execz .LBB96_556
; %bb.555:
	ds_read2_b64 v[112:115], v106 offset0:33 offset1:34
	ds_read2_b64 v[116:119], v106 offset0:35 offset1:36
	v_mul_f64 v[34:35], v[102:103], v[34:35]
	ds_read2_b64 v[120:123], v106 offset0:37 offset1:38
	s_waitcnt lgkmcnt(0)
	v_fma_f64 v[32:33], -v[34:35], v[112:113], v[32:33]
	v_fma_f64 v[30:31], -v[34:35], v[114:115], v[30:31]
	ds_read2_b64 v[112:115], v106 offset0:39 offset1:40
	v_fma_f64 v[28:29], -v[34:35], v[116:117], v[28:29]
	v_fma_f64 v[26:27], -v[34:35], v[118:119], v[26:27]
	ds_read2_b64 v[116:119], v106 offset0:41 offset1:42
	v_fma_f64 v[24:25], -v[34:35], v[120:121], v[24:25]
	v_fma_f64 v[22:23], -v[34:35], v[122:123], v[22:23]
	s_waitcnt lgkmcnt(0)
	v_fma_f64 v[18:19], -v[34:35], v[112:113], v[18:19]
	v_fma_f64 v[20:21], -v[34:35], v[114:115], v[20:21]
	ds_read2_b64 v[112:115], v106 offset0:43 offset1:44
	v_fma_f64 v[16:17], -v[34:35], v[116:117], v[16:17]
	ds_read2_b64 v[120:123], v106 offset0:45 offset1:46
	;; [unrolled: 2-line block ×3, first 2 shown]
	s_waitcnt lgkmcnt(0)
	v_fma_f64 v[12:13], -v[34:35], v[112:113], v[12:13]
	v_fma_f64 v[10:11], -v[34:35], v[114:115], v[10:11]
	;; [unrolled: 1-line block ×6, first 2 shown]
.LBB96_556:
	s_or_b64 exec, exec, s[0:1]
	v_lshl_add_u32 v102, v107, 3, v106
	s_barrier
	ds_write_b64 v102, v[32:33]
	s_waitcnt lgkmcnt(0)
	s_barrier
	ds_read_b64 v[102:103], v106 offset:264
	s_cmp_lt_i32 s18, 35
	v_mov_b32_e32 v104, 33
	s_cbranch_scc1 .LBB96_559
; %bb.557:
	v_add_u32_e32 v111, 0x110, v106
	s_mov_b32 s0, 34
	v_mov_b32_e32 v104, 33
.LBB96_558:                             ; =>This Inner Loop Header: Depth=1
	ds_read_b64 v[112:113], v111
	v_mov_b32_e32 v114, s0
	s_add_i32 s0, s0, 1
	v_add_u32_e32 v111, 8, v111
	s_cmp_lg_u32 s18, s0
	s_waitcnt lgkmcnt(0)
	v_cmp_lt_f64_e64 vcc, |v[102:103]|, |v[112:113]|
	v_cndmask_b32_e32 v103, v103, v113, vcc
	v_cndmask_b32_e32 v102, v102, v112, vcc
	v_cndmask_b32_e32 v104, v104, v114, vcc
	s_cbranch_scc1 .LBB96_558
.LBB96_559:
	s_waitcnt lgkmcnt(0)
	v_cmp_eq_f64_e32 vcc, 0, v[102:103]
	s_and_saveexec_b64 s[0:1], vcc
	s_xor_b64 s[0:1], exec, s[0:1]
; %bb.560:
	v_cmp_ne_u32_e32 vcc, 0, v110
	v_cndmask_b32_e32 v110, 34, v110, vcc
; %bb.561:
	s_andn2_saveexec_b64 s[0:1], s[0:1]
; %bb.562:
	v_div_scale_f64 v[112:113], s[2:3], v[102:103], v[102:103], 1.0
	v_rcp_f64_e32 v[114:115], v[112:113]
	v_div_scale_f64 v[116:117], vcc, 1.0, v[102:103], 1.0
	v_fma_f64 v[118:119], -v[112:113], v[114:115], 1.0
	v_fmac_f64_e32 v[114:115], v[114:115], v[118:119]
	v_fma_f64 v[118:119], -v[112:113], v[114:115], 1.0
	v_fmac_f64_e32 v[114:115], v[114:115], v[118:119]
	v_mul_f64 v[118:119], v[116:117], v[114:115]
	v_fma_f64 v[112:113], -v[112:113], v[118:119], v[116:117]
	v_div_fmas_f64 v[112:113], v[112:113], v[114:115], v[118:119]
	v_div_fixup_f64 v[102:103], v[112:113], v[102:103], 1.0
; %bb.563:
	s_or_b64 exec, exec, s[0:1]
	v_cmp_ne_u32_e32 vcc, v107, v104
	s_and_saveexec_b64 s[0:1], vcc
	s_xor_b64 s[0:1], exec, s[0:1]
	s_cbranch_execz .LBB96_569
; %bb.564:
	v_cmp_eq_u32_e32 vcc, 33, v107
	s_and_saveexec_b64 s[2:3], vcc
	s_cbranch_execz .LBB96_568
; %bb.565:
	v_cmp_ne_u32_e32 vcc, 33, v104
	s_xor_b64 s[14:15], s[6:7], -1
	s_and_b64 s[16:17], s[14:15], vcc
	s_and_saveexec_b64 s[14:15], s[16:17]
	s_cbranch_execz .LBB96_567
; %bb.566:
	v_ashrrev_i32_e32 v105, 31, v104
	v_lshlrev_b64 v[112:113], 2, v[104:105]
	v_add_co_u32_e32 v112, vcc, v4, v112
	v_addc_co_u32_e32 v113, vcc, v5, v113, vcc
	flat_load_dword v105, v[112:113]
	flat_load_dword v107, v[4:5] offset:132
	s_waitcnt vmcnt(0) lgkmcnt(0)
	flat_store_dword v[4:5], v105 offset:132
	flat_store_dword v[112:113], v107
.LBB96_567:
	s_or_b64 exec, exec, s[14:15]
	v_mov_b32_e32 v105, v104
	v_mov_b32_e32 v107, v104
.LBB96_568:
	s_or_b64 exec, exec, s[2:3]
.LBB96_569:
	s_andn2_saveexec_b64 s[0:1], s[0:1]
	s_cbranch_execz .LBB96_571
; %bb.570:
	v_mov_b32_e32 v112, v30
	v_mov_b32_e32 v113, v31
	v_mov_b32_e32 v114, v28
	v_mov_b32_e32 v115, v29
	ds_write2_b64 v106, v[112:113], v[114:115] offset0:34 offset1:35
	v_mov_b32_e32 v112, v26
	v_mov_b32_e32 v113, v27
	v_mov_b32_e32 v114, v24
	v_mov_b32_e32 v115, v25
	ds_write2_b64 v106, v[112:113], v[114:115] offset0:36 offset1:37
	;; [unrolled: 5-line block ×6, first 2 shown]
	v_mov_b32_e32 v112, v6
	v_mov_b32_e32 v113, v7
	;; [unrolled: 1-line block ×5, first 2 shown]
	ds_write2_b64 v106, v[112:113], v[114:115] offset0:46 offset1:47
	ds_write_b64 v106, v[100:101] offset:384
.LBB96_571:
	s_or_b64 exec, exec, s[0:1]
	v_cmp_lt_i32_e32 vcc, 33, v107
	s_waitcnt lgkmcnt(0)
	s_barrier
	s_and_saveexec_b64 s[0:1], vcc
	s_cbranch_execz .LBB96_573
; %bb.572:
	ds_read2_b64 v[112:115], v106 offset0:34 offset1:35
	ds_read2_b64 v[116:119], v106 offset0:36 offset1:37
	v_mul_f64 v[32:33], v[102:103], v[32:33]
	ds_read2_b64 v[120:123], v106 offset0:38 offset1:39
	ds_read_b64 v[102:103], v106 offset:384
	s_waitcnt lgkmcnt(0)
	v_fma_f64 v[30:31], -v[32:33], v[112:113], v[30:31]
	v_fma_f64 v[28:29], -v[32:33], v[114:115], v[28:29]
	ds_read2_b64 v[112:115], v106 offset0:40 offset1:41
	v_fma_f64 v[26:27], -v[32:33], v[116:117], v[26:27]
	v_fma_f64 v[24:25], -v[32:33], v[118:119], v[24:25]
	;; [unrolled: 1-line block ×3, first 2 shown]
	ds_read2_b64 v[116:119], v106 offset0:42 offset1:43
	v_fma_f64 v[18:19], -v[32:33], v[122:123], v[18:19]
	s_waitcnt lgkmcnt(0)
	v_fma_f64 v[20:21], -v[32:33], v[112:113], v[20:21]
	v_fma_f64 v[16:17], -v[32:33], v[114:115], v[16:17]
	ds_read2_b64 v[112:115], v106 offset0:44 offset1:45
	ds_read2_b64 v[120:123], v106 offset0:46 offset1:47
	v_fma_f64 v[14:15], -v[32:33], v[116:117], v[14:15]
	v_fma_f64 v[12:13], -v[32:33], v[118:119], v[12:13]
	;; [unrolled: 1-line block ×3, first 2 shown]
	s_waitcnt lgkmcnt(0)
	v_fma_f64 v[10:11], -v[32:33], v[112:113], v[10:11]
	v_fma_f64 v[8:9], -v[32:33], v[114:115], v[8:9]
	;; [unrolled: 1-line block ×4, first 2 shown]
.LBB96_573:
	s_or_b64 exec, exec, s[0:1]
	v_lshl_add_u32 v102, v107, 3, v106
	s_barrier
	ds_write_b64 v102, v[30:31]
	s_waitcnt lgkmcnt(0)
	s_barrier
	ds_read_b64 v[102:103], v106 offset:272
	s_cmp_lt_i32 s18, 36
	v_mov_b32_e32 v104, 34
	s_cbranch_scc1 .LBB96_576
; %bb.574:
	v_add_u32_e32 v111, 0x118, v106
	s_mov_b32 s0, 35
	v_mov_b32_e32 v104, 34
.LBB96_575:                             ; =>This Inner Loop Header: Depth=1
	ds_read_b64 v[112:113], v111
	v_mov_b32_e32 v114, s0
	s_add_i32 s0, s0, 1
	v_add_u32_e32 v111, 8, v111
	s_cmp_lg_u32 s18, s0
	s_waitcnt lgkmcnt(0)
	v_cmp_lt_f64_e64 vcc, |v[102:103]|, |v[112:113]|
	v_cndmask_b32_e32 v103, v103, v113, vcc
	v_cndmask_b32_e32 v102, v102, v112, vcc
	;; [unrolled: 1-line block ×3, first 2 shown]
	s_cbranch_scc1 .LBB96_575
.LBB96_576:
	s_waitcnt lgkmcnt(0)
	v_cmp_eq_f64_e32 vcc, 0, v[102:103]
	s_and_saveexec_b64 s[0:1], vcc
	s_xor_b64 s[0:1], exec, s[0:1]
; %bb.577:
	v_cmp_ne_u32_e32 vcc, 0, v110
	v_cndmask_b32_e32 v110, 35, v110, vcc
; %bb.578:
	s_andn2_saveexec_b64 s[0:1], s[0:1]
; %bb.579:
	v_div_scale_f64 v[112:113], s[2:3], v[102:103], v[102:103], 1.0
	v_rcp_f64_e32 v[114:115], v[112:113]
	v_div_scale_f64 v[116:117], vcc, 1.0, v[102:103], 1.0
	v_fma_f64 v[118:119], -v[112:113], v[114:115], 1.0
	v_fmac_f64_e32 v[114:115], v[114:115], v[118:119]
	v_fma_f64 v[118:119], -v[112:113], v[114:115], 1.0
	v_fmac_f64_e32 v[114:115], v[114:115], v[118:119]
	v_mul_f64 v[118:119], v[116:117], v[114:115]
	v_fma_f64 v[112:113], -v[112:113], v[118:119], v[116:117]
	v_div_fmas_f64 v[112:113], v[112:113], v[114:115], v[118:119]
	v_div_fixup_f64 v[102:103], v[112:113], v[102:103], 1.0
; %bb.580:
	s_or_b64 exec, exec, s[0:1]
	v_cmp_ne_u32_e32 vcc, v107, v104
	s_and_saveexec_b64 s[0:1], vcc
	s_xor_b64 s[0:1], exec, s[0:1]
	s_cbranch_execz .LBB96_586
; %bb.581:
	v_cmp_eq_u32_e32 vcc, 34, v107
	s_and_saveexec_b64 s[2:3], vcc
	s_cbranch_execz .LBB96_585
; %bb.582:
	v_cmp_ne_u32_e32 vcc, 34, v104
	s_xor_b64 s[14:15], s[6:7], -1
	s_and_b64 s[16:17], s[14:15], vcc
	s_and_saveexec_b64 s[14:15], s[16:17]
	s_cbranch_execz .LBB96_584
; %bb.583:
	v_ashrrev_i32_e32 v105, 31, v104
	v_lshlrev_b64 v[112:113], 2, v[104:105]
	v_add_co_u32_e32 v112, vcc, v4, v112
	v_addc_co_u32_e32 v113, vcc, v5, v113, vcc
	flat_load_dword v105, v[112:113]
	flat_load_dword v107, v[4:5] offset:136
	s_waitcnt vmcnt(0) lgkmcnt(0)
	flat_store_dword v[4:5], v105 offset:136
	flat_store_dword v[112:113], v107
.LBB96_584:
	s_or_b64 exec, exec, s[14:15]
	v_mov_b32_e32 v105, v104
	v_mov_b32_e32 v107, v104
.LBB96_585:
	s_or_b64 exec, exec, s[2:3]
.LBB96_586:
	s_andn2_saveexec_b64 s[0:1], s[0:1]
	s_cbranch_execz .LBB96_588
; %bb.587:
	v_mov_b32_e32 v107, 34
	ds_write2_b64 v106, v[28:29], v[26:27] offset0:35 offset1:36
	ds_write2_b64 v106, v[24:25], v[22:23] offset0:37 offset1:38
	;; [unrolled: 1-line block ×7, first 2 shown]
.LBB96_588:
	s_or_b64 exec, exec, s[0:1]
	v_cmp_lt_i32_e32 vcc, 34, v107
	s_waitcnt lgkmcnt(0)
	s_barrier
	s_and_saveexec_b64 s[0:1], vcc
	s_cbranch_execz .LBB96_590
; %bb.589:
	ds_read2_b64 v[112:115], v106 offset0:35 offset1:36
	ds_read2_b64 v[116:119], v106 offset0:37 offset1:38
	v_mul_f64 v[30:31], v[102:103], v[30:31]
	ds_read2_b64 v[120:123], v106 offset0:39 offset1:40
	s_waitcnt lgkmcnt(0)
	v_fma_f64 v[28:29], -v[30:31], v[112:113], v[28:29]
	v_fma_f64 v[26:27], -v[30:31], v[114:115], v[26:27]
	ds_read2_b64 v[112:115], v106 offset0:41 offset1:42
	v_fma_f64 v[24:25], -v[30:31], v[116:117], v[24:25]
	v_fma_f64 v[22:23], -v[30:31], v[118:119], v[22:23]
	;; [unrolled: 1-line block ×4, first 2 shown]
	ds_read2_b64 v[116:119], v106 offset0:43 offset1:44
	ds_read2_b64 v[120:123], v106 offset0:45 offset1:46
	s_waitcnt lgkmcnt(0)
	v_fma_f64 v[16:17], -v[30:31], v[112:113], v[16:17]
	v_fma_f64 v[14:15], -v[30:31], v[114:115], v[14:15]
	ds_read2_b64 v[112:115], v106 offset0:47 offset1:48
	v_fma_f64 v[12:13], -v[30:31], v[116:117], v[12:13]
	v_fma_f64 v[10:11], -v[30:31], v[118:119], v[10:11]
	;; [unrolled: 1-line block ×4, first 2 shown]
	s_waitcnt lgkmcnt(0)
	v_fma_f64 v[0:1], -v[30:31], v[112:113], v[0:1]
	v_fma_f64 v[100:101], -v[30:31], v[114:115], v[100:101]
.LBB96_590:
	s_or_b64 exec, exec, s[0:1]
	v_lshl_add_u32 v102, v107, 3, v106
	s_barrier
	ds_write_b64 v102, v[28:29]
	s_waitcnt lgkmcnt(0)
	s_barrier
	ds_read_b64 v[102:103], v106 offset:280
	s_cmp_lt_i32 s18, 37
	v_mov_b32_e32 v104, 35
	s_cbranch_scc1 .LBB96_593
; %bb.591:
	v_add_u32_e32 v111, 0x120, v106
	s_mov_b32 s0, 36
	v_mov_b32_e32 v104, 35
.LBB96_592:                             ; =>This Inner Loop Header: Depth=1
	ds_read_b64 v[112:113], v111
	v_mov_b32_e32 v114, s0
	s_add_i32 s0, s0, 1
	v_add_u32_e32 v111, 8, v111
	s_cmp_lg_u32 s18, s0
	s_waitcnt lgkmcnt(0)
	v_cmp_lt_f64_e64 vcc, |v[102:103]|, |v[112:113]|
	v_cndmask_b32_e32 v103, v103, v113, vcc
	v_cndmask_b32_e32 v102, v102, v112, vcc
	;; [unrolled: 1-line block ×3, first 2 shown]
	s_cbranch_scc1 .LBB96_592
.LBB96_593:
	s_waitcnt lgkmcnt(0)
	v_cmp_eq_f64_e32 vcc, 0, v[102:103]
	s_and_saveexec_b64 s[0:1], vcc
	s_xor_b64 s[0:1], exec, s[0:1]
; %bb.594:
	v_cmp_ne_u32_e32 vcc, 0, v110
	v_cndmask_b32_e32 v110, 36, v110, vcc
; %bb.595:
	s_andn2_saveexec_b64 s[0:1], s[0:1]
; %bb.596:
	v_div_scale_f64 v[112:113], s[2:3], v[102:103], v[102:103], 1.0
	v_rcp_f64_e32 v[114:115], v[112:113]
	v_div_scale_f64 v[116:117], vcc, 1.0, v[102:103], 1.0
	v_fma_f64 v[118:119], -v[112:113], v[114:115], 1.0
	v_fmac_f64_e32 v[114:115], v[114:115], v[118:119]
	v_fma_f64 v[118:119], -v[112:113], v[114:115], 1.0
	v_fmac_f64_e32 v[114:115], v[114:115], v[118:119]
	v_mul_f64 v[118:119], v[116:117], v[114:115]
	v_fma_f64 v[112:113], -v[112:113], v[118:119], v[116:117]
	v_div_fmas_f64 v[112:113], v[112:113], v[114:115], v[118:119]
	v_div_fixup_f64 v[102:103], v[112:113], v[102:103], 1.0
; %bb.597:
	s_or_b64 exec, exec, s[0:1]
	v_cmp_ne_u32_e32 vcc, v107, v104
	s_and_saveexec_b64 s[0:1], vcc
	s_xor_b64 s[0:1], exec, s[0:1]
	s_cbranch_execz .LBB96_603
; %bb.598:
	v_cmp_eq_u32_e32 vcc, 35, v107
	s_and_saveexec_b64 s[2:3], vcc
	s_cbranch_execz .LBB96_602
; %bb.599:
	v_cmp_ne_u32_e32 vcc, 35, v104
	s_xor_b64 s[14:15], s[6:7], -1
	s_and_b64 s[16:17], s[14:15], vcc
	s_and_saveexec_b64 s[14:15], s[16:17]
	s_cbranch_execz .LBB96_601
; %bb.600:
	v_ashrrev_i32_e32 v105, 31, v104
	v_lshlrev_b64 v[112:113], 2, v[104:105]
	v_add_co_u32_e32 v112, vcc, v4, v112
	v_addc_co_u32_e32 v113, vcc, v5, v113, vcc
	flat_load_dword v105, v[112:113]
	flat_load_dword v107, v[4:5] offset:140
	s_waitcnt vmcnt(0) lgkmcnt(0)
	flat_store_dword v[4:5], v105 offset:140
	flat_store_dword v[112:113], v107
.LBB96_601:
	s_or_b64 exec, exec, s[14:15]
	v_mov_b32_e32 v105, v104
	v_mov_b32_e32 v107, v104
.LBB96_602:
	s_or_b64 exec, exec, s[2:3]
.LBB96_603:
	s_andn2_saveexec_b64 s[0:1], s[0:1]
	s_cbranch_execz .LBB96_605
; %bb.604:
	v_mov_b32_e32 v112, v26
	v_mov_b32_e32 v113, v27
	v_mov_b32_e32 v114, v24
	v_mov_b32_e32 v115, v25
	ds_write2_b64 v106, v[112:113], v[114:115] offset0:36 offset1:37
	v_mov_b32_e32 v112, v22
	v_mov_b32_e32 v113, v23
	v_mov_b32_e32 v114, v18
	v_mov_b32_e32 v115, v19
	ds_write2_b64 v106, v[112:113], v[114:115] offset0:38 offset1:39
	v_mov_b32_e32 v112, v20
	v_mov_b32_e32 v113, v21
	v_mov_b32_e32 v114, v16
	v_mov_b32_e32 v115, v17
	ds_write2_b64 v106, v[112:113], v[114:115] offset0:40 offset1:41
	v_mov_b32_e32 v112, v14
	v_mov_b32_e32 v113, v15
	v_mov_b32_e32 v114, v12
	v_mov_b32_e32 v115, v13
	ds_write2_b64 v106, v[112:113], v[114:115] offset0:42 offset1:43
	v_mov_b32_e32 v112, v10
	v_mov_b32_e32 v113, v11
	v_mov_b32_e32 v114, v8
	v_mov_b32_e32 v115, v9
	ds_write2_b64 v106, v[112:113], v[114:115] offset0:44 offset1:45
	v_mov_b32_e32 v112, v6
	v_mov_b32_e32 v113, v7
	v_mov_b32_e32 v114, v0
	v_mov_b32_e32 v115, v1
	v_mov_b32_e32 v107, 35
	ds_write2_b64 v106, v[112:113], v[114:115] offset0:46 offset1:47
	ds_write_b64 v106, v[100:101] offset:384
.LBB96_605:
	s_or_b64 exec, exec, s[0:1]
	v_cmp_lt_i32_e32 vcc, 35, v107
	s_waitcnt lgkmcnt(0)
	s_barrier
	s_and_saveexec_b64 s[0:1], vcc
	s_cbranch_execz .LBB96_607
; %bb.606:
	ds_read2_b64 v[112:115], v106 offset0:36 offset1:37
	ds_read2_b64 v[116:119], v106 offset0:38 offset1:39
	;; [unrolled: 1-line block ×3, first 2 shown]
	v_mul_f64 v[28:29], v[102:103], v[28:29]
	ds_read_b64 v[102:103], v106 offset:384
	s_waitcnt lgkmcnt(0)
	v_fma_f64 v[26:27], -v[28:29], v[112:113], v[26:27]
	v_fma_f64 v[24:25], -v[28:29], v[114:115], v[24:25]
	ds_read2_b64 v[112:115], v106 offset0:42 offset1:43
	v_fma_f64 v[22:23], -v[28:29], v[116:117], v[22:23]
	v_fma_f64 v[18:19], -v[28:29], v[118:119], v[18:19]
	;; [unrolled: 1-line block ×4, first 2 shown]
	ds_read2_b64 v[116:119], v106 offset0:44 offset1:45
	ds_read2_b64 v[120:123], v106 offset0:46 offset1:47
	s_waitcnt lgkmcnt(0)
	v_fma_f64 v[14:15], -v[28:29], v[112:113], v[14:15]
	v_fma_f64 v[12:13], -v[28:29], v[114:115], v[12:13]
	;; [unrolled: 1-line block ×7, first 2 shown]
.LBB96_607:
	s_or_b64 exec, exec, s[0:1]
	v_lshl_add_u32 v102, v107, 3, v106
	s_barrier
	ds_write_b64 v102, v[26:27]
	s_waitcnt lgkmcnt(0)
	s_barrier
	ds_read_b64 v[102:103], v106 offset:288
	s_cmp_lt_i32 s18, 38
	v_mov_b32_e32 v104, 36
	s_cbranch_scc1 .LBB96_610
; %bb.608:
	v_add_u32_e32 v111, 0x128, v106
	s_mov_b32 s0, 37
	v_mov_b32_e32 v104, 36
.LBB96_609:                             ; =>This Inner Loop Header: Depth=1
	ds_read_b64 v[112:113], v111
	v_mov_b32_e32 v114, s0
	s_add_i32 s0, s0, 1
	v_add_u32_e32 v111, 8, v111
	s_cmp_lg_u32 s18, s0
	s_waitcnt lgkmcnt(0)
	v_cmp_lt_f64_e64 vcc, |v[102:103]|, |v[112:113]|
	v_cndmask_b32_e32 v103, v103, v113, vcc
	v_cndmask_b32_e32 v102, v102, v112, vcc
	v_cndmask_b32_e32 v104, v104, v114, vcc
	s_cbranch_scc1 .LBB96_609
.LBB96_610:
	s_waitcnt lgkmcnt(0)
	v_cmp_eq_f64_e32 vcc, 0, v[102:103]
	s_and_saveexec_b64 s[0:1], vcc
	s_xor_b64 s[0:1], exec, s[0:1]
; %bb.611:
	v_cmp_ne_u32_e32 vcc, 0, v110
	v_cndmask_b32_e32 v110, 37, v110, vcc
; %bb.612:
	s_andn2_saveexec_b64 s[0:1], s[0:1]
; %bb.613:
	v_div_scale_f64 v[112:113], s[2:3], v[102:103], v[102:103], 1.0
	v_rcp_f64_e32 v[114:115], v[112:113]
	v_div_scale_f64 v[116:117], vcc, 1.0, v[102:103], 1.0
	v_fma_f64 v[118:119], -v[112:113], v[114:115], 1.0
	v_fmac_f64_e32 v[114:115], v[114:115], v[118:119]
	v_fma_f64 v[118:119], -v[112:113], v[114:115], 1.0
	v_fmac_f64_e32 v[114:115], v[114:115], v[118:119]
	v_mul_f64 v[118:119], v[116:117], v[114:115]
	v_fma_f64 v[112:113], -v[112:113], v[118:119], v[116:117]
	v_div_fmas_f64 v[112:113], v[112:113], v[114:115], v[118:119]
	v_div_fixup_f64 v[102:103], v[112:113], v[102:103], 1.0
; %bb.614:
	s_or_b64 exec, exec, s[0:1]
	v_cmp_ne_u32_e32 vcc, v107, v104
	s_and_saveexec_b64 s[0:1], vcc
	s_xor_b64 s[0:1], exec, s[0:1]
	s_cbranch_execz .LBB96_620
; %bb.615:
	v_cmp_eq_u32_e32 vcc, 36, v107
	s_and_saveexec_b64 s[2:3], vcc
	s_cbranch_execz .LBB96_619
; %bb.616:
	v_cmp_ne_u32_e32 vcc, 36, v104
	s_xor_b64 s[14:15], s[6:7], -1
	s_and_b64 s[16:17], s[14:15], vcc
	s_and_saveexec_b64 s[14:15], s[16:17]
	s_cbranch_execz .LBB96_618
; %bb.617:
	v_ashrrev_i32_e32 v105, 31, v104
	v_lshlrev_b64 v[112:113], 2, v[104:105]
	v_add_co_u32_e32 v112, vcc, v4, v112
	v_addc_co_u32_e32 v113, vcc, v5, v113, vcc
	flat_load_dword v105, v[112:113]
	flat_load_dword v107, v[4:5] offset:144
	s_waitcnt vmcnt(0) lgkmcnt(0)
	flat_store_dword v[4:5], v105 offset:144
	flat_store_dword v[112:113], v107
.LBB96_618:
	s_or_b64 exec, exec, s[14:15]
	v_mov_b32_e32 v105, v104
	v_mov_b32_e32 v107, v104
.LBB96_619:
	s_or_b64 exec, exec, s[2:3]
.LBB96_620:
	s_andn2_saveexec_b64 s[0:1], s[0:1]
	s_cbranch_execz .LBB96_622
; %bb.621:
	v_mov_b32_e32 v107, 36
	ds_write2_b64 v106, v[24:25], v[22:23] offset0:37 offset1:38
	ds_write2_b64 v106, v[18:19], v[20:21] offset0:39 offset1:40
	;; [unrolled: 1-line block ×6, first 2 shown]
.LBB96_622:
	s_or_b64 exec, exec, s[0:1]
	v_cmp_lt_i32_e32 vcc, 36, v107
	s_waitcnt lgkmcnt(0)
	s_barrier
	s_and_saveexec_b64 s[0:1], vcc
	s_cbranch_execz .LBB96_624
; %bb.623:
	ds_read2_b64 v[112:115], v106 offset0:37 offset1:38
	ds_read2_b64 v[116:119], v106 offset0:39 offset1:40
	;; [unrolled: 1-line block ×3, first 2 shown]
	v_mul_f64 v[26:27], v[102:103], v[26:27]
	s_waitcnt lgkmcnt(0)
	v_fma_f64 v[24:25], -v[26:27], v[112:113], v[24:25]
	v_fma_f64 v[22:23], -v[26:27], v[114:115], v[22:23]
	ds_read2_b64 v[112:115], v106 offset0:43 offset1:44
	v_fma_f64 v[18:19], -v[26:27], v[116:117], v[18:19]
	v_fma_f64 v[20:21], -v[26:27], v[118:119], v[20:21]
	;; [unrolled: 1-line block ×3, first 2 shown]
	ds_read2_b64 v[116:119], v106 offset0:45 offset1:46
	v_fma_f64 v[14:15], -v[26:27], v[122:123], v[14:15]
	ds_read2_b64 v[120:123], v106 offset0:47 offset1:48
	s_waitcnt lgkmcnt(0)
	v_fma_f64 v[12:13], -v[26:27], v[112:113], v[12:13]
	v_fma_f64 v[10:11], -v[26:27], v[114:115], v[10:11]
	;; [unrolled: 1-line block ×6, first 2 shown]
.LBB96_624:
	s_or_b64 exec, exec, s[0:1]
	v_lshl_add_u32 v102, v107, 3, v106
	s_barrier
	ds_write_b64 v102, v[24:25]
	s_waitcnt lgkmcnt(0)
	s_barrier
	ds_read_b64 v[102:103], v106 offset:296
	s_cmp_lt_i32 s18, 39
	v_mov_b32_e32 v104, 37
	s_cbranch_scc1 .LBB96_627
; %bb.625:
	v_add_u32_e32 v111, 0x130, v106
	s_mov_b32 s0, 38
	v_mov_b32_e32 v104, 37
.LBB96_626:                             ; =>This Inner Loop Header: Depth=1
	ds_read_b64 v[112:113], v111
	v_mov_b32_e32 v114, s0
	s_add_i32 s0, s0, 1
	v_add_u32_e32 v111, 8, v111
	s_cmp_lg_u32 s18, s0
	s_waitcnt lgkmcnt(0)
	v_cmp_lt_f64_e64 vcc, |v[102:103]|, |v[112:113]|
	v_cndmask_b32_e32 v103, v103, v113, vcc
	v_cndmask_b32_e32 v102, v102, v112, vcc
	;; [unrolled: 1-line block ×3, first 2 shown]
	s_cbranch_scc1 .LBB96_626
.LBB96_627:
	s_waitcnt lgkmcnt(0)
	v_cmp_eq_f64_e32 vcc, 0, v[102:103]
	s_and_saveexec_b64 s[0:1], vcc
	s_xor_b64 s[0:1], exec, s[0:1]
; %bb.628:
	v_cmp_ne_u32_e32 vcc, 0, v110
	v_cndmask_b32_e32 v110, 38, v110, vcc
; %bb.629:
	s_andn2_saveexec_b64 s[0:1], s[0:1]
; %bb.630:
	v_div_scale_f64 v[112:113], s[2:3], v[102:103], v[102:103], 1.0
	v_rcp_f64_e32 v[114:115], v[112:113]
	v_div_scale_f64 v[116:117], vcc, 1.0, v[102:103], 1.0
	v_fma_f64 v[118:119], -v[112:113], v[114:115], 1.0
	v_fmac_f64_e32 v[114:115], v[114:115], v[118:119]
	v_fma_f64 v[118:119], -v[112:113], v[114:115], 1.0
	v_fmac_f64_e32 v[114:115], v[114:115], v[118:119]
	v_mul_f64 v[118:119], v[116:117], v[114:115]
	v_fma_f64 v[112:113], -v[112:113], v[118:119], v[116:117]
	v_div_fmas_f64 v[112:113], v[112:113], v[114:115], v[118:119]
	v_div_fixup_f64 v[102:103], v[112:113], v[102:103], 1.0
; %bb.631:
	s_or_b64 exec, exec, s[0:1]
	v_cmp_ne_u32_e32 vcc, v107, v104
	s_and_saveexec_b64 s[0:1], vcc
	s_xor_b64 s[0:1], exec, s[0:1]
	s_cbranch_execz .LBB96_637
; %bb.632:
	v_cmp_eq_u32_e32 vcc, 37, v107
	s_and_saveexec_b64 s[2:3], vcc
	s_cbranch_execz .LBB96_636
; %bb.633:
	v_cmp_ne_u32_e32 vcc, 37, v104
	s_xor_b64 s[14:15], s[6:7], -1
	s_and_b64 s[16:17], s[14:15], vcc
	s_and_saveexec_b64 s[14:15], s[16:17]
	s_cbranch_execz .LBB96_635
; %bb.634:
	v_ashrrev_i32_e32 v105, 31, v104
	v_lshlrev_b64 v[112:113], 2, v[104:105]
	v_add_co_u32_e32 v112, vcc, v4, v112
	v_addc_co_u32_e32 v113, vcc, v5, v113, vcc
	flat_load_dword v105, v[112:113]
	flat_load_dword v107, v[4:5] offset:148
	s_waitcnt vmcnt(0) lgkmcnt(0)
	flat_store_dword v[4:5], v105 offset:148
	flat_store_dword v[112:113], v107
.LBB96_635:
	s_or_b64 exec, exec, s[14:15]
	v_mov_b32_e32 v105, v104
	v_mov_b32_e32 v107, v104
.LBB96_636:
	s_or_b64 exec, exec, s[2:3]
.LBB96_637:
	s_andn2_saveexec_b64 s[0:1], s[0:1]
	s_cbranch_execz .LBB96_639
; %bb.638:
	v_mov_b32_e32 v112, v22
	v_mov_b32_e32 v113, v23
	v_mov_b32_e32 v114, v18
	v_mov_b32_e32 v115, v19
	ds_write2_b64 v106, v[112:113], v[114:115] offset0:38 offset1:39
	v_mov_b32_e32 v112, v20
	v_mov_b32_e32 v113, v21
	v_mov_b32_e32 v114, v16
	v_mov_b32_e32 v115, v17
	ds_write2_b64 v106, v[112:113], v[114:115] offset0:40 offset1:41
	;; [unrolled: 5-line block ×4, first 2 shown]
	v_mov_b32_e32 v112, v6
	v_mov_b32_e32 v113, v7
	;; [unrolled: 1-line block ×5, first 2 shown]
	ds_write2_b64 v106, v[112:113], v[114:115] offset0:46 offset1:47
	ds_write_b64 v106, v[100:101] offset:384
.LBB96_639:
	s_or_b64 exec, exec, s[0:1]
	v_cmp_lt_i32_e32 vcc, 37, v107
	s_waitcnt lgkmcnt(0)
	s_barrier
	s_and_saveexec_b64 s[0:1], vcc
	s_cbranch_execz .LBB96_641
; %bb.640:
	ds_read2_b64 v[112:115], v106 offset0:38 offset1:39
	ds_read2_b64 v[116:119], v106 offset0:40 offset1:41
	v_mul_f64 v[24:25], v[102:103], v[24:25]
	ds_read2_b64 v[120:123], v106 offset0:42 offset1:43
	ds_read_b64 v[102:103], v106 offset:384
	s_waitcnt lgkmcnt(0)
	v_fma_f64 v[22:23], -v[24:25], v[112:113], v[22:23]
	v_fma_f64 v[18:19], -v[24:25], v[114:115], v[18:19]
	ds_read2_b64 v[112:115], v106 offset0:44 offset1:45
	v_fma_f64 v[20:21], -v[24:25], v[116:117], v[20:21]
	v_fma_f64 v[16:17], -v[24:25], v[118:119], v[16:17]
	ds_read2_b64 v[116:119], v106 offset0:46 offset1:47
	v_fma_f64 v[14:15], -v[24:25], v[120:121], v[14:15]
	v_fma_f64 v[12:13], -v[24:25], v[122:123], v[12:13]
	s_waitcnt lgkmcnt(0)
	v_fma_f64 v[10:11], -v[24:25], v[112:113], v[10:11]
	v_fma_f64 v[8:9], -v[24:25], v[114:115], v[8:9]
	;; [unrolled: 1-line block ×5, first 2 shown]
.LBB96_641:
	s_or_b64 exec, exec, s[0:1]
	v_lshl_add_u32 v102, v107, 3, v106
	s_barrier
	ds_write_b64 v102, v[22:23]
	s_waitcnt lgkmcnt(0)
	s_barrier
	ds_read_b64 v[102:103], v106 offset:304
	s_cmp_lt_i32 s18, 40
	v_mov_b32_e32 v104, 38
	s_cbranch_scc1 .LBB96_644
; %bb.642:
	v_add_u32_e32 v111, 0x138, v106
	s_mov_b32 s0, 39
	v_mov_b32_e32 v104, 38
.LBB96_643:                             ; =>This Inner Loop Header: Depth=1
	ds_read_b64 v[112:113], v111
	v_mov_b32_e32 v114, s0
	s_add_i32 s0, s0, 1
	v_add_u32_e32 v111, 8, v111
	s_cmp_lg_u32 s18, s0
	s_waitcnt lgkmcnt(0)
	v_cmp_lt_f64_e64 vcc, |v[102:103]|, |v[112:113]|
	v_cndmask_b32_e32 v103, v103, v113, vcc
	v_cndmask_b32_e32 v102, v102, v112, vcc
	;; [unrolled: 1-line block ×3, first 2 shown]
	s_cbranch_scc1 .LBB96_643
.LBB96_644:
	s_waitcnt lgkmcnt(0)
	v_cmp_eq_f64_e32 vcc, 0, v[102:103]
	s_and_saveexec_b64 s[0:1], vcc
	s_xor_b64 s[0:1], exec, s[0:1]
; %bb.645:
	v_cmp_ne_u32_e32 vcc, 0, v110
	v_cndmask_b32_e32 v110, 39, v110, vcc
; %bb.646:
	s_andn2_saveexec_b64 s[0:1], s[0:1]
; %bb.647:
	v_div_scale_f64 v[112:113], s[2:3], v[102:103], v[102:103], 1.0
	v_rcp_f64_e32 v[114:115], v[112:113]
	v_div_scale_f64 v[116:117], vcc, 1.0, v[102:103], 1.0
	v_fma_f64 v[118:119], -v[112:113], v[114:115], 1.0
	v_fmac_f64_e32 v[114:115], v[114:115], v[118:119]
	v_fma_f64 v[118:119], -v[112:113], v[114:115], 1.0
	v_fmac_f64_e32 v[114:115], v[114:115], v[118:119]
	v_mul_f64 v[118:119], v[116:117], v[114:115]
	v_fma_f64 v[112:113], -v[112:113], v[118:119], v[116:117]
	v_div_fmas_f64 v[112:113], v[112:113], v[114:115], v[118:119]
	v_div_fixup_f64 v[102:103], v[112:113], v[102:103], 1.0
; %bb.648:
	s_or_b64 exec, exec, s[0:1]
	v_cmp_ne_u32_e32 vcc, v107, v104
	s_and_saveexec_b64 s[0:1], vcc
	s_xor_b64 s[0:1], exec, s[0:1]
	s_cbranch_execz .LBB96_654
; %bb.649:
	v_cmp_eq_u32_e32 vcc, 38, v107
	s_and_saveexec_b64 s[2:3], vcc
	s_cbranch_execz .LBB96_653
; %bb.650:
	v_cmp_ne_u32_e32 vcc, 38, v104
	s_xor_b64 s[14:15], s[6:7], -1
	s_and_b64 s[16:17], s[14:15], vcc
	s_and_saveexec_b64 s[14:15], s[16:17]
	s_cbranch_execz .LBB96_652
; %bb.651:
	v_ashrrev_i32_e32 v105, 31, v104
	v_lshlrev_b64 v[112:113], 2, v[104:105]
	v_add_co_u32_e32 v112, vcc, v4, v112
	v_addc_co_u32_e32 v113, vcc, v5, v113, vcc
	flat_load_dword v105, v[112:113]
	flat_load_dword v107, v[4:5] offset:152
	s_waitcnt vmcnt(0) lgkmcnt(0)
	flat_store_dword v[4:5], v105 offset:152
	flat_store_dword v[112:113], v107
.LBB96_652:
	s_or_b64 exec, exec, s[14:15]
	v_mov_b32_e32 v105, v104
	v_mov_b32_e32 v107, v104
.LBB96_653:
	s_or_b64 exec, exec, s[2:3]
.LBB96_654:
	s_andn2_saveexec_b64 s[0:1], s[0:1]
	s_cbranch_execz .LBB96_656
; %bb.655:
	v_mov_b32_e32 v107, 38
	ds_write2_b64 v106, v[18:19], v[20:21] offset0:39 offset1:40
	ds_write2_b64 v106, v[16:17], v[14:15] offset0:41 offset1:42
	;; [unrolled: 1-line block ×5, first 2 shown]
.LBB96_656:
	s_or_b64 exec, exec, s[0:1]
	v_cmp_lt_i32_e32 vcc, 38, v107
	s_waitcnt lgkmcnt(0)
	s_barrier
	s_and_saveexec_b64 s[0:1], vcc
	s_cbranch_execz .LBB96_658
; %bb.657:
	ds_read2_b64 v[112:115], v106 offset0:39 offset1:40
	ds_read2_b64 v[116:119], v106 offset0:41 offset1:42
	v_mul_f64 v[22:23], v[102:103], v[22:23]
	ds_read2_b64 v[120:123], v106 offset0:45 offset1:46
	s_waitcnt lgkmcnt(0)
	v_fma_f64 v[18:19], -v[22:23], v[112:113], v[18:19]
	v_fma_f64 v[20:21], -v[22:23], v[114:115], v[20:21]
	ds_read2_b64 v[112:115], v106 offset0:43 offset1:44
	v_fma_f64 v[16:17], -v[22:23], v[116:117], v[16:17]
	v_fma_f64 v[14:15], -v[22:23], v[118:119], v[14:15]
	ds_read2_b64 v[116:119], v106 offset0:47 offset1:48
	v_fma_f64 v[8:9], -v[22:23], v[120:121], v[8:9]
	s_waitcnt lgkmcnt(0)
	v_fma_f64 v[12:13], -v[22:23], v[112:113], v[12:13]
	v_fma_f64 v[10:11], -v[22:23], v[114:115], v[10:11]
	;; [unrolled: 1-line block ×5, first 2 shown]
.LBB96_658:
	s_or_b64 exec, exec, s[0:1]
	v_lshl_add_u32 v102, v107, 3, v106
	s_barrier
	ds_write_b64 v102, v[18:19]
	s_waitcnt lgkmcnt(0)
	s_barrier
	ds_read_b64 v[102:103], v106 offset:312
	s_cmp_lt_i32 s18, 41
	v_mov_b32_e32 v104, 39
	s_cbranch_scc1 .LBB96_661
; %bb.659:
	v_add_u32_e32 v111, 0x140, v106
	s_mov_b32 s0, 40
	v_mov_b32_e32 v104, 39
.LBB96_660:                             ; =>This Inner Loop Header: Depth=1
	ds_read_b64 v[112:113], v111
	v_mov_b32_e32 v114, s0
	s_add_i32 s0, s0, 1
	v_add_u32_e32 v111, 8, v111
	s_cmp_lg_u32 s18, s0
	s_waitcnt lgkmcnt(0)
	v_cmp_lt_f64_e64 vcc, |v[102:103]|, |v[112:113]|
	v_cndmask_b32_e32 v103, v103, v113, vcc
	v_cndmask_b32_e32 v102, v102, v112, vcc
	;; [unrolled: 1-line block ×3, first 2 shown]
	s_cbranch_scc1 .LBB96_660
.LBB96_661:
	s_waitcnt lgkmcnt(0)
	v_cmp_eq_f64_e32 vcc, 0, v[102:103]
	s_and_saveexec_b64 s[0:1], vcc
	s_xor_b64 s[0:1], exec, s[0:1]
; %bb.662:
	v_cmp_ne_u32_e32 vcc, 0, v110
	v_cndmask_b32_e32 v110, 40, v110, vcc
; %bb.663:
	s_andn2_saveexec_b64 s[0:1], s[0:1]
; %bb.664:
	v_div_scale_f64 v[112:113], s[2:3], v[102:103], v[102:103], 1.0
	v_rcp_f64_e32 v[114:115], v[112:113]
	v_div_scale_f64 v[116:117], vcc, 1.0, v[102:103], 1.0
	v_fma_f64 v[118:119], -v[112:113], v[114:115], 1.0
	v_fmac_f64_e32 v[114:115], v[114:115], v[118:119]
	v_fma_f64 v[118:119], -v[112:113], v[114:115], 1.0
	v_fmac_f64_e32 v[114:115], v[114:115], v[118:119]
	v_mul_f64 v[118:119], v[116:117], v[114:115]
	v_fma_f64 v[112:113], -v[112:113], v[118:119], v[116:117]
	v_div_fmas_f64 v[112:113], v[112:113], v[114:115], v[118:119]
	v_div_fixup_f64 v[102:103], v[112:113], v[102:103], 1.0
; %bb.665:
	s_or_b64 exec, exec, s[0:1]
	v_cmp_ne_u32_e32 vcc, v107, v104
	s_and_saveexec_b64 s[0:1], vcc
	s_xor_b64 s[0:1], exec, s[0:1]
	s_cbranch_execz .LBB96_671
; %bb.666:
	v_cmp_eq_u32_e32 vcc, 39, v107
	s_and_saveexec_b64 s[2:3], vcc
	s_cbranch_execz .LBB96_670
; %bb.667:
	v_cmp_ne_u32_e32 vcc, 39, v104
	s_xor_b64 s[14:15], s[6:7], -1
	s_and_b64 s[16:17], s[14:15], vcc
	s_and_saveexec_b64 s[14:15], s[16:17]
	s_cbranch_execz .LBB96_669
; %bb.668:
	v_ashrrev_i32_e32 v105, 31, v104
	v_lshlrev_b64 v[112:113], 2, v[104:105]
	v_add_co_u32_e32 v112, vcc, v4, v112
	v_addc_co_u32_e32 v113, vcc, v5, v113, vcc
	flat_load_dword v105, v[112:113]
	flat_load_dword v107, v[4:5] offset:156
	s_waitcnt vmcnt(0) lgkmcnt(0)
	flat_store_dword v[4:5], v105 offset:156
	flat_store_dword v[112:113], v107
.LBB96_669:
	s_or_b64 exec, exec, s[14:15]
	v_mov_b32_e32 v105, v104
	v_mov_b32_e32 v107, v104
.LBB96_670:
	s_or_b64 exec, exec, s[2:3]
.LBB96_671:
	s_andn2_saveexec_b64 s[0:1], s[0:1]
	s_cbranch_execz .LBB96_673
; %bb.672:
	v_mov_b32_e32 v112, v20
	v_mov_b32_e32 v113, v21
	v_mov_b32_e32 v114, v16
	v_mov_b32_e32 v115, v17
	ds_write2_b64 v106, v[112:113], v[114:115] offset0:40 offset1:41
	v_mov_b32_e32 v112, v14
	v_mov_b32_e32 v113, v15
	v_mov_b32_e32 v114, v12
	v_mov_b32_e32 v115, v13
	ds_write2_b64 v106, v[112:113], v[114:115] offset0:42 offset1:43
	;; [unrolled: 5-line block ×3, first 2 shown]
	v_mov_b32_e32 v112, v6
	v_mov_b32_e32 v113, v7
	;; [unrolled: 1-line block ×5, first 2 shown]
	ds_write2_b64 v106, v[112:113], v[114:115] offset0:46 offset1:47
	ds_write_b64 v106, v[100:101] offset:384
.LBB96_673:
	s_or_b64 exec, exec, s[0:1]
	v_cmp_lt_i32_e32 vcc, 39, v107
	s_waitcnt lgkmcnt(0)
	s_barrier
	s_and_saveexec_b64 s[0:1], vcc
	s_cbranch_execz .LBB96_675
; %bb.674:
	ds_read2_b64 v[112:115], v106 offset0:40 offset1:41
	ds_read2_b64 v[116:119], v106 offset0:42 offset1:43
	v_mul_f64 v[18:19], v[102:103], v[18:19]
	ds_read_b64 v[102:103], v106 offset:384
	ds_read2_b64 v[120:123], v106 offset0:46 offset1:47
	s_waitcnt lgkmcnt(0)
	v_fma_f64 v[20:21], -v[18:19], v[112:113], v[20:21]
	v_fma_f64 v[16:17], -v[18:19], v[114:115], v[16:17]
	ds_read2_b64 v[112:115], v106 offset0:44 offset1:45
	v_fma_f64 v[14:15], -v[18:19], v[116:117], v[14:15]
	v_fma_f64 v[12:13], -v[18:19], v[118:119], v[12:13]
	;; [unrolled: 1-line block ×4, first 2 shown]
	s_waitcnt lgkmcnt(0)
	v_fma_f64 v[10:11], -v[18:19], v[112:113], v[10:11]
	v_fma_f64 v[8:9], -v[18:19], v[114:115], v[8:9]
	;; [unrolled: 1-line block ×3, first 2 shown]
.LBB96_675:
	s_or_b64 exec, exec, s[0:1]
	v_lshl_add_u32 v102, v107, 3, v106
	s_barrier
	ds_write_b64 v102, v[20:21]
	s_waitcnt lgkmcnt(0)
	s_barrier
	ds_read_b64 v[102:103], v106 offset:320
	s_cmp_lt_i32 s18, 42
	v_mov_b32_e32 v104, 40
	s_cbranch_scc1 .LBB96_678
; %bb.676:
	v_add_u32_e32 v111, 0x148, v106
	s_mov_b32 s0, 41
	v_mov_b32_e32 v104, 40
.LBB96_677:                             ; =>This Inner Loop Header: Depth=1
	ds_read_b64 v[112:113], v111
	v_mov_b32_e32 v114, s0
	s_add_i32 s0, s0, 1
	v_add_u32_e32 v111, 8, v111
	s_cmp_lg_u32 s18, s0
	s_waitcnt lgkmcnt(0)
	v_cmp_lt_f64_e64 vcc, |v[102:103]|, |v[112:113]|
	v_cndmask_b32_e32 v103, v103, v113, vcc
	v_cndmask_b32_e32 v102, v102, v112, vcc
	;; [unrolled: 1-line block ×3, first 2 shown]
	s_cbranch_scc1 .LBB96_677
.LBB96_678:
	s_waitcnt lgkmcnt(0)
	v_cmp_eq_f64_e32 vcc, 0, v[102:103]
	s_and_saveexec_b64 s[0:1], vcc
	s_xor_b64 s[0:1], exec, s[0:1]
; %bb.679:
	v_cmp_ne_u32_e32 vcc, 0, v110
	v_cndmask_b32_e32 v110, 41, v110, vcc
; %bb.680:
	s_andn2_saveexec_b64 s[0:1], s[0:1]
; %bb.681:
	v_div_scale_f64 v[112:113], s[2:3], v[102:103], v[102:103], 1.0
	v_rcp_f64_e32 v[114:115], v[112:113]
	v_div_scale_f64 v[116:117], vcc, 1.0, v[102:103], 1.0
	v_fma_f64 v[118:119], -v[112:113], v[114:115], 1.0
	v_fmac_f64_e32 v[114:115], v[114:115], v[118:119]
	v_fma_f64 v[118:119], -v[112:113], v[114:115], 1.0
	v_fmac_f64_e32 v[114:115], v[114:115], v[118:119]
	v_mul_f64 v[118:119], v[116:117], v[114:115]
	v_fma_f64 v[112:113], -v[112:113], v[118:119], v[116:117]
	v_div_fmas_f64 v[112:113], v[112:113], v[114:115], v[118:119]
	v_div_fixup_f64 v[102:103], v[112:113], v[102:103], 1.0
; %bb.682:
	s_or_b64 exec, exec, s[0:1]
	v_cmp_ne_u32_e32 vcc, v107, v104
	s_and_saveexec_b64 s[0:1], vcc
	s_xor_b64 s[0:1], exec, s[0:1]
	s_cbranch_execz .LBB96_688
; %bb.683:
	v_cmp_eq_u32_e32 vcc, 40, v107
	s_and_saveexec_b64 s[2:3], vcc
	s_cbranch_execz .LBB96_687
; %bb.684:
	v_cmp_ne_u32_e32 vcc, 40, v104
	s_xor_b64 s[14:15], s[6:7], -1
	s_and_b64 s[16:17], s[14:15], vcc
	s_and_saveexec_b64 s[14:15], s[16:17]
	s_cbranch_execz .LBB96_686
; %bb.685:
	v_ashrrev_i32_e32 v105, 31, v104
	v_lshlrev_b64 v[112:113], 2, v[104:105]
	v_add_co_u32_e32 v112, vcc, v4, v112
	v_addc_co_u32_e32 v113, vcc, v5, v113, vcc
	flat_load_dword v105, v[112:113]
	flat_load_dword v107, v[4:5] offset:160
	s_waitcnt vmcnt(0) lgkmcnt(0)
	flat_store_dword v[4:5], v105 offset:160
	flat_store_dword v[112:113], v107
.LBB96_686:
	s_or_b64 exec, exec, s[14:15]
	v_mov_b32_e32 v105, v104
	v_mov_b32_e32 v107, v104
.LBB96_687:
	s_or_b64 exec, exec, s[2:3]
.LBB96_688:
	s_andn2_saveexec_b64 s[0:1], s[0:1]
	s_cbranch_execz .LBB96_690
; %bb.689:
	v_mov_b32_e32 v107, 40
	ds_write2_b64 v106, v[16:17], v[14:15] offset0:41 offset1:42
	ds_write2_b64 v106, v[12:13], v[10:11] offset0:43 offset1:44
	;; [unrolled: 1-line block ×4, first 2 shown]
.LBB96_690:
	s_or_b64 exec, exec, s[0:1]
	v_cmp_lt_i32_e32 vcc, 40, v107
	s_waitcnt lgkmcnt(0)
	s_barrier
	s_and_saveexec_b64 s[0:1], vcc
	s_cbranch_execz .LBB96_692
; %bb.691:
	ds_read2_b64 v[112:115], v106 offset0:41 offset1:42
	ds_read2_b64 v[116:119], v106 offset0:43 offset1:44
	v_mul_f64 v[20:21], v[102:103], v[20:21]
	ds_read2_b64 v[120:123], v106 offset0:45 offset1:46
	s_waitcnt lgkmcnt(0)
	v_fma_f64 v[16:17], -v[20:21], v[112:113], v[16:17]
	v_fma_f64 v[14:15], -v[20:21], v[114:115], v[14:15]
	ds_read2_b64 v[112:115], v106 offset0:47 offset1:48
	v_fma_f64 v[12:13], -v[20:21], v[116:117], v[12:13]
	v_fma_f64 v[10:11], -v[20:21], v[118:119], v[10:11]
	;; [unrolled: 1-line block ×4, first 2 shown]
	s_waitcnt lgkmcnt(0)
	v_fma_f64 v[0:1], -v[20:21], v[112:113], v[0:1]
	v_fma_f64 v[100:101], -v[20:21], v[114:115], v[100:101]
.LBB96_692:
	s_or_b64 exec, exec, s[0:1]
	v_lshl_add_u32 v102, v107, 3, v106
	s_barrier
	ds_write_b64 v102, v[16:17]
	s_waitcnt lgkmcnt(0)
	s_barrier
	ds_read_b64 v[102:103], v106 offset:328
	s_cmp_lt_i32 s18, 43
	v_mov_b32_e32 v104, 41
	s_cbranch_scc1 .LBB96_695
; %bb.693:
	v_add_u32_e32 v111, 0x150, v106
	s_mov_b32 s0, 42
	v_mov_b32_e32 v104, 41
.LBB96_694:                             ; =>This Inner Loop Header: Depth=1
	ds_read_b64 v[112:113], v111
	v_mov_b32_e32 v114, s0
	s_add_i32 s0, s0, 1
	v_add_u32_e32 v111, 8, v111
	s_cmp_lg_u32 s18, s0
	s_waitcnt lgkmcnt(0)
	v_cmp_lt_f64_e64 vcc, |v[102:103]|, |v[112:113]|
	v_cndmask_b32_e32 v103, v103, v113, vcc
	v_cndmask_b32_e32 v102, v102, v112, vcc
	;; [unrolled: 1-line block ×3, first 2 shown]
	s_cbranch_scc1 .LBB96_694
.LBB96_695:
	s_waitcnt lgkmcnt(0)
	v_cmp_eq_f64_e32 vcc, 0, v[102:103]
	s_and_saveexec_b64 s[0:1], vcc
	s_xor_b64 s[0:1], exec, s[0:1]
; %bb.696:
	v_cmp_ne_u32_e32 vcc, 0, v110
	v_cndmask_b32_e32 v110, 42, v110, vcc
; %bb.697:
	s_andn2_saveexec_b64 s[0:1], s[0:1]
; %bb.698:
	v_div_scale_f64 v[112:113], s[2:3], v[102:103], v[102:103], 1.0
	v_rcp_f64_e32 v[114:115], v[112:113]
	v_div_scale_f64 v[116:117], vcc, 1.0, v[102:103], 1.0
	v_fma_f64 v[118:119], -v[112:113], v[114:115], 1.0
	v_fmac_f64_e32 v[114:115], v[114:115], v[118:119]
	v_fma_f64 v[118:119], -v[112:113], v[114:115], 1.0
	v_fmac_f64_e32 v[114:115], v[114:115], v[118:119]
	v_mul_f64 v[118:119], v[116:117], v[114:115]
	v_fma_f64 v[112:113], -v[112:113], v[118:119], v[116:117]
	v_div_fmas_f64 v[112:113], v[112:113], v[114:115], v[118:119]
	v_div_fixup_f64 v[102:103], v[112:113], v[102:103], 1.0
; %bb.699:
	s_or_b64 exec, exec, s[0:1]
	v_cmp_ne_u32_e32 vcc, v107, v104
	s_and_saveexec_b64 s[0:1], vcc
	s_xor_b64 s[0:1], exec, s[0:1]
	s_cbranch_execz .LBB96_705
; %bb.700:
	v_cmp_eq_u32_e32 vcc, 41, v107
	s_and_saveexec_b64 s[2:3], vcc
	s_cbranch_execz .LBB96_704
; %bb.701:
	v_cmp_ne_u32_e32 vcc, 41, v104
	s_xor_b64 s[14:15], s[6:7], -1
	s_and_b64 s[16:17], s[14:15], vcc
	s_and_saveexec_b64 s[14:15], s[16:17]
	s_cbranch_execz .LBB96_703
; %bb.702:
	v_ashrrev_i32_e32 v105, 31, v104
	v_lshlrev_b64 v[112:113], 2, v[104:105]
	v_add_co_u32_e32 v112, vcc, v4, v112
	v_addc_co_u32_e32 v113, vcc, v5, v113, vcc
	flat_load_dword v105, v[112:113]
	flat_load_dword v107, v[4:5] offset:164
	s_waitcnt vmcnt(0) lgkmcnt(0)
	flat_store_dword v[4:5], v105 offset:164
	flat_store_dword v[112:113], v107
.LBB96_703:
	s_or_b64 exec, exec, s[14:15]
	v_mov_b32_e32 v105, v104
	v_mov_b32_e32 v107, v104
.LBB96_704:
	s_or_b64 exec, exec, s[2:3]
.LBB96_705:
	s_andn2_saveexec_b64 s[0:1], s[0:1]
	s_cbranch_execz .LBB96_707
; %bb.706:
	v_mov_b32_e32 v112, v14
	v_mov_b32_e32 v113, v15
	;; [unrolled: 1-line block ×4, first 2 shown]
	ds_write2_b64 v106, v[112:113], v[114:115] offset0:42 offset1:43
	v_mov_b32_e32 v112, v10
	v_mov_b32_e32 v113, v11
	;; [unrolled: 1-line block ×4, first 2 shown]
	ds_write2_b64 v106, v[112:113], v[114:115] offset0:44 offset1:45
	v_mov_b32_e32 v112, v6
	v_mov_b32_e32 v113, v7
	;; [unrolled: 1-line block ×5, first 2 shown]
	ds_write2_b64 v106, v[112:113], v[114:115] offset0:46 offset1:47
	ds_write_b64 v106, v[100:101] offset:384
.LBB96_707:
	s_or_b64 exec, exec, s[0:1]
	v_cmp_lt_i32_e32 vcc, 41, v107
	s_waitcnt lgkmcnt(0)
	s_barrier
	s_and_saveexec_b64 s[0:1], vcc
	s_cbranch_execz .LBB96_709
; %bb.708:
	ds_read2_b64 v[112:115], v106 offset0:42 offset1:43
	ds_read2_b64 v[116:119], v106 offset0:44 offset1:45
	v_mul_f64 v[16:17], v[102:103], v[16:17]
	ds_read2_b64 v[120:123], v106 offset0:46 offset1:47
	ds_read_b64 v[102:103], v106 offset:384
	s_waitcnt lgkmcnt(0)
	v_fma_f64 v[14:15], -v[16:17], v[112:113], v[14:15]
	v_fma_f64 v[12:13], -v[16:17], v[114:115], v[12:13]
	;; [unrolled: 1-line block ×7, first 2 shown]
.LBB96_709:
	s_or_b64 exec, exec, s[0:1]
	v_lshl_add_u32 v102, v107, 3, v106
	s_barrier
	ds_write_b64 v102, v[14:15]
	s_waitcnt lgkmcnt(0)
	s_barrier
	ds_read_b64 v[102:103], v106 offset:336
	s_cmp_lt_i32 s18, 44
	v_mov_b32_e32 v104, 42
	s_cbranch_scc1 .LBB96_712
; %bb.710:
	v_add_u32_e32 v111, 0x158, v106
	s_mov_b32 s0, 43
	v_mov_b32_e32 v104, 42
.LBB96_711:                             ; =>This Inner Loop Header: Depth=1
	ds_read_b64 v[112:113], v111
	v_mov_b32_e32 v114, s0
	s_add_i32 s0, s0, 1
	v_add_u32_e32 v111, 8, v111
	s_cmp_lg_u32 s18, s0
	s_waitcnt lgkmcnt(0)
	v_cmp_lt_f64_e64 vcc, |v[102:103]|, |v[112:113]|
	v_cndmask_b32_e32 v103, v103, v113, vcc
	v_cndmask_b32_e32 v102, v102, v112, vcc
	v_cndmask_b32_e32 v104, v104, v114, vcc
	s_cbranch_scc1 .LBB96_711
.LBB96_712:
	s_waitcnt lgkmcnt(0)
	v_cmp_eq_f64_e32 vcc, 0, v[102:103]
	s_and_saveexec_b64 s[0:1], vcc
	s_xor_b64 s[0:1], exec, s[0:1]
; %bb.713:
	v_cmp_ne_u32_e32 vcc, 0, v110
	v_cndmask_b32_e32 v110, 43, v110, vcc
; %bb.714:
	s_andn2_saveexec_b64 s[0:1], s[0:1]
; %bb.715:
	v_div_scale_f64 v[112:113], s[2:3], v[102:103], v[102:103], 1.0
	v_rcp_f64_e32 v[114:115], v[112:113]
	v_div_scale_f64 v[116:117], vcc, 1.0, v[102:103], 1.0
	v_fma_f64 v[118:119], -v[112:113], v[114:115], 1.0
	v_fmac_f64_e32 v[114:115], v[114:115], v[118:119]
	v_fma_f64 v[118:119], -v[112:113], v[114:115], 1.0
	v_fmac_f64_e32 v[114:115], v[114:115], v[118:119]
	v_mul_f64 v[118:119], v[116:117], v[114:115]
	v_fma_f64 v[112:113], -v[112:113], v[118:119], v[116:117]
	v_div_fmas_f64 v[112:113], v[112:113], v[114:115], v[118:119]
	v_div_fixup_f64 v[102:103], v[112:113], v[102:103], 1.0
; %bb.716:
	s_or_b64 exec, exec, s[0:1]
	v_cmp_ne_u32_e32 vcc, v107, v104
	s_and_saveexec_b64 s[0:1], vcc
	s_xor_b64 s[0:1], exec, s[0:1]
	s_cbranch_execz .LBB96_722
; %bb.717:
	v_cmp_eq_u32_e32 vcc, 42, v107
	s_and_saveexec_b64 s[2:3], vcc
	s_cbranch_execz .LBB96_721
; %bb.718:
	v_cmp_ne_u32_e32 vcc, 42, v104
	s_xor_b64 s[14:15], s[6:7], -1
	s_and_b64 s[16:17], s[14:15], vcc
	s_and_saveexec_b64 s[14:15], s[16:17]
	s_cbranch_execz .LBB96_720
; %bb.719:
	v_ashrrev_i32_e32 v105, 31, v104
	v_lshlrev_b64 v[112:113], 2, v[104:105]
	v_add_co_u32_e32 v112, vcc, v4, v112
	v_addc_co_u32_e32 v113, vcc, v5, v113, vcc
	flat_load_dword v105, v[112:113]
	flat_load_dword v107, v[4:5] offset:168
	s_waitcnt vmcnt(0) lgkmcnt(0)
	flat_store_dword v[4:5], v105 offset:168
	flat_store_dword v[112:113], v107
.LBB96_720:
	s_or_b64 exec, exec, s[14:15]
	v_mov_b32_e32 v105, v104
	v_mov_b32_e32 v107, v104
.LBB96_721:
	s_or_b64 exec, exec, s[2:3]
.LBB96_722:
	s_andn2_saveexec_b64 s[0:1], s[0:1]
	s_cbranch_execz .LBB96_724
; %bb.723:
	v_mov_b32_e32 v107, 42
	ds_write2_b64 v106, v[12:13], v[10:11] offset0:43 offset1:44
	ds_write2_b64 v106, v[8:9], v[6:7] offset0:45 offset1:46
	;; [unrolled: 1-line block ×3, first 2 shown]
.LBB96_724:
	s_or_b64 exec, exec, s[0:1]
	v_cmp_lt_i32_e32 vcc, 42, v107
	s_waitcnt lgkmcnt(0)
	s_barrier
	s_and_saveexec_b64 s[0:1], vcc
	s_cbranch_execz .LBB96_726
; %bb.725:
	ds_read2_b64 v[112:115], v106 offset0:43 offset1:44
	ds_read2_b64 v[116:119], v106 offset0:45 offset1:46
	;; [unrolled: 1-line block ×3, first 2 shown]
	v_mul_f64 v[14:15], v[102:103], v[14:15]
	s_waitcnt lgkmcnt(0)
	v_fma_f64 v[12:13], -v[14:15], v[112:113], v[12:13]
	v_fma_f64 v[10:11], -v[14:15], v[114:115], v[10:11]
	;; [unrolled: 1-line block ×6, first 2 shown]
.LBB96_726:
	s_or_b64 exec, exec, s[0:1]
	v_lshl_add_u32 v102, v107, 3, v106
	s_barrier
	ds_write_b64 v102, v[12:13]
	s_waitcnt lgkmcnt(0)
	s_barrier
	ds_read_b64 v[102:103], v106 offset:344
	s_cmp_lt_i32 s18, 45
	v_mov_b32_e32 v104, 43
	s_cbranch_scc1 .LBB96_729
; %bb.727:
	v_add_u32_e32 v111, 0x160, v106
	s_mov_b32 s0, 44
	v_mov_b32_e32 v104, 43
.LBB96_728:                             ; =>This Inner Loop Header: Depth=1
	ds_read_b64 v[112:113], v111
	v_mov_b32_e32 v114, s0
	s_add_i32 s0, s0, 1
	v_add_u32_e32 v111, 8, v111
	s_cmp_lg_u32 s18, s0
	s_waitcnt lgkmcnt(0)
	v_cmp_lt_f64_e64 vcc, |v[102:103]|, |v[112:113]|
	v_cndmask_b32_e32 v103, v103, v113, vcc
	v_cndmask_b32_e32 v102, v102, v112, vcc
	;; [unrolled: 1-line block ×3, first 2 shown]
	s_cbranch_scc1 .LBB96_728
.LBB96_729:
	s_waitcnt lgkmcnt(0)
	v_cmp_eq_f64_e32 vcc, 0, v[102:103]
	s_and_saveexec_b64 s[0:1], vcc
	s_xor_b64 s[0:1], exec, s[0:1]
; %bb.730:
	v_cmp_ne_u32_e32 vcc, 0, v110
	v_cndmask_b32_e32 v110, 44, v110, vcc
; %bb.731:
	s_andn2_saveexec_b64 s[0:1], s[0:1]
; %bb.732:
	v_div_scale_f64 v[112:113], s[2:3], v[102:103], v[102:103], 1.0
	v_rcp_f64_e32 v[114:115], v[112:113]
	v_div_scale_f64 v[116:117], vcc, 1.0, v[102:103], 1.0
	v_fma_f64 v[118:119], -v[112:113], v[114:115], 1.0
	v_fmac_f64_e32 v[114:115], v[114:115], v[118:119]
	v_fma_f64 v[118:119], -v[112:113], v[114:115], 1.0
	v_fmac_f64_e32 v[114:115], v[114:115], v[118:119]
	v_mul_f64 v[118:119], v[116:117], v[114:115]
	v_fma_f64 v[112:113], -v[112:113], v[118:119], v[116:117]
	v_div_fmas_f64 v[112:113], v[112:113], v[114:115], v[118:119]
	v_div_fixup_f64 v[102:103], v[112:113], v[102:103], 1.0
; %bb.733:
	s_or_b64 exec, exec, s[0:1]
	v_cmp_ne_u32_e32 vcc, v107, v104
	s_and_saveexec_b64 s[0:1], vcc
	s_xor_b64 s[0:1], exec, s[0:1]
	s_cbranch_execz .LBB96_739
; %bb.734:
	v_cmp_eq_u32_e32 vcc, 43, v107
	s_and_saveexec_b64 s[2:3], vcc
	s_cbranch_execz .LBB96_738
; %bb.735:
	v_cmp_ne_u32_e32 vcc, 43, v104
	s_xor_b64 s[14:15], s[6:7], -1
	s_and_b64 s[16:17], s[14:15], vcc
	s_and_saveexec_b64 s[14:15], s[16:17]
	s_cbranch_execz .LBB96_737
; %bb.736:
	v_ashrrev_i32_e32 v105, 31, v104
	v_lshlrev_b64 v[112:113], 2, v[104:105]
	v_add_co_u32_e32 v112, vcc, v4, v112
	v_addc_co_u32_e32 v113, vcc, v5, v113, vcc
	flat_load_dword v105, v[112:113]
	flat_load_dword v107, v[4:5] offset:172
	s_waitcnt vmcnt(0) lgkmcnt(0)
	flat_store_dword v[4:5], v105 offset:172
	flat_store_dword v[112:113], v107
.LBB96_737:
	s_or_b64 exec, exec, s[14:15]
	v_mov_b32_e32 v105, v104
	v_mov_b32_e32 v107, v104
.LBB96_738:
	s_or_b64 exec, exec, s[2:3]
.LBB96_739:
	s_andn2_saveexec_b64 s[0:1], s[0:1]
	s_cbranch_execz .LBB96_741
; %bb.740:
	v_mov_b32_e32 v112, v10
	v_mov_b32_e32 v113, v11
	v_mov_b32_e32 v114, v8
	v_mov_b32_e32 v115, v9
	ds_write2_b64 v106, v[112:113], v[114:115] offset0:44 offset1:45
	v_mov_b32_e32 v112, v6
	v_mov_b32_e32 v113, v7
	;; [unrolled: 1-line block ×5, first 2 shown]
	ds_write2_b64 v106, v[112:113], v[114:115] offset0:46 offset1:47
	ds_write_b64 v106, v[100:101] offset:384
.LBB96_741:
	s_or_b64 exec, exec, s[0:1]
	v_cmp_lt_i32_e32 vcc, 43, v107
	s_waitcnt lgkmcnt(0)
	s_barrier
	s_and_saveexec_b64 s[0:1], vcc
	s_cbranch_execz .LBB96_743
; %bb.742:
	ds_read2_b64 v[112:115], v106 offset0:44 offset1:45
	ds_read2_b64 v[116:119], v106 offset0:46 offset1:47
	v_mul_f64 v[12:13], v[102:103], v[12:13]
	ds_read_b64 v[102:103], v106 offset:384
	s_waitcnt lgkmcnt(0)
	v_fma_f64 v[10:11], -v[12:13], v[112:113], v[10:11]
	v_fma_f64 v[8:9], -v[12:13], v[114:115], v[8:9]
	;; [unrolled: 1-line block ×5, first 2 shown]
.LBB96_743:
	s_or_b64 exec, exec, s[0:1]
	v_lshl_add_u32 v102, v107, 3, v106
	s_barrier
	ds_write_b64 v102, v[10:11]
	s_waitcnt lgkmcnt(0)
	s_barrier
	ds_read_b64 v[102:103], v106 offset:352
	s_cmp_lt_i32 s18, 46
	v_mov_b32_e32 v104, 44
	s_cbranch_scc1 .LBB96_746
; %bb.744:
	v_add_u32_e32 v111, 0x168, v106
	s_mov_b32 s0, 45
	v_mov_b32_e32 v104, 44
.LBB96_745:                             ; =>This Inner Loop Header: Depth=1
	ds_read_b64 v[112:113], v111
	v_mov_b32_e32 v114, s0
	s_add_i32 s0, s0, 1
	v_add_u32_e32 v111, 8, v111
	s_cmp_lg_u32 s18, s0
	s_waitcnt lgkmcnt(0)
	v_cmp_lt_f64_e64 vcc, |v[102:103]|, |v[112:113]|
	v_cndmask_b32_e32 v103, v103, v113, vcc
	v_cndmask_b32_e32 v102, v102, v112, vcc
	v_cndmask_b32_e32 v104, v104, v114, vcc
	s_cbranch_scc1 .LBB96_745
.LBB96_746:
	s_waitcnt lgkmcnt(0)
	v_cmp_eq_f64_e32 vcc, 0, v[102:103]
	s_and_saveexec_b64 s[0:1], vcc
	s_xor_b64 s[0:1], exec, s[0:1]
; %bb.747:
	v_cmp_ne_u32_e32 vcc, 0, v110
	v_cndmask_b32_e32 v110, 45, v110, vcc
; %bb.748:
	s_andn2_saveexec_b64 s[0:1], s[0:1]
; %bb.749:
	v_div_scale_f64 v[112:113], s[2:3], v[102:103], v[102:103], 1.0
	v_rcp_f64_e32 v[114:115], v[112:113]
	v_div_scale_f64 v[116:117], vcc, 1.0, v[102:103], 1.0
	v_fma_f64 v[118:119], -v[112:113], v[114:115], 1.0
	v_fmac_f64_e32 v[114:115], v[114:115], v[118:119]
	v_fma_f64 v[118:119], -v[112:113], v[114:115], 1.0
	v_fmac_f64_e32 v[114:115], v[114:115], v[118:119]
	v_mul_f64 v[118:119], v[116:117], v[114:115]
	v_fma_f64 v[112:113], -v[112:113], v[118:119], v[116:117]
	v_div_fmas_f64 v[112:113], v[112:113], v[114:115], v[118:119]
	v_div_fixup_f64 v[102:103], v[112:113], v[102:103], 1.0
; %bb.750:
	s_or_b64 exec, exec, s[0:1]
	v_cmp_ne_u32_e32 vcc, v107, v104
	s_and_saveexec_b64 s[0:1], vcc
	s_xor_b64 s[0:1], exec, s[0:1]
	s_cbranch_execz .LBB96_756
; %bb.751:
	v_cmp_eq_u32_e32 vcc, 44, v107
	s_and_saveexec_b64 s[2:3], vcc
	s_cbranch_execz .LBB96_755
; %bb.752:
	v_cmp_ne_u32_e32 vcc, 44, v104
	s_xor_b64 s[14:15], s[6:7], -1
	s_and_b64 s[16:17], s[14:15], vcc
	s_and_saveexec_b64 s[14:15], s[16:17]
	s_cbranch_execz .LBB96_754
; %bb.753:
	v_ashrrev_i32_e32 v105, 31, v104
	v_lshlrev_b64 v[112:113], 2, v[104:105]
	v_add_co_u32_e32 v112, vcc, v4, v112
	v_addc_co_u32_e32 v113, vcc, v5, v113, vcc
	flat_load_dword v105, v[112:113]
	flat_load_dword v107, v[4:5] offset:176
	s_waitcnt vmcnt(0) lgkmcnt(0)
	flat_store_dword v[4:5], v105 offset:176
	flat_store_dword v[112:113], v107
.LBB96_754:
	s_or_b64 exec, exec, s[14:15]
	v_mov_b32_e32 v105, v104
	v_mov_b32_e32 v107, v104
.LBB96_755:
	s_or_b64 exec, exec, s[2:3]
.LBB96_756:
	s_andn2_saveexec_b64 s[0:1], s[0:1]
	s_cbranch_execz .LBB96_758
; %bb.757:
	v_mov_b32_e32 v107, 44
	ds_write2_b64 v106, v[8:9], v[6:7] offset0:45 offset1:46
	ds_write2_b64 v106, v[0:1], v[100:101] offset0:47 offset1:48
.LBB96_758:
	s_or_b64 exec, exec, s[0:1]
	v_cmp_lt_i32_e32 vcc, 44, v107
	s_waitcnt lgkmcnt(0)
	s_barrier
	s_and_saveexec_b64 s[0:1], vcc
	s_cbranch_execz .LBB96_760
; %bb.759:
	ds_read2_b64 v[112:115], v106 offset0:45 offset1:46
	ds_read2_b64 v[116:119], v106 offset0:47 offset1:48
	v_mul_f64 v[10:11], v[102:103], v[10:11]
	s_waitcnt lgkmcnt(0)
	v_fma_f64 v[8:9], -v[10:11], v[112:113], v[8:9]
	v_fma_f64 v[6:7], -v[10:11], v[114:115], v[6:7]
	;; [unrolled: 1-line block ×4, first 2 shown]
.LBB96_760:
	s_or_b64 exec, exec, s[0:1]
	v_lshl_add_u32 v102, v107, 3, v106
	s_barrier
	ds_write_b64 v102, v[8:9]
	s_waitcnt lgkmcnt(0)
	s_barrier
	ds_read_b64 v[102:103], v106 offset:360
	s_cmp_lt_i32 s18, 47
	v_mov_b32_e32 v104, 45
	s_cbranch_scc1 .LBB96_763
; %bb.761:
	v_add_u32_e32 v111, 0x170, v106
	s_mov_b32 s0, 46
	v_mov_b32_e32 v104, 45
.LBB96_762:                             ; =>This Inner Loop Header: Depth=1
	ds_read_b64 v[112:113], v111
	v_mov_b32_e32 v114, s0
	s_add_i32 s0, s0, 1
	v_add_u32_e32 v111, 8, v111
	s_cmp_lg_u32 s18, s0
	s_waitcnt lgkmcnt(0)
	v_cmp_lt_f64_e64 vcc, |v[102:103]|, |v[112:113]|
	v_cndmask_b32_e32 v103, v103, v113, vcc
	v_cndmask_b32_e32 v102, v102, v112, vcc
	;; [unrolled: 1-line block ×3, first 2 shown]
	s_cbranch_scc1 .LBB96_762
.LBB96_763:
	s_waitcnt lgkmcnt(0)
	v_cmp_eq_f64_e32 vcc, 0, v[102:103]
	s_and_saveexec_b64 s[0:1], vcc
	s_xor_b64 s[0:1], exec, s[0:1]
; %bb.764:
	v_cmp_ne_u32_e32 vcc, 0, v110
	v_cndmask_b32_e32 v110, 46, v110, vcc
; %bb.765:
	s_andn2_saveexec_b64 s[0:1], s[0:1]
; %bb.766:
	v_div_scale_f64 v[112:113], s[2:3], v[102:103], v[102:103], 1.0
	v_rcp_f64_e32 v[114:115], v[112:113]
	v_div_scale_f64 v[116:117], vcc, 1.0, v[102:103], 1.0
	v_fma_f64 v[118:119], -v[112:113], v[114:115], 1.0
	v_fmac_f64_e32 v[114:115], v[114:115], v[118:119]
	v_fma_f64 v[118:119], -v[112:113], v[114:115], 1.0
	v_fmac_f64_e32 v[114:115], v[114:115], v[118:119]
	v_mul_f64 v[118:119], v[116:117], v[114:115]
	v_fma_f64 v[112:113], -v[112:113], v[118:119], v[116:117]
	v_div_fmas_f64 v[112:113], v[112:113], v[114:115], v[118:119]
	v_div_fixup_f64 v[102:103], v[112:113], v[102:103], 1.0
; %bb.767:
	s_or_b64 exec, exec, s[0:1]
	v_cmp_ne_u32_e32 vcc, v107, v104
	s_and_saveexec_b64 s[0:1], vcc
	s_xor_b64 s[0:1], exec, s[0:1]
	s_cbranch_execz .LBB96_773
; %bb.768:
	v_cmp_eq_u32_e32 vcc, 45, v107
	s_and_saveexec_b64 s[2:3], vcc
	s_cbranch_execz .LBB96_772
; %bb.769:
	v_cmp_ne_u32_e32 vcc, 45, v104
	s_xor_b64 s[14:15], s[6:7], -1
	s_and_b64 s[16:17], s[14:15], vcc
	s_and_saveexec_b64 s[14:15], s[16:17]
	s_cbranch_execz .LBB96_771
; %bb.770:
	v_ashrrev_i32_e32 v105, 31, v104
	v_lshlrev_b64 v[112:113], 2, v[104:105]
	v_add_co_u32_e32 v112, vcc, v4, v112
	v_addc_co_u32_e32 v113, vcc, v5, v113, vcc
	flat_load_dword v105, v[112:113]
	flat_load_dword v107, v[4:5] offset:180
	s_waitcnt vmcnt(0) lgkmcnt(0)
	flat_store_dword v[4:5], v105 offset:180
	flat_store_dword v[112:113], v107
.LBB96_771:
	s_or_b64 exec, exec, s[14:15]
	v_mov_b32_e32 v105, v104
	v_mov_b32_e32 v107, v104
.LBB96_772:
	s_or_b64 exec, exec, s[2:3]
.LBB96_773:
	s_andn2_saveexec_b64 s[0:1], s[0:1]
	s_cbranch_execz .LBB96_775
; %bb.774:
	v_mov_b32_e32 v112, v6
	v_mov_b32_e32 v113, v7
	;; [unrolled: 1-line block ×5, first 2 shown]
	ds_write2_b64 v106, v[112:113], v[114:115] offset0:46 offset1:47
	ds_write_b64 v106, v[100:101] offset:384
.LBB96_775:
	s_or_b64 exec, exec, s[0:1]
	v_cmp_lt_i32_e32 vcc, 45, v107
	s_waitcnt lgkmcnt(0)
	s_barrier
	s_and_saveexec_b64 s[0:1], vcc
	s_cbranch_execz .LBB96_777
; %bb.776:
	ds_read2_b64 v[112:115], v106 offset0:46 offset1:47
	ds_read_b64 v[116:117], v106 offset:384
	v_mul_f64 v[8:9], v[102:103], v[8:9]
	s_waitcnt lgkmcnt(0)
	v_fma_f64 v[6:7], -v[8:9], v[112:113], v[6:7]
	v_fma_f64 v[0:1], -v[8:9], v[114:115], v[0:1]
	;; [unrolled: 1-line block ×3, first 2 shown]
.LBB96_777:
	s_or_b64 exec, exec, s[0:1]
	v_lshl_add_u32 v102, v107, 3, v106
	s_barrier
	ds_write_b64 v102, v[6:7]
	s_waitcnt lgkmcnt(0)
	s_barrier
	ds_read_b64 v[102:103], v106 offset:368
	s_cmp_lt_i32 s18, 48
	v_mov_b32_e32 v104, 46
	s_cbranch_scc1 .LBB96_780
; %bb.778:
	v_add_u32_e32 v111, 0x178, v106
	s_mov_b32 s0, 47
	v_mov_b32_e32 v104, 46
.LBB96_779:                             ; =>This Inner Loop Header: Depth=1
	ds_read_b64 v[112:113], v111
	v_mov_b32_e32 v114, s0
	s_add_i32 s0, s0, 1
	v_add_u32_e32 v111, 8, v111
	s_cmp_lg_u32 s18, s0
	s_waitcnt lgkmcnt(0)
	v_cmp_lt_f64_e64 vcc, |v[102:103]|, |v[112:113]|
	v_cndmask_b32_e32 v103, v103, v113, vcc
	v_cndmask_b32_e32 v102, v102, v112, vcc
	;; [unrolled: 1-line block ×3, first 2 shown]
	s_cbranch_scc1 .LBB96_779
.LBB96_780:
	s_waitcnt lgkmcnt(0)
	v_cmp_eq_f64_e32 vcc, 0, v[102:103]
	s_and_saveexec_b64 s[0:1], vcc
	s_xor_b64 s[0:1], exec, s[0:1]
; %bb.781:
	v_cmp_ne_u32_e32 vcc, 0, v110
	v_cndmask_b32_e32 v110, 47, v110, vcc
; %bb.782:
	s_andn2_saveexec_b64 s[0:1], s[0:1]
; %bb.783:
	v_div_scale_f64 v[112:113], s[2:3], v[102:103], v[102:103], 1.0
	v_rcp_f64_e32 v[114:115], v[112:113]
	v_div_scale_f64 v[116:117], vcc, 1.0, v[102:103], 1.0
	v_fma_f64 v[118:119], -v[112:113], v[114:115], 1.0
	v_fmac_f64_e32 v[114:115], v[114:115], v[118:119]
	v_fma_f64 v[118:119], -v[112:113], v[114:115], 1.0
	v_fmac_f64_e32 v[114:115], v[114:115], v[118:119]
	v_mul_f64 v[118:119], v[116:117], v[114:115]
	v_fma_f64 v[112:113], -v[112:113], v[118:119], v[116:117]
	v_div_fmas_f64 v[112:113], v[112:113], v[114:115], v[118:119]
	v_div_fixup_f64 v[102:103], v[112:113], v[102:103], 1.0
; %bb.784:
	s_or_b64 exec, exec, s[0:1]
	v_cmp_ne_u32_e32 vcc, v107, v104
	s_and_saveexec_b64 s[0:1], vcc
	s_xor_b64 s[0:1], exec, s[0:1]
	s_cbranch_execz .LBB96_790
; %bb.785:
	v_cmp_eq_u32_e32 vcc, 46, v107
	s_and_saveexec_b64 s[2:3], vcc
	s_cbranch_execz .LBB96_789
; %bb.786:
	v_cmp_ne_u32_e32 vcc, 46, v104
	s_xor_b64 s[14:15], s[6:7], -1
	s_and_b64 s[16:17], s[14:15], vcc
	s_and_saveexec_b64 s[14:15], s[16:17]
	s_cbranch_execz .LBB96_788
; %bb.787:
	v_ashrrev_i32_e32 v105, 31, v104
	v_lshlrev_b64 v[112:113], 2, v[104:105]
	v_add_co_u32_e32 v112, vcc, v4, v112
	v_addc_co_u32_e32 v113, vcc, v5, v113, vcc
	flat_load_dword v105, v[112:113]
	flat_load_dword v107, v[4:5] offset:184
	s_waitcnt vmcnt(0) lgkmcnt(0)
	flat_store_dword v[4:5], v105 offset:184
	flat_store_dword v[112:113], v107
.LBB96_788:
	s_or_b64 exec, exec, s[14:15]
	v_mov_b32_e32 v105, v104
	v_mov_b32_e32 v107, v104
.LBB96_789:
	s_or_b64 exec, exec, s[2:3]
.LBB96_790:
	s_andn2_saveexec_b64 s[0:1], s[0:1]
	s_cbranch_execz .LBB96_792
; %bb.791:
	v_mov_b32_e32 v107, 46
	ds_write2_b64 v106, v[0:1], v[100:101] offset0:47 offset1:48
.LBB96_792:
	s_or_b64 exec, exec, s[0:1]
	v_cmp_lt_i32_e32 vcc, 46, v107
	s_waitcnt lgkmcnt(0)
	s_barrier
	s_and_saveexec_b64 s[0:1], vcc
	s_cbranch_execz .LBB96_794
; %bb.793:
	ds_read2_b64 v[112:115], v106 offset0:47 offset1:48
	v_mul_f64 v[6:7], v[102:103], v[6:7]
	s_waitcnt lgkmcnt(0)
	v_fma_f64 v[0:1], -v[6:7], v[112:113], v[0:1]
	v_fma_f64 v[100:101], -v[6:7], v[114:115], v[100:101]
.LBB96_794:
	s_or_b64 exec, exec, s[0:1]
	v_lshl_add_u32 v102, v107, 3, v106
	s_barrier
	ds_write_b64 v102, v[0:1]
	s_waitcnt lgkmcnt(0)
	s_barrier
	ds_read_b64 v[102:103], v106 offset:376
	s_cmp_lt_i32 s18, 49
	v_mov_b32_e32 v104, 47
	s_cbranch_scc1 .LBB96_797
; %bb.795:
	v_add_u32_e32 v111, 0x180, v106
	s_mov_b32 s0, 48
	v_mov_b32_e32 v104, 47
.LBB96_796:                             ; =>This Inner Loop Header: Depth=1
	ds_read_b64 v[112:113], v111
	v_mov_b32_e32 v114, s0
	s_add_i32 s0, s0, 1
	v_add_u32_e32 v111, 8, v111
	s_cmp_lg_u32 s18, s0
	s_waitcnt lgkmcnt(0)
	v_cmp_lt_f64_e64 vcc, |v[102:103]|, |v[112:113]|
	v_cndmask_b32_e32 v103, v103, v113, vcc
	v_cndmask_b32_e32 v102, v102, v112, vcc
	;; [unrolled: 1-line block ×3, first 2 shown]
	s_cbranch_scc1 .LBB96_796
.LBB96_797:
	s_waitcnt lgkmcnt(0)
	v_cmp_eq_f64_e32 vcc, 0, v[102:103]
	s_and_saveexec_b64 s[0:1], vcc
	s_xor_b64 s[0:1], exec, s[0:1]
; %bb.798:
	v_cmp_ne_u32_e32 vcc, 0, v110
	v_cndmask_b32_e32 v110, 48, v110, vcc
; %bb.799:
	s_andn2_saveexec_b64 s[0:1], s[0:1]
; %bb.800:
	v_div_scale_f64 v[112:113], s[2:3], v[102:103], v[102:103], 1.0
	v_rcp_f64_e32 v[114:115], v[112:113]
	v_div_scale_f64 v[116:117], vcc, 1.0, v[102:103], 1.0
	v_fma_f64 v[118:119], -v[112:113], v[114:115], 1.0
	v_fmac_f64_e32 v[114:115], v[114:115], v[118:119]
	v_fma_f64 v[118:119], -v[112:113], v[114:115], 1.0
	v_fmac_f64_e32 v[114:115], v[114:115], v[118:119]
	v_mul_f64 v[118:119], v[116:117], v[114:115]
	v_fma_f64 v[112:113], -v[112:113], v[118:119], v[116:117]
	v_div_fmas_f64 v[112:113], v[112:113], v[114:115], v[118:119]
	v_div_fixup_f64 v[102:103], v[112:113], v[102:103], 1.0
; %bb.801:
	s_or_b64 exec, exec, s[0:1]
	v_cmp_ne_u32_e32 vcc, v107, v104
	s_and_saveexec_b64 s[0:1], vcc
	s_xor_b64 s[0:1], exec, s[0:1]
	s_cbranch_execz .LBB96_807
; %bb.802:
	v_cmp_eq_u32_e32 vcc, 47, v107
	s_and_saveexec_b64 s[2:3], vcc
	s_cbranch_execz .LBB96_806
; %bb.803:
	v_cmp_ne_u32_e32 vcc, 47, v104
	s_xor_b64 s[14:15], s[6:7], -1
	s_and_b64 s[16:17], s[14:15], vcc
	s_and_saveexec_b64 s[14:15], s[16:17]
	s_cbranch_execz .LBB96_805
; %bb.804:
	v_ashrrev_i32_e32 v105, 31, v104
	v_lshlrev_b64 v[112:113], 2, v[104:105]
	v_add_co_u32_e32 v112, vcc, v4, v112
	v_addc_co_u32_e32 v113, vcc, v5, v113, vcc
	flat_load_dword v105, v[112:113]
	flat_load_dword v107, v[4:5] offset:188
	s_waitcnt vmcnt(0) lgkmcnt(0)
	flat_store_dword v[4:5], v105 offset:188
	flat_store_dword v[112:113], v107
.LBB96_805:
	s_or_b64 exec, exec, s[14:15]
	v_mov_b32_e32 v105, v104
	v_mov_b32_e32 v107, v104
.LBB96_806:
	s_or_b64 exec, exec, s[2:3]
.LBB96_807:
	s_andn2_saveexec_b64 s[0:1], s[0:1]
	s_cbranch_execz .LBB96_809
; %bb.808:
	v_mov_b32_e32 v107, 47
	ds_write_b64 v106, v[100:101] offset:384
.LBB96_809:
	s_or_b64 exec, exec, s[0:1]
	v_cmp_lt_i32_e32 vcc, 47, v107
	s_waitcnt lgkmcnt(0)
	s_barrier
	s_and_saveexec_b64 s[0:1], vcc
	s_cbranch_execz .LBB96_811
; %bb.810:
	ds_read_b64 v[112:113], v106 offset:384
	v_mul_f64 v[0:1], v[102:103], v[0:1]
	s_waitcnt lgkmcnt(0)
	v_fma_f64 v[100:101], -v[0:1], v[112:113], v[100:101]
.LBB96_811:
	s_or_b64 exec, exec, s[0:1]
	v_lshl_add_u32 v102, v107, 3, v106
	s_barrier
	ds_write_b64 v102, v[100:101]
	s_waitcnt lgkmcnt(0)
	s_barrier
	ds_read_b64 v[102:103], v106 offset:384
	s_cmp_lt_i32 s18, 50
	v_mov_b32_e32 v104, 48
	s_cbranch_scc1 .LBB96_814
; %bb.812:
	v_add_u32_e32 v106, 0x188, v106
	s_mov_b32 s0, 49
	v_mov_b32_e32 v104, 48
.LBB96_813:                             ; =>This Inner Loop Header: Depth=1
	ds_read_b64 v[112:113], v106
	v_mov_b32_e32 v111, s0
	s_add_i32 s0, s0, 1
	v_add_u32_e32 v106, 8, v106
	s_cmp_lg_u32 s18, s0
	s_waitcnt lgkmcnt(0)
	v_cmp_lt_f64_e64 vcc, |v[102:103]|, |v[112:113]|
	v_cndmask_b32_e32 v103, v103, v113, vcc
	v_cndmask_b32_e32 v102, v102, v112, vcc
	v_cndmask_b32_e32 v104, v104, v111, vcc
	s_cbranch_scc1 .LBB96_813
.LBB96_814:
	s_waitcnt lgkmcnt(0)
	v_cmp_eq_f64_e32 vcc, 0, v[102:103]
	s_and_saveexec_b64 s[0:1], vcc
	s_xor_b64 s[0:1], exec, s[0:1]
; %bb.815:
	v_cmp_ne_u32_e32 vcc, 0, v110
	v_cndmask_b32_e32 v110, 49, v110, vcc
; %bb.816:
	s_andn2_saveexec_b64 s[0:1], s[0:1]
; %bb.817:
	v_div_scale_f64 v[112:113], s[2:3], v[102:103], v[102:103], 1.0
	v_rcp_f64_e32 v[114:115], v[112:113]
	v_div_scale_f64 v[116:117], vcc, 1.0, v[102:103], 1.0
	v_fma_f64 v[118:119], -v[112:113], v[114:115], 1.0
	v_fmac_f64_e32 v[114:115], v[114:115], v[118:119]
	v_fma_f64 v[118:119], -v[112:113], v[114:115], 1.0
	v_fmac_f64_e32 v[114:115], v[114:115], v[118:119]
	v_mul_f64 v[118:119], v[116:117], v[114:115]
	v_fma_f64 v[112:113], -v[112:113], v[118:119], v[116:117]
	v_div_fmas_f64 v[112:113], v[112:113], v[114:115], v[118:119]
	v_div_fixup_f64 v[102:103], v[112:113], v[102:103], 1.0
; %bb.818:
	s_or_b64 exec, exec, s[0:1]
	v_cmp_ne_u32_e32 vcc, v107, v104
	v_mov_b32_e32 v106, 48
	s_and_saveexec_b64 s[0:1], vcc
	s_cbranch_execz .LBB96_824
; %bb.819:
	v_cmp_eq_u32_e32 vcc, 48, v107
	s_and_saveexec_b64 s[2:3], vcc
	s_cbranch_execz .LBB96_823
; %bb.820:
	v_cmp_ne_u32_e32 vcc, 48, v104
	s_xor_b64 s[6:7], s[6:7], -1
	s_and_b64 s[14:15], s[6:7], vcc
	s_and_saveexec_b64 s[6:7], s[14:15]
	s_cbranch_execz .LBB96_822
; %bb.821:
	v_ashrrev_i32_e32 v105, 31, v104
	v_lshlrev_b64 v[106:107], 2, v[104:105]
	v_add_co_u32_e32 v106, vcc, v4, v106
	v_addc_co_u32_e32 v107, vcc, v5, v107, vcc
	flat_load_dword v105, v[106:107]
	flat_load_dword v111, v[4:5] offset:192
	s_waitcnt vmcnt(0) lgkmcnt(0)
	flat_store_dword v[4:5], v105 offset:192
	flat_store_dword v[106:107], v111
.LBB96_822:
	s_or_b64 exec, exec, s[6:7]
	v_mov_b32_e32 v105, v104
	v_mov_b32_e32 v107, v104
.LBB96_823:
	s_or_b64 exec, exec, s[2:3]
	v_mov_b32_e32 v106, v107
.LBB96_824:
	s_or_b64 exec, exec, s[0:1]
	s_load_dwordx8 s[0:7], s[4:5], 0x28
	v_cmp_gt_i32_e32 vcc, 49, v106
	v_ashrrev_i32_e32 v107, 31, v106
	s_waitcnt lgkmcnt(0)
	s_barrier
	s_barrier
	s_and_saveexec_b64 s[14:15], vcc
	s_cbranch_execz .LBB96_826
; %bb.825:
	v_mul_lo_u32 v104, v3, s4
	v_mul_lo_u32 v111, v2, s5
	v_mad_u64_u32 v[4:5], s[4:5], v2, s4, 0
	s_lshl_b64 s[2:3], s[2:3], 2
	v_add3_u32 v5, v5, v111, v104
	s_add_u32 s0, s2, s0
	v_lshlrev_b64 v[4:5], 2, v[4:5]
	s_addc_u32 s1, s3, s1
	v_mov_b32_e32 v104, s1
	v_add_co_u32_e32 v111, vcc, s0, v4
	v_addc_co_u32_e32 v104, vcc, v104, v5, vcc
	v_lshlrev_b64 v[4:5], 2, v[106:107]
	v_add_co_u32_e32 v4, vcc, v111, v4
	v_addc_co_u32_e32 v5, vcc, v104, v5, vcc
	v_add3_u32 v104, v105, s13, 1
	global_store_dword v[4:5], v104, off
.LBB96_826:
	s_or_b64 exec, exec, s[14:15]
	v_cmp_eq_u32_e32 vcc, 0, v106
	s_and_saveexec_b64 s[2:3], vcc
	s_cbranch_execz .LBB96_829
; %bb.827:
	v_lshlrev_b64 v[2:3], 2, v[2:3]
	v_mov_b32_e32 v4, s7
	v_add_co_u32_e32 v2, vcc, s6, v2
	v_addc_co_u32_e32 v3, vcc, v4, v3, vcc
	global_load_dword v4, v[2:3], off
	v_cmp_lt_i32_e64 s[0:1], 0, v110
	s_waitcnt vmcnt(0)
	v_cmp_eq_u32_e32 vcc, 0, v4
	s_and_b64 s[0:1], vcc, s[0:1]
	s_and_b64 exec, exec, s[0:1]
	s_cbranch_execz .LBB96_829
; %bb.828:
	v_add_u32_e32 v4, s13, v110
	global_store_dword v[2:3], v4, off
.LBB96_829:
	s_or_b64 exec, exec, s[2:3]
	v_mul_f64 v[2:3], v[102:103], v[100:101]
	v_cmp_lt_i32_e32 vcc, 48, v106
	v_lshlrev_b64 v[4:5], 3, v[106:107]
	v_cndmask_b32_e32 v3, v101, v3, vcc
	v_cndmask_b32_e32 v2, v100, v2, vcc
	v_add_co_u32_e32 v4, vcc, v108, v4
	v_addc_co_u32_e32 v5, vcc, v109, v5, vcc
	global_store_dwordx2 v[4:5], v[96:97], off
	v_mov_b32_e32 v96, s11
	v_add_co_u32_e32 v4, vcc, s10, v4
	v_addc_co_u32_e32 v5, vcc, v5, v96, vcc
	global_store_dwordx2 v[4:5], v[98:99], off
	v_add_u32_e32 v4, s12, v106
	v_ashrrev_i32_e32 v5, 31, v4
	v_lshlrev_b64 v[96:97], 3, v[4:5]
	v_add_co_u32_e32 v96, vcc, v108, v96
	v_add_u32_e32 v4, s8, v4
	v_addc_co_u32_e32 v97, vcc, v109, v97, vcc
	v_ashrrev_i32_e32 v5, 31, v4
	global_store_dwordx2 v[96:97], v[94:95], off
	v_lshlrev_b64 v[94:95], 3, v[4:5]
	v_add_co_u32_e32 v94, vcc, v108, v94
	v_add_u32_e32 v4, s8, v4
	v_addc_co_u32_e32 v95, vcc, v109, v95, vcc
	v_ashrrev_i32_e32 v5, 31, v4
	global_store_dwordx2 v[94:95], v[92:93], off
	;; [unrolled: 6-line block ×45, first 2 shown]
	v_lshlrev_b64 v[6:7], 3, v[4:5]
	v_add_co_u32_e32 v6, vcc, v108, v6
	v_addc_co_u32_e32 v7, vcc, v109, v7, vcc
	global_store_dwordx2 v[6:7], v[0:1], off
	v_add_u32_e32 v0, s8, v4
	v_ashrrev_i32_e32 v1, 31, v0
	v_lshlrev_b64 v[0:1], 3, v[0:1]
	v_add_co_u32_e32 v0, vcc, v108, v0
	v_addc_co_u32_e32 v1, vcc, v109, v1, vcc
	global_store_dwordx2 v[0:1], v[2:3], off
.LBB96_830:
	s_endpgm
	.section	.rodata,"a",@progbits
	.p2align	6, 0x0
	.amdhsa_kernel _ZN9rocsolver6v33100L18getf2_small_kernelILi49EdiiPKPdEEvT1_T3_lS5_lPS5_llPT2_S5_S5_S7_l
		.amdhsa_group_segment_fixed_size 0
		.amdhsa_private_segment_fixed_size 0
		.amdhsa_kernarg_size 352
		.amdhsa_user_sgpr_count 6
		.amdhsa_user_sgpr_private_segment_buffer 1
		.amdhsa_user_sgpr_dispatch_ptr 0
		.amdhsa_user_sgpr_queue_ptr 0
		.amdhsa_user_sgpr_kernarg_segment_ptr 1
		.amdhsa_user_sgpr_dispatch_id 0
		.amdhsa_user_sgpr_flat_scratch_init 0
		.amdhsa_user_sgpr_kernarg_preload_length 0
		.amdhsa_user_sgpr_kernarg_preload_offset 0
		.amdhsa_user_sgpr_private_segment_size 0
		.amdhsa_uses_dynamic_stack 0
		.amdhsa_system_sgpr_private_segment_wavefront_offset 0
		.amdhsa_system_sgpr_workgroup_id_x 1
		.amdhsa_system_sgpr_workgroup_id_y 1
		.amdhsa_system_sgpr_workgroup_id_z 0
		.amdhsa_system_sgpr_workgroup_info 0
		.amdhsa_system_vgpr_workitem_id 1
		.amdhsa_next_free_vgpr 164
		.amdhsa_next_free_sgpr 22
		.amdhsa_accum_offset 164
		.amdhsa_reserve_vcc 1
		.amdhsa_reserve_flat_scratch 0
		.amdhsa_float_round_mode_32 0
		.amdhsa_float_round_mode_16_64 0
		.amdhsa_float_denorm_mode_32 3
		.amdhsa_float_denorm_mode_16_64 3
		.amdhsa_dx10_clamp 1
		.amdhsa_ieee_mode 1
		.amdhsa_fp16_overflow 0
		.amdhsa_tg_split 0
		.amdhsa_exception_fp_ieee_invalid_op 0
		.amdhsa_exception_fp_denorm_src 0
		.amdhsa_exception_fp_ieee_div_zero 0
		.amdhsa_exception_fp_ieee_overflow 0
		.amdhsa_exception_fp_ieee_underflow 0
		.amdhsa_exception_fp_ieee_inexact 0
		.amdhsa_exception_int_div_zero 0
	.end_amdhsa_kernel
	.section	.text._ZN9rocsolver6v33100L18getf2_small_kernelILi49EdiiPKPdEEvT1_T3_lS5_lPS5_llPT2_S5_S5_S7_l,"axG",@progbits,_ZN9rocsolver6v33100L18getf2_small_kernelILi49EdiiPKPdEEvT1_T3_lS5_lPS5_llPT2_S5_S5_S7_l,comdat
.Lfunc_end96:
	.size	_ZN9rocsolver6v33100L18getf2_small_kernelILi49EdiiPKPdEEvT1_T3_lS5_lPS5_llPT2_S5_S5_S7_l, .Lfunc_end96-_ZN9rocsolver6v33100L18getf2_small_kernelILi49EdiiPKPdEEvT1_T3_lS5_lPS5_llPT2_S5_S5_S7_l
                                        ; -- End function
	.section	.AMDGPU.csdata,"",@progbits
; Kernel info:
; codeLenInByte = 47108
; NumSgprs: 26
; NumVgprs: 164
; NumAgprs: 0
; TotalNumVgprs: 164
; ScratchSize: 0
; MemoryBound: 0
; FloatMode: 240
; IeeeMode: 1
; LDSByteSize: 0 bytes/workgroup (compile time only)
; SGPRBlocks: 3
; VGPRBlocks: 20
; NumSGPRsForWavesPerEU: 26
; NumVGPRsForWavesPerEU: 164
; AccumOffset: 164
; Occupancy: 3
; WaveLimiterHint : 1
; COMPUTE_PGM_RSRC2:SCRATCH_EN: 0
; COMPUTE_PGM_RSRC2:USER_SGPR: 6
; COMPUTE_PGM_RSRC2:TRAP_HANDLER: 0
; COMPUTE_PGM_RSRC2:TGID_X_EN: 1
; COMPUTE_PGM_RSRC2:TGID_Y_EN: 1
; COMPUTE_PGM_RSRC2:TGID_Z_EN: 0
; COMPUTE_PGM_RSRC2:TIDIG_COMP_CNT: 1
; COMPUTE_PGM_RSRC3_GFX90A:ACCUM_OFFSET: 40
; COMPUTE_PGM_RSRC3_GFX90A:TG_SPLIT: 0
	.section	.text._ZN9rocsolver6v33100L23getf2_npvt_small_kernelILi49EdiiPKPdEEvT1_T3_lS5_lPT2_S5_S5_,"axG",@progbits,_ZN9rocsolver6v33100L23getf2_npvt_small_kernelILi49EdiiPKPdEEvT1_T3_lS5_lPT2_S5_S5_,comdat
	.globl	_ZN9rocsolver6v33100L23getf2_npvt_small_kernelILi49EdiiPKPdEEvT1_T3_lS5_lPT2_S5_S5_ ; -- Begin function _ZN9rocsolver6v33100L23getf2_npvt_small_kernelILi49EdiiPKPdEEvT1_T3_lS5_lPT2_S5_S5_
	.p2align	8
	.type	_ZN9rocsolver6v33100L23getf2_npvt_small_kernelILi49EdiiPKPdEEvT1_T3_lS5_lPT2_S5_S5_,@function
_ZN9rocsolver6v33100L23getf2_npvt_small_kernelILi49EdiiPKPdEEvT1_T3_lS5_lPT2_S5_S5_: ; @_ZN9rocsolver6v33100L23getf2_npvt_small_kernelILi49EdiiPKPdEEvT1_T3_lS5_lPT2_S5_S5_
; %bb.0:
	s_mov_b64 s[18:19], s[2:3]
	s_mov_b64 s[16:17], s[0:1]
	s_add_u32 s16, s16, s8
	s_load_dword s0, s[4:5], 0x44
	s_load_dwordx2 s[8:9], s[4:5], 0x30
	s_addc_u32 s17, s17, 0
	v_bfe_u32 v2, v0, 10, 10
	s_waitcnt lgkmcnt(0)
	s_lshr_b32 s6, s0, 16
	s_mul_i32 s7, s7, s6
	v_add_u32_e32 v4, s7, v2
	v_cmp_gt_i32_e32 vcc, s8, v4
	s_and_saveexec_b64 s[0:1], vcc
	s_cbranch_execz .LBB97_248
; %bb.1:
	v_ashrrev_i32_e32 v5, 31, v4
	s_load_dwordx4 s[12:15], s[4:5], 0x8
	s_load_dword s0, s[4:5], 0x18
	buffer_store_dword v4, off, s[16:19], 0 offset:104 ; 4-byte Folded Spill
	s_nop 0
	buffer_store_dword v5, off, s[16:19], 0 offset:108 ; 4-byte Folded Spill
	v_and_b32_e32 v236, 0x3ff, v0
	s_mulk_i32 s6, 0x188
	s_waitcnt lgkmcnt(0)
	v_mov_b32_e32 v1, s13
	s_add_i32 s1, s0, s0
	s_lshl_b64 s[2:3], s[14:15], 3
	v_add_u32_e32 v0, s1, v236
	v_mov_b32_e32 v3, s3
	v_add_u32_e32 v6, s0, v0
	v_ashrrev_i32_e32 v7, 31, v6
	v_add_u32_e32 v8, s0, v6
	v_lshlrev_b64 v[6:7], 3, v[6:7]
	v_ashrrev_i32_e32 v9, 31, v8
	v_add_u32_e32 v10, s0, v8
	v_lshlrev_b64 v[8:9], 3, v[8:9]
	;; [unrolled: 3-line block ×9, first 2 shown]
	v_ashrrev_i32_e32 v25, 31, v24
	s_ashr_i32 s1, s0, 31
	v_lshlrev_b64 v[4:5], 3, v[4:5]
	v_add_co_u32_e32 v4, vcc, s12, v4
	v_addc_co_u32_e32 v5, vcc, v1, v5, vcc
	global_load_dwordx2 v[4:5], v[4:5], off
	v_ashrrev_i32_e32 v1, 31, v0
	v_lshlrev_b64 v[0:1], 3, v[0:1]
	s_waitcnt vmcnt(0)
	v_add_co_u32_e32 v96, vcc, s2, v4
	v_addc_co_u32_e32 v3, vcc, v5, v3, vcc
	v_add_co_u32_e32 v238, vcc, v96, v0
	v_addc_co_u32_e32 v239, vcc, v3, v1, vcc
	;; [unrolled: 2-line block ×11, first 2 shown]
	v_lshlrev_b64 v[4:5], 3, v[24:25]
	v_add_co_u32_e32 v22, vcc, v96, v4
	v_add_u32_e32 v4, s0, v24
	v_addc_co_u32_e32 v23, vcc, v3, v5, vcc
	v_ashrrev_i32_e32 v5, 31, v4
	v_lshlrev_b64 v[6:7], 3, v[4:5]
	v_add_u32_e32 v4, s0, v4
	v_add_co_u32_e32 v24, vcc, v96, v6
	v_ashrrev_i32_e32 v5, 31, v4
	v_addc_co_u32_e32 v25, vcc, v3, v7, vcc
	v_lshlrev_b64 v[6:7], 3, v[4:5]
	v_add_u32_e32 v4, s0, v4
	v_add_co_u32_e32 v26, vcc, v96, v6
	v_ashrrev_i32_e32 v5, 31, v4
	v_addc_co_u32_e32 v27, vcc, v3, v7, vcc
	;; [unrolled: 5-line block ×35, first 2 shown]
	v_lshlrev_b64 v[4:5], 3, v[4:5]
	v_add_co_u32_e32 v94, vcc, v96, v4
	v_addc_co_u32_e32 v95, vcc, v3, v5, vcc
	v_lshlrev_b32_e32 v0, 3, v236
	v_add_co_u32_e32 v96, vcc, v96, v0
	v_addc_co_u32_e32 v97, vcc, 0, v3, vcc
	s_lshl_b64 s[0:1], s[0:1], 3
	v_mov_b32_e32 v0, s1
	v_add_co_u32_e32 v98, vcc, s0, v96
	v_addc_co_u32_e32 v99, vcc, v97, v0, vcc
	global_load_dwordx2 v[100:101], v[96:97], off
	global_load_dwordx2 v[148:149], v[98:99], off
	;; [unrolled: 1-line block ×3, first 2 shown]
	s_nop 0
	buffer_store_dword v102, off, s[16:19], 0 ; 4-byte Folded Spill
	s_nop 0
	buffer_store_dword v103, off, s[16:19], 0 offset:4 ; 4-byte Folded Spill
	s_movk_i32 s0, 0x188
	s_add_i32 s1, s6, 0
	v_mad_u32_u24 v235, v2, s0, 0
	v_lshl_add_u32 v234, v2, 3, s1
	v_cmp_ne_u32_e64 s[2:3], 0, v236
	v_cmp_eq_u32_e64 s[0:1], 0, v236
	global_load_dwordx2 v[146:147], v[102:103], off
	s_nop 0
	buffer_store_dword v8, off, s[16:19], 0 offset:8 ; 4-byte Folded Spill
	s_nop 0
	buffer_store_dword v9, off, s[16:19], 0 offset:12 ; 4-byte Folded Spill
	global_load_dwordx2 v[192:193], v[8:9], off
	s_nop 0
	buffer_store_dword v104, off, s[16:19], 0 offset:16 ; 4-byte Folded Spill
	s_nop 0
	buffer_store_dword v105, off, s[16:19], 0 offset:20 ; 4-byte Folded Spill
	global_load_dwordx2 v[144:145], v[104:105], off
	global_load_dwordx2 v[190:191], v[10:11], off
	;; [unrolled: 1-line block ×44, first 2 shown]
	s_and_saveexec_b64 s[6:7], s[0:1]
	s_cbranch_execz .LBB97_4
; %bb.2:
	s_waitcnt vmcnt(54)
	ds_write_b64 v234, v[100:101]
	s_waitcnt vmcnt(52)
	ds_write2_b64 v235, v[148:149], v[194:195] offset0:1 offset1:2
	s_waitcnt vmcnt(46)
	ds_write2_b64 v235, v[146:147], v[192:193] offset0:3 offset1:4
	;; [unrolled: 2-line block ×24, first 2 shown]
	ds_read_b64 v[2:3], v234
	s_waitcnt lgkmcnt(0)
	v_cmp_neq_f64_e32 vcc, 0, v[2:3]
	s_and_b64 exec, exec, vcc
	s_cbranch_execz .LBB97_4
; %bb.3:
	v_div_scale_f64 v[4:5], s[10:11], v[2:3], v[2:3], 1.0
	v_rcp_f64_e32 v[6:7], v[4:5]
	v_div_scale_f64 v[198:199], vcc, 1.0, v[2:3], 1.0
	v_fma_f64 v[200:201], -v[4:5], v[6:7], 1.0
	v_fmac_f64_e32 v[6:7], v[6:7], v[200:201]
	v_fma_f64 v[200:201], -v[4:5], v[6:7], 1.0
	v_fmac_f64_e32 v[6:7], v[6:7], v[200:201]
	v_mul_f64 v[200:201], v[198:199], v[6:7]
	v_fma_f64 v[4:5], -v[4:5], v[200:201], v[198:199]
	v_div_fmas_f64 v[4:5], v[4:5], v[6:7], v[200:201]
	v_div_fixup_f64 v[2:3], v[4:5], v[2:3], 1.0
	ds_write_b64 v234, v[2:3]
.LBB97_4:
	s_or_b64 exec, exec, s[6:7]
	s_waitcnt lgkmcnt(0)
	s_barrier
	ds_read_b64 v[8:9], v234
	s_and_saveexec_b64 s[6:7], s[2:3]
	s_cbranch_execz .LBB97_6
; %bb.5:
	ds_read2_b64 v[198:201], v235 offset0:1 offset1:2
	ds_read2_b64 v[202:205], v235 offset0:3 offset1:4
	;; [unrolled: 1-line block ×3, first 2 shown]
	s_waitcnt vmcnt(54) lgkmcnt(3)
	v_mul_f64 v[100:101], v[8:9], v[100:101]
	s_waitcnt vmcnt(53) lgkmcnt(2)
	v_fma_f64 v[148:149], -v[100:101], v[198:199], v[148:149]
	s_waitcnt vmcnt(52)
	v_fma_f64 v[194:195], -v[100:101], v[200:201], v[194:195]
	ds_read2_b64 v[198:201], v235 offset0:7 offset1:8
	s_waitcnt vmcnt(49) lgkmcnt(2)
	v_fma_f64 v[146:147], -v[100:101], v[202:203], v[146:147]
	s_waitcnt vmcnt(46)
	v_fma_f64 v[192:193], -v[100:101], v[204:205], v[192:193]
	s_waitcnt vmcnt(43) lgkmcnt(1)
	v_fma_f64 v[144:145], -v[100:101], v[206:207], v[144:145]
	ds_read2_b64 v[202:205], v235 offset0:9 offset1:10
	s_waitcnt vmcnt(42)
	v_fma_f64 v[190:191], -v[100:101], v[208:209], v[190:191]
	ds_read2_b64 v[206:209], v235 offset0:11 offset1:12
	s_waitcnt vmcnt(41) lgkmcnt(2)
	v_fma_f64 v[142:143], -v[100:101], v[198:199], v[142:143]
	s_waitcnt vmcnt(40)
	v_fma_f64 v[188:189], -v[100:101], v[200:201], v[188:189]
	s_waitcnt vmcnt(39) lgkmcnt(1)
	v_fma_f64 v[140:141], -v[100:101], v[202:203], v[140:141]
	ds_read2_b64 v[198:201], v235 offset0:13 offset1:14
	s_waitcnt vmcnt(38)
	v_fma_f64 v[186:187], -v[100:101], v[204:205], v[186:187]
	ds_read2_b64 v[202:205], v235 offset0:15 offset1:16
	s_waitcnt vmcnt(37) lgkmcnt(2)
	v_fma_f64 v[138:139], -v[100:101], v[206:207], v[138:139]
	s_waitcnt vmcnt(36)
	v_fma_f64 v[184:185], -v[100:101], v[208:209], v[184:185]
	ds_read2_b64 v[206:209], v235 offset0:17 offset1:18
	s_waitcnt vmcnt(35) lgkmcnt(2)
	v_fma_f64 v[136:137], -v[100:101], v[198:199], v[136:137]
	s_waitcnt vmcnt(34)
	v_fma_f64 v[182:183], -v[100:101], v[200:201], v[182:183]
	ds_read2_b64 v[198:201], v235 offset0:19 offset1:20
	s_waitcnt vmcnt(33) lgkmcnt(2)
	v_fma_f64 v[134:135], -v[100:101], v[202:203], v[134:135]
	s_waitcnt vmcnt(32)
	v_fma_f64 v[180:181], -v[100:101], v[204:205], v[180:181]
	s_waitcnt vmcnt(31) lgkmcnt(1)
	v_fma_f64 v[132:133], -v[100:101], v[206:207], v[132:133]
	ds_read2_b64 v[202:205], v235 offset0:21 offset1:22
	s_waitcnt vmcnt(30)
	v_fma_f64 v[178:179], -v[100:101], v[208:209], v[178:179]
	ds_read2_b64 v[206:209], v235 offset0:23 offset1:24
	s_waitcnt vmcnt(29) lgkmcnt(2)
	v_fma_f64 v[130:131], -v[100:101], v[198:199], v[130:131]
	s_waitcnt vmcnt(28)
	v_fma_f64 v[176:177], -v[100:101], v[200:201], v[176:177]
	s_waitcnt vmcnt(27) lgkmcnt(1)
	v_fma_f64 v[128:129], -v[100:101], v[202:203], v[128:129]
	ds_read2_b64 v[198:201], v235 offset0:25 offset1:26
	s_waitcnt vmcnt(26)
	v_fma_f64 v[174:175], -v[100:101], v[204:205], v[174:175]
	ds_read2_b64 v[202:205], v235 offset0:27 offset1:28
	s_waitcnt vmcnt(25) lgkmcnt(2)
	v_fma_f64 v[126:127], -v[100:101], v[206:207], v[126:127]
	s_waitcnt vmcnt(24)
	v_fma_f64 v[172:173], -v[100:101], v[208:209], v[172:173]
	ds_read2_b64 v[206:209], v235 offset0:29 offset1:30
	;; [unrolled: 30-line block ×3, first 2 shown]
	s_waitcnt vmcnt(11) lgkmcnt(2)
	v_fma_f64 v[112:113], -v[100:101], v[198:199], v[112:113]
	s_waitcnt vmcnt(10)
	v_fma_f64 v[158:159], -v[100:101], v[200:201], v[158:159]
	ds_read2_b64 v[198:201], v235 offset0:43 offset1:44
	s_waitcnt vmcnt(9) lgkmcnt(2)
	v_fma_f64 v[110:111], -v[100:101], v[202:203], v[110:111]
	s_waitcnt vmcnt(8)
	v_fma_f64 v[156:157], -v[100:101], v[204:205], v[156:157]
	s_waitcnt vmcnt(7) lgkmcnt(1)
	v_fma_f64 v[108:109], -v[100:101], v[206:207], v[108:109]
	ds_read2_b64 v[202:205], v235 offset0:45 offset1:46
	s_waitcnt vmcnt(6)
	v_fma_f64 v[154:155], -v[100:101], v[208:209], v[154:155]
	ds_read2_b64 v[206:209], v235 offset0:47 offset1:48
	s_waitcnt vmcnt(5) lgkmcnt(2)
	v_fma_f64 v[106:107], -v[100:101], v[198:199], v[106:107]
	s_waitcnt vmcnt(4)
	v_fma_f64 v[152:153], -v[100:101], v[200:201], v[152:153]
	s_waitcnt vmcnt(3) lgkmcnt(1)
	v_fma_f64 v[104:105], -v[100:101], v[202:203], v[104:105]
	s_waitcnt vmcnt(2)
	v_fma_f64 v[150:151], -v[100:101], v[204:205], v[150:151]
	;; [unrolled: 4-line block ×3, first 2 shown]
.LBB97_6:
	s_or_b64 exec, exec, s[6:7]
	v_cmp_eq_u32_e32 vcc, 1, v236
	s_waitcnt lgkmcnt(0)
	s_barrier
	s_and_saveexec_b64 s[2:3], vcc
	s_cbranch_execz .LBB97_9
; %bb.7:
	s_waitcnt vmcnt(52)
	v_mov_b32_e32 v2, v194
	v_mov_b32_e32 v3, v195
	s_waitcnt vmcnt(49)
	v_mov_b32_e32 v4, v146
	v_mov_b32_e32 v5, v147
	ds_write_b64 v234, v[148:149]
	ds_write2_b64 v235, v[2:3], v[4:5] offset0:2 offset1:3
	s_waitcnt vmcnt(46)
	v_mov_b32_e32 v2, v192
	v_mov_b32_e32 v3, v193
	s_waitcnt vmcnt(43)
	v_mov_b32_e32 v4, v144
	v_mov_b32_e32 v5, v145
	ds_write2_b64 v235, v[2:3], v[4:5] offset0:4 offset1:5
	s_waitcnt vmcnt(42)
	v_mov_b32_e32 v2, v190
	v_mov_b32_e32 v3, v191
	s_waitcnt vmcnt(41)
	v_mov_b32_e32 v4, v142
	v_mov_b32_e32 v5, v143
	;; [unrolled: 7-line block ×22, first 2 shown]
	ds_write2_b64 v235, v[2:3], v[4:5] offset0:46 offset1:47
	s_waitcnt vmcnt(0)
	ds_write_b64 v235, v[196:197] offset:384
	ds_read_b64 v[2:3], v234
	s_waitcnt lgkmcnt(0)
	v_cmp_neq_f64_e32 vcc, 0, v[2:3]
	s_and_b64 exec, exec, vcc
	s_cbranch_execz .LBB97_9
; %bb.8:
	v_div_scale_f64 v[4:5], s[6:7], v[2:3], v[2:3], 1.0
	v_rcp_f64_e32 v[6:7], v[4:5]
	v_div_scale_f64 v[198:199], vcc, 1.0, v[2:3], 1.0
	v_fma_f64 v[200:201], -v[4:5], v[6:7], 1.0
	v_fmac_f64_e32 v[6:7], v[6:7], v[200:201]
	v_fma_f64 v[200:201], -v[4:5], v[6:7], 1.0
	v_fmac_f64_e32 v[6:7], v[6:7], v[200:201]
	v_mul_f64 v[200:201], v[198:199], v[6:7]
	v_fma_f64 v[4:5], -v[4:5], v[200:201], v[198:199]
	v_div_fmas_f64 v[4:5], v[4:5], v[6:7], v[200:201]
	v_div_fixup_f64 v[2:3], v[4:5], v[2:3], 1.0
	ds_write_b64 v234, v[2:3]
.LBB97_9:
	s_or_b64 exec, exec, s[2:3]
	s_waitcnt lgkmcnt(0)
	s_barrier
	ds_read_b64 v[240:241], v234
	v_cmp_lt_u32_e32 vcc, 1, v236
	s_and_saveexec_b64 s[2:3], vcc
	s_cbranch_execz .LBB97_11
; %bb.10:
	ds_read2_b64 v[198:201], v235 offset0:2 offset1:3
	ds_read2_b64 v[202:205], v235 offset0:4 offset1:5
	s_waitcnt vmcnt(53) lgkmcnt(2)
	v_mul_f64 v[148:149], v[240:241], v[148:149]
	ds_read2_b64 v[206:209], v235 offset0:6 offset1:7
	ds_read_b64 v[2:3], v235 offset:384
	s_waitcnt vmcnt(52) lgkmcnt(3)
	v_fma_f64 v[194:195], -v[148:149], v[198:199], v[194:195]
	s_waitcnt vmcnt(49)
	v_fma_f64 v[146:147], -v[148:149], v[200:201], v[146:147]
	ds_read2_b64 v[198:201], v235 offset0:8 offset1:9
	s_waitcnt vmcnt(46) lgkmcnt(3)
	v_fma_f64 v[192:193], -v[148:149], v[202:203], v[192:193]
	s_waitcnt vmcnt(43)
	v_fma_f64 v[144:145], -v[148:149], v[204:205], v[144:145]
	ds_read2_b64 v[202:205], v235 offset0:10 offset1:11
	;; [unrolled: 5-line block ×3, first 2 shown]
	s_waitcnt vmcnt(40) lgkmcnt(2)
	v_fma_f64 v[188:189], -v[148:149], v[198:199], v[188:189]
	s_waitcnt vmcnt(39)
	v_fma_f64 v[140:141], -v[148:149], v[200:201], v[140:141]
	s_waitcnt vmcnt(38) lgkmcnt(1)
	v_fma_f64 v[186:187], -v[148:149], v[202:203], v[186:187]
	ds_read2_b64 v[198:201], v235 offset0:14 offset1:15
	s_waitcnt vmcnt(37)
	v_fma_f64 v[138:139], -v[148:149], v[204:205], v[138:139]
	ds_read2_b64 v[202:205], v235 offset0:16 offset1:17
	s_waitcnt vmcnt(36) lgkmcnt(2)
	v_fma_f64 v[184:185], -v[148:149], v[206:207], v[184:185]
	s_waitcnt vmcnt(35)
	v_fma_f64 v[136:137], -v[148:149], v[208:209], v[136:137]
	s_waitcnt vmcnt(34) lgkmcnt(1)
	v_fma_f64 v[182:183], -v[148:149], v[198:199], v[182:183]
	ds_read2_b64 v[206:209], v235 offset0:18 offset1:19
	s_waitcnt vmcnt(33)
	v_fma_f64 v[134:135], -v[148:149], v[200:201], v[134:135]
	ds_read2_b64 v[198:201], v235 offset0:20 offset1:21
	s_waitcnt vmcnt(32) lgkmcnt(2)
	v_fma_f64 v[180:181], -v[148:149], v[202:203], v[180:181]
	s_waitcnt vmcnt(31)
	v_fma_f64 v[132:133], -v[148:149], v[204:205], v[132:133]
	ds_read2_b64 v[202:205], v235 offset0:22 offset1:23
	s_waitcnt vmcnt(30) lgkmcnt(2)
	v_fma_f64 v[178:179], -v[148:149], v[206:207], v[178:179]
	;; [unrolled: 5-line block ×3, first 2 shown]
	s_waitcnt vmcnt(27)
	v_fma_f64 v[128:129], -v[148:149], v[200:201], v[128:129]
	s_waitcnt vmcnt(26) lgkmcnt(1)
	v_fma_f64 v[174:175], -v[148:149], v[202:203], v[174:175]
	ds_read2_b64 v[198:201], v235 offset0:26 offset1:27
	s_waitcnt vmcnt(25)
	v_fma_f64 v[126:127], -v[148:149], v[204:205], v[126:127]
	ds_read2_b64 v[202:205], v235 offset0:28 offset1:29
	s_waitcnt vmcnt(24) lgkmcnt(2)
	v_fma_f64 v[172:173], -v[148:149], v[206:207], v[172:173]
	s_waitcnt vmcnt(23)
	v_fma_f64 v[124:125], -v[148:149], v[208:209], v[124:125]
	s_waitcnt vmcnt(22) lgkmcnt(1)
	v_fma_f64 v[170:171], -v[148:149], v[198:199], v[170:171]
	ds_read2_b64 v[206:209], v235 offset0:30 offset1:31
	s_waitcnt vmcnt(21)
	v_fma_f64 v[122:123], -v[148:149], v[200:201], v[122:123]
	ds_read2_b64 v[198:201], v235 offset0:32 offset1:33
	s_waitcnt vmcnt(20) lgkmcnt(2)
	v_fma_f64 v[168:169], -v[148:149], v[202:203], v[168:169]
	s_waitcnt vmcnt(19)
	v_fma_f64 v[120:121], -v[148:149], v[204:205], v[120:121]
	ds_read2_b64 v[202:205], v235 offset0:34 offset1:35
	s_waitcnt vmcnt(18) lgkmcnt(2)
	v_fma_f64 v[166:167], -v[148:149], v[206:207], v[166:167]
	;; [unrolled: 5-line block ×3, first 2 shown]
	s_waitcnt vmcnt(15)
	v_fma_f64 v[116:117], -v[148:149], v[200:201], v[116:117]
	s_waitcnt vmcnt(14) lgkmcnt(1)
	v_fma_f64 v[162:163], -v[148:149], v[202:203], v[162:163]
	ds_read2_b64 v[198:201], v235 offset0:38 offset1:39
	s_waitcnt vmcnt(13)
	v_fma_f64 v[114:115], -v[148:149], v[204:205], v[114:115]
	ds_read2_b64 v[202:205], v235 offset0:40 offset1:41
	s_waitcnt vmcnt(12) lgkmcnt(2)
	v_fma_f64 v[160:161], -v[148:149], v[206:207], v[160:161]
	s_waitcnt vmcnt(11)
	v_fma_f64 v[112:113], -v[148:149], v[208:209], v[112:113]
	s_waitcnt vmcnt(10) lgkmcnt(1)
	v_fma_f64 v[158:159], -v[148:149], v[198:199], v[158:159]
	ds_read2_b64 v[206:209], v235 offset0:42 offset1:43
	s_waitcnt vmcnt(9)
	v_fma_f64 v[110:111], -v[148:149], v[200:201], v[110:111]
	ds_read2_b64 v[198:201], v235 offset0:44 offset1:45
	s_waitcnt vmcnt(8) lgkmcnt(2)
	v_fma_f64 v[156:157], -v[148:149], v[202:203], v[156:157]
	s_waitcnt vmcnt(7)
	v_fma_f64 v[108:109], -v[148:149], v[204:205], v[108:109]
	ds_read2_b64 v[202:205], v235 offset0:46 offset1:47
	s_waitcnt vmcnt(6) lgkmcnt(2)
	v_fma_f64 v[154:155], -v[148:149], v[206:207], v[154:155]
	s_waitcnt vmcnt(5)
	v_fma_f64 v[106:107], -v[148:149], v[208:209], v[106:107]
	s_waitcnt vmcnt(4) lgkmcnt(1)
	v_fma_f64 v[152:153], -v[148:149], v[198:199], v[152:153]
	s_waitcnt vmcnt(3)
	v_fma_f64 v[104:105], -v[148:149], v[200:201], v[104:105]
	s_waitcnt vmcnt(2) lgkmcnt(0)
	v_fma_f64 v[150:151], -v[148:149], v[202:203], v[150:151]
	s_waitcnt vmcnt(1)
	v_fma_f64 v[102:103], -v[148:149], v[204:205], v[102:103]
	s_waitcnt vmcnt(0)
	v_fma_f64 v[196:197], -v[148:149], v[2:3], v[196:197]
.LBB97_11:
	s_or_b64 exec, exec, s[2:3]
	v_cmp_eq_u32_e32 vcc, 2, v236
	s_waitcnt lgkmcnt(0)
	s_barrier
	s_and_saveexec_b64 s[2:3], vcc
	s_cbranch_execz .LBB97_14
; %bb.12:
	s_waitcnt vmcnt(52)
	ds_write_b64 v234, v[194:195]
	s_waitcnt vmcnt(46)
	ds_write2_b64 v235, v[146:147], v[192:193] offset0:3 offset1:4
	s_waitcnt vmcnt(42)
	ds_write2_b64 v235, v[144:145], v[190:191] offset0:5 offset1:6
	;; [unrolled: 2-line block ×23, first 2 shown]
	ds_read_b64 v[2:3], v234
	s_waitcnt lgkmcnt(0)
	v_cmp_neq_f64_e32 vcc, 0, v[2:3]
	s_and_b64 exec, exec, vcc
	s_cbranch_execz .LBB97_14
; %bb.13:
	v_div_scale_f64 v[4:5], s[6:7], v[2:3], v[2:3], 1.0
	v_rcp_f64_e32 v[6:7], v[4:5]
	v_div_scale_f64 v[198:199], vcc, 1.0, v[2:3], 1.0
	v_fma_f64 v[200:201], -v[4:5], v[6:7], 1.0
	v_fmac_f64_e32 v[6:7], v[6:7], v[200:201]
	v_fma_f64 v[200:201], -v[4:5], v[6:7], 1.0
	v_fmac_f64_e32 v[6:7], v[6:7], v[200:201]
	v_mul_f64 v[200:201], v[198:199], v[6:7]
	v_fma_f64 v[4:5], -v[4:5], v[200:201], v[198:199]
	v_div_fmas_f64 v[4:5], v[4:5], v[6:7], v[200:201]
	v_div_fixup_f64 v[2:3], v[4:5], v[2:3], 1.0
	ds_write_b64 v234, v[2:3]
.LBB97_14:
	s_or_b64 exec, exec, s[2:3]
	s_waitcnt lgkmcnt(0)
	s_barrier
	ds_read_b64 v[242:243], v234
	v_cmp_lt_u32_e32 vcc, 2, v236
	s_and_saveexec_b64 s[2:3], vcc
	s_cbranch_execz .LBB97_16
; %bb.15:
	ds_read2_b64 v[198:201], v235 offset0:3 offset1:4
	ds_read2_b64 v[202:205], v235 offset0:5 offset1:6
	s_waitcnt vmcnt(52) lgkmcnt(2)
	v_mul_f64 v[194:195], v[242:243], v[194:195]
	ds_read2_b64 v[206:209], v235 offset0:7 offset1:8
	s_waitcnt vmcnt(49) lgkmcnt(2)
	v_fma_f64 v[146:147], -v[194:195], v[198:199], v[146:147]
	s_waitcnt vmcnt(46)
	v_fma_f64 v[192:193], -v[194:195], v[200:201], v[192:193]
	ds_read2_b64 v[198:201], v235 offset0:9 offset1:10
	s_waitcnt vmcnt(43) lgkmcnt(2)
	v_fma_f64 v[144:145], -v[194:195], v[202:203], v[144:145]
	s_waitcnt vmcnt(42)
	v_fma_f64 v[190:191], -v[194:195], v[204:205], v[190:191]
	;; [unrolled: 5-line block ×4, first 2 shown]
	s_waitcnt vmcnt(37) lgkmcnt(1)
	v_fma_f64 v[138:139], -v[194:195], v[202:203], v[138:139]
	ds_read2_b64 v[198:201], v235 offset0:15 offset1:16
	s_waitcnt vmcnt(36)
	v_fma_f64 v[184:185], -v[194:195], v[204:205], v[184:185]
	ds_read2_b64 v[202:205], v235 offset0:17 offset1:18
	s_waitcnt vmcnt(35) lgkmcnt(2)
	v_fma_f64 v[136:137], -v[194:195], v[206:207], v[136:137]
	s_waitcnt vmcnt(34)
	v_fma_f64 v[182:183], -v[194:195], v[208:209], v[182:183]
	s_waitcnt vmcnt(33) lgkmcnt(1)
	v_fma_f64 v[134:135], -v[194:195], v[198:199], v[134:135]
	ds_read2_b64 v[206:209], v235 offset0:19 offset1:20
	s_waitcnt vmcnt(32)
	v_fma_f64 v[180:181], -v[194:195], v[200:201], v[180:181]
	ds_read2_b64 v[198:201], v235 offset0:21 offset1:22
	s_waitcnt vmcnt(31) lgkmcnt(2)
	v_fma_f64 v[132:133], -v[194:195], v[202:203], v[132:133]
	s_waitcnt vmcnt(30)
	v_fma_f64 v[178:179], -v[194:195], v[204:205], v[178:179]
	ds_read2_b64 v[202:205], v235 offset0:23 offset1:24
	s_waitcnt vmcnt(29) lgkmcnt(2)
	v_fma_f64 v[130:131], -v[194:195], v[206:207], v[130:131]
	;; [unrolled: 5-line block ×3, first 2 shown]
	s_waitcnt vmcnt(26)
	v_fma_f64 v[174:175], -v[194:195], v[200:201], v[174:175]
	s_waitcnt vmcnt(25) lgkmcnt(1)
	v_fma_f64 v[126:127], -v[194:195], v[202:203], v[126:127]
	ds_read2_b64 v[198:201], v235 offset0:27 offset1:28
	s_waitcnt vmcnt(24)
	v_fma_f64 v[172:173], -v[194:195], v[204:205], v[172:173]
	ds_read2_b64 v[202:205], v235 offset0:29 offset1:30
	s_waitcnt vmcnt(23) lgkmcnt(2)
	v_fma_f64 v[124:125], -v[194:195], v[206:207], v[124:125]
	s_waitcnt vmcnt(22)
	v_fma_f64 v[170:171], -v[194:195], v[208:209], v[170:171]
	s_waitcnt vmcnt(21) lgkmcnt(1)
	v_fma_f64 v[122:123], -v[194:195], v[198:199], v[122:123]
	ds_read2_b64 v[206:209], v235 offset0:31 offset1:32
	s_waitcnt vmcnt(20)
	v_fma_f64 v[168:169], -v[194:195], v[200:201], v[168:169]
	ds_read2_b64 v[198:201], v235 offset0:33 offset1:34
	s_waitcnt vmcnt(19) lgkmcnt(2)
	v_fma_f64 v[120:121], -v[194:195], v[202:203], v[120:121]
	s_waitcnt vmcnt(18)
	v_fma_f64 v[166:167], -v[194:195], v[204:205], v[166:167]
	ds_read2_b64 v[202:205], v235 offset0:35 offset1:36
	s_waitcnt vmcnt(17) lgkmcnt(2)
	v_fma_f64 v[118:119], -v[194:195], v[206:207], v[118:119]
	;; [unrolled: 5-line block ×3, first 2 shown]
	s_waitcnt vmcnt(14)
	v_fma_f64 v[162:163], -v[194:195], v[200:201], v[162:163]
	s_waitcnt vmcnt(13) lgkmcnt(1)
	v_fma_f64 v[114:115], -v[194:195], v[202:203], v[114:115]
	ds_read2_b64 v[198:201], v235 offset0:39 offset1:40
	s_waitcnt vmcnt(12)
	v_fma_f64 v[160:161], -v[194:195], v[204:205], v[160:161]
	ds_read2_b64 v[202:205], v235 offset0:41 offset1:42
	s_waitcnt vmcnt(11) lgkmcnt(2)
	v_fma_f64 v[112:113], -v[194:195], v[206:207], v[112:113]
	s_waitcnt vmcnt(10)
	v_fma_f64 v[158:159], -v[194:195], v[208:209], v[158:159]
	s_waitcnt vmcnt(9) lgkmcnt(1)
	v_fma_f64 v[110:111], -v[194:195], v[198:199], v[110:111]
	s_waitcnt vmcnt(8)
	v_fma_f64 v[156:157], -v[194:195], v[200:201], v[156:157]
	ds_read2_b64 v[198:201], v235 offset0:43 offset1:44
	ds_read2_b64 v[206:209], v235 offset0:45 offset1:46
	s_waitcnt vmcnt(7) lgkmcnt(2)
	v_fma_f64 v[108:109], -v[194:195], v[202:203], v[108:109]
	s_waitcnt vmcnt(6)
	v_fma_f64 v[154:155], -v[194:195], v[204:205], v[154:155]
	ds_read2_b64 v[202:205], v235 offset0:47 offset1:48
	s_waitcnt vmcnt(5) lgkmcnt(2)
	v_fma_f64 v[106:107], -v[194:195], v[198:199], v[106:107]
	s_waitcnt vmcnt(4)
	v_fma_f64 v[152:153], -v[194:195], v[200:201], v[152:153]
	s_waitcnt vmcnt(3) lgkmcnt(1)
	v_fma_f64 v[104:105], -v[194:195], v[206:207], v[104:105]
	s_waitcnt vmcnt(2)
	v_fma_f64 v[150:151], -v[194:195], v[208:209], v[150:151]
	;; [unrolled: 4-line block ×3, first 2 shown]
.LBB97_16:
	s_or_b64 exec, exec, s[2:3]
	v_cmp_eq_u32_e32 vcc, 3, v236
	s_waitcnt lgkmcnt(0)
	s_barrier
	s_and_saveexec_b64 s[2:3], vcc
	s_cbranch_execz .LBB97_19
; %bb.17:
	s_waitcnt vmcnt(46)
	v_mov_b32_e32 v2, v192
	v_mov_b32_e32 v3, v193
	s_waitcnt vmcnt(43)
	v_mov_b32_e32 v4, v144
	v_mov_b32_e32 v5, v145
	ds_write_b64 v234, v[146:147]
	ds_write2_b64 v235, v[2:3], v[4:5] offset0:4 offset1:5
	s_waitcnt vmcnt(42)
	v_mov_b32_e32 v2, v190
	v_mov_b32_e32 v3, v191
	s_waitcnt vmcnt(41)
	v_mov_b32_e32 v4, v142
	v_mov_b32_e32 v5, v143
	ds_write2_b64 v235, v[2:3], v[4:5] offset0:6 offset1:7
	s_waitcnt vmcnt(40)
	v_mov_b32_e32 v2, v188
	v_mov_b32_e32 v3, v189
	s_waitcnt vmcnt(39)
	v_mov_b32_e32 v4, v140
	v_mov_b32_e32 v5, v141
	;; [unrolled: 7-line block ×21, first 2 shown]
	ds_write2_b64 v235, v[2:3], v[4:5] offset0:46 offset1:47
	s_waitcnt vmcnt(0)
	ds_write_b64 v235, v[196:197] offset:384
	ds_read_b64 v[2:3], v234
	s_waitcnt lgkmcnt(0)
	v_cmp_neq_f64_e32 vcc, 0, v[2:3]
	s_and_b64 exec, exec, vcc
	s_cbranch_execz .LBB97_19
; %bb.18:
	v_div_scale_f64 v[4:5], s[6:7], v[2:3], v[2:3], 1.0
	v_rcp_f64_e32 v[6:7], v[4:5]
	v_div_scale_f64 v[198:199], vcc, 1.0, v[2:3], 1.0
	v_fma_f64 v[200:201], -v[4:5], v[6:7], 1.0
	v_fmac_f64_e32 v[6:7], v[6:7], v[200:201]
	v_fma_f64 v[200:201], -v[4:5], v[6:7], 1.0
	v_fmac_f64_e32 v[6:7], v[6:7], v[200:201]
	v_mul_f64 v[200:201], v[198:199], v[6:7]
	v_fma_f64 v[4:5], -v[4:5], v[200:201], v[198:199]
	v_div_fmas_f64 v[4:5], v[4:5], v[6:7], v[200:201]
	v_div_fixup_f64 v[2:3], v[4:5], v[2:3], 1.0
	ds_write_b64 v234, v[2:3]
.LBB97_19:
	s_or_b64 exec, exec, s[2:3]
	s_waitcnt lgkmcnt(0)
	s_barrier
	ds_read_b64 v[244:245], v234
	v_cmp_lt_u32_e32 vcc, 3, v236
	s_and_saveexec_b64 s[2:3], vcc
	s_cbranch_execz .LBB97_21
; %bb.20:
	ds_read2_b64 v[198:201], v235 offset0:4 offset1:5
	ds_read2_b64 v[202:205], v235 offset0:6 offset1:7
	s_waitcnt vmcnt(49) lgkmcnt(2)
	v_mul_f64 v[146:147], v[244:245], v[146:147]
	ds_read2_b64 v[206:209], v235 offset0:8 offset1:9
	ds_read_b64 v[2:3], v235 offset:384
	s_waitcnt vmcnt(46) lgkmcnt(3)
	v_fma_f64 v[192:193], -v[146:147], v[198:199], v[192:193]
	s_waitcnt vmcnt(43)
	v_fma_f64 v[144:145], -v[146:147], v[200:201], v[144:145]
	ds_read2_b64 v[198:201], v235 offset0:10 offset1:11
	s_waitcnt vmcnt(42) lgkmcnt(3)
	v_fma_f64 v[190:191], -v[146:147], v[202:203], v[190:191]
	s_waitcnt vmcnt(41)
	v_fma_f64 v[142:143], -v[146:147], v[204:205], v[142:143]
	s_waitcnt vmcnt(40) lgkmcnt(2)
	v_fma_f64 v[188:189], -v[146:147], v[206:207], v[188:189]
	ds_read2_b64 v[202:205], v235 offset0:12 offset1:13
	s_waitcnt vmcnt(39)
	v_fma_f64 v[140:141], -v[146:147], v[208:209], v[140:141]
	ds_read2_b64 v[206:209], v235 offset0:14 offset1:15
	s_waitcnt vmcnt(38) lgkmcnt(2)
	v_fma_f64 v[186:187], -v[146:147], v[198:199], v[186:187]
	s_waitcnt vmcnt(37)
	v_fma_f64 v[138:139], -v[146:147], v[200:201], v[138:139]
	ds_read2_b64 v[198:201], v235 offset0:16 offset1:17
	s_waitcnt vmcnt(36) lgkmcnt(2)
	v_fma_f64 v[184:185], -v[146:147], v[202:203], v[184:185]
	;; [unrolled: 5-line block ×3, first 2 shown]
	s_waitcnt vmcnt(33)
	v_fma_f64 v[134:135], -v[146:147], v[208:209], v[134:135]
	s_waitcnt vmcnt(32) lgkmcnt(1)
	v_fma_f64 v[180:181], -v[146:147], v[198:199], v[180:181]
	ds_read2_b64 v[206:209], v235 offset0:20 offset1:21
	s_waitcnt vmcnt(31)
	v_fma_f64 v[132:133], -v[146:147], v[200:201], v[132:133]
	ds_read2_b64 v[198:201], v235 offset0:22 offset1:23
	s_waitcnt vmcnt(30) lgkmcnt(2)
	v_fma_f64 v[178:179], -v[146:147], v[202:203], v[178:179]
	s_waitcnt vmcnt(29)
	v_fma_f64 v[130:131], -v[146:147], v[204:205], v[130:131]
	s_waitcnt vmcnt(28) lgkmcnt(1)
	v_fma_f64 v[176:177], -v[146:147], v[206:207], v[176:177]
	ds_read2_b64 v[202:205], v235 offset0:24 offset1:25
	s_waitcnt vmcnt(27)
	v_fma_f64 v[128:129], -v[146:147], v[208:209], v[128:129]
	ds_read2_b64 v[206:209], v235 offset0:26 offset1:27
	s_waitcnt vmcnt(26) lgkmcnt(2)
	v_fma_f64 v[174:175], -v[146:147], v[198:199], v[174:175]
	s_waitcnt vmcnt(25)
	v_fma_f64 v[126:127], -v[146:147], v[200:201], v[126:127]
	ds_read2_b64 v[198:201], v235 offset0:28 offset1:29
	s_waitcnt vmcnt(24) lgkmcnt(2)
	v_fma_f64 v[172:173], -v[146:147], v[202:203], v[172:173]
	;; [unrolled: 5-line block ×3, first 2 shown]
	s_waitcnt vmcnt(21)
	v_fma_f64 v[122:123], -v[146:147], v[208:209], v[122:123]
	s_waitcnt vmcnt(20) lgkmcnt(1)
	v_fma_f64 v[168:169], -v[146:147], v[198:199], v[168:169]
	ds_read2_b64 v[206:209], v235 offset0:32 offset1:33
	s_waitcnt vmcnt(19)
	v_fma_f64 v[120:121], -v[146:147], v[200:201], v[120:121]
	ds_read2_b64 v[198:201], v235 offset0:34 offset1:35
	s_waitcnt vmcnt(18) lgkmcnt(2)
	v_fma_f64 v[166:167], -v[146:147], v[202:203], v[166:167]
	s_waitcnt vmcnt(17)
	v_fma_f64 v[118:119], -v[146:147], v[204:205], v[118:119]
	s_waitcnt vmcnt(16) lgkmcnt(1)
	v_fma_f64 v[164:165], -v[146:147], v[206:207], v[164:165]
	ds_read2_b64 v[202:205], v235 offset0:36 offset1:37
	s_waitcnt vmcnt(15)
	v_fma_f64 v[116:117], -v[146:147], v[208:209], v[116:117]
	ds_read2_b64 v[206:209], v235 offset0:38 offset1:39
	s_waitcnt vmcnt(14) lgkmcnt(2)
	v_fma_f64 v[162:163], -v[146:147], v[198:199], v[162:163]
	s_waitcnt vmcnt(13)
	v_fma_f64 v[114:115], -v[146:147], v[200:201], v[114:115]
	ds_read2_b64 v[198:201], v235 offset0:40 offset1:41
	s_waitcnt vmcnt(12) lgkmcnt(2)
	v_fma_f64 v[160:161], -v[146:147], v[202:203], v[160:161]
	;; [unrolled: 5-line block ×3, first 2 shown]
	s_waitcnt vmcnt(9)
	v_fma_f64 v[110:111], -v[146:147], v[208:209], v[110:111]
	s_waitcnt vmcnt(8) lgkmcnt(1)
	v_fma_f64 v[156:157], -v[146:147], v[198:199], v[156:157]
	s_waitcnt vmcnt(7)
	v_fma_f64 v[108:109], -v[146:147], v[200:201], v[108:109]
	ds_read2_b64 v[198:201], v235 offset0:44 offset1:45
	ds_read2_b64 v[206:209], v235 offset0:46 offset1:47
	s_waitcnt vmcnt(6) lgkmcnt(2)
	v_fma_f64 v[154:155], -v[146:147], v[202:203], v[154:155]
	s_waitcnt vmcnt(5)
	v_fma_f64 v[106:107], -v[146:147], v[204:205], v[106:107]
	s_waitcnt vmcnt(0)
	v_fma_f64 v[196:197], -v[146:147], v[2:3], v[196:197]
	s_waitcnt lgkmcnt(1)
	v_fma_f64 v[152:153], -v[146:147], v[198:199], v[152:153]
	v_fma_f64 v[104:105], -v[146:147], v[200:201], v[104:105]
	s_waitcnt lgkmcnt(0)
	v_fma_f64 v[150:151], -v[146:147], v[206:207], v[150:151]
	v_fma_f64 v[102:103], -v[146:147], v[208:209], v[102:103]
.LBB97_21:
	s_or_b64 exec, exec, s[2:3]
	v_cmp_eq_u32_e32 vcc, 4, v236
	s_waitcnt lgkmcnt(0)
	s_barrier
	s_and_saveexec_b64 s[2:3], vcc
	s_cbranch_execz .LBB97_24
; %bb.22:
	s_waitcnt vmcnt(46)
	ds_write_b64 v234, v[192:193]
	s_waitcnt vmcnt(42)
	ds_write2_b64 v235, v[144:145], v[190:191] offset0:5 offset1:6
	s_waitcnt vmcnt(40)
	ds_write2_b64 v235, v[142:143], v[188:189] offset0:7 offset1:8
	s_waitcnt vmcnt(38)
	ds_write2_b64 v235, v[140:141], v[186:187] offset0:9 offset1:10
	s_waitcnt vmcnt(36)
	ds_write2_b64 v235, v[138:139], v[184:185] offset0:11 offset1:12
	s_waitcnt vmcnt(34)
	ds_write2_b64 v235, v[136:137], v[182:183] offset0:13 offset1:14
	s_waitcnt vmcnt(32)
	ds_write2_b64 v235, v[134:135], v[180:181] offset0:15 offset1:16
	s_waitcnt vmcnt(30)
	ds_write2_b64 v235, v[132:133], v[178:179] offset0:17 offset1:18
	s_waitcnt vmcnt(28)
	ds_write2_b64 v235, v[130:131], v[176:177] offset0:19 offset1:20
	s_waitcnt vmcnt(26)
	ds_write2_b64 v235, v[128:129], v[174:175] offset0:21 offset1:22
	s_waitcnt vmcnt(24)
	ds_write2_b64 v235, v[126:127], v[172:173] offset0:23 offset1:24
	s_waitcnt vmcnt(22)
	ds_write2_b64 v235, v[124:125], v[170:171] offset0:25 offset1:26
	s_waitcnt vmcnt(20)
	ds_write2_b64 v235, v[122:123], v[168:169] offset0:27 offset1:28
	s_waitcnt vmcnt(18)
	ds_write2_b64 v235, v[120:121], v[166:167] offset0:29 offset1:30
	s_waitcnt vmcnt(16)
	ds_write2_b64 v235, v[118:119], v[164:165] offset0:31 offset1:32
	s_waitcnt vmcnt(14)
	ds_write2_b64 v235, v[116:117], v[162:163] offset0:33 offset1:34
	s_waitcnt vmcnt(12)
	ds_write2_b64 v235, v[114:115], v[160:161] offset0:35 offset1:36
	s_waitcnt vmcnt(10)
	ds_write2_b64 v235, v[112:113], v[158:159] offset0:37 offset1:38
	s_waitcnt vmcnt(8)
	ds_write2_b64 v235, v[110:111], v[156:157] offset0:39 offset1:40
	s_waitcnt vmcnt(6)
	ds_write2_b64 v235, v[108:109], v[154:155] offset0:41 offset1:42
	s_waitcnt vmcnt(4)
	ds_write2_b64 v235, v[106:107], v[152:153] offset0:43 offset1:44
	s_waitcnt vmcnt(2)
	ds_write2_b64 v235, v[104:105], v[150:151] offset0:45 offset1:46
	s_waitcnt vmcnt(0)
	ds_write2_b64 v235, v[102:103], v[196:197] offset0:47 offset1:48
	ds_read_b64 v[2:3], v234
	s_waitcnt lgkmcnt(0)
	v_cmp_neq_f64_e32 vcc, 0, v[2:3]
	s_and_b64 exec, exec, vcc
	s_cbranch_execz .LBB97_24
; %bb.23:
	v_div_scale_f64 v[4:5], s[6:7], v[2:3], v[2:3], 1.0
	v_rcp_f64_e32 v[6:7], v[4:5]
	v_div_scale_f64 v[198:199], vcc, 1.0, v[2:3], 1.0
	v_fma_f64 v[200:201], -v[4:5], v[6:7], 1.0
	v_fmac_f64_e32 v[6:7], v[6:7], v[200:201]
	v_fma_f64 v[200:201], -v[4:5], v[6:7], 1.0
	v_fmac_f64_e32 v[6:7], v[6:7], v[200:201]
	v_mul_f64 v[200:201], v[198:199], v[6:7]
	v_fma_f64 v[4:5], -v[4:5], v[200:201], v[198:199]
	v_div_fmas_f64 v[4:5], v[4:5], v[6:7], v[200:201]
	v_div_fixup_f64 v[2:3], v[4:5], v[2:3], 1.0
	ds_write_b64 v234, v[2:3]
.LBB97_24:
	s_or_b64 exec, exec, s[2:3]
	s_waitcnt lgkmcnt(0)
	s_barrier
	ds_read_b64 v[246:247], v234
	v_cmp_lt_u32_e32 vcc, 4, v236
	s_and_saveexec_b64 s[2:3], vcc
	s_cbranch_execz .LBB97_26
; %bb.25:
	ds_read2_b64 v[198:201], v235 offset0:5 offset1:6
	ds_read2_b64 v[202:205], v235 offset0:7 offset1:8
	s_waitcnt vmcnt(46) lgkmcnt(2)
	v_mul_f64 v[192:193], v[246:247], v[192:193]
	ds_read2_b64 v[206:209], v235 offset0:9 offset1:10
	s_waitcnt vmcnt(43) lgkmcnt(2)
	v_fma_f64 v[144:145], -v[192:193], v[198:199], v[144:145]
	s_waitcnt vmcnt(42)
	v_fma_f64 v[190:191], -v[192:193], v[200:201], v[190:191]
	ds_read2_b64 v[198:201], v235 offset0:11 offset1:12
	s_waitcnt vmcnt(41) lgkmcnt(2)
	v_fma_f64 v[142:143], -v[192:193], v[202:203], v[142:143]
	s_waitcnt vmcnt(40)
	v_fma_f64 v[188:189], -v[192:193], v[204:205], v[188:189]
	s_waitcnt vmcnt(39) lgkmcnt(1)
	v_fma_f64 v[140:141], -v[192:193], v[206:207], v[140:141]
	ds_read2_b64 v[202:205], v235 offset0:13 offset1:14
	s_waitcnt vmcnt(38)
	v_fma_f64 v[186:187], -v[192:193], v[208:209], v[186:187]
	ds_read2_b64 v[206:209], v235 offset0:15 offset1:16
	s_waitcnt vmcnt(37) lgkmcnt(2)
	v_fma_f64 v[138:139], -v[192:193], v[198:199], v[138:139]
	s_waitcnt vmcnt(36)
	v_fma_f64 v[184:185], -v[192:193], v[200:201], v[184:185]
	ds_read2_b64 v[198:201], v235 offset0:17 offset1:18
	s_waitcnt vmcnt(35) lgkmcnt(2)
	v_fma_f64 v[136:137], -v[192:193], v[202:203], v[136:137]
	s_waitcnt vmcnt(34)
	v_fma_f64 v[182:183], -v[192:193], v[204:205], v[182:183]
	ds_read2_b64 v[202:205], v235 offset0:19 offset1:20
	s_waitcnt vmcnt(33) lgkmcnt(2)
	v_fma_f64 v[134:135], -v[192:193], v[206:207], v[134:135]
	s_waitcnt vmcnt(32)
	v_fma_f64 v[180:181], -v[192:193], v[208:209], v[180:181]
	s_waitcnt vmcnt(31) lgkmcnt(1)
	v_fma_f64 v[132:133], -v[192:193], v[198:199], v[132:133]
	ds_read2_b64 v[206:209], v235 offset0:21 offset1:22
	s_waitcnt vmcnt(30)
	v_fma_f64 v[178:179], -v[192:193], v[200:201], v[178:179]
	ds_read2_b64 v[198:201], v235 offset0:23 offset1:24
	s_waitcnt vmcnt(29) lgkmcnt(2)
	v_fma_f64 v[130:131], -v[192:193], v[202:203], v[130:131]
	s_waitcnt vmcnt(28)
	v_fma_f64 v[176:177], -v[192:193], v[204:205], v[176:177]
	s_waitcnt vmcnt(27) lgkmcnt(1)
	v_fma_f64 v[128:129], -v[192:193], v[206:207], v[128:129]
	ds_read2_b64 v[202:205], v235 offset0:25 offset1:26
	s_waitcnt vmcnt(26)
	v_fma_f64 v[174:175], -v[192:193], v[208:209], v[174:175]
	ds_read2_b64 v[206:209], v235 offset0:27 offset1:28
	s_waitcnt vmcnt(25) lgkmcnt(2)
	v_fma_f64 v[126:127], -v[192:193], v[198:199], v[126:127]
	s_waitcnt vmcnt(24)
	v_fma_f64 v[172:173], -v[192:193], v[200:201], v[172:173]
	ds_read2_b64 v[198:201], v235 offset0:29 offset1:30
	s_waitcnt vmcnt(23) lgkmcnt(2)
	v_fma_f64 v[124:125], -v[192:193], v[202:203], v[124:125]
	s_waitcnt vmcnt(22)
	v_fma_f64 v[170:171], -v[192:193], v[204:205], v[170:171]
	ds_read2_b64 v[202:205], v235 offset0:31 offset1:32
	s_waitcnt vmcnt(21) lgkmcnt(2)
	v_fma_f64 v[122:123], -v[192:193], v[206:207], v[122:123]
	s_waitcnt vmcnt(20)
	v_fma_f64 v[168:169], -v[192:193], v[208:209], v[168:169]
	s_waitcnt vmcnt(19) lgkmcnt(1)
	v_fma_f64 v[120:121], -v[192:193], v[198:199], v[120:121]
	ds_read2_b64 v[206:209], v235 offset0:33 offset1:34
	;; [unrolled: 30-line block ×3, first 2 shown]
	s_waitcnt vmcnt(6)
	v_fma_f64 v[154:155], -v[192:193], v[200:201], v[154:155]
	ds_read2_b64 v[198:201], v235 offset0:47 offset1:48
	s_waitcnt vmcnt(5) lgkmcnt(2)
	v_fma_f64 v[106:107], -v[192:193], v[202:203], v[106:107]
	s_waitcnt vmcnt(4)
	v_fma_f64 v[152:153], -v[192:193], v[204:205], v[152:153]
	s_waitcnt vmcnt(3) lgkmcnt(1)
	v_fma_f64 v[104:105], -v[192:193], v[206:207], v[104:105]
	s_waitcnt vmcnt(2)
	v_fma_f64 v[150:151], -v[192:193], v[208:209], v[150:151]
	;; [unrolled: 4-line block ×3, first 2 shown]
.LBB97_26:
	s_or_b64 exec, exec, s[2:3]
	v_cmp_eq_u32_e32 vcc, 5, v236
	s_waitcnt lgkmcnt(0)
	s_barrier
	s_and_saveexec_b64 s[2:3], vcc
	s_cbranch_execz .LBB97_29
; %bb.27:
	s_waitcnt vmcnt(42)
	v_mov_b32_e32 v2, v190
	v_mov_b32_e32 v3, v191
	s_waitcnt vmcnt(41)
	v_mov_b32_e32 v4, v142
	v_mov_b32_e32 v5, v143
	ds_write_b64 v234, v[144:145]
	ds_write2_b64 v235, v[2:3], v[4:5] offset0:6 offset1:7
	s_waitcnt vmcnt(40)
	v_mov_b32_e32 v2, v188
	v_mov_b32_e32 v3, v189
	s_waitcnt vmcnt(39)
	v_mov_b32_e32 v4, v140
	v_mov_b32_e32 v5, v141
	ds_write2_b64 v235, v[2:3], v[4:5] offset0:8 offset1:9
	s_waitcnt vmcnt(38)
	v_mov_b32_e32 v2, v186
	v_mov_b32_e32 v3, v187
	s_waitcnt vmcnt(37)
	v_mov_b32_e32 v4, v138
	v_mov_b32_e32 v5, v139
	;; [unrolled: 7-line block ×20, first 2 shown]
	ds_write2_b64 v235, v[2:3], v[4:5] offset0:46 offset1:47
	s_waitcnt vmcnt(0)
	ds_write_b64 v235, v[196:197] offset:384
	ds_read_b64 v[2:3], v234
	s_waitcnt lgkmcnt(0)
	v_cmp_neq_f64_e32 vcc, 0, v[2:3]
	s_and_b64 exec, exec, vcc
	s_cbranch_execz .LBB97_29
; %bb.28:
	v_div_scale_f64 v[4:5], s[6:7], v[2:3], v[2:3], 1.0
	v_rcp_f64_e32 v[6:7], v[4:5]
	v_div_scale_f64 v[198:199], vcc, 1.0, v[2:3], 1.0
	v_fma_f64 v[200:201], -v[4:5], v[6:7], 1.0
	v_fmac_f64_e32 v[6:7], v[6:7], v[200:201]
	v_fma_f64 v[200:201], -v[4:5], v[6:7], 1.0
	v_fmac_f64_e32 v[6:7], v[6:7], v[200:201]
	v_mul_f64 v[200:201], v[198:199], v[6:7]
	v_fma_f64 v[4:5], -v[4:5], v[200:201], v[198:199]
	v_div_fmas_f64 v[4:5], v[4:5], v[6:7], v[200:201]
	v_div_fixup_f64 v[2:3], v[4:5], v[2:3], 1.0
	ds_write_b64 v234, v[2:3]
.LBB97_29:
	s_or_b64 exec, exec, s[2:3]
	s_waitcnt lgkmcnt(0)
	s_barrier
	ds_read_b64 v[248:249], v234
	v_cmp_lt_u32_e32 vcc, 5, v236
	s_and_saveexec_b64 s[2:3], vcc
	s_cbranch_execz .LBB97_31
; %bb.30:
	ds_read2_b64 v[198:201], v235 offset0:6 offset1:7
	ds_read2_b64 v[202:205], v235 offset0:8 offset1:9
	;; [unrolled: 1-line block ×3, first 2 shown]
	s_waitcnt vmcnt(43) lgkmcnt(3)
	v_mul_f64 v[144:145], v[248:249], v[144:145]
	ds_read_b64 v[2:3], v235 offset:384
	s_waitcnt vmcnt(42) lgkmcnt(3)
	v_fma_f64 v[190:191], -v[144:145], v[198:199], v[190:191]
	s_waitcnt vmcnt(41)
	v_fma_f64 v[142:143], -v[144:145], v[200:201], v[142:143]
	ds_read2_b64 v[198:201], v235 offset0:12 offset1:13
	s_waitcnt vmcnt(40) lgkmcnt(3)
	v_fma_f64 v[188:189], -v[144:145], v[202:203], v[188:189]
	s_waitcnt vmcnt(39)
	v_fma_f64 v[140:141], -v[144:145], v[204:205], v[140:141]
	s_waitcnt vmcnt(38) lgkmcnt(2)
	v_fma_f64 v[186:187], -v[144:145], v[206:207], v[186:187]
	ds_read2_b64 v[202:205], v235 offset0:14 offset1:15
	s_waitcnt vmcnt(37)
	v_fma_f64 v[138:139], -v[144:145], v[208:209], v[138:139]
	ds_read2_b64 v[206:209], v235 offset0:16 offset1:17
	s_waitcnt vmcnt(36) lgkmcnt(2)
	v_fma_f64 v[184:185], -v[144:145], v[198:199], v[184:185]
	s_waitcnt vmcnt(35)
	v_fma_f64 v[136:137], -v[144:145], v[200:201], v[136:137]
	s_waitcnt vmcnt(34) lgkmcnt(1)
	v_fma_f64 v[182:183], -v[144:145], v[202:203], v[182:183]
	ds_read2_b64 v[198:201], v235 offset0:18 offset1:19
	s_waitcnt vmcnt(33)
	v_fma_f64 v[134:135], -v[144:145], v[204:205], v[134:135]
	ds_read2_b64 v[202:205], v235 offset0:20 offset1:21
	s_waitcnt vmcnt(32) lgkmcnt(2)
	v_fma_f64 v[180:181], -v[144:145], v[206:207], v[180:181]
	s_waitcnt vmcnt(31)
	v_fma_f64 v[132:133], -v[144:145], v[208:209], v[132:133]
	ds_read2_b64 v[206:209], v235 offset0:22 offset1:23
	s_waitcnt vmcnt(30) lgkmcnt(2)
	v_fma_f64 v[178:179], -v[144:145], v[198:199], v[178:179]
	s_waitcnt vmcnt(29)
	v_fma_f64 v[130:131], -v[144:145], v[200:201], v[130:131]
	ds_read2_b64 v[198:201], v235 offset0:24 offset1:25
	s_waitcnt vmcnt(28) lgkmcnt(2)
	v_fma_f64 v[176:177], -v[144:145], v[202:203], v[176:177]
	s_waitcnt vmcnt(27)
	v_fma_f64 v[128:129], -v[144:145], v[204:205], v[128:129]
	s_waitcnt vmcnt(26) lgkmcnt(1)
	v_fma_f64 v[174:175], -v[144:145], v[206:207], v[174:175]
	ds_read2_b64 v[202:205], v235 offset0:26 offset1:27
	s_waitcnt vmcnt(25)
	v_fma_f64 v[126:127], -v[144:145], v[208:209], v[126:127]
	ds_read2_b64 v[206:209], v235 offset0:28 offset1:29
	s_waitcnt vmcnt(24) lgkmcnt(2)
	v_fma_f64 v[172:173], -v[144:145], v[198:199], v[172:173]
	s_waitcnt vmcnt(23)
	v_fma_f64 v[124:125], -v[144:145], v[200:201], v[124:125]
	s_waitcnt vmcnt(22) lgkmcnt(1)
	v_fma_f64 v[170:171], -v[144:145], v[202:203], v[170:171]
	ds_read2_b64 v[198:201], v235 offset0:30 offset1:31
	s_waitcnt vmcnt(21)
	v_fma_f64 v[122:123], -v[144:145], v[204:205], v[122:123]
	ds_read2_b64 v[202:205], v235 offset0:32 offset1:33
	s_waitcnt vmcnt(20) lgkmcnt(2)
	v_fma_f64 v[168:169], -v[144:145], v[206:207], v[168:169]
	s_waitcnt vmcnt(19)
	v_fma_f64 v[120:121], -v[144:145], v[208:209], v[120:121]
	ds_read2_b64 v[206:209], v235 offset0:34 offset1:35
	s_waitcnt vmcnt(18) lgkmcnt(2)
	v_fma_f64 v[166:167], -v[144:145], v[198:199], v[166:167]
	s_waitcnt vmcnt(17)
	v_fma_f64 v[118:119], -v[144:145], v[200:201], v[118:119]
	ds_read2_b64 v[198:201], v235 offset0:36 offset1:37
	s_waitcnt vmcnt(16) lgkmcnt(2)
	v_fma_f64 v[164:165], -v[144:145], v[202:203], v[164:165]
	s_waitcnt vmcnt(15)
	v_fma_f64 v[116:117], -v[144:145], v[204:205], v[116:117]
	s_waitcnt vmcnt(14) lgkmcnt(1)
	v_fma_f64 v[162:163], -v[144:145], v[206:207], v[162:163]
	ds_read2_b64 v[202:205], v235 offset0:38 offset1:39
	s_waitcnt vmcnt(13)
	v_fma_f64 v[114:115], -v[144:145], v[208:209], v[114:115]
	ds_read2_b64 v[206:209], v235 offset0:40 offset1:41
	s_waitcnt vmcnt(12) lgkmcnt(2)
	v_fma_f64 v[160:161], -v[144:145], v[198:199], v[160:161]
	s_waitcnt vmcnt(11)
	v_fma_f64 v[112:113], -v[144:145], v[200:201], v[112:113]
	s_waitcnt vmcnt(10) lgkmcnt(1)
	v_fma_f64 v[158:159], -v[144:145], v[202:203], v[158:159]
	ds_read2_b64 v[198:201], v235 offset0:42 offset1:43
	s_waitcnt vmcnt(9)
	v_fma_f64 v[110:111], -v[144:145], v[204:205], v[110:111]
	ds_read2_b64 v[202:205], v235 offset0:44 offset1:45
	s_waitcnt vmcnt(8) lgkmcnt(2)
	v_fma_f64 v[156:157], -v[144:145], v[206:207], v[156:157]
	s_waitcnt vmcnt(7)
	v_fma_f64 v[108:109], -v[144:145], v[208:209], v[108:109]
	ds_read2_b64 v[206:209], v235 offset0:46 offset1:47
	s_waitcnt vmcnt(6) lgkmcnt(2)
	v_fma_f64 v[154:155], -v[144:145], v[198:199], v[154:155]
	s_waitcnt vmcnt(5)
	v_fma_f64 v[106:107], -v[144:145], v[200:201], v[106:107]
	s_waitcnt vmcnt(4) lgkmcnt(1)
	v_fma_f64 v[152:153], -v[144:145], v[202:203], v[152:153]
	s_waitcnt vmcnt(3)
	v_fma_f64 v[104:105], -v[144:145], v[204:205], v[104:105]
	;; [unrolled: 4-line block ×3, first 2 shown]
	s_waitcnt vmcnt(0)
	v_fma_f64 v[196:197], -v[144:145], v[2:3], v[196:197]
.LBB97_31:
	s_or_b64 exec, exec, s[2:3]
	v_cmp_eq_u32_e32 vcc, 6, v236
	s_waitcnt lgkmcnt(0)
	s_barrier
	s_and_saveexec_b64 s[2:3], vcc
	s_cbranch_execz .LBB97_34
; %bb.32:
	s_waitcnt vmcnt(42)
	ds_write_b64 v234, v[190:191]
	s_waitcnt vmcnt(40)
	ds_write2_b64 v235, v[142:143], v[188:189] offset0:7 offset1:8
	s_waitcnt vmcnt(38)
	ds_write2_b64 v235, v[140:141], v[186:187] offset0:9 offset1:10
	;; [unrolled: 2-line block ×21, first 2 shown]
	ds_read_b64 v[2:3], v234
	s_waitcnt lgkmcnt(0)
	v_cmp_neq_f64_e32 vcc, 0, v[2:3]
	s_and_b64 exec, exec, vcc
	s_cbranch_execz .LBB97_34
; %bb.33:
	v_div_scale_f64 v[4:5], s[6:7], v[2:3], v[2:3], 1.0
	v_rcp_f64_e32 v[6:7], v[4:5]
	v_div_scale_f64 v[198:199], vcc, 1.0, v[2:3], 1.0
	v_fma_f64 v[200:201], -v[4:5], v[6:7], 1.0
	v_fmac_f64_e32 v[6:7], v[6:7], v[200:201]
	v_fma_f64 v[200:201], -v[4:5], v[6:7], 1.0
	v_fmac_f64_e32 v[6:7], v[6:7], v[200:201]
	v_mul_f64 v[200:201], v[198:199], v[6:7]
	v_fma_f64 v[4:5], -v[4:5], v[200:201], v[198:199]
	v_div_fmas_f64 v[4:5], v[4:5], v[6:7], v[200:201]
	v_div_fixup_f64 v[2:3], v[4:5], v[2:3], 1.0
	ds_write_b64 v234, v[2:3]
.LBB97_34:
	s_or_b64 exec, exec, s[2:3]
	s_waitcnt lgkmcnt(0)
	s_barrier
	ds_read_b64 v[250:251], v234
	v_cmp_lt_u32_e32 vcc, 6, v236
	s_and_saveexec_b64 s[2:3], vcc
	s_cbranch_execz .LBB97_36
; %bb.35:
	ds_read2_b64 v[198:201], v235 offset0:7 offset1:8
	ds_read2_b64 v[202:205], v235 offset0:9 offset1:10
	;; [unrolled: 1-line block ×3, first 2 shown]
	s_waitcnt vmcnt(42) lgkmcnt(3)
	v_mul_f64 v[190:191], v[250:251], v[190:191]
	s_waitcnt vmcnt(41) lgkmcnt(2)
	v_fma_f64 v[142:143], -v[190:191], v[198:199], v[142:143]
	s_waitcnt vmcnt(40)
	v_fma_f64 v[188:189], -v[190:191], v[200:201], v[188:189]
	ds_read2_b64 v[198:201], v235 offset0:13 offset1:14
	s_waitcnt vmcnt(39) lgkmcnt(2)
	v_fma_f64 v[140:141], -v[190:191], v[202:203], v[140:141]
	s_waitcnt vmcnt(38)
	v_fma_f64 v[186:187], -v[190:191], v[204:205], v[186:187]
	s_waitcnt vmcnt(37) lgkmcnt(1)
	v_fma_f64 v[138:139], -v[190:191], v[206:207], v[138:139]
	ds_read2_b64 v[202:205], v235 offset0:15 offset1:16
	s_waitcnt vmcnt(36)
	v_fma_f64 v[184:185], -v[190:191], v[208:209], v[184:185]
	ds_read2_b64 v[206:209], v235 offset0:17 offset1:18
	s_waitcnt vmcnt(35) lgkmcnt(2)
	v_fma_f64 v[136:137], -v[190:191], v[198:199], v[136:137]
	s_waitcnt vmcnt(34)
	v_fma_f64 v[182:183], -v[190:191], v[200:201], v[182:183]
	s_waitcnt vmcnt(33) lgkmcnt(1)
	v_fma_f64 v[134:135], -v[190:191], v[202:203], v[134:135]
	ds_read2_b64 v[198:201], v235 offset0:19 offset1:20
	s_waitcnt vmcnt(32)
	v_fma_f64 v[180:181], -v[190:191], v[204:205], v[180:181]
	ds_read2_b64 v[202:205], v235 offset0:21 offset1:22
	s_waitcnt vmcnt(31) lgkmcnt(2)
	v_fma_f64 v[132:133], -v[190:191], v[206:207], v[132:133]
	s_waitcnt vmcnt(30)
	v_fma_f64 v[178:179], -v[190:191], v[208:209], v[178:179]
	ds_read2_b64 v[206:209], v235 offset0:23 offset1:24
	s_waitcnt vmcnt(29) lgkmcnt(2)
	v_fma_f64 v[130:131], -v[190:191], v[198:199], v[130:131]
	;; [unrolled: 5-line block ×3, first 2 shown]
	s_waitcnt vmcnt(26)
	v_fma_f64 v[174:175], -v[190:191], v[204:205], v[174:175]
	s_waitcnt vmcnt(25) lgkmcnt(1)
	v_fma_f64 v[126:127], -v[190:191], v[206:207], v[126:127]
	ds_read2_b64 v[202:205], v235 offset0:27 offset1:28
	s_waitcnt vmcnt(24)
	v_fma_f64 v[172:173], -v[190:191], v[208:209], v[172:173]
	ds_read2_b64 v[206:209], v235 offset0:29 offset1:30
	s_waitcnt vmcnt(23) lgkmcnt(2)
	v_fma_f64 v[124:125], -v[190:191], v[198:199], v[124:125]
	s_waitcnt vmcnt(22)
	v_fma_f64 v[170:171], -v[190:191], v[200:201], v[170:171]
	s_waitcnt vmcnt(21) lgkmcnt(1)
	v_fma_f64 v[122:123], -v[190:191], v[202:203], v[122:123]
	ds_read2_b64 v[198:201], v235 offset0:31 offset1:32
	s_waitcnt vmcnt(20)
	v_fma_f64 v[168:169], -v[190:191], v[204:205], v[168:169]
	ds_read2_b64 v[202:205], v235 offset0:33 offset1:34
	s_waitcnt vmcnt(19) lgkmcnt(2)
	v_fma_f64 v[120:121], -v[190:191], v[206:207], v[120:121]
	s_waitcnt vmcnt(18)
	v_fma_f64 v[166:167], -v[190:191], v[208:209], v[166:167]
	ds_read2_b64 v[206:209], v235 offset0:35 offset1:36
	s_waitcnt vmcnt(17) lgkmcnt(2)
	v_fma_f64 v[118:119], -v[190:191], v[198:199], v[118:119]
	;; [unrolled: 5-line block ×3, first 2 shown]
	s_waitcnt vmcnt(14)
	v_fma_f64 v[162:163], -v[190:191], v[204:205], v[162:163]
	s_waitcnt vmcnt(13) lgkmcnt(1)
	v_fma_f64 v[114:115], -v[190:191], v[206:207], v[114:115]
	ds_read2_b64 v[202:205], v235 offset0:39 offset1:40
	s_waitcnt vmcnt(12)
	v_fma_f64 v[160:161], -v[190:191], v[208:209], v[160:161]
	ds_read2_b64 v[206:209], v235 offset0:41 offset1:42
	s_waitcnt vmcnt(11) lgkmcnt(2)
	v_fma_f64 v[112:113], -v[190:191], v[198:199], v[112:113]
	s_waitcnt vmcnt(10)
	v_fma_f64 v[158:159], -v[190:191], v[200:201], v[158:159]
	s_waitcnt vmcnt(9) lgkmcnt(1)
	v_fma_f64 v[110:111], -v[190:191], v[202:203], v[110:111]
	s_waitcnt vmcnt(8)
	v_fma_f64 v[156:157], -v[190:191], v[204:205], v[156:157]
	ds_read2_b64 v[198:201], v235 offset0:43 offset1:44
	ds_read2_b64 v[202:205], v235 offset0:45 offset1:46
	s_waitcnt vmcnt(7) lgkmcnt(2)
	v_fma_f64 v[108:109], -v[190:191], v[206:207], v[108:109]
	s_waitcnt vmcnt(6)
	v_fma_f64 v[154:155], -v[190:191], v[208:209], v[154:155]
	ds_read2_b64 v[206:209], v235 offset0:47 offset1:48
	s_waitcnt vmcnt(5) lgkmcnt(2)
	v_fma_f64 v[106:107], -v[190:191], v[198:199], v[106:107]
	s_waitcnt vmcnt(4)
	v_fma_f64 v[152:153], -v[190:191], v[200:201], v[152:153]
	s_waitcnt vmcnt(3) lgkmcnt(1)
	v_fma_f64 v[104:105], -v[190:191], v[202:203], v[104:105]
	s_waitcnt vmcnt(2)
	v_fma_f64 v[150:151], -v[190:191], v[204:205], v[150:151]
	;; [unrolled: 4-line block ×3, first 2 shown]
.LBB97_36:
	s_or_b64 exec, exec, s[2:3]
	v_cmp_eq_u32_e32 vcc, 7, v236
	s_waitcnt lgkmcnt(0)
	s_barrier
	s_and_saveexec_b64 s[2:3], vcc
	s_cbranch_execz .LBB97_39
; %bb.37:
	s_waitcnt vmcnt(40)
	v_mov_b32_e32 v2, v188
	v_mov_b32_e32 v3, v189
	s_waitcnt vmcnt(39)
	v_mov_b32_e32 v4, v140
	v_mov_b32_e32 v5, v141
	ds_write_b64 v234, v[142:143]
	ds_write2_b64 v235, v[2:3], v[4:5] offset0:8 offset1:9
	s_waitcnt vmcnt(38)
	v_mov_b32_e32 v2, v186
	v_mov_b32_e32 v3, v187
	s_waitcnt vmcnt(37)
	v_mov_b32_e32 v4, v138
	v_mov_b32_e32 v5, v139
	ds_write2_b64 v235, v[2:3], v[4:5] offset0:10 offset1:11
	s_waitcnt vmcnt(36)
	v_mov_b32_e32 v2, v184
	v_mov_b32_e32 v3, v185
	s_waitcnt vmcnt(35)
	v_mov_b32_e32 v4, v136
	v_mov_b32_e32 v5, v137
	;; [unrolled: 7-line block ×19, first 2 shown]
	ds_write2_b64 v235, v[2:3], v[4:5] offset0:46 offset1:47
	s_waitcnt vmcnt(0)
	ds_write_b64 v235, v[196:197] offset:384
	ds_read_b64 v[2:3], v234
	s_waitcnt lgkmcnt(0)
	v_cmp_neq_f64_e32 vcc, 0, v[2:3]
	s_and_b64 exec, exec, vcc
	s_cbranch_execz .LBB97_39
; %bb.38:
	v_div_scale_f64 v[4:5], s[6:7], v[2:3], v[2:3], 1.0
	v_rcp_f64_e32 v[6:7], v[4:5]
	v_div_scale_f64 v[198:199], vcc, 1.0, v[2:3], 1.0
	v_fma_f64 v[200:201], -v[4:5], v[6:7], 1.0
	v_fmac_f64_e32 v[6:7], v[6:7], v[200:201]
	v_fma_f64 v[200:201], -v[4:5], v[6:7], 1.0
	v_fmac_f64_e32 v[6:7], v[6:7], v[200:201]
	v_mul_f64 v[200:201], v[198:199], v[6:7]
	v_fma_f64 v[4:5], -v[4:5], v[200:201], v[198:199]
	v_div_fmas_f64 v[4:5], v[4:5], v[6:7], v[200:201]
	v_div_fixup_f64 v[2:3], v[4:5], v[2:3], 1.0
	ds_write_b64 v234, v[2:3]
.LBB97_39:
	s_or_b64 exec, exec, s[2:3]
	s_waitcnt lgkmcnt(0)
	s_barrier
	ds_read_b64 v[252:253], v234
	v_cmp_lt_u32_e32 vcc, 7, v236
	s_and_saveexec_b64 s[2:3], vcc
	s_cbranch_execz .LBB97_41
; %bb.40:
	ds_read2_b64 v[198:201], v235 offset0:8 offset1:9
	ds_read2_b64 v[202:205], v235 offset0:10 offset1:11
	s_waitcnt vmcnt(41) lgkmcnt(2)
	v_mul_f64 v[142:143], v[252:253], v[142:143]
	ds_read2_b64 v[206:209], v235 offset0:12 offset1:13
	ds_read_b64 v[2:3], v235 offset:384
	s_waitcnt vmcnt(40) lgkmcnt(3)
	v_fma_f64 v[188:189], -v[142:143], v[198:199], v[188:189]
	s_waitcnt vmcnt(39)
	v_fma_f64 v[140:141], -v[142:143], v[200:201], v[140:141]
	ds_read2_b64 v[198:201], v235 offset0:14 offset1:15
	s_waitcnt vmcnt(38) lgkmcnt(3)
	v_fma_f64 v[186:187], -v[142:143], v[202:203], v[186:187]
	s_waitcnt vmcnt(37)
	v_fma_f64 v[138:139], -v[142:143], v[204:205], v[138:139]
	ds_read2_b64 v[202:205], v235 offset0:16 offset1:17
	;; [unrolled: 5-line block ×3, first 2 shown]
	s_waitcnt vmcnt(34) lgkmcnt(2)
	v_fma_f64 v[182:183], -v[142:143], v[198:199], v[182:183]
	s_waitcnt vmcnt(33)
	v_fma_f64 v[134:135], -v[142:143], v[200:201], v[134:135]
	s_waitcnt vmcnt(32) lgkmcnt(1)
	v_fma_f64 v[180:181], -v[142:143], v[202:203], v[180:181]
	ds_read2_b64 v[198:201], v235 offset0:20 offset1:21
	s_waitcnt vmcnt(31)
	v_fma_f64 v[132:133], -v[142:143], v[204:205], v[132:133]
	ds_read2_b64 v[202:205], v235 offset0:22 offset1:23
	s_waitcnt vmcnt(30) lgkmcnt(2)
	v_fma_f64 v[178:179], -v[142:143], v[206:207], v[178:179]
	s_waitcnt vmcnt(29)
	v_fma_f64 v[130:131], -v[142:143], v[208:209], v[130:131]
	s_waitcnt vmcnt(28) lgkmcnt(1)
	v_fma_f64 v[176:177], -v[142:143], v[198:199], v[176:177]
	ds_read2_b64 v[206:209], v235 offset0:24 offset1:25
	s_waitcnt vmcnt(27)
	v_fma_f64 v[128:129], -v[142:143], v[200:201], v[128:129]
	ds_read2_b64 v[198:201], v235 offset0:26 offset1:27
	s_waitcnt vmcnt(26) lgkmcnt(2)
	v_fma_f64 v[174:175], -v[142:143], v[202:203], v[174:175]
	s_waitcnt vmcnt(25)
	v_fma_f64 v[126:127], -v[142:143], v[204:205], v[126:127]
	ds_read2_b64 v[202:205], v235 offset0:28 offset1:29
	s_waitcnt vmcnt(24) lgkmcnt(2)
	v_fma_f64 v[172:173], -v[142:143], v[206:207], v[172:173]
	;; [unrolled: 5-line block ×3, first 2 shown]
	s_waitcnt vmcnt(21)
	v_fma_f64 v[122:123], -v[142:143], v[200:201], v[122:123]
	s_waitcnt vmcnt(20) lgkmcnt(1)
	v_fma_f64 v[168:169], -v[142:143], v[202:203], v[168:169]
	ds_read2_b64 v[198:201], v235 offset0:32 offset1:33
	s_waitcnt vmcnt(19)
	v_fma_f64 v[120:121], -v[142:143], v[204:205], v[120:121]
	ds_read2_b64 v[202:205], v235 offset0:34 offset1:35
	s_waitcnt vmcnt(18) lgkmcnt(2)
	v_fma_f64 v[166:167], -v[142:143], v[206:207], v[166:167]
	s_waitcnt vmcnt(17)
	v_fma_f64 v[118:119], -v[142:143], v[208:209], v[118:119]
	s_waitcnt vmcnt(16) lgkmcnt(1)
	v_fma_f64 v[164:165], -v[142:143], v[198:199], v[164:165]
	ds_read2_b64 v[206:209], v235 offset0:36 offset1:37
	s_waitcnt vmcnt(15)
	v_fma_f64 v[116:117], -v[142:143], v[200:201], v[116:117]
	ds_read2_b64 v[198:201], v235 offset0:38 offset1:39
	s_waitcnt vmcnt(14) lgkmcnt(2)
	v_fma_f64 v[162:163], -v[142:143], v[202:203], v[162:163]
	s_waitcnt vmcnt(13)
	v_fma_f64 v[114:115], -v[142:143], v[204:205], v[114:115]
	ds_read2_b64 v[202:205], v235 offset0:40 offset1:41
	s_waitcnt vmcnt(12) lgkmcnt(2)
	v_fma_f64 v[160:161], -v[142:143], v[206:207], v[160:161]
	;; [unrolled: 5-line block ×3, first 2 shown]
	s_waitcnt vmcnt(9)
	v_fma_f64 v[110:111], -v[142:143], v[200:201], v[110:111]
	s_waitcnt vmcnt(8) lgkmcnt(1)
	v_fma_f64 v[156:157], -v[142:143], v[202:203], v[156:157]
	s_waitcnt vmcnt(7)
	v_fma_f64 v[108:109], -v[142:143], v[204:205], v[108:109]
	ds_read2_b64 v[198:201], v235 offset0:44 offset1:45
	ds_read2_b64 v[202:205], v235 offset0:46 offset1:47
	s_waitcnt vmcnt(6) lgkmcnt(2)
	v_fma_f64 v[154:155], -v[142:143], v[206:207], v[154:155]
	s_waitcnt vmcnt(5)
	v_fma_f64 v[106:107], -v[142:143], v[208:209], v[106:107]
	s_waitcnt vmcnt(0)
	v_fma_f64 v[196:197], -v[142:143], v[2:3], v[196:197]
	s_waitcnt lgkmcnt(1)
	v_fma_f64 v[152:153], -v[142:143], v[198:199], v[152:153]
	v_fma_f64 v[104:105], -v[142:143], v[200:201], v[104:105]
	s_waitcnt lgkmcnt(0)
	v_fma_f64 v[150:151], -v[142:143], v[202:203], v[150:151]
	v_fma_f64 v[102:103], -v[142:143], v[204:205], v[102:103]
.LBB97_41:
	s_or_b64 exec, exec, s[2:3]
	v_cmp_eq_u32_e32 vcc, 8, v236
	s_waitcnt lgkmcnt(0)
	s_barrier
	s_and_saveexec_b64 s[2:3], vcc
	s_cbranch_execz .LBB97_44
; %bb.42:
	s_waitcnt vmcnt(40)
	ds_write_b64 v234, v[188:189]
	s_waitcnt vmcnt(38)
	ds_write2_b64 v235, v[140:141], v[186:187] offset0:9 offset1:10
	s_waitcnt vmcnt(36)
	ds_write2_b64 v235, v[138:139], v[184:185] offset0:11 offset1:12
	;; [unrolled: 2-line block ×20, first 2 shown]
	ds_read_b64 v[2:3], v234
	s_waitcnt lgkmcnt(0)
	v_cmp_neq_f64_e32 vcc, 0, v[2:3]
	s_and_b64 exec, exec, vcc
	s_cbranch_execz .LBB97_44
; %bb.43:
	v_div_scale_f64 v[4:5], s[6:7], v[2:3], v[2:3], 1.0
	v_rcp_f64_e32 v[6:7], v[4:5]
	v_div_scale_f64 v[198:199], vcc, 1.0, v[2:3], 1.0
	v_fma_f64 v[200:201], -v[4:5], v[6:7], 1.0
	v_fmac_f64_e32 v[6:7], v[6:7], v[200:201]
	v_fma_f64 v[200:201], -v[4:5], v[6:7], 1.0
	v_fmac_f64_e32 v[6:7], v[6:7], v[200:201]
	v_mul_f64 v[200:201], v[198:199], v[6:7]
	v_fma_f64 v[4:5], -v[4:5], v[200:201], v[198:199]
	v_div_fmas_f64 v[4:5], v[4:5], v[6:7], v[200:201]
	v_div_fixup_f64 v[2:3], v[4:5], v[2:3], 1.0
	ds_write_b64 v234, v[2:3]
.LBB97_44:
	s_or_b64 exec, exec, s[2:3]
	s_waitcnt lgkmcnt(0)
	s_barrier
	ds_read_b64 v[254:255], v234
	v_cmp_lt_u32_e32 vcc, 8, v236
	s_and_saveexec_b64 s[2:3], vcc
	s_cbranch_execz .LBB97_46
; %bb.45:
	ds_read2_b64 v[198:201], v235 offset0:9 offset1:10
	ds_read2_b64 v[202:205], v235 offset0:11 offset1:12
	s_waitcnt vmcnt(40) lgkmcnt(2)
	v_mul_f64 v[188:189], v[254:255], v[188:189]
	ds_read2_b64 v[206:209], v235 offset0:13 offset1:14
	s_waitcnt vmcnt(39) lgkmcnt(2)
	v_fma_f64 v[140:141], -v[188:189], v[198:199], v[140:141]
	s_waitcnt vmcnt(38)
	v_fma_f64 v[186:187], -v[188:189], v[200:201], v[186:187]
	ds_read2_b64 v[198:201], v235 offset0:15 offset1:16
	s_waitcnt vmcnt(37) lgkmcnt(2)
	v_fma_f64 v[138:139], -v[188:189], v[202:203], v[138:139]
	s_waitcnt vmcnt(36)
	v_fma_f64 v[184:185], -v[188:189], v[204:205], v[184:185]
	;; [unrolled: 5-line block ×4, first 2 shown]
	s_waitcnt vmcnt(31) lgkmcnt(1)
	v_fma_f64 v[132:133], -v[188:189], v[202:203], v[132:133]
	ds_read2_b64 v[198:201], v235 offset0:21 offset1:22
	s_waitcnt vmcnt(30)
	v_fma_f64 v[178:179], -v[188:189], v[204:205], v[178:179]
	ds_read2_b64 v[202:205], v235 offset0:23 offset1:24
	s_waitcnt vmcnt(29) lgkmcnt(2)
	v_fma_f64 v[130:131], -v[188:189], v[206:207], v[130:131]
	s_waitcnt vmcnt(28)
	v_fma_f64 v[176:177], -v[188:189], v[208:209], v[176:177]
	s_waitcnt vmcnt(27) lgkmcnt(1)
	v_fma_f64 v[128:129], -v[188:189], v[198:199], v[128:129]
	ds_read2_b64 v[206:209], v235 offset0:25 offset1:26
	s_waitcnt vmcnt(26)
	v_fma_f64 v[174:175], -v[188:189], v[200:201], v[174:175]
	ds_read2_b64 v[198:201], v235 offset0:27 offset1:28
	s_waitcnt vmcnt(25) lgkmcnt(2)
	v_fma_f64 v[126:127], -v[188:189], v[202:203], v[126:127]
	s_waitcnt vmcnt(24)
	v_fma_f64 v[172:173], -v[188:189], v[204:205], v[172:173]
	ds_read2_b64 v[202:205], v235 offset0:29 offset1:30
	s_waitcnt vmcnt(23) lgkmcnt(2)
	v_fma_f64 v[124:125], -v[188:189], v[206:207], v[124:125]
	s_waitcnt vmcnt(22)
	v_fma_f64 v[170:171], -v[188:189], v[208:209], v[170:171]
	ds_read2_b64 v[206:209], v235 offset0:31 offset1:32
	s_waitcnt vmcnt(21) lgkmcnt(2)
	v_fma_f64 v[122:123], -v[188:189], v[198:199], v[122:123]
	s_waitcnt vmcnt(20)
	v_fma_f64 v[168:169], -v[188:189], v[200:201], v[168:169]
	s_waitcnt vmcnt(19) lgkmcnt(1)
	v_fma_f64 v[120:121], -v[188:189], v[202:203], v[120:121]
	ds_read2_b64 v[198:201], v235 offset0:33 offset1:34
	s_waitcnt vmcnt(18)
	v_fma_f64 v[166:167], -v[188:189], v[204:205], v[166:167]
	ds_read2_b64 v[202:205], v235 offset0:35 offset1:36
	s_waitcnt vmcnt(17) lgkmcnt(2)
	v_fma_f64 v[118:119], -v[188:189], v[206:207], v[118:119]
	s_waitcnt vmcnt(16)
	v_fma_f64 v[164:165], -v[188:189], v[208:209], v[164:165]
	s_waitcnt vmcnt(15) lgkmcnt(1)
	v_fma_f64 v[116:117], -v[188:189], v[198:199], v[116:117]
	ds_read2_b64 v[206:209], v235 offset0:37 offset1:38
	s_waitcnt vmcnt(14)
	v_fma_f64 v[162:163], -v[188:189], v[200:201], v[162:163]
	ds_read2_b64 v[198:201], v235 offset0:39 offset1:40
	s_waitcnt vmcnt(13) lgkmcnt(2)
	v_fma_f64 v[114:115], -v[188:189], v[202:203], v[114:115]
	s_waitcnt vmcnt(12)
	v_fma_f64 v[160:161], -v[188:189], v[204:205], v[160:161]
	ds_read2_b64 v[202:205], v235 offset0:41 offset1:42
	s_waitcnt vmcnt(11) lgkmcnt(2)
	v_fma_f64 v[112:113], -v[188:189], v[206:207], v[112:113]
	s_waitcnt vmcnt(10)
	v_fma_f64 v[158:159], -v[188:189], v[208:209], v[158:159]
	s_waitcnt vmcnt(9) lgkmcnt(1)
	v_fma_f64 v[110:111], -v[188:189], v[198:199], v[110:111]
	s_waitcnt vmcnt(8)
	v_fma_f64 v[156:157], -v[188:189], v[200:201], v[156:157]
	ds_read2_b64 v[198:201], v235 offset0:43 offset1:44
	s_waitcnt vmcnt(7) lgkmcnt(1)
	v_fma_f64 v[108:109], -v[188:189], v[202:203], v[108:109]
	ds_read2_b64 v[206:209], v235 offset0:45 offset1:46
	s_waitcnt vmcnt(6)
	v_fma_f64 v[154:155], -v[188:189], v[204:205], v[154:155]
	ds_read2_b64 v[202:205], v235 offset0:47 offset1:48
	s_waitcnt vmcnt(5) lgkmcnt(2)
	v_fma_f64 v[106:107], -v[188:189], v[198:199], v[106:107]
	s_waitcnt vmcnt(4)
	v_fma_f64 v[152:153], -v[188:189], v[200:201], v[152:153]
	s_waitcnt vmcnt(3) lgkmcnt(1)
	v_fma_f64 v[104:105], -v[188:189], v[206:207], v[104:105]
	s_waitcnt vmcnt(2)
	v_fma_f64 v[150:151], -v[188:189], v[208:209], v[150:151]
	s_waitcnt vmcnt(1) lgkmcnt(0)
	v_fma_f64 v[102:103], -v[188:189], v[202:203], v[102:103]
	s_waitcnt vmcnt(0)
	v_fma_f64 v[196:197], -v[188:189], v[204:205], v[196:197]
.LBB97_46:
	s_or_b64 exec, exec, s[2:3]
	v_cmp_eq_u32_e32 vcc, 9, v236
	s_waitcnt lgkmcnt(0)
	s_barrier
	s_and_saveexec_b64 s[2:3], vcc
	s_cbranch_execz .LBB97_49
; %bb.47:
	s_waitcnt vmcnt(38)
	v_mov_b32_e32 v2, v186
	v_mov_b32_e32 v3, v187
	s_waitcnt vmcnt(37)
	v_mov_b32_e32 v4, v138
	v_mov_b32_e32 v5, v139
	ds_write_b64 v234, v[140:141]
	ds_write2_b64 v235, v[2:3], v[4:5] offset0:10 offset1:11
	s_waitcnt vmcnt(36)
	v_mov_b32_e32 v2, v184
	v_mov_b32_e32 v3, v185
	s_waitcnt vmcnt(35)
	v_mov_b32_e32 v4, v136
	v_mov_b32_e32 v5, v137
	ds_write2_b64 v235, v[2:3], v[4:5] offset0:12 offset1:13
	s_waitcnt vmcnt(34)
	v_mov_b32_e32 v2, v182
	v_mov_b32_e32 v3, v183
	s_waitcnt vmcnt(33)
	v_mov_b32_e32 v4, v134
	v_mov_b32_e32 v5, v135
	;; [unrolled: 7-line block ×18, first 2 shown]
	ds_write2_b64 v235, v[2:3], v[4:5] offset0:46 offset1:47
	s_waitcnt vmcnt(0)
	ds_write_b64 v235, v[196:197] offset:384
	ds_read_b64 v[2:3], v234
	s_waitcnt lgkmcnt(0)
	v_cmp_neq_f64_e32 vcc, 0, v[2:3]
	s_and_b64 exec, exec, vcc
	s_cbranch_execz .LBB97_49
; %bb.48:
	v_div_scale_f64 v[4:5], s[6:7], v[2:3], v[2:3], 1.0
	v_rcp_f64_e32 v[6:7], v[4:5]
	v_div_scale_f64 v[198:199], vcc, 1.0, v[2:3], 1.0
	v_fma_f64 v[200:201], -v[4:5], v[6:7], 1.0
	v_fmac_f64_e32 v[6:7], v[6:7], v[200:201]
	v_fma_f64 v[200:201], -v[4:5], v[6:7], 1.0
	v_fmac_f64_e32 v[6:7], v[6:7], v[200:201]
	v_mul_f64 v[200:201], v[198:199], v[6:7]
	v_fma_f64 v[4:5], -v[4:5], v[200:201], v[198:199]
	v_div_fmas_f64 v[4:5], v[4:5], v[6:7], v[200:201]
	v_div_fixup_f64 v[2:3], v[4:5], v[2:3], 1.0
	ds_write_b64 v234, v[2:3]
.LBB97_49:
	s_or_b64 exec, exec, s[2:3]
	s_waitcnt lgkmcnt(0)
	s_barrier
	ds_read_b64 v[0:1], v234
	v_cmp_lt_u32_e32 vcc, 9, v236
	s_waitcnt lgkmcnt(0)
	buffer_store_dword v0, off, s[16:19], 0 offset:24 ; 4-byte Folded Spill
	s_nop 0
	buffer_store_dword v1, off, s[16:19], 0 offset:28 ; 4-byte Folded Spill
	s_and_saveexec_b64 s[2:3], vcc
	s_cbranch_execz .LBB97_51
; %bb.50:
	ds_read2_b64 v[198:201], v235 offset0:10 offset1:11
	ds_read2_b64 v[202:205], v235 offset0:12 offset1:13
	buffer_load_dword v0, off, s[16:19], 0 offset:24 ; 4-byte Folded Reload
	buffer_load_dword v1, off, s[16:19], 0 offset:28 ; 4-byte Folded Reload
	ds_read2_b64 v[206:209], v235 offset0:14 offset1:15
	ds_read_b64 v[2:3], v235 offset:384
	s_waitcnt vmcnt(0)
	v_mul_f64 v[140:141], v[0:1], v[140:141]
	s_waitcnt lgkmcnt(3)
	v_fma_f64 v[186:187], -v[140:141], v[198:199], v[186:187]
	v_fma_f64 v[138:139], -v[140:141], v[200:201], v[138:139]
	ds_read2_b64 v[198:201], v235 offset0:16 offset1:17
	s_waitcnt lgkmcnt(3)
	v_fma_f64 v[184:185], -v[140:141], v[202:203], v[184:185]
	v_fma_f64 v[136:137], -v[140:141], v[204:205], v[136:137]
	s_waitcnt lgkmcnt(2)
	v_fma_f64 v[182:183], -v[140:141], v[206:207], v[182:183]
	ds_read2_b64 v[202:205], v235 offset0:18 offset1:19
	v_fma_f64 v[134:135], -v[140:141], v[208:209], v[134:135]
	ds_read2_b64 v[206:209], v235 offset0:20 offset1:21
	s_waitcnt lgkmcnt(2)
	v_fma_f64 v[180:181], -v[140:141], v[198:199], v[180:181]
	v_fma_f64 v[132:133], -v[140:141], v[200:201], v[132:133]
	ds_read2_b64 v[198:201], v235 offset0:22 offset1:23
	s_waitcnt lgkmcnt(2)
	v_fma_f64 v[178:179], -v[140:141], v[202:203], v[178:179]
	;; [unrolled: 4-line block ×3, first 2 shown]
	v_fma_f64 v[128:129], -v[140:141], v[208:209], v[128:129]
	s_waitcnt lgkmcnt(1)
	v_fma_f64 v[174:175], -v[140:141], v[198:199], v[174:175]
	ds_read2_b64 v[206:209], v235 offset0:26 offset1:27
	v_fma_f64 v[126:127], -v[140:141], v[200:201], v[126:127]
	ds_read2_b64 v[198:201], v235 offset0:28 offset1:29
	s_waitcnt lgkmcnt(2)
	v_fma_f64 v[172:173], -v[140:141], v[202:203], v[172:173]
	v_fma_f64 v[124:125], -v[140:141], v[204:205], v[124:125]
	s_waitcnt lgkmcnt(1)
	v_fma_f64 v[170:171], -v[140:141], v[206:207], v[170:171]
	ds_read2_b64 v[202:205], v235 offset0:30 offset1:31
	v_fma_f64 v[122:123], -v[140:141], v[208:209], v[122:123]
	ds_read2_b64 v[206:209], v235 offset0:32 offset1:33
	s_waitcnt lgkmcnt(2)
	v_fma_f64 v[168:169], -v[140:141], v[198:199], v[168:169]
	v_fma_f64 v[120:121], -v[140:141], v[200:201], v[120:121]
	ds_read2_b64 v[198:201], v235 offset0:34 offset1:35
	s_waitcnt lgkmcnt(2)
	v_fma_f64 v[166:167], -v[140:141], v[202:203], v[166:167]
	;; [unrolled: 4-line block ×3, first 2 shown]
	v_fma_f64 v[116:117], -v[140:141], v[208:209], v[116:117]
	s_waitcnt lgkmcnt(1)
	v_fma_f64 v[162:163], -v[140:141], v[198:199], v[162:163]
	ds_read2_b64 v[206:209], v235 offset0:38 offset1:39
	v_fma_f64 v[114:115], -v[140:141], v[200:201], v[114:115]
	ds_read2_b64 v[198:201], v235 offset0:40 offset1:41
	s_waitcnt lgkmcnt(2)
	v_fma_f64 v[160:161], -v[140:141], v[202:203], v[160:161]
	v_fma_f64 v[112:113], -v[140:141], v[204:205], v[112:113]
	s_waitcnt lgkmcnt(1)
	v_fma_f64 v[158:159], -v[140:141], v[206:207], v[158:159]
	ds_read2_b64 v[202:205], v235 offset0:42 offset1:43
	v_fma_f64 v[110:111], -v[140:141], v[208:209], v[110:111]
	s_waitcnt lgkmcnt(1)
	v_fma_f64 v[156:157], -v[140:141], v[198:199], v[156:157]
	v_fma_f64 v[108:109], -v[140:141], v[200:201], v[108:109]
	ds_read2_b64 v[198:201], v235 offset0:44 offset1:45
	ds_read2_b64 v[206:209], v235 offset0:46 offset1:47
	s_waitcnt lgkmcnt(2)
	v_fma_f64 v[154:155], -v[140:141], v[202:203], v[154:155]
	v_fma_f64 v[106:107], -v[140:141], v[204:205], v[106:107]
	;; [unrolled: 1-line block ×3, first 2 shown]
	s_waitcnt lgkmcnt(1)
	v_fma_f64 v[152:153], -v[140:141], v[198:199], v[152:153]
	v_fma_f64 v[104:105], -v[140:141], v[200:201], v[104:105]
	s_waitcnt lgkmcnt(0)
	v_fma_f64 v[150:151], -v[140:141], v[206:207], v[150:151]
	v_fma_f64 v[102:103], -v[140:141], v[208:209], v[102:103]
.LBB97_51:
	s_or_b64 exec, exec, s[2:3]
	v_cmp_eq_u32_e32 vcc, 10, v236
	s_barrier
	s_and_saveexec_b64 s[2:3], vcc
	s_cbranch_execz .LBB97_54
; %bb.52:
	s_waitcnt vmcnt(40)
	ds_write_b64 v234, v[186:187]
	s_waitcnt vmcnt(38)
	ds_write2_b64 v235, v[138:139], v[184:185] offset0:11 offset1:12
	s_waitcnt vmcnt(36)
	ds_write2_b64 v235, v[136:137], v[182:183] offset0:13 offset1:14
	;; [unrolled: 2-line block ×19, first 2 shown]
	ds_read_b64 v[2:3], v234
	s_waitcnt lgkmcnt(0)
	v_cmp_neq_f64_e32 vcc, 0, v[2:3]
	s_and_b64 exec, exec, vcc
	s_cbranch_execz .LBB97_54
; %bb.53:
	v_div_scale_f64 v[4:5], s[6:7], v[2:3], v[2:3], 1.0
	v_rcp_f64_e32 v[6:7], v[4:5]
	v_div_scale_f64 v[198:199], vcc, 1.0, v[2:3], 1.0
	v_fma_f64 v[200:201], -v[4:5], v[6:7], 1.0
	v_fmac_f64_e32 v[6:7], v[6:7], v[200:201]
	v_fma_f64 v[200:201], -v[4:5], v[6:7], 1.0
	v_fmac_f64_e32 v[6:7], v[6:7], v[200:201]
	v_mul_f64 v[200:201], v[198:199], v[6:7]
	v_fma_f64 v[4:5], -v[4:5], v[200:201], v[198:199]
	v_div_fmas_f64 v[4:5], v[4:5], v[6:7], v[200:201]
	v_div_fixup_f64 v[2:3], v[4:5], v[2:3], 1.0
	ds_write_b64 v234, v[2:3]
.LBB97_54:
	s_or_b64 exec, exec, s[2:3]
	s_waitcnt lgkmcnt(0)
	s_barrier
	ds_read_b64 v[0:1], v234
	v_cmp_lt_u32_e32 vcc, 10, v236
	s_and_saveexec_b64 s[2:3], vcc
	s_cbranch_execz .LBB97_56
; %bb.55:
	ds_read2_b64 v[198:201], v235 offset0:11 offset1:12
	ds_read2_b64 v[202:205], v235 offset0:13 offset1:14
	s_waitcnt vmcnt(40) lgkmcnt(2)
	v_mul_f64 v[186:187], v[0:1], v[186:187]
	ds_read2_b64 v[206:209], v235 offset0:15 offset1:16
	s_waitcnt vmcnt(39) lgkmcnt(2)
	v_fma_f64 v[138:139], -v[186:187], v[198:199], v[138:139]
	s_waitcnt vmcnt(38)
	v_fma_f64 v[184:185], -v[186:187], v[200:201], v[184:185]
	ds_read2_b64 v[198:201], v235 offset0:17 offset1:18
	s_waitcnt vmcnt(37) lgkmcnt(2)
	v_fma_f64 v[136:137], -v[186:187], v[202:203], v[136:137]
	s_waitcnt vmcnt(36)
	v_fma_f64 v[182:183], -v[186:187], v[204:205], v[182:183]
	s_waitcnt vmcnt(35) lgkmcnt(1)
	v_fma_f64 v[134:135], -v[186:187], v[206:207], v[134:135]
	ds_read2_b64 v[202:205], v235 offset0:19 offset1:20
	s_waitcnt vmcnt(34)
	v_fma_f64 v[180:181], -v[186:187], v[208:209], v[180:181]
	ds_read2_b64 v[206:209], v235 offset0:21 offset1:22
	s_waitcnt vmcnt(33) lgkmcnt(2)
	v_fma_f64 v[132:133], -v[186:187], v[198:199], v[132:133]
	s_waitcnt vmcnt(32)
	v_fma_f64 v[178:179], -v[186:187], v[200:201], v[178:179]
	ds_read2_b64 v[198:201], v235 offset0:23 offset1:24
	s_waitcnt vmcnt(31) lgkmcnt(2)
	v_fma_f64 v[130:131], -v[186:187], v[202:203], v[130:131]
	;; [unrolled: 5-line block ×3, first 2 shown]
	s_waitcnt vmcnt(28)
	v_fma_f64 v[174:175], -v[186:187], v[208:209], v[174:175]
	s_waitcnt vmcnt(27) lgkmcnt(1)
	v_fma_f64 v[126:127], -v[186:187], v[198:199], v[126:127]
	ds_read2_b64 v[206:209], v235 offset0:27 offset1:28
	s_waitcnt vmcnt(26)
	v_fma_f64 v[172:173], -v[186:187], v[200:201], v[172:173]
	ds_read2_b64 v[198:201], v235 offset0:29 offset1:30
	s_waitcnt vmcnt(25) lgkmcnt(2)
	v_fma_f64 v[124:125], -v[186:187], v[202:203], v[124:125]
	s_waitcnt vmcnt(24)
	v_fma_f64 v[170:171], -v[186:187], v[204:205], v[170:171]
	s_waitcnt vmcnt(23) lgkmcnt(1)
	v_fma_f64 v[122:123], -v[186:187], v[206:207], v[122:123]
	ds_read2_b64 v[202:205], v235 offset0:31 offset1:32
	s_waitcnt vmcnt(22)
	v_fma_f64 v[168:169], -v[186:187], v[208:209], v[168:169]
	ds_read2_b64 v[206:209], v235 offset0:33 offset1:34
	s_waitcnt vmcnt(21) lgkmcnt(2)
	v_fma_f64 v[120:121], -v[186:187], v[198:199], v[120:121]
	s_waitcnt vmcnt(20)
	v_fma_f64 v[166:167], -v[186:187], v[200:201], v[166:167]
	ds_read2_b64 v[198:201], v235 offset0:35 offset1:36
	s_waitcnt vmcnt(19) lgkmcnt(2)
	v_fma_f64 v[118:119], -v[186:187], v[202:203], v[118:119]
	;; [unrolled: 5-line block ×3, first 2 shown]
	s_waitcnt vmcnt(16)
	v_fma_f64 v[162:163], -v[186:187], v[208:209], v[162:163]
	s_waitcnt vmcnt(15) lgkmcnt(1)
	v_fma_f64 v[114:115], -v[186:187], v[198:199], v[114:115]
	ds_read2_b64 v[206:209], v235 offset0:39 offset1:40
	s_waitcnt vmcnt(14)
	v_fma_f64 v[160:161], -v[186:187], v[200:201], v[160:161]
	ds_read2_b64 v[198:201], v235 offset0:41 offset1:42
	s_waitcnt vmcnt(13) lgkmcnt(2)
	v_fma_f64 v[112:113], -v[186:187], v[202:203], v[112:113]
	s_waitcnt vmcnt(12)
	v_fma_f64 v[158:159], -v[186:187], v[204:205], v[158:159]
	s_waitcnt vmcnt(11) lgkmcnt(1)
	v_fma_f64 v[110:111], -v[186:187], v[206:207], v[110:111]
	s_waitcnt vmcnt(10)
	v_fma_f64 v[156:157], -v[186:187], v[208:209], v[156:157]
	ds_read2_b64 v[202:205], v235 offset0:43 offset1:44
	ds_read2_b64 v[206:209], v235 offset0:45 offset1:46
	s_waitcnt vmcnt(9) lgkmcnt(2)
	v_fma_f64 v[108:109], -v[186:187], v[198:199], v[108:109]
	s_waitcnt vmcnt(8)
	v_fma_f64 v[154:155], -v[186:187], v[200:201], v[154:155]
	ds_read2_b64 v[198:201], v235 offset0:47 offset1:48
	s_waitcnt vmcnt(7) lgkmcnt(2)
	v_fma_f64 v[106:107], -v[186:187], v[202:203], v[106:107]
	s_waitcnt vmcnt(6)
	v_fma_f64 v[152:153], -v[186:187], v[204:205], v[152:153]
	s_waitcnt vmcnt(5) lgkmcnt(1)
	v_fma_f64 v[104:105], -v[186:187], v[206:207], v[104:105]
	s_waitcnt vmcnt(4)
	v_fma_f64 v[150:151], -v[186:187], v[208:209], v[150:151]
	;; [unrolled: 4-line block ×3, first 2 shown]
.LBB97_56:
	s_or_b64 exec, exec, s[2:3]
	v_cmp_eq_u32_e32 vcc, 11, v236
	s_waitcnt lgkmcnt(0)
	buffer_store_dword v0, off, s[16:19], 0 offset:112 ; 4-byte Folded Spill
	s_nop 0
	buffer_store_dword v1, off, s[16:19], 0 offset:116 ; 4-byte Folded Spill
	s_barrier
	s_and_saveexec_b64 s[2:3], vcc
	s_cbranch_execz .LBB97_59
; %bb.57:
	s_waitcnt vmcnt(40)
	v_mov_b32_e32 v2, v184
	v_mov_b32_e32 v3, v185
	s_waitcnt vmcnt(39)
	v_mov_b32_e32 v4, v136
	v_mov_b32_e32 v5, v137
	ds_write_b64 v234, v[138:139]
	ds_write2_b64 v235, v[2:3], v[4:5] offset0:12 offset1:13
	s_waitcnt vmcnt(38)
	v_mov_b32_e32 v2, v182
	v_mov_b32_e32 v3, v183
	s_waitcnt vmcnt(37)
	v_mov_b32_e32 v4, v134
	v_mov_b32_e32 v5, v135
	ds_write2_b64 v235, v[2:3], v[4:5] offset0:14 offset1:15
	s_waitcnt vmcnt(36)
	v_mov_b32_e32 v2, v180
	v_mov_b32_e32 v3, v181
	s_waitcnt vmcnt(35)
	v_mov_b32_e32 v4, v132
	v_mov_b32_e32 v5, v133
	;; [unrolled: 7-line block ×17, first 2 shown]
	ds_write2_b64 v235, v[2:3], v[4:5] offset0:46 offset1:47
	s_waitcnt vmcnt(4)
	ds_write_b64 v235, v[196:197] offset:384
	ds_read_b64 v[2:3], v234
	s_waitcnt lgkmcnt(0)
	v_cmp_neq_f64_e32 vcc, 0, v[2:3]
	s_and_b64 exec, exec, vcc
	s_cbranch_execz .LBB97_59
; %bb.58:
	v_div_scale_f64 v[4:5], s[6:7], v[2:3], v[2:3], 1.0
	v_rcp_f64_e32 v[6:7], v[4:5]
	v_div_scale_f64 v[198:199], vcc, 1.0, v[2:3], 1.0
	v_fma_f64 v[200:201], -v[4:5], v[6:7], 1.0
	v_fmac_f64_e32 v[6:7], v[6:7], v[200:201]
	v_fma_f64 v[200:201], -v[4:5], v[6:7], 1.0
	v_fmac_f64_e32 v[6:7], v[6:7], v[200:201]
	v_mul_f64 v[200:201], v[198:199], v[6:7]
	v_fma_f64 v[4:5], -v[4:5], v[200:201], v[198:199]
	v_div_fmas_f64 v[4:5], v[4:5], v[6:7], v[200:201]
	v_div_fixup_f64 v[2:3], v[4:5], v[2:3], 1.0
	ds_write_b64 v234, v[2:3]
.LBB97_59:
	s_or_b64 exec, exec, s[2:3]
	s_waitcnt lgkmcnt(0)
	s_barrier
	ds_read_b64 v[0:1], v234
	v_cmp_lt_u32_e32 vcc, 11, v236
	s_waitcnt lgkmcnt(0)
	buffer_store_dword v0, off, s[16:19], 0 offset:32 ; 4-byte Folded Spill
	s_nop 0
	buffer_store_dword v1, off, s[16:19], 0 offset:36 ; 4-byte Folded Spill
	s_and_saveexec_b64 s[2:3], vcc
	s_cbranch_execz .LBB97_61
; %bb.60:
	ds_read2_b64 v[198:201], v235 offset0:12 offset1:13
	ds_read2_b64 v[202:205], v235 offset0:14 offset1:15
	buffer_load_dword v0, off, s[16:19], 0 offset:32 ; 4-byte Folded Reload
	buffer_load_dword v1, off, s[16:19], 0 offset:36 ; 4-byte Folded Reload
	ds_read2_b64 v[206:209], v235 offset0:16 offset1:17
	ds_read_b64 v[2:3], v235 offset:384
	s_waitcnt vmcnt(0)
	v_mul_f64 v[138:139], v[0:1], v[138:139]
	s_waitcnt lgkmcnt(3)
	v_fma_f64 v[184:185], -v[138:139], v[198:199], v[184:185]
	v_fma_f64 v[136:137], -v[138:139], v[200:201], v[136:137]
	ds_read2_b64 v[198:201], v235 offset0:18 offset1:19
	s_waitcnt lgkmcnt(3)
	v_fma_f64 v[182:183], -v[138:139], v[202:203], v[182:183]
	v_fma_f64 v[134:135], -v[138:139], v[204:205], v[134:135]
	s_waitcnt lgkmcnt(2)
	v_fma_f64 v[180:181], -v[138:139], v[206:207], v[180:181]
	ds_read2_b64 v[202:205], v235 offset0:20 offset1:21
	v_fma_f64 v[132:133], -v[138:139], v[208:209], v[132:133]
	ds_read2_b64 v[206:209], v235 offset0:22 offset1:23
	s_waitcnt lgkmcnt(2)
	v_fma_f64 v[178:179], -v[138:139], v[198:199], v[178:179]
	v_fma_f64 v[130:131], -v[138:139], v[200:201], v[130:131]
	s_waitcnt lgkmcnt(1)
	v_fma_f64 v[176:177], -v[138:139], v[202:203], v[176:177]
	ds_read2_b64 v[198:201], v235 offset0:24 offset1:25
	v_fma_f64 v[128:129], -v[138:139], v[204:205], v[128:129]
	ds_read2_b64 v[202:205], v235 offset0:26 offset1:27
	s_waitcnt lgkmcnt(2)
	v_fma_f64 v[174:175], -v[138:139], v[206:207], v[174:175]
	v_fma_f64 v[126:127], -v[138:139], v[208:209], v[126:127]
	ds_read2_b64 v[206:209], v235 offset0:28 offset1:29
	s_waitcnt lgkmcnt(2)
	v_fma_f64 v[172:173], -v[138:139], v[198:199], v[172:173]
	;; [unrolled: 4-line block ×3, first 2 shown]
	v_fma_f64 v[122:123], -v[138:139], v[204:205], v[122:123]
	s_waitcnt lgkmcnt(1)
	v_fma_f64 v[168:169], -v[138:139], v[206:207], v[168:169]
	ds_read2_b64 v[202:205], v235 offset0:32 offset1:33
	v_fma_f64 v[120:121], -v[138:139], v[208:209], v[120:121]
	ds_read2_b64 v[206:209], v235 offset0:34 offset1:35
	s_waitcnt lgkmcnt(2)
	v_fma_f64 v[166:167], -v[138:139], v[198:199], v[166:167]
	v_fma_f64 v[118:119], -v[138:139], v[200:201], v[118:119]
	s_waitcnt lgkmcnt(1)
	v_fma_f64 v[164:165], -v[138:139], v[202:203], v[164:165]
	ds_read2_b64 v[198:201], v235 offset0:36 offset1:37
	v_fma_f64 v[116:117], -v[138:139], v[204:205], v[116:117]
	ds_read2_b64 v[202:205], v235 offset0:38 offset1:39
	s_waitcnt lgkmcnt(2)
	v_fma_f64 v[162:163], -v[138:139], v[206:207], v[162:163]
	v_fma_f64 v[114:115], -v[138:139], v[208:209], v[114:115]
	ds_read2_b64 v[206:209], v235 offset0:40 offset1:41
	s_waitcnt lgkmcnt(2)
	v_fma_f64 v[160:161], -v[138:139], v[198:199], v[160:161]
	;; [unrolled: 4-line block ×3, first 2 shown]
	v_fma_f64 v[110:111], -v[138:139], v[204:205], v[110:111]
	s_waitcnt lgkmcnt(1)
	v_fma_f64 v[156:157], -v[138:139], v[206:207], v[156:157]
	v_fma_f64 v[108:109], -v[138:139], v[208:209], v[108:109]
	ds_read2_b64 v[202:205], v235 offset0:44 offset1:45
	ds_read2_b64 v[206:209], v235 offset0:46 offset1:47
	s_waitcnt lgkmcnt(2)
	v_fma_f64 v[154:155], -v[138:139], v[198:199], v[154:155]
	v_fma_f64 v[106:107], -v[138:139], v[200:201], v[106:107]
	;; [unrolled: 1-line block ×3, first 2 shown]
	s_waitcnt lgkmcnt(1)
	v_fma_f64 v[152:153], -v[138:139], v[202:203], v[152:153]
	v_fma_f64 v[104:105], -v[138:139], v[204:205], v[104:105]
	s_waitcnt lgkmcnt(0)
	v_fma_f64 v[150:151], -v[138:139], v[206:207], v[150:151]
	v_fma_f64 v[102:103], -v[138:139], v[208:209], v[102:103]
.LBB97_61:
	s_or_b64 exec, exec, s[2:3]
	v_cmp_eq_u32_e32 vcc, 12, v236
	s_barrier
	s_and_saveexec_b64 s[2:3], vcc
	s_cbranch_execz .LBB97_64
; %bb.62:
	s_waitcnt vmcnt(42)
	ds_write_b64 v234, v[184:185]
	s_waitcnt vmcnt(40)
	ds_write2_b64 v235, v[136:137], v[182:183] offset0:13 offset1:14
	s_waitcnt vmcnt(38)
	ds_write2_b64 v235, v[134:135], v[180:181] offset0:15 offset1:16
	;; [unrolled: 2-line block ×18, first 2 shown]
	ds_read_b64 v[2:3], v234
	s_waitcnt lgkmcnt(0)
	v_cmp_neq_f64_e32 vcc, 0, v[2:3]
	s_and_b64 exec, exec, vcc
	s_cbranch_execz .LBB97_64
; %bb.63:
	v_div_scale_f64 v[4:5], s[6:7], v[2:3], v[2:3], 1.0
	v_rcp_f64_e32 v[6:7], v[4:5]
	v_div_scale_f64 v[198:199], vcc, 1.0, v[2:3], 1.0
	v_fma_f64 v[200:201], -v[4:5], v[6:7], 1.0
	v_fmac_f64_e32 v[6:7], v[6:7], v[200:201]
	v_fma_f64 v[200:201], -v[4:5], v[6:7], 1.0
	v_fmac_f64_e32 v[6:7], v[6:7], v[200:201]
	v_mul_f64 v[200:201], v[198:199], v[6:7]
	v_fma_f64 v[4:5], -v[4:5], v[200:201], v[198:199]
	v_div_fmas_f64 v[4:5], v[4:5], v[6:7], v[200:201]
	v_div_fixup_f64 v[2:3], v[4:5], v[2:3], 1.0
	ds_write_b64 v234, v[2:3]
.LBB97_64:
	s_or_b64 exec, exec, s[2:3]
	s_waitcnt lgkmcnt(0)
	s_barrier
	ds_read_b64 v[0:1], v234
	v_cmp_lt_u32_e32 vcc, 12, v236
	s_and_saveexec_b64 s[2:3], vcc
	s_cbranch_execz .LBB97_66
; %bb.65:
	ds_read2_b64 v[198:201], v235 offset0:13 offset1:14
	ds_read2_b64 v[202:205], v235 offset0:15 offset1:16
	;; [unrolled: 1-line block ×3, first 2 shown]
	s_waitcnt vmcnt(42) lgkmcnt(3)
	v_mul_f64 v[184:185], v[0:1], v[184:185]
	s_waitcnt vmcnt(41) lgkmcnt(2)
	v_fma_f64 v[136:137], -v[184:185], v[198:199], v[136:137]
	s_waitcnt vmcnt(40)
	v_fma_f64 v[182:183], -v[184:185], v[200:201], v[182:183]
	ds_read2_b64 v[198:201], v235 offset0:19 offset1:20
	s_waitcnt vmcnt(39) lgkmcnt(2)
	v_fma_f64 v[134:135], -v[184:185], v[202:203], v[134:135]
	s_waitcnt vmcnt(38)
	v_fma_f64 v[180:181], -v[184:185], v[204:205], v[180:181]
	s_waitcnt vmcnt(37) lgkmcnt(1)
	v_fma_f64 v[132:133], -v[184:185], v[206:207], v[132:133]
	ds_read2_b64 v[202:205], v235 offset0:21 offset1:22
	s_waitcnt vmcnt(36)
	v_fma_f64 v[178:179], -v[184:185], v[208:209], v[178:179]
	ds_read2_b64 v[206:209], v235 offset0:23 offset1:24
	s_waitcnt vmcnt(35) lgkmcnt(2)
	v_fma_f64 v[130:131], -v[184:185], v[198:199], v[130:131]
	s_waitcnt vmcnt(34)
	v_fma_f64 v[176:177], -v[184:185], v[200:201], v[176:177]
	s_waitcnt vmcnt(33) lgkmcnt(1)
	v_fma_f64 v[128:129], -v[184:185], v[202:203], v[128:129]
	ds_read2_b64 v[198:201], v235 offset0:25 offset1:26
	s_waitcnt vmcnt(32)
	v_fma_f64 v[174:175], -v[184:185], v[204:205], v[174:175]
	ds_read2_b64 v[202:205], v235 offset0:27 offset1:28
	s_waitcnt vmcnt(31) lgkmcnt(2)
	v_fma_f64 v[126:127], -v[184:185], v[206:207], v[126:127]
	s_waitcnt vmcnt(30)
	v_fma_f64 v[172:173], -v[184:185], v[208:209], v[172:173]
	ds_read2_b64 v[206:209], v235 offset0:29 offset1:30
	s_waitcnt vmcnt(29) lgkmcnt(2)
	v_fma_f64 v[124:125], -v[184:185], v[198:199], v[124:125]
	;; [unrolled: 5-line block ×3, first 2 shown]
	s_waitcnt vmcnt(26)
	v_fma_f64 v[168:169], -v[184:185], v[204:205], v[168:169]
	s_waitcnt vmcnt(25) lgkmcnt(1)
	v_fma_f64 v[120:121], -v[184:185], v[206:207], v[120:121]
	ds_read2_b64 v[202:205], v235 offset0:33 offset1:34
	s_waitcnt vmcnt(24)
	v_fma_f64 v[166:167], -v[184:185], v[208:209], v[166:167]
	ds_read2_b64 v[206:209], v235 offset0:35 offset1:36
	s_waitcnt vmcnt(23) lgkmcnt(2)
	v_fma_f64 v[118:119], -v[184:185], v[198:199], v[118:119]
	s_waitcnt vmcnt(22)
	v_fma_f64 v[164:165], -v[184:185], v[200:201], v[164:165]
	s_waitcnt vmcnt(21) lgkmcnt(1)
	v_fma_f64 v[116:117], -v[184:185], v[202:203], v[116:117]
	ds_read2_b64 v[198:201], v235 offset0:37 offset1:38
	s_waitcnt vmcnt(20)
	v_fma_f64 v[162:163], -v[184:185], v[204:205], v[162:163]
	ds_read2_b64 v[202:205], v235 offset0:39 offset1:40
	s_waitcnt vmcnt(19) lgkmcnt(2)
	v_fma_f64 v[114:115], -v[184:185], v[206:207], v[114:115]
	s_waitcnt vmcnt(18)
	v_fma_f64 v[160:161], -v[184:185], v[208:209], v[160:161]
	ds_read2_b64 v[206:209], v235 offset0:41 offset1:42
	s_waitcnt vmcnt(17) lgkmcnt(2)
	v_fma_f64 v[112:113], -v[184:185], v[198:199], v[112:113]
	;; [unrolled: 5-line block ×3, first 2 shown]
	s_waitcnt vmcnt(14)
	v_fma_f64 v[156:157], -v[184:185], v[204:205], v[156:157]
	s_waitcnt vmcnt(13) lgkmcnt(1)
	v_fma_f64 v[108:109], -v[184:185], v[206:207], v[108:109]
	ds_read2_b64 v[202:205], v235 offset0:45 offset1:46
	s_waitcnt vmcnt(12)
	v_fma_f64 v[154:155], -v[184:185], v[208:209], v[154:155]
	ds_read2_b64 v[206:209], v235 offset0:47 offset1:48
	s_waitcnt vmcnt(11) lgkmcnt(2)
	v_fma_f64 v[106:107], -v[184:185], v[198:199], v[106:107]
	s_waitcnt vmcnt(10)
	v_fma_f64 v[152:153], -v[184:185], v[200:201], v[152:153]
	s_waitcnt vmcnt(9) lgkmcnt(1)
	v_fma_f64 v[104:105], -v[184:185], v[202:203], v[104:105]
	s_waitcnt vmcnt(8)
	v_fma_f64 v[150:151], -v[184:185], v[204:205], v[150:151]
	;; [unrolled: 4-line block ×3, first 2 shown]
.LBB97_66:
	s_or_b64 exec, exec, s[2:3]
	v_cmp_eq_u32_e32 vcc, 13, v236
	s_waitcnt lgkmcnt(0)
	buffer_store_dword v0, off, s[16:19], 0 offset:120 ; 4-byte Folded Spill
	s_nop 0
	buffer_store_dword v1, off, s[16:19], 0 offset:124 ; 4-byte Folded Spill
	s_barrier
	s_and_saveexec_b64 s[2:3], vcc
	s_cbranch_execz .LBB97_69
; %bb.67:
	s_waitcnt vmcnt(42)
	v_mov_b32_e32 v2, v182
	v_mov_b32_e32 v3, v183
	s_waitcnt vmcnt(41)
	v_mov_b32_e32 v4, v134
	v_mov_b32_e32 v5, v135
	ds_write_b64 v234, v[136:137]
	ds_write2_b64 v235, v[2:3], v[4:5] offset0:14 offset1:15
	s_waitcnt vmcnt(40)
	v_mov_b32_e32 v2, v180
	v_mov_b32_e32 v3, v181
	s_waitcnt vmcnt(39)
	v_mov_b32_e32 v4, v132
	v_mov_b32_e32 v5, v133
	ds_write2_b64 v235, v[2:3], v[4:5] offset0:16 offset1:17
	s_waitcnt vmcnt(38)
	v_mov_b32_e32 v2, v178
	v_mov_b32_e32 v3, v179
	s_waitcnt vmcnt(37)
	v_mov_b32_e32 v4, v130
	v_mov_b32_e32 v5, v131
	;; [unrolled: 7-line block ×16, first 2 shown]
	ds_write2_b64 v235, v[2:3], v[4:5] offset0:46 offset1:47
	s_waitcnt vmcnt(8)
	ds_write_b64 v235, v[196:197] offset:384
	ds_read_b64 v[2:3], v234
	s_waitcnt lgkmcnt(0)
	v_cmp_neq_f64_e32 vcc, 0, v[2:3]
	s_and_b64 exec, exec, vcc
	s_cbranch_execz .LBB97_69
; %bb.68:
	v_div_scale_f64 v[4:5], s[6:7], v[2:3], v[2:3], 1.0
	v_rcp_f64_e32 v[6:7], v[4:5]
	v_div_scale_f64 v[198:199], vcc, 1.0, v[2:3], 1.0
	v_fma_f64 v[200:201], -v[4:5], v[6:7], 1.0
	v_fmac_f64_e32 v[6:7], v[6:7], v[200:201]
	v_fma_f64 v[200:201], -v[4:5], v[6:7], 1.0
	v_fmac_f64_e32 v[6:7], v[6:7], v[200:201]
	v_mul_f64 v[200:201], v[198:199], v[6:7]
	v_fma_f64 v[4:5], -v[4:5], v[200:201], v[198:199]
	v_div_fmas_f64 v[4:5], v[4:5], v[6:7], v[200:201]
	v_div_fixup_f64 v[2:3], v[4:5], v[2:3], 1.0
	ds_write_b64 v234, v[2:3]
.LBB97_69:
	s_or_b64 exec, exec, s[2:3]
	s_waitcnt lgkmcnt(0)
	s_barrier
	ds_read_b64 v[0:1], v234
	v_cmp_lt_u32_e32 vcc, 13, v236
	s_waitcnt lgkmcnt(0)
	buffer_store_dword v0, off, s[16:19], 0 offset:40 ; 4-byte Folded Spill
	s_nop 0
	buffer_store_dword v1, off, s[16:19], 0 offset:44 ; 4-byte Folded Spill
	s_and_saveexec_b64 s[2:3], vcc
	s_cbranch_execz .LBB97_71
; %bb.70:
	ds_read2_b64 v[198:201], v235 offset0:14 offset1:15
	ds_read2_b64 v[202:205], v235 offset0:16 offset1:17
	buffer_load_dword v0, off, s[16:19], 0 offset:40 ; 4-byte Folded Reload
	buffer_load_dword v1, off, s[16:19], 0 offset:44 ; 4-byte Folded Reload
	ds_read2_b64 v[206:209], v235 offset0:18 offset1:19
	ds_read_b64 v[2:3], v235 offset:384
	s_waitcnt vmcnt(0)
	v_mul_f64 v[136:137], v[0:1], v[136:137]
	s_waitcnt lgkmcnt(3)
	v_fma_f64 v[182:183], -v[136:137], v[198:199], v[182:183]
	v_fma_f64 v[134:135], -v[136:137], v[200:201], v[134:135]
	ds_read2_b64 v[198:201], v235 offset0:20 offset1:21
	s_waitcnt lgkmcnt(3)
	v_fma_f64 v[180:181], -v[136:137], v[202:203], v[180:181]
	v_fma_f64 v[132:133], -v[136:137], v[204:205], v[132:133]
	ds_read2_b64 v[202:205], v235 offset0:22 offset1:23
	;; [unrolled: 4-line block ×3, first 2 shown]
	s_waitcnt lgkmcnt(2)
	v_fma_f64 v[176:177], -v[136:137], v[198:199], v[176:177]
	v_fma_f64 v[128:129], -v[136:137], v[200:201], v[128:129]
	s_waitcnt lgkmcnt(1)
	v_fma_f64 v[174:175], -v[136:137], v[202:203], v[174:175]
	ds_read2_b64 v[198:201], v235 offset0:26 offset1:27
	v_fma_f64 v[126:127], -v[136:137], v[204:205], v[126:127]
	ds_read2_b64 v[202:205], v235 offset0:28 offset1:29
	s_waitcnt lgkmcnt(2)
	v_fma_f64 v[172:173], -v[136:137], v[206:207], v[172:173]
	v_fma_f64 v[124:125], -v[136:137], v[208:209], v[124:125]
	s_waitcnt lgkmcnt(1)
	v_fma_f64 v[170:171], -v[136:137], v[198:199], v[170:171]
	ds_read2_b64 v[206:209], v235 offset0:30 offset1:31
	v_fma_f64 v[122:123], -v[136:137], v[200:201], v[122:123]
	ds_read2_b64 v[198:201], v235 offset0:32 offset1:33
	s_waitcnt lgkmcnt(2)
	v_fma_f64 v[168:169], -v[136:137], v[202:203], v[168:169]
	v_fma_f64 v[120:121], -v[136:137], v[204:205], v[120:121]
	ds_read2_b64 v[202:205], v235 offset0:34 offset1:35
	s_waitcnt lgkmcnt(2)
	v_fma_f64 v[166:167], -v[136:137], v[206:207], v[166:167]
	;; [unrolled: 4-line block ×3, first 2 shown]
	v_fma_f64 v[116:117], -v[136:137], v[200:201], v[116:117]
	s_waitcnt lgkmcnt(1)
	v_fma_f64 v[162:163], -v[136:137], v[202:203], v[162:163]
	ds_read2_b64 v[198:201], v235 offset0:38 offset1:39
	v_fma_f64 v[114:115], -v[136:137], v[204:205], v[114:115]
	ds_read2_b64 v[202:205], v235 offset0:40 offset1:41
	s_waitcnt lgkmcnt(2)
	v_fma_f64 v[160:161], -v[136:137], v[206:207], v[160:161]
	v_fma_f64 v[112:113], -v[136:137], v[208:209], v[112:113]
	s_waitcnt lgkmcnt(1)
	v_fma_f64 v[158:159], -v[136:137], v[198:199], v[158:159]
	ds_read2_b64 v[206:209], v235 offset0:42 offset1:43
	v_fma_f64 v[110:111], -v[136:137], v[200:201], v[110:111]
	ds_read2_b64 v[198:201], v235 offset0:44 offset1:45
	s_waitcnt lgkmcnt(2)
	v_fma_f64 v[156:157], -v[136:137], v[202:203], v[156:157]
	v_fma_f64 v[108:109], -v[136:137], v[204:205], v[108:109]
	ds_read2_b64 v[202:205], v235 offset0:46 offset1:47
	s_waitcnt lgkmcnt(2)
	v_fma_f64 v[154:155], -v[136:137], v[206:207], v[154:155]
	v_fma_f64 v[106:107], -v[136:137], v[208:209], v[106:107]
	s_waitcnt lgkmcnt(1)
	v_fma_f64 v[152:153], -v[136:137], v[198:199], v[152:153]
	v_fma_f64 v[104:105], -v[136:137], v[200:201], v[104:105]
	;; [unrolled: 3-line block ×3, first 2 shown]
	v_fma_f64 v[196:197], -v[136:137], v[2:3], v[196:197]
.LBB97_71:
	s_or_b64 exec, exec, s[2:3]
	v_cmp_eq_u32_e32 vcc, 14, v236
	s_waitcnt vmcnt(63) expcnt(7) lgkmcnt(15)
	s_barrier
	s_and_saveexec_b64 s[2:3], vcc
	s_cbranch_execz .LBB97_74
; %bb.72:
	s_waitcnt vmcnt(44)
	ds_write_b64 v234, v[182:183]
	s_waitcnt vmcnt(42)
	ds_write2_b64 v235, v[134:135], v[180:181] offset0:15 offset1:16
	s_waitcnt vmcnt(40)
	ds_write2_b64 v235, v[132:133], v[178:179] offset0:17 offset1:18
	;; [unrolled: 2-line block ×17, first 2 shown]
	ds_read_b64 v[2:3], v234
	s_waitcnt lgkmcnt(0)
	v_cmp_neq_f64_e32 vcc, 0, v[2:3]
	s_and_b64 exec, exec, vcc
	s_cbranch_execz .LBB97_74
; %bb.73:
	v_div_scale_f64 v[4:5], s[6:7], v[2:3], v[2:3], 1.0
	v_rcp_f64_e32 v[6:7], v[4:5]
	v_div_scale_f64 v[198:199], vcc, 1.0, v[2:3], 1.0
	v_fma_f64 v[200:201], -v[4:5], v[6:7], 1.0
	v_fmac_f64_e32 v[6:7], v[6:7], v[200:201]
	v_fma_f64 v[200:201], -v[4:5], v[6:7], 1.0
	v_fmac_f64_e32 v[6:7], v[6:7], v[200:201]
	v_mul_f64 v[200:201], v[198:199], v[6:7]
	v_fma_f64 v[4:5], -v[4:5], v[200:201], v[198:199]
	v_div_fmas_f64 v[4:5], v[4:5], v[6:7], v[200:201]
	v_div_fixup_f64 v[2:3], v[4:5], v[2:3], 1.0
	ds_write_b64 v234, v[2:3]
.LBB97_74:
	s_or_b64 exec, exec, s[2:3]
	s_waitcnt lgkmcnt(0)
	s_barrier
	ds_read_b64 v[0:1], v234
	v_cmp_lt_u32_e32 vcc, 14, v236
	s_and_saveexec_b64 s[2:3], vcc
	s_cbranch_execz .LBB97_76
; %bb.75:
	ds_read2_b64 v[198:201], v235 offset0:15 offset1:16
	ds_read2_b64 v[202:205], v235 offset0:17 offset1:18
	s_waitcnt vmcnt(44) lgkmcnt(2)
	v_mul_f64 v[182:183], v[0:1], v[182:183]
	ds_read2_b64 v[206:209], v235 offset0:19 offset1:20
	s_waitcnt vmcnt(43) lgkmcnt(2)
	v_fma_f64 v[134:135], -v[182:183], v[198:199], v[134:135]
	s_waitcnt vmcnt(42)
	v_fma_f64 v[180:181], -v[182:183], v[200:201], v[180:181]
	ds_read2_b64 v[198:201], v235 offset0:21 offset1:22
	s_waitcnt vmcnt(41) lgkmcnt(2)
	v_fma_f64 v[132:133], -v[182:183], v[202:203], v[132:133]
	s_waitcnt vmcnt(40)
	v_fma_f64 v[178:179], -v[182:183], v[204:205], v[178:179]
	;; [unrolled: 5-line block ×4, first 2 shown]
	s_waitcnt vmcnt(35) lgkmcnt(1)
	v_fma_f64 v[126:127], -v[182:183], v[202:203], v[126:127]
	ds_read2_b64 v[198:201], v235 offset0:27 offset1:28
	s_waitcnt vmcnt(34)
	v_fma_f64 v[172:173], -v[182:183], v[204:205], v[172:173]
	ds_read2_b64 v[202:205], v235 offset0:29 offset1:30
	s_waitcnt vmcnt(33) lgkmcnt(2)
	v_fma_f64 v[124:125], -v[182:183], v[206:207], v[124:125]
	s_waitcnt vmcnt(32)
	v_fma_f64 v[170:171], -v[182:183], v[208:209], v[170:171]
	s_waitcnt vmcnt(31) lgkmcnt(1)
	v_fma_f64 v[122:123], -v[182:183], v[198:199], v[122:123]
	ds_read2_b64 v[206:209], v235 offset0:31 offset1:32
	s_waitcnt vmcnt(30)
	v_fma_f64 v[168:169], -v[182:183], v[200:201], v[168:169]
	ds_read2_b64 v[198:201], v235 offset0:33 offset1:34
	s_waitcnt vmcnt(29) lgkmcnt(2)
	v_fma_f64 v[120:121], -v[182:183], v[202:203], v[120:121]
	s_waitcnt vmcnt(28)
	v_fma_f64 v[166:167], -v[182:183], v[204:205], v[166:167]
	ds_read2_b64 v[202:205], v235 offset0:35 offset1:36
	s_waitcnt vmcnt(27) lgkmcnt(2)
	v_fma_f64 v[118:119], -v[182:183], v[206:207], v[118:119]
	;; [unrolled: 5-line block ×3, first 2 shown]
	s_waitcnt vmcnt(24)
	v_fma_f64 v[162:163], -v[182:183], v[200:201], v[162:163]
	s_waitcnt vmcnt(23) lgkmcnt(1)
	v_fma_f64 v[114:115], -v[182:183], v[202:203], v[114:115]
	ds_read2_b64 v[198:201], v235 offset0:39 offset1:40
	s_waitcnt vmcnt(22)
	v_fma_f64 v[160:161], -v[182:183], v[204:205], v[160:161]
	ds_read2_b64 v[202:205], v235 offset0:41 offset1:42
	s_waitcnt vmcnt(21) lgkmcnt(2)
	v_fma_f64 v[112:113], -v[182:183], v[206:207], v[112:113]
	s_waitcnt vmcnt(20)
	v_fma_f64 v[158:159], -v[182:183], v[208:209], v[158:159]
	s_waitcnt vmcnt(19) lgkmcnt(1)
	v_fma_f64 v[110:111], -v[182:183], v[198:199], v[110:111]
	s_waitcnt vmcnt(18)
	v_fma_f64 v[156:157], -v[182:183], v[200:201], v[156:157]
	ds_read2_b64 v[198:201], v235 offset0:43 offset1:44
	ds_read2_b64 v[206:209], v235 offset0:45 offset1:46
	s_waitcnt vmcnt(17) lgkmcnt(2)
	v_fma_f64 v[108:109], -v[182:183], v[202:203], v[108:109]
	s_waitcnt vmcnt(16)
	v_fma_f64 v[154:155], -v[182:183], v[204:205], v[154:155]
	ds_read2_b64 v[202:205], v235 offset0:47 offset1:48
	s_waitcnt vmcnt(15) lgkmcnt(2)
	v_fma_f64 v[106:107], -v[182:183], v[198:199], v[106:107]
	s_waitcnt vmcnt(14)
	v_fma_f64 v[152:153], -v[182:183], v[200:201], v[152:153]
	s_waitcnt vmcnt(13) lgkmcnt(1)
	v_fma_f64 v[104:105], -v[182:183], v[206:207], v[104:105]
	s_waitcnt vmcnt(12)
	v_fma_f64 v[150:151], -v[182:183], v[208:209], v[150:151]
	;; [unrolled: 4-line block ×3, first 2 shown]
.LBB97_76:
	s_or_b64 exec, exec, s[2:3]
	v_cmp_eq_u32_e32 vcc, 15, v236
	s_waitcnt lgkmcnt(0)
	buffer_store_dword v0, off, s[16:19], 0 offset:128 ; 4-byte Folded Spill
	s_nop 0
	buffer_store_dword v1, off, s[16:19], 0 offset:132 ; 4-byte Folded Spill
	s_waitcnt vmcnt(63) expcnt(7) lgkmcnt(15)
	s_barrier
	s_and_saveexec_b64 s[2:3], vcc
	s_cbranch_execz .LBB97_79
; %bb.77:
	s_waitcnt vmcnt(44)
	v_mov_b32_e32 v2, v180
	v_mov_b32_e32 v3, v181
	s_waitcnt vmcnt(43)
	v_mov_b32_e32 v4, v132
	v_mov_b32_e32 v5, v133
	ds_write_b64 v234, v[134:135]
	ds_write2_b64 v235, v[2:3], v[4:5] offset0:16 offset1:17
	s_waitcnt vmcnt(42)
	v_mov_b32_e32 v2, v178
	v_mov_b32_e32 v3, v179
	s_waitcnt vmcnt(41)
	v_mov_b32_e32 v4, v130
	v_mov_b32_e32 v5, v131
	ds_write2_b64 v235, v[2:3], v[4:5] offset0:18 offset1:19
	s_waitcnt vmcnt(40)
	v_mov_b32_e32 v2, v176
	v_mov_b32_e32 v3, v177
	s_waitcnt vmcnt(39)
	v_mov_b32_e32 v4, v128
	v_mov_b32_e32 v5, v129
	;; [unrolled: 7-line block ×15, first 2 shown]
	ds_write2_b64 v235, v[2:3], v[4:5] offset0:46 offset1:47
	s_waitcnt vmcnt(12)
	ds_write_b64 v235, v[196:197] offset:384
	ds_read_b64 v[2:3], v234
	s_waitcnt lgkmcnt(0)
	v_cmp_neq_f64_e32 vcc, 0, v[2:3]
	s_and_b64 exec, exec, vcc
	s_cbranch_execz .LBB97_79
; %bb.78:
	v_div_scale_f64 v[4:5], s[6:7], v[2:3], v[2:3], 1.0
	v_rcp_f64_e32 v[6:7], v[4:5]
	v_div_scale_f64 v[198:199], vcc, 1.0, v[2:3], 1.0
	v_fma_f64 v[200:201], -v[4:5], v[6:7], 1.0
	v_fmac_f64_e32 v[6:7], v[6:7], v[200:201]
	v_fma_f64 v[200:201], -v[4:5], v[6:7], 1.0
	v_fmac_f64_e32 v[6:7], v[6:7], v[200:201]
	v_mul_f64 v[200:201], v[198:199], v[6:7]
	v_fma_f64 v[4:5], -v[4:5], v[200:201], v[198:199]
	v_div_fmas_f64 v[4:5], v[4:5], v[6:7], v[200:201]
	v_div_fixup_f64 v[2:3], v[4:5], v[2:3], 1.0
	ds_write_b64 v234, v[2:3]
.LBB97_79:
	s_or_b64 exec, exec, s[2:3]
	s_waitcnt lgkmcnt(0)
	s_barrier
	ds_read_b64 v[0:1], v234
	v_cmp_lt_u32_e32 vcc, 15, v236
	s_waitcnt lgkmcnt(0)
	buffer_store_dword v0, off, s[16:19], 0 offset:48 ; 4-byte Folded Spill
	s_nop 0
	buffer_store_dword v1, off, s[16:19], 0 offset:52 ; 4-byte Folded Spill
	s_and_saveexec_b64 s[2:3], vcc
	s_cbranch_execz .LBB97_81
; %bb.80:
	ds_read2_b64 v[198:201], v235 offset0:16 offset1:17
	ds_read2_b64 v[202:205], v235 offset0:18 offset1:19
	buffer_load_dword v0, off, s[16:19], 0 offset:48 ; 4-byte Folded Reload
	buffer_load_dword v1, off, s[16:19], 0 offset:52 ; 4-byte Folded Reload
	ds_read2_b64 v[206:209], v235 offset0:20 offset1:21
	ds_read_b64 v[2:3], v235 offset:384
	s_waitcnt vmcnt(0)
	v_mul_f64 v[134:135], v[0:1], v[134:135]
	s_waitcnt lgkmcnt(3)
	v_fma_f64 v[180:181], -v[134:135], v[198:199], v[180:181]
	v_fma_f64 v[132:133], -v[134:135], v[200:201], v[132:133]
	ds_read2_b64 v[198:201], v235 offset0:22 offset1:23
	s_waitcnt lgkmcnt(3)
	v_fma_f64 v[178:179], -v[134:135], v[202:203], v[178:179]
	v_fma_f64 v[130:131], -v[134:135], v[204:205], v[130:131]
	s_waitcnt lgkmcnt(2)
	v_fma_f64 v[176:177], -v[134:135], v[206:207], v[176:177]
	ds_read2_b64 v[202:205], v235 offset0:24 offset1:25
	v_fma_f64 v[128:129], -v[134:135], v[208:209], v[128:129]
	ds_read2_b64 v[206:209], v235 offset0:26 offset1:27
	s_waitcnt lgkmcnt(2)
	v_fma_f64 v[174:175], -v[134:135], v[198:199], v[174:175]
	v_fma_f64 v[126:127], -v[134:135], v[200:201], v[126:127]
	ds_read2_b64 v[198:201], v235 offset0:28 offset1:29
	s_waitcnt lgkmcnt(2)
	v_fma_f64 v[172:173], -v[134:135], v[202:203], v[172:173]
	;; [unrolled: 4-line block ×3, first 2 shown]
	v_fma_f64 v[122:123], -v[134:135], v[208:209], v[122:123]
	s_waitcnt lgkmcnt(1)
	v_fma_f64 v[168:169], -v[134:135], v[198:199], v[168:169]
	ds_read2_b64 v[206:209], v235 offset0:32 offset1:33
	v_fma_f64 v[120:121], -v[134:135], v[200:201], v[120:121]
	ds_read2_b64 v[198:201], v235 offset0:34 offset1:35
	s_waitcnt lgkmcnt(2)
	v_fma_f64 v[166:167], -v[134:135], v[202:203], v[166:167]
	v_fma_f64 v[118:119], -v[134:135], v[204:205], v[118:119]
	s_waitcnt lgkmcnt(1)
	v_fma_f64 v[164:165], -v[134:135], v[206:207], v[164:165]
	ds_read2_b64 v[202:205], v235 offset0:36 offset1:37
	v_fma_f64 v[116:117], -v[134:135], v[208:209], v[116:117]
	ds_read2_b64 v[206:209], v235 offset0:38 offset1:39
	s_waitcnt lgkmcnt(2)
	v_fma_f64 v[162:163], -v[134:135], v[198:199], v[162:163]
	v_fma_f64 v[114:115], -v[134:135], v[200:201], v[114:115]
	ds_read2_b64 v[198:201], v235 offset0:40 offset1:41
	s_waitcnt lgkmcnt(2)
	v_fma_f64 v[160:161], -v[134:135], v[202:203], v[160:161]
	v_fma_f64 v[112:113], -v[134:135], v[204:205], v[112:113]
	ds_read2_b64 v[202:205], v235 offset0:42 offset1:43
	s_waitcnt lgkmcnt(2)
	v_fma_f64 v[158:159], -v[134:135], v[206:207], v[158:159]
	v_fma_f64 v[110:111], -v[134:135], v[208:209], v[110:111]
	s_waitcnt lgkmcnt(1)
	v_fma_f64 v[156:157], -v[134:135], v[198:199], v[156:157]
	v_fma_f64 v[108:109], -v[134:135], v[200:201], v[108:109]
	ds_read2_b64 v[198:201], v235 offset0:44 offset1:45
	ds_read2_b64 v[206:209], v235 offset0:46 offset1:47
	s_waitcnt lgkmcnt(2)
	v_fma_f64 v[154:155], -v[134:135], v[202:203], v[154:155]
	v_fma_f64 v[106:107], -v[134:135], v[204:205], v[106:107]
	;; [unrolled: 1-line block ×3, first 2 shown]
	s_waitcnt lgkmcnt(1)
	v_fma_f64 v[152:153], -v[134:135], v[198:199], v[152:153]
	v_fma_f64 v[104:105], -v[134:135], v[200:201], v[104:105]
	s_waitcnt lgkmcnt(0)
	v_fma_f64 v[150:151], -v[134:135], v[206:207], v[150:151]
	v_fma_f64 v[102:103], -v[134:135], v[208:209], v[102:103]
.LBB97_81:
	s_or_b64 exec, exec, s[2:3]
	v_cmp_eq_u32_e32 vcc, 16, v236
	s_waitcnt vmcnt(63) expcnt(7) lgkmcnt(15)
	s_barrier
	s_and_saveexec_b64 s[2:3], vcc
	s_cbranch_execz .LBB97_84
; %bb.82:
	s_waitcnt vmcnt(46)
	ds_write_b64 v234, v[180:181]
	s_waitcnt vmcnt(44)
	ds_write2_b64 v235, v[132:133], v[178:179] offset0:17 offset1:18
	s_waitcnt vmcnt(42)
	ds_write2_b64 v235, v[130:131], v[176:177] offset0:19 offset1:20
	s_waitcnt vmcnt(40)
	ds_write2_b64 v235, v[128:129], v[174:175] offset0:21 offset1:22
	s_waitcnt vmcnt(38)
	ds_write2_b64 v235, v[126:127], v[172:173] offset0:23 offset1:24
	s_waitcnt vmcnt(36)
	ds_write2_b64 v235, v[124:125], v[170:171] offset0:25 offset1:26
	s_waitcnt vmcnt(34)
	ds_write2_b64 v235, v[122:123], v[168:169] offset0:27 offset1:28
	s_waitcnt vmcnt(32)
	ds_write2_b64 v235, v[120:121], v[166:167] offset0:29 offset1:30
	s_waitcnt vmcnt(30)
	ds_write2_b64 v235, v[118:119], v[164:165] offset0:31 offset1:32
	s_waitcnt vmcnt(28)
	ds_write2_b64 v235, v[116:117], v[162:163] offset0:33 offset1:34
	s_waitcnt vmcnt(26)
	ds_write2_b64 v235, v[114:115], v[160:161] offset0:35 offset1:36
	s_waitcnt vmcnt(24)
	ds_write2_b64 v235, v[112:113], v[158:159] offset0:37 offset1:38
	s_waitcnt vmcnt(22)
	ds_write2_b64 v235, v[110:111], v[156:157] offset0:39 offset1:40
	s_waitcnt vmcnt(20)
	ds_write2_b64 v235, v[108:109], v[154:155] offset0:41 offset1:42
	s_waitcnt vmcnt(18)
	ds_write2_b64 v235, v[106:107], v[152:153] offset0:43 offset1:44
	s_waitcnt vmcnt(16)
	ds_write2_b64 v235, v[104:105], v[150:151] offset0:45 offset1:46
	s_waitcnt vmcnt(14)
	ds_write2_b64 v235, v[102:103], v[196:197] offset0:47 offset1:48
	ds_read_b64 v[2:3], v234
	s_waitcnt lgkmcnt(0)
	v_cmp_neq_f64_e32 vcc, 0, v[2:3]
	s_and_b64 exec, exec, vcc
	s_cbranch_execz .LBB97_84
; %bb.83:
	v_div_scale_f64 v[4:5], s[6:7], v[2:3], v[2:3], 1.0
	v_rcp_f64_e32 v[6:7], v[4:5]
	v_div_scale_f64 v[198:199], vcc, 1.0, v[2:3], 1.0
	v_fma_f64 v[200:201], -v[4:5], v[6:7], 1.0
	v_fmac_f64_e32 v[6:7], v[6:7], v[200:201]
	v_fma_f64 v[200:201], -v[4:5], v[6:7], 1.0
	v_fmac_f64_e32 v[6:7], v[6:7], v[200:201]
	v_mul_f64 v[200:201], v[198:199], v[6:7]
	v_fma_f64 v[4:5], -v[4:5], v[200:201], v[198:199]
	v_div_fmas_f64 v[4:5], v[4:5], v[6:7], v[200:201]
	v_div_fixup_f64 v[2:3], v[4:5], v[2:3], 1.0
	ds_write_b64 v234, v[2:3]
.LBB97_84:
	s_or_b64 exec, exec, s[2:3]
	s_waitcnt lgkmcnt(0)
	s_barrier
	ds_read_b64 v[0:1], v234
	v_cmp_lt_u32_e32 vcc, 16, v236
	s_and_saveexec_b64 s[2:3], vcc
	s_cbranch_execz .LBB97_86
; %bb.85:
	ds_read2_b64 v[198:201], v235 offset0:17 offset1:18
	ds_read2_b64 v[202:205], v235 offset0:19 offset1:20
	s_waitcnt vmcnt(46) lgkmcnt(2)
	v_mul_f64 v[180:181], v[0:1], v[180:181]
	ds_read2_b64 v[206:209], v235 offset0:21 offset1:22
	s_waitcnt vmcnt(45) lgkmcnt(2)
	v_fma_f64 v[132:133], -v[180:181], v[198:199], v[132:133]
	s_waitcnt vmcnt(44)
	v_fma_f64 v[178:179], -v[180:181], v[200:201], v[178:179]
	ds_read2_b64 v[198:201], v235 offset0:23 offset1:24
	s_waitcnt vmcnt(43) lgkmcnt(2)
	v_fma_f64 v[130:131], -v[180:181], v[202:203], v[130:131]
	s_waitcnt vmcnt(42)
	v_fma_f64 v[176:177], -v[180:181], v[204:205], v[176:177]
	s_waitcnt vmcnt(41) lgkmcnt(1)
	v_fma_f64 v[128:129], -v[180:181], v[206:207], v[128:129]
	ds_read2_b64 v[202:205], v235 offset0:25 offset1:26
	s_waitcnt vmcnt(40)
	v_fma_f64 v[174:175], -v[180:181], v[208:209], v[174:175]
	ds_read2_b64 v[206:209], v235 offset0:27 offset1:28
	s_waitcnt vmcnt(39) lgkmcnt(2)
	v_fma_f64 v[126:127], -v[180:181], v[198:199], v[126:127]
	s_waitcnt vmcnt(38)
	v_fma_f64 v[172:173], -v[180:181], v[200:201], v[172:173]
	ds_read2_b64 v[198:201], v235 offset0:29 offset1:30
	s_waitcnt vmcnt(37) lgkmcnt(2)
	v_fma_f64 v[124:125], -v[180:181], v[202:203], v[124:125]
	;; [unrolled: 5-line block ×3, first 2 shown]
	s_waitcnt vmcnt(34)
	v_fma_f64 v[168:169], -v[180:181], v[208:209], v[168:169]
	s_waitcnt vmcnt(33) lgkmcnt(1)
	v_fma_f64 v[120:121], -v[180:181], v[198:199], v[120:121]
	ds_read2_b64 v[206:209], v235 offset0:33 offset1:34
	s_waitcnt vmcnt(32)
	v_fma_f64 v[166:167], -v[180:181], v[200:201], v[166:167]
	ds_read2_b64 v[198:201], v235 offset0:35 offset1:36
	s_waitcnt vmcnt(31) lgkmcnt(2)
	v_fma_f64 v[118:119], -v[180:181], v[202:203], v[118:119]
	s_waitcnt vmcnt(30)
	v_fma_f64 v[164:165], -v[180:181], v[204:205], v[164:165]
	s_waitcnt vmcnt(29) lgkmcnt(1)
	v_fma_f64 v[116:117], -v[180:181], v[206:207], v[116:117]
	ds_read2_b64 v[202:205], v235 offset0:37 offset1:38
	s_waitcnt vmcnt(28)
	v_fma_f64 v[162:163], -v[180:181], v[208:209], v[162:163]
	ds_read2_b64 v[206:209], v235 offset0:39 offset1:40
	s_waitcnt vmcnt(27) lgkmcnt(2)
	v_fma_f64 v[114:115], -v[180:181], v[198:199], v[114:115]
	s_waitcnt vmcnt(26)
	v_fma_f64 v[160:161], -v[180:181], v[200:201], v[160:161]
	ds_read2_b64 v[198:201], v235 offset0:41 offset1:42
	s_waitcnt vmcnt(25) lgkmcnt(2)
	v_fma_f64 v[112:113], -v[180:181], v[202:203], v[112:113]
	s_waitcnt vmcnt(24)
	v_fma_f64 v[158:159], -v[180:181], v[204:205], v[158:159]
	ds_read2_b64 v[202:205], v235 offset0:43 offset1:44
	s_waitcnt vmcnt(23) lgkmcnt(2)
	v_fma_f64 v[110:111], -v[180:181], v[206:207], v[110:111]
	s_waitcnt vmcnt(22)
	v_fma_f64 v[156:157], -v[180:181], v[208:209], v[156:157]
	s_waitcnt vmcnt(21) lgkmcnt(1)
	v_fma_f64 v[108:109], -v[180:181], v[198:199], v[108:109]
	ds_read2_b64 v[206:209], v235 offset0:45 offset1:46
	s_waitcnt vmcnt(20)
	v_fma_f64 v[154:155], -v[180:181], v[200:201], v[154:155]
	ds_read2_b64 v[198:201], v235 offset0:47 offset1:48
	s_waitcnt vmcnt(19) lgkmcnt(2)
	v_fma_f64 v[106:107], -v[180:181], v[202:203], v[106:107]
	s_waitcnt vmcnt(18)
	v_fma_f64 v[152:153], -v[180:181], v[204:205], v[152:153]
	s_waitcnt vmcnt(17) lgkmcnt(1)
	v_fma_f64 v[104:105], -v[180:181], v[206:207], v[104:105]
	s_waitcnt vmcnt(16)
	v_fma_f64 v[150:151], -v[180:181], v[208:209], v[150:151]
	;; [unrolled: 4-line block ×3, first 2 shown]
.LBB97_86:
	s_or_b64 exec, exec, s[2:3]
	v_cmp_eq_u32_e32 vcc, 17, v236
	s_waitcnt lgkmcnt(0)
	buffer_store_dword v0, off, s[16:19], 0 offset:136 ; 4-byte Folded Spill
	s_nop 0
	buffer_store_dword v1, off, s[16:19], 0 offset:140 ; 4-byte Folded Spill
	s_waitcnt vmcnt(63) expcnt(7) lgkmcnt(15)
	s_barrier
	s_and_saveexec_b64 s[2:3], vcc
	s_cbranch_execz .LBB97_89
; %bb.87:
	s_waitcnt vmcnt(46)
	v_mov_b32_e32 v2, v178
	v_mov_b32_e32 v3, v179
	s_waitcnt vmcnt(45)
	v_mov_b32_e32 v4, v130
	v_mov_b32_e32 v5, v131
	ds_write_b64 v234, v[132:133]
	ds_write2_b64 v235, v[2:3], v[4:5] offset0:18 offset1:19
	s_waitcnt vmcnt(44)
	v_mov_b32_e32 v2, v176
	v_mov_b32_e32 v3, v177
	s_waitcnt vmcnt(43)
	v_mov_b32_e32 v4, v128
	v_mov_b32_e32 v5, v129
	ds_write2_b64 v235, v[2:3], v[4:5] offset0:20 offset1:21
	s_waitcnt vmcnt(42)
	v_mov_b32_e32 v2, v174
	v_mov_b32_e32 v3, v175
	s_waitcnt vmcnt(41)
	v_mov_b32_e32 v4, v126
	v_mov_b32_e32 v5, v127
	;; [unrolled: 7-line block ×14, first 2 shown]
	ds_write2_b64 v235, v[2:3], v[4:5] offset0:46 offset1:47
	s_waitcnt vmcnt(16)
	ds_write_b64 v235, v[196:197] offset:384
	ds_read_b64 v[2:3], v234
	s_waitcnt lgkmcnt(0)
	v_cmp_neq_f64_e32 vcc, 0, v[2:3]
	s_and_b64 exec, exec, vcc
	s_cbranch_execz .LBB97_89
; %bb.88:
	v_div_scale_f64 v[4:5], s[6:7], v[2:3], v[2:3], 1.0
	v_rcp_f64_e32 v[6:7], v[4:5]
	v_div_scale_f64 v[198:199], vcc, 1.0, v[2:3], 1.0
	v_fma_f64 v[200:201], -v[4:5], v[6:7], 1.0
	v_fmac_f64_e32 v[6:7], v[6:7], v[200:201]
	v_fma_f64 v[200:201], -v[4:5], v[6:7], 1.0
	v_fmac_f64_e32 v[6:7], v[6:7], v[200:201]
	v_mul_f64 v[200:201], v[198:199], v[6:7]
	v_fma_f64 v[4:5], -v[4:5], v[200:201], v[198:199]
	v_div_fmas_f64 v[4:5], v[4:5], v[6:7], v[200:201]
	v_div_fixup_f64 v[2:3], v[4:5], v[2:3], 1.0
	ds_write_b64 v234, v[2:3]
.LBB97_89:
	s_or_b64 exec, exec, s[2:3]
	s_waitcnt lgkmcnt(0)
	s_barrier
	ds_read_b64 v[0:1], v234
	v_cmp_lt_u32_e32 vcc, 17, v236
	s_waitcnt lgkmcnt(0)
	buffer_store_dword v0, off, s[16:19], 0 offset:56 ; 4-byte Folded Spill
	s_nop 0
	buffer_store_dword v1, off, s[16:19], 0 offset:60 ; 4-byte Folded Spill
	s_and_saveexec_b64 s[2:3], vcc
	s_cbranch_execz .LBB97_91
; %bb.90:
	ds_read2_b64 v[198:201], v235 offset0:18 offset1:19
	ds_read2_b64 v[202:205], v235 offset0:20 offset1:21
	buffer_load_dword v0, off, s[16:19], 0 offset:56 ; 4-byte Folded Reload
	buffer_load_dword v1, off, s[16:19], 0 offset:60 ; 4-byte Folded Reload
	ds_read2_b64 v[206:209], v235 offset0:22 offset1:23
	ds_read_b64 v[2:3], v235 offset:384
	s_waitcnt vmcnt(0)
	v_mul_f64 v[132:133], v[0:1], v[132:133]
	s_waitcnt lgkmcnt(3)
	v_fma_f64 v[178:179], -v[132:133], v[198:199], v[178:179]
	v_fma_f64 v[130:131], -v[132:133], v[200:201], v[130:131]
	ds_read2_b64 v[198:201], v235 offset0:24 offset1:25
	s_waitcnt lgkmcnt(3)
	v_fma_f64 v[176:177], -v[132:133], v[202:203], v[176:177]
	v_fma_f64 v[128:129], -v[132:133], v[204:205], v[128:129]
	s_waitcnt lgkmcnt(2)
	v_fma_f64 v[174:175], -v[132:133], v[206:207], v[174:175]
	ds_read2_b64 v[202:205], v235 offset0:26 offset1:27
	v_fma_f64 v[126:127], -v[132:133], v[208:209], v[126:127]
	ds_read2_b64 v[206:209], v235 offset0:28 offset1:29
	s_waitcnt lgkmcnt(2)
	v_fma_f64 v[172:173], -v[132:133], v[198:199], v[172:173]
	v_fma_f64 v[124:125], -v[132:133], v[200:201], v[124:125]
	s_waitcnt lgkmcnt(1)
	v_fma_f64 v[170:171], -v[132:133], v[202:203], v[170:171]
	ds_read2_b64 v[198:201], v235 offset0:30 offset1:31
	v_fma_f64 v[122:123], -v[132:133], v[204:205], v[122:123]
	ds_read2_b64 v[202:205], v235 offset0:32 offset1:33
	s_waitcnt lgkmcnt(2)
	v_fma_f64 v[168:169], -v[132:133], v[206:207], v[168:169]
	v_fma_f64 v[120:121], -v[132:133], v[208:209], v[120:121]
	ds_read2_b64 v[206:209], v235 offset0:34 offset1:35
	s_waitcnt lgkmcnt(2)
	v_fma_f64 v[166:167], -v[132:133], v[198:199], v[166:167]
	;; [unrolled: 4-line block ×3, first 2 shown]
	v_fma_f64 v[116:117], -v[132:133], v[204:205], v[116:117]
	s_waitcnt lgkmcnt(1)
	v_fma_f64 v[162:163], -v[132:133], v[206:207], v[162:163]
	ds_read2_b64 v[202:205], v235 offset0:38 offset1:39
	v_fma_f64 v[114:115], -v[132:133], v[208:209], v[114:115]
	ds_read2_b64 v[206:209], v235 offset0:40 offset1:41
	s_waitcnt lgkmcnt(2)
	v_fma_f64 v[160:161], -v[132:133], v[198:199], v[160:161]
	v_fma_f64 v[112:113], -v[132:133], v[200:201], v[112:113]
	s_waitcnt lgkmcnt(1)
	v_fma_f64 v[158:159], -v[132:133], v[202:203], v[158:159]
	ds_read2_b64 v[198:201], v235 offset0:42 offset1:43
	v_fma_f64 v[110:111], -v[132:133], v[204:205], v[110:111]
	ds_read2_b64 v[202:205], v235 offset0:44 offset1:45
	s_waitcnt lgkmcnt(2)
	v_fma_f64 v[156:157], -v[132:133], v[206:207], v[156:157]
	v_fma_f64 v[108:109], -v[132:133], v[208:209], v[108:109]
	ds_read2_b64 v[206:209], v235 offset0:46 offset1:47
	s_waitcnt lgkmcnt(2)
	v_fma_f64 v[154:155], -v[132:133], v[198:199], v[154:155]
	v_fma_f64 v[106:107], -v[132:133], v[200:201], v[106:107]
	s_waitcnt lgkmcnt(1)
	v_fma_f64 v[152:153], -v[132:133], v[202:203], v[152:153]
	v_fma_f64 v[104:105], -v[132:133], v[204:205], v[104:105]
	;; [unrolled: 3-line block ×3, first 2 shown]
	v_fma_f64 v[196:197], -v[132:133], v[2:3], v[196:197]
.LBB97_91:
	s_or_b64 exec, exec, s[2:3]
	v_cmp_eq_u32_e32 vcc, 18, v236
	s_waitcnt vmcnt(63) expcnt(7) lgkmcnt(15)
	s_barrier
	s_and_saveexec_b64 s[2:3], vcc
	s_cbranch_execz .LBB97_94
; %bb.92:
	s_waitcnt vmcnt(48)
	ds_write_b64 v234, v[178:179]
	s_waitcnt vmcnt(46)
	ds_write2_b64 v235, v[130:131], v[176:177] offset0:19 offset1:20
	s_waitcnt vmcnt(44)
	ds_write2_b64 v235, v[128:129], v[174:175] offset0:21 offset1:22
	;; [unrolled: 2-line block ×15, first 2 shown]
	ds_read_b64 v[2:3], v234
	s_waitcnt lgkmcnt(0)
	v_cmp_neq_f64_e32 vcc, 0, v[2:3]
	s_and_b64 exec, exec, vcc
	s_cbranch_execz .LBB97_94
; %bb.93:
	v_div_scale_f64 v[4:5], s[6:7], v[2:3], v[2:3], 1.0
	v_rcp_f64_e32 v[6:7], v[4:5]
	v_div_scale_f64 v[198:199], vcc, 1.0, v[2:3], 1.0
	v_fma_f64 v[200:201], -v[4:5], v[6:7], 1.0
	v_fmac_f64_e32 v[6:7], v[6:7], v[200:201]
	v_fma_f64 v[200:201], -v[4:5], v[6:7], 1.0
	v_fmac_f64_e32 v[6:7], v[6:7], v[200:201]
	v_mul_f64 v[200:201], v[198:199], v[6:7]
	v_fma_f64 v[4:5], -v[4:5], v[200:201], v[198:199]
	v_div_fmas_f64 v[4:5], v[4:5], v[6:7], v[200:201]
	v_div_fixup_f64 v[2:3], v[4:5], v[2:3], 1.0
	ds_write_b64 v234, v[2:3]
.LBB97_94:
	s_or_b64 exec, exec, s[2:3]
	s_waitcnt lgkmcnt(0)
	s_barrier
	ds_read_b64 v[0:1], v234
	v_cmp_lt_u32_e32 vcc, 18, v236
	s_and_saveexec_b64 s[2:3], vcc
	s_cbranch_execz .LBB97_96
; %bb.95:
	ds_read2_b64 v[198:201], v235 offset0:19 offset1:20
	ds_read2_b64 v[202:205], v235 offset0:21 offset1:22
	;; [unrolled: 1-line block ×3, first 2 shown]
	s_waitcnt vmcnt(48) lgkmcnt(3)
	v_mul_f64 v[178:179], v[0:1], v[178:179]
	s_waitcnt vmcnt(47) lgkmcnt(2)
	v_fma_f64 v[130:131], -v[178:179], v[198:199], v[130:131]
	s_waitcnt vmcnt(46)
	v_fma_f64 v[176:177], -v[178:179], v[200:201], v[176:177]
	ds_read2_b64 v[198:201], v235 offset0:25 offset1:26
	s_waitcnt vmcnt(45) lgkmcnt(2)
	v_fma_f64 v[128:129], -v[178:179], v[202:203], v[128:129]
	s_waitcnt vmcnt(44)
	v_fma_f64 v[174:175], -v[178:179], v[204:205], v[174:175]
	s_waitcnt vmcnt(43) lgkmcnt(1)
	v_fma_f64 v[126:127], -v[178:179], v[206:207], v[126:127]
	ds_read2_b64 v[202:205], v235 offset0:27 offset1:28
	s_waitcnt vmcnt(42)
	v_fma_f64 v[172:173], -v[178:179], v[208:209], v[172:173]
	ds_read2_b64 v[206:209], v235 offset0:29 offset1:30
	s_waitcnt vmcnt(41) lgkmcnt(2)
	v_fma_f64 v[124:125], -v[178:179], v[198:199], v[124:125]
	s_waitcnt vmcnt(40)
	v_fma_f64 v[170:171], -v[178:179], v[200:201], v[170:171]
	s_waitcnt vmcnt(39) lgkmcnt(1)
	v_fma_f64 v[122:123], -v[178:179], v[202:203], v[122:123]
	ds_read2_b64 v[198:201], v235 offset0:31 offset1:32
	s_waitcnt vmcnt(38)
	v_fma_f64 v[168:169], -v[178:179], v[204:205], v[168:169]
	ds_read2_b64 v[202:205], v235 offset0:33 offset1:34
	s_waitcnt vmcnt(37) lgkmcnt(2)
	v_fma_f64 v[120:121], -v[178:179], v[206:207], v[120:121]
	s_waitcnt vmcnt(36)
	v_fma_f64 v[166:167], -v[178:179], v[208:209], v[166:167]
	ds_read2_b64 v[206:209], v235 offset0:35 offset1:36
	s_waitcnt vmcnt(35) lgkmcnt(2)
	v_fma_f64 v[118:119], -v[178:179], v[198:199], v[118:119]
	;; [unrolled: 5-line block ×3, first 2 shown]
	s_waitcnt vmcnt(32)
	v_fma_f64 v[162:163], -v[178:179], v[204:205], v[162:163]
	s_waitcnt vmcnt(31) lgkmcnt(1)
	v_fma_f64 v[114:115], -v[178:179], v[206:207], v[114:115]
	ds_read2_b64 v[202:205], v235 offset0:39 offset1:40
	s_waitcnt vmcnt(30)
	v_fma_f64 v[160:161], -v[178:179], v[208:209], v[160:161]
	ds_read2_b64 v[206:209], v235 offset0:41 offset1:42
	s_waitcnt vmcnt(29) lgkmcnt(2)
	v_fma_f64 v[112:113], -v[178:179], v[198:199], v[112:113]
	s_waitcnt vmcnt(28)
	v_fma_f64 v[158:159], -v[178:179], v[200:201], v[158:159]
	s_waitcnt vmcnt(27) lgkmcnt(1)
	v_fma_f64 v[110:111], -v[178:179], v[202:203], v[110:111]
	s_waitcnt vmcnt(26)
	v_fma_f64 v[156:157], -v[178:179], v[204:205], v[156:157]
	ds_read2_b64 v[198:201], v235 offset0:43 offset1:44
	ds_read2_b64 v[202:205], v235 offset0:45 offset1:46
	s_waitcnt vmcnt(25) lgkmcnt(2)
	v_fma_f64 v[108:109], -v[178:179], v[206:207], v[108:109]
	s_waitcnt vmcnt(24)
	v_fma_f64 v[154:155], -v[178:179], v[208:209], v[154:155]
	ds_read2_b64 v[206:209], v235 offset0:47 offset1:48
	s_waitcnt vmcnt(23) lgkmcnt(2)
	v_fma_f64 v[106:107], -v[178:179], v[198:199], v[106:107]
	s_waitcnt vmcnt(22)
	v_fma_f64 v[152:153], -v[178:179], v[200:201], v[152:153]
	s_waitcnt vmcnt(21) lgkmcnt(1)
	v_fma_f64 v[104:105], -v[178:179], v[202:203], v[104:105]
	s_waitcnt vmcnt(20)
	v_fma_f64 v[150:151], -v[178:179], v[204:205], v[150:151]
	;; [unrolled: 4-line block ×3, first 2 shown]
.LBB97_96:
	s_or_b64 exec, exec, s[2:3]
	v_cmp_eq_u32_e32 vcc, 19, v236
	s_waitcnt lgkmcnt(0)
	buffer_store_dword v0, off, s[16:19], 0 offset:144 ; 4-byte Folded Spill
	s_nop 0
	buffer_store_dword v1, off, s[16:19], 0 offset:148 ; 4-byte Folded Spill
	s_waitcnt vmcnt(63) expcnt(7) lgkmcnt(15)
	s_barrier
	s_and_saveexec_b64 s[2:3], vcc
	s_cbranch_execz .LBB97_99
; %bb.97:
	s_waitcnt vmcnt(48)
	v_mov_b32_e32 v2, v176
	v_mov_b32_e32 v3, v177
	s_waitcnt vmcnt(47)
	v_mov_b32_e32 v4, v128
	v_mov_b32_e32 v5, v129
	ds_write_b64 v234, v[130:131]
	ds_write2_b64 v235, v[2:3], v[4:5] offset0:20 offset1:21
	s_waitcnt vmcnt(46)
	v_mov_b32_e32 v2, v174
	v_mov_b32_e32 v3, v175
	s_waitcnt vmcnt(45)
	v_mov_b32_e32 v4, v126
	v_mov_b32_e32 v5, v127
	ds_write2_b64 v235, v[2:3], v[4:5] offset0:22 offset1:23
	s_waitcnt vmcnt(44)
	v_mov_b32_e32 v2, v172
	v_mov_b32_e32 v3, v173
	s_waitcnt vmcnt(43)
	v_mov_b32_e32 v4, v124
	v_mov_b32_e32 v5, v125
	;; [unrolled: 7-line block ×13, first 2 shown]
	ds_write2_b64 v235, v[2:3], v[4:5] offset0:46 offset1:47
	s_waitcnt vmcnt(20)
	ds_write_b64 v235, v[196:197] offset:384
	ds_read_b64 v[2:3], v234
	s_waitcnt lgkmcnt(0)
	v_cmp_neq_f64_e32 vcc, 0, v[2:3]
	s_and_b64 exec, exec, vcc
	s_cbranch_execz .LBB97_99
; %bb.98:
	v_div_scale_f64 v[4:5], s[6:7], v[2:3], v[2:3], 1.0
	v_rcp_f64_e32 v[6:7], v[4:5]
	v_div_scale_f64 v[198:199], vcc, 1.0, v[2:3], 1.0
	v_fma_f64 v[200:201], -v[4:5], v[6:7], 1.0
	v_fmac_f64_e32 v[6:7], v[6:7], v[200:201]
	v_fma_f64 v[200:201], -v[4:5], v[6:7], 1.0
	v_fmac_f64_e32 v[6:7], v[6:7], v[200:201]
	v_mul_f64 v[200:201], v[198:199], v[6:7]
	v_fma_f64 v[4:5], -v[4:5], v[200:201], v[198:199]
	v_div_fmas_f64 v[4:5], v[4:5], v[6:7], v[200:201]
	v_div_fixup_f64 v[2:3], v[4:5], v[2:3], 1.0
	ds_write_b64 v234, v[2:3]
.LBB97_99:
	s_or_b64 exec, exec, s[2:3]
	s_waitcnt lgkmcnt(0)
	s_barrier
	ds_read_b64 v[0:1], v234
	v_cmp_lt_u32_e32 vcc, 19, v236
	s_waitcnt lgkmcnt(0)
	buffer_store_dword v0, off, s[16:19], 0 offset:64 ; 4-byte Folded Spill
	s_nop 0
	buffer_store_dword v1, off, s[16:19], 0 offset:68 ; 4-byte Folded Spill
	s_and_saveexec_b64 s[2:3], vcc
	s_cbranch_execz .LBB97_101
; %bb.100:
	ds_read2_b64 v[198:201], v235 offset0:20 offset1:21
	ds_read2_b64 v[202:205], v235 offset0:22 offset1:23
	buffer_load_dword v0, off, s[16:19], 0 offset:64 ; 4-byte Folded Reload
	buffer_load_dword v1, off, s[16:19], 0 offset:68 ; 4-byte Folded Reload
	ds_read2_b64 v[206:209], v235 offset0:24 offset1:25
	ds_read_b64 v[2:3], v235 offset:384
	s_waitcnt vmcnt(0)
	v_mul_f64 v[130:131], v[0:1], v[130:131]
	s_waitcnt lgkmcnt(3)
	v_fma_f64 v[176:177], -v[130:131], v[198:199], v[176:177]
	v_fma_f64 v[128:129], -v[130:131], v[200:201], v[128:129]
	ds_read2_b64 v[198:201], v235 offset0:26 offset1:27
	s_waitcnt lgkmcnt(3)
	v_fma_f64 v[174:175], -v[130:131], v[202:203], v[174:175]
	v_fma_f64 v[126:127], -v[130:131], v[204:205], v[126:127]
	ds_read2_b64 v[202:205], v235 offset0:28 offset1:29
	;; [unrolled: 4-line block ×3, first 2 shown]
	s_waitcnt lgkmcnt(2)
	v_fma_f64 v[170:171], -v[130:131], v[198:199], v[170:171]
	v_fma_f64 v[122:123], -v[130:131], v[200:201], v[122:123]
	s_waitcnt lgkmcnt(1)
	v_fma_f64 v[168:169], -v[130:131], v[202:203], v[168:169]
	ds_read2_b64 v[198:201], v235 offset0:32 offset1:33
	v_fma_f64 v[120:121], -v[130:131], v[204:205], v[120:121]
	ds_read2_b64 v[202:205], v235 offset0:34 offset1:35
	s_waitcnt lgkmcnt(2)
	v_fma_f64 v[166:167], -v[130:131], v[206:207], v[166:167]
	v_fma_f64 v[118:119], -v[130:131], v[208:209], v[118:119]
	s_waitcnt lgkmcnt(1)
	v_fma_f64 v[164:165], -v[130:131], v[198:199], v[164:165]
	ds_read2_b64 v[206:209], v235 offset0:36 offset1:37
	v_fma_f64 v[116:117], -v[130:131], v[200:201], v[116:117]
	ds_read2_b64 v[198:201], v235 offset0:38 offset1:39
	s_waitcnt lgkmcnt(2)
	v_fma_f64 v[162:163], -v[130:131], v[202:203], v[162:163]
	v_fma_f64 v[114:115], -v[130:131], v[204:205], v[114:115]
	ds_read2_b64 v[202:205], v235 offset0:40 offset1:41
	s_waitcnt lgkmcnt(2)
	v_fma_f64 v[160:161], -v[130:131], v[206:207], v[160:161]
	;; [unrolled: 4-line block ×3, first 2 shown]
	v_fma_f64 v[110:111], -v[130:131], v[200:201], v[110:111]
	s_waitcnt lgkmcnt(1)
	v_fma_f64 v[156:157], -v[130:131], v[202:203], v[156:157]
	v_fma_f64 v[108:109], -v[130:131], v[204:205], v[108:109]
	ds_read2_b64 v[198:201], v235 offset0:44 offset1:45
	ds_read2_b64 v[202:205], v235 offset0:46 offset1:47
	s_waitcnt lgkmcnt(2)
	v_fma_f64 v[154:155], -v[130:131], v[206:207], v[154:155]
	v_fma_f64 v[106:107], -v[130:131], v[208:209], v[106:107]
	;; [unrolled: 1-line block ×3, first 2 shown]
	s_waitcnt lgkmcnt(1)
	v_fma_f64 v[152:153], -v[130:131], v[198:199], v[152:153]
	v_fma_f64 v[104:105], -v[130:131], v[200:201], v[104:105]
	s_waitcnt lgkmcnt(0)
	v_fma_f64 v[150:151], -v[130:131], v[202:203], v[150:151]
	v_fma_f64 v[102:103], -v[130:131], v[204:205], v[102:103]
.LBB97_101:
	s_or_b64 exec, exec, s[2:3]
	v_cmp_eq_u32_e32 vcc, 20, v236
	s_waitcnt vmcnt(63) expcnt(7) lgkmcnt(15)
	s_barrier
	s_and_saveexec_b64 s[2:3], vcc
	s_cbranch_execz .LBB97_104
; %bb.102:
	s_waitcnt vmcnt(50)
	ds_write_b64 v234, v[176:177]
	s_waitcnt vmcnt(48)
	ds_write2_b64 v235, v[128:129], v[174:175] offset0:21 offset1:22
	s_waitcnt vmcnt(46)
	ds_write2_b64 v235, v[126:127], v[172:173] offset0:23 offset1:24
	;; [unrolled: 2-line block ×14, first 2 shown]
	ds_read_b64 v[2:3], v234
	s_waitcnt lgkmcnt(0)
	v_cmp_neq_f64_e32 vcc, 0, v[2:3]
	s_and_b64 exec, exec, vcc
	s_cbranch_execz .LBB97_104
; %bb.103:
	v_div_scale_f64 v[4:5], s[6:7], v[2:3], v[2:3], 1.0
	v_rcp_f64_e32 v[6:7], v[4:5]
	v_div_scale_f64 v[198:199], vcc, 1.0, v[2:3], 1.0
	v_fma_f64 v[200:201], -v[4:5], v[6:7], 1.0
	v_fmac_f64_e32 v[6:7], v[6:7], v[200:201]
	v_fma_f64 v[200:201], -v[4:5], v[6:7], 1.0
	v_fmac_f64_e32 v[6:7], v[6:7], v[200:201]
	v_mul_f64 v[200:201], v[198:199], v[6:7]
	v_fma_f64 v[4:5], -v[4:5], v[200:201], v[198:199]
	v_div_fmas_f64 v[4:5], v[4:5], v[6:7], v[200:201]
	v_div_fixup_f64 v[2:3], v[4:5], v[2:3], 1.0
	ds_write_b64 v234, v[2:3]
.LBB97_104:
	s_or_b64 exec, exec, s[2:3]
	s_waitcnt lgkmcnt(0)
	s_barrier
	ds_read_b64 v[0:1], v234
	v_cmp_lt_u32_e32 vcc, 20, v236
	s_and_saveexec_b64 s[2:3], vcc
	s_cbranch_execz .LBB97_106
; %bb.105:
	ds_read2_b64 v[198:201], v235 offset0:21 offset1:22
	ds_read2_b64 v[202:205], v235 offset0:23 offset1:24
	s_waitcnt vmcnt(50) lgkmcnt(2)
	v_mul_f64 v[176:177], v[0:1], v[176:177]
	ds_read2_b64 v[206:209], v235 offset0:25 offset1:26
	s_waitcnt vmcnt(49) lgkmcnt(2)
	v_fma_f64 v[128:129], -v[176:177], v[198:199], v[128:129]
	s_waitcnt vmcnt(48)
	v_fma_f64 v[174:175], -v[176:177], v[200:201], v[174:175]
	ds_read2_b64 v[198:201], v235 offset0:27 offset1:28
	s_waitcnt vmcnt(47) lgkmcnt(2)
	v_fma_f64 v[126:127], -v[176:177], v[202:203], v[126:127]
	s_waitcnt vmcnt(46)
	v_fma_f64 v[172:173], -v[176:177], v[204:205], v[172:173]
	;; [unrolled: 5-line block ×4, first 2 shown]
	s_waitcnt vmcnt(41) lgkmcnt(1)
	v_fma_f64 v[120:121], -v[176:177], v[202:203], v[120:121]
	ds_read2_b64 v[198:201], v235 offset0:33 offset1:34
	s_waitcnt vmcnt(40)
	v_fma_f64 v[166:167], -v[176:177], v[204:205], v[166:167]
	ds_read2_b64 v[202:205], v235 offset0:35 offset1:36
	s_waitcnt vmcnt(39) lgkmcnt(2)
	v_fma_f64 v[118:119], -v[176:177], v[206:207], v[118:119]
	s_waitcnt vmcnt(38)
	v_fma_f64 v[164:165], -v[176:177], v[208:209], v[164:165]
	s_waitcnt vmcnt(37) lgkmcnt(1)
	v_fma_f64 v[116:117], -v[176:177], v[198:199], v[116:117]
	ds_read2_b64 v[206:209], v235 offset0:37 offset1:38
	s_waitcnt vmcnt(36)
	v_fma_f64 v[162:163], -v[176:177], v[200:201], v[162:163]
	ds_read2_b64 v[198:201], v235 offset0:39 offset1:40
	s_waitcnt vmcnt(35) lgkmcnt(2)
	v_fma_f64 v[114:115], -v[176:177], v[202:203], v[114:115]
	s_waitcnt vmcnt(34)
	v_fma_f64 v[160:161], -v[176:177], v[204:205], v[160:161]
	ds_read2_b64 v[202:205], v235 offset0:41 offset1:42
	s_waitcnt vmcnt(33) lgkmcnt(2)
	v_fma_f64 v[112:113], -v[176:177], v[206:207], v[112:113]
	s_waitcnt vmcnt(32)
	v_fma_f64 v[158:159], -v[176:177], v[208:209], v[158:159]
	s_waitcnt vmcnt(31) lgkmcnt(1)
	v_fma_f64 v[110:111], -v[176:177], v[198:199], v[110:111]
	s_waitcnt vmcnt(30)
	v_fma_f64 v[156:157], -v[176:177], v[200:201], v[156:157]
	ds_read2_b64 v[198:201], v235 offset0:43 offset1:44
	s_waitcnt vmcnt(29) lgkmcnt(1)
	v_fma_f64 v[108:109], -v[176:177], v[202:203], v[108:109]
	ds_read2_b64 v[206:209], v235 offset0:45 offset1:46
	s_waitcnt vmcnt(28)
	v_fma_f64 v[154:155], -v[176:177], v[204:205], v[154:155]
	ds_read2_b64 v[202:205], v235 offset0:47 offset1:48
	s_waitcnt vmcnt(27) lgkmcnt(2)
	v_fma_f64 v[106:107], -v[176:177], v[198:199], v[106:107]
	s_waitcnt vmcnt(26)
	v_fma_f64 v[152:153], -v[176:177], v[200:201], v[152:153]
	s_waitcnt vmcnt(25) lgkmcnt(1)
	v_fma_f64 v[104:105], -v[176:177], v[206:207], v[104:105]
	s_waitcnt vmcnt(24)
	v_fma_f64 v[150:151], -v[176:177], v[208:209], v[150:151]
	;; [unrolled: 4-line block ×3, first 2 shown]
.LBB97_106:
	s_or_b64 exec, exec, s[2:3]
	v_cmp_eq_u32_e32 vcc, 21, v236
	s_waitcnt lgkmcnt(0)
	buffer_store_dword v0, off, s[16:19], 0 offset:152 ; 4-byte Folded Spill
	s_nop 0
	buffer_store_dword v1, off, s[16:19], 0 offset:156 ; 4-byte Folded Spill
	s_waitcnt vmcnt(63) expcnt(7) lgkmcnt(15)
	s_barrier
	s_and_saveexec_b64 s[2:3], vcc
	s_cbranch_execz .LBB97_109
; %bb.107:
	s_waitcnt vmcnt(50)
	v_mov_b32_e32 v2, v174
	v_mov_b32_e32 v3, v175
	s_waitcnt vmcnt(49)
	v_mov_b32_e32 v4, v126
	v_mov_b32_e32 v5, v127
	ds_write_b64 v234, v[128:129]
	ds_write2_b64 v235, v[2:3], v[4:5] offset0:22 offset1:23
	s_waitcnt vmcnt(48)
	v_mov_b32_e32 v2, v172
	v_mov_b32_e32 v3, v173
	s_waitcnt vmcnt(47)
	v_mov_b32_e32 v4, v124
	v_mov_b32_e32 v5, v125
	ds_write2_b64 v235, v[2:3], v[4:5] offset0:24 offset1:25
	s_waitcnt vmcnt(46)
	v_mov_b32_e32 v2, v170
	v_mov_b32_e32 v3, v171
	s_waitcnt vmcnt(45)
	v_mov_b32_e32 v4, v122
	v_mov_b32_e32 v5, v123
	;; [unrolled: 7-line block ×12, first 2 shown]
	ds_write2_b64 v235, v[2:3], v[4:5] offset0:46 offset1:47
	s_waitcnt vmcnt(24)
	ds_write_b64 v235, v[196:197] offset:384
	ds_read_b64 v[2:3], v234
	s_waitcnt lgkmcnt(0)
	v_cmp_neq_f64_e32 vcc, 0, v[2:3]
	s_and_b64 exec, exec, vcc
	s_cbranch_execz .LBB97_109
; %bb.108:
	v_div_scale_f64 v[4:5], s[6:7], v[2:3], v[2:3], 1.0
	v_rcp_f64_e32 v[6:7], v[4:5]
	v_div_scale_f64 v[198:199], vcc, 1.0, v[2:3], 1.0
	v_fma_f64 v[200:201], -v[4:5], v[6:7], 1.0
	v_fmac_f64_e32 v[6:7], v[6:7], v[200:201]
	v_fma_f64 v[200:201], -v[4:5], v[6:7], 1.0
	v_fmac_f64_e32 v[6:7], v[6:7], v[200:201]
	v_mul_f64 v[200:201], v[198:199], v[6:7]
	v_fma_f64 v[4:5], -v[4:5], v[200:201], v[198:199]
	v_div_fmas_f64 v[4:5], v[4:5], v[6:7], v[200:201]
	v_div_fixup_f64 v[2:3], v[4:5], v[2:3], 1.0
	ds_write_b64 v234, v[2:3]
.LBB97_109:
	s_or_b64 exec, exec, s[2:3]
	s_waitcnt lgkmcnt(0)
	s_barrier
	ds_read_b64 v[0:1], v234
	v_cmp_lt_u32_e32 vcc, 21, v236
	s_waitcnt lgkmcnt(0)
	buffer_store_dword v0, off, s[16:19], 0 offset:72 ; 4-byte Folded Spill
	s_nop 0
	buffer_store_dword v1, off, s[16:19], 0 offset:76 ; 4-byte Folded Spill
	s_and_saveexec_b64 s[2:3], vcc
	s_cbranch_execz .LBB97_111
; %bb.110:
	ds_read2_b64 v[198:201], v235 offset0:22 offset1:23
	ds_read2_b64 v[202:205], v235 offset0:24 offset1:25
	buffer_load_dword v0, off, s[16:19], 0 offset:72 ; 4-byte Folded Reload
	buffer_load_dword v1, off, s[16:19], 0 offset:76 ; 4-byte Folded Reload
	ds_read2_b64 v[206:209], v235 offset0:26 offset1:27
	ds_read_b64 v[2:3], v235 offset:384
	s_waitcnt vmcnt(0)
	v_mul_f64 v[128:129], v[0:1], v[128:129]
	s_waitcnt lgkmcnt(3)
	v_fma_f64 v[174:175], -v[128:129], v[198:199], v[174:175]
	v_fma_f64 v[126:127], -v[128:129], v[200:201], v[126:127]
	ds_read2_b64 v[198:201], v235 offset0:28 offset1:29
	s_waitcnt lgkmcnt(3)
	v_fma_f64 v[172:173], -v[128:129], v[202:203], v[172:173]
	v_fma_f64 v[124:125], -v[128:129], v[204:205], v[124:125]
	s_waitcnt lgkmcnt(2)
	v_fma_f64 v[170:171], -v[128:129], v[206:207], v[170:171]
	ds_read2_b64 v[202:205], v235 offset0:30 offset1:31
	v_fma_f64 v[122:123], -v[128:129], v[208:209], v[122:123]
	ds_read2_b64 v[206:209], v235 offset0:32 offset1:33
	s_waitcnt lgkmcnt(2)
	v_fma_f64 v[168:169], -v[128:129], v[198:199], v[168:169]
	v_fma_f64 v[120:121], -v[128:129], v[200:201], v[120:121]
	ds_read2_b64 v[198:201], v235 offset0:34 offset1:35
	s_waitcnt lgkmcnt(2)
	v_fma_f64 v[166:167], -v[128:129], v[202:203], v[166:167]
	;; [unrolled: 4-line block ×3, first 2 shown]
	v_fma_f64 v[116:117], -v[128:129], v[208:209], v[116:117]
	s_waitcnt lgkmcnt(1)
	v_fma_f64 v[162:163], -v[128:129], v[198:199], v[162:163]
	ds_read2_b64 v[206:209], v235 offset0:38 offset1:39
	v_fma_f64 v[114:115], -v[128:129], v[200:201], v[114:115]
	ds_read2_b64 v[198:201], v235 offset0:40 offset1:41
	s_waitcnt lgkmcnt(2)
	v_fma_f64 v[160:161], -v[128:129], v[202:203], v[160:161]
	v_fma_f64 v[112:113], -v[128:129], v[204:205], v[112:113]
	s_waitcnt lgkmcnt(1)
	v_fma_f64 v[158:159], -v[128:129], v[206:207], v[158:159]
	ds_read2_b64 v[202:205], v235 offset0:42 offset1:43
	v_fma_f64 v[110:111], -v[128:129], v[208:209], v[110:111]
	s_waitcnt lgkmcnt(1)
	v_fma_f64 v[156:157], -v[128:129], v[198:199], v[156:157]
	v_fma_f64 v[108:109], -v[128:129], v[200:201], v[108:109]
	ds_read2_b64 v[198:201], v235 offset0:44 offset1:45
	ds_read2_b64 v[206:209], v235 offset0:46 offset1:47
	s_waitcnt lgkmcnt(2)
	v_fma_f64 v[154:155], -v[128:129], v[202:203], v[154:155]
	v_fma_f64 v[106:107], -v[128:129], v[204:205], v[106:107]
	;; [unrolled: 1-line block ×3, first 2 shown]
	s_waitcnt lgkmcnt(1)
	v_fma_f64 v[152:153], -v[128:129], v[198:199], v[152:153]
	v_fma_f64 v[104:105], -v[128:129], v[200:201], v[104:105]
	s_waitcnt lgkmcnt(0)
	v_fma_f64 v[150:151], -v[128:129], v[206:207], v[150:151]
	v_fma_f64 v[102:103], -v[128:129], v[208:209], v[102:103]
.LBB97_111:
	s_or_b64 exec, exec, s[2:3]
	v_cmp_eq_u32_e32 vcc, 22, v236
	s_waitcnt vmcnt(63) expcnt(7) lgkmcnt(15)
	s_barrier
	s_and_saveexec_b64 s[2:3], vcc
	s_cbranch_execz .LBB97_114
; %bb.112:
	s_waitcnt vmcnt(52)
	ds_write_b64 v234, v[174:175]
	s_waitcnt vmcnt(50)
	ds_write2_b64 v235, v[126:127], v[172:173] offset0:23 offset1:24
	s_waitcnt vmcnt(48)
	ds_write2_b64 v235, v[124:125], v[170:171] offset0:25 offset1:26
	;; [unrolled: 2-line block ×13, first 2 shown]
	ds_read_b64 v[2:3], v234
	s_waitcnt lgkmcnt(0)
	v_cmp_neq_f64_e32 vcc, 0, v[2:3]
	s_and_b64 exec, exec, vcc
	s_cbranch_execz .LBB97_114
; %bb.113:
	v_div_scale_f64 v[4:5], s[6:7], v[2:3], v[2:3], 1.0
	v_rcp_f64_e32 v[6:7], v[4:5]
	v_div_scale_f64 v[198:199], vcc, 1.0, v[2:3], 1.0
	v_fma_f64 v[200:201], -v[4:5], v[6:7], 1.0
	v_fmac_f64_e32 v[6:7], v[6:7], v[200:201]
	v_fma_f64 v[200:201], -v[4:5], v[6:7], 1.0
	v_fmac_f64_e32 v[6:7], v[6:7], v[200:201]
	v_mul_f64 v[200:201], v[198:199], v[6:7]
	v_fma_f64 v[4:5], -v[4:5], v[200:201], v[198:199]
	v_div_fmas_f64 v[4:5], v[4:5], v[6:7], v[200:201]
	v_div_fixup_f64 v[2:3], v[4:5], v[2:3], 1.0
	ds_write_b64 v234, v[2:3]
.LBB97_114:
	s_or_b64 exec, exec, s[2:3]
	s_waitcnt lgkmcnt(0)
	s_barrier
	ds_read_b64 v[0:1], v234
	v_cmp_lt_u32_e32 vcc, 22, v236
	s_and_saveexec_b64 s[2:3], vcc
	s_cbranch_execz .LBB97_116
; %bb.115:
	ds_read2_b64 v[198:201], v235 offset0:23 offset1:24
	s_waitcnt vmcnt(52) lgkmcnt(1)
	v_mul_f64 v[174:175], v[0:1], v[174:175]
	s_waitcnt vmcnt(51) lgkmcnt(0)
	v_fma_f64 v[126:127], -v[174:175], v[198:199], v[126:127]
	s_waitcnt vmcnt(50)
	v_fma_f64 v[172:173], -v[174:175], v[200:201], v[172:173]
	ds_read2_b64 v[198:201], v235 offset0:25 offset1:26
	s_waitcnt vmcnt(49) lgkmcnt(0)
	v_fma_f64 v[124:125], -v[174:175], v[198:199], v[124:125]
	s_waitcnt vmcnt(48)
	v_fma_f64 v[170:171], -v[174:175], v[200:201], v[170:171]
	ds_read2_b64 v[198:201], v235 offset0:27 offset1:28
	;; [unrolled: 5-line block ×12, first 2 shown]
	s_waitcnt vmcnt(27) lgkmcnt(0)
	v_fma_f64 v[102:103], -v[174:175], v[198:199], v[102:103]
	s_waitcnt vmcnt(26)
	v_fma_f64 v[196:197], -v[174:175], v[200:201], v[196:197]
.LBB97_116:
	s_or_b64 exec, exec, s[2:3]
	v_cmp_eq_u32_e32 vcc, 23, v236
	s_waitcnt lgkmcnt(0)
	buffer_store_dword v0, off, s[16:19], 0 offset:160 ; 4-byte Folded Spill
	s_nop 0
	buffer_store_dword v1, off, s[16:19], 0 offset:164 ; 4-byte Folded Spill
	s_waitcnt vmcnt(63) expcnt(7) lgkmcnt(15)
	s_barrier
	s_and_saveexec_b64 s[2:3], vcc
	s_cbranch_execz .LBB97_119
; %bb.117:
	s_waitcnt vmcnt(52)
	v_mov_b32_e32 v2, v172
	v_mov_b32_e32 v3, v173
	s_waitcnt vmcnt(51)
	v_mov_b32_e32 v4, v124
	v_mov_b32_e32 v5, v125
	ds_write_b64 v234, v[126:127]
	ds_write2_b64 v235, v[2:3], v[4:5] offset0:24 offset1:25
	s_waitcnt vmcnt(50)
	v_mov_b32_e32 v2, v170
	v_mov_b32_e32 v3, v171
	s_waitcnt vmcnt(49)
	v_mov_b32_e32 v4, v122
	v_mov_b32_e32 v5, v123
	ds_write2_b64 v235, v[2:3], v[4:5] offset0:26 offset1:27
	s_waitcnt vmcnt(48)
	v_mov_b32_e32 v2, v168
	v_mov_b32_e32 v3, v169
	s_waitcnt vmcnt(47)
	v_mov_b32_e32 v4, v120
	v_mov_b32_e32 v5, v121
	;; [unrolled: 7-line block ×11, first 2 shown]
	ds_write2_b64 v235, v[2:3], v[4:5] offset0:46 offset1:47
	s_waitcnt vmcnt(28)
	ds_write_b64 v235, v[196:197] offset:384
	ds_read_b64 v[2:3], v234
	s_waitcnt lgkmcnt(0)
	v_cmp_neq_f64_e32 vcc, 0, v[2:3]
	s_and_b64 exec, exec, vcc
	s_cbranch_execz .LBB97_119
; %bb.118:
	v_div_scale_f64 v[4:5], s[6:7], v[2:3], v[2:3], 1.0
	v_rcp_f64_e32 v[6:7], v[4:5]
	v_div_scale_f64 v[198:199], vcc, 1.0, v[2:3], 1.0
	v_fma_f64 v[200:201], -v[4:5], v[6:7], 1.0
	v_fmac_f64_e32 v[6:7], v[6:7], v[200:201]
	v_fma_f64 v[200:201], -v[4:5], v[6:7], 1.0
	v_fmac_f64_e32 v[6:7], v[6:7], v[200:201]
	v_mul_f64 v[200:201], v[198:199], v[6:7]
	v_fma_f64 v[4:5], -v[4:5], v[200:201], v[198:199]
	v_div_fmas_f64 v[4:5], v[4:5], v[6:7], v[200:201]
	v_div_fixup_f64 v[2:3], v[4:5], v[2:3], 1.0
	ds_write_b64 v234, v[2:3]
.LBB97_119:
	s_or_b64 exec, exec, s[2:3]
	s_waitcnt lgkmcnt(0)
	s_barrier
	ds_read_b64 v[0:1], v234
	v_cmp_lt_u32_e32 vcc, 23, v236
	s_waitcnt lgkmcnt(0)
	buffer_store_dword v0, off, s[16:19], 0 offset:80 ; 4-byte Folded Spill
	s_nop 0
	buffer_store_dword v1, off, s[16:19], 0 offset:84 ; 4-byte Folded Spill
	s_and_saveexec_b64 s[2:3], vcc
	s_cbranch_execz .LBB97_121
; %bb.120:
	buffer_load_dword v0, off, s[16:19], 0 offset:80 ; 4-byte Folded Reload
	buffer_load_dword v1, off, s[16:19], 0 offset:84 ; 4-byte Folded Reload
	ds_read2_b64 v[198:201], v235 offset0:24 offset1:25
	ds_read_b64 v[2:3], v235 offset:384
	s_waitcnt vmcnt(0)
	v_mul_f64 v[126:127], v[0:1], v[126:127]
	s_waitcnt lgkmcnt(1)
	v_fma_f64 v[172:173], -v[126:127], v[198:199], v[172:173]
	v_fma_f64 v[124:125], -v[126:127], v[200:201], v[124:125]
	ds_read2_b64 v[198:201], v235 offset0:26 offset1:27
	s_waitcnt lgkmcnt(1)
	v_fma_f64 v[196:197], -v[126:127], v[2:3], v[196:197]
	s_waitcnt lgkmcnt(0)
	v_fma_f64 v[170:171], -v[126:127], v[198:199], v[170:171]
	v_fma_f64 v[122:123], -v[126:127], v[200:201], v[122:123]
	ds_read2_b64 v[198:201], v235 offset0:28 offset1:29
	s_waitcnt lgkmcnt(0)
	v_fma_f64 v[168:169], -v[126:127], v[198:199], v[168:169]
	v_fma_f64 v[120:121], -v[126:127], v[200:201], v[120:121]
	ds_read2_b64 v[198:201], v235 offset0:30 offset1:31
	;; [unrolled: 4-line block ×10, first 2 shown]
	s_waitcnt lgkmcnt(0)
	v_fma_f64 v[150:151], -v[126:127], v[198:199], v[150:151]
	v_fma_f64 v[102:103], -v[126:127], v[200:201], v[102:103]
.LBB97_121:
	s_or_b64 exec, exec, s[2:3]
	v_cmp_eq_u32_e32 vcc, 24, v236
	s_waitcnt vmcnt(63) expcnt(7) lgkmcnt(15)
	s_barrier
	s_and_saveexec_b64 s[2:3], vcc
	s_cbranch_execz .LBB97_124
; %bb.122:
	s_waitcnt vmcnt(54)
	ds_write_b64 v234, v[172:173]
	s_waitcnt vmcnt(52)
	ds_write2_b64 v235, v[124:125], v[170:171] offset0:25 offset1:26
	s_waitcnt vmcnt(50)
	ds_write2_b64 v235, v[122:123], v[168:169] offset0:27 offset1:28
	;; [unrolled: 2-line block ×12, first 2 shown]
	ds_read_b64 v[2:3], v234
	s_waitcnt lgkmcnt(0)
	v_cmp_neq_f64_e32 vcc, 0, v[2:3]
	s_and_b64 exec, exec, vcc
	s_cbranch_execz .LBB97_124
; %bb.123:
	v_div_scale_f64 v[4:5], s[6:7], v[2:3], v[2:3], 1.0
	v_rcp_f64_e32 v[6:7], v[4:5]
	v_div_scale_f64 v[198:199], vcc, 1.0, v[2:3], 1.0
	v_fma_f64 v[200:201], -v[4:5], v[6:7], 1.0
	v_fmac_f64_e32 v[6:7], v[6:7], v[200:201]
	v_fma_f64 v[200:201], -v[4:5], v[6:7], 1.0
	v_fmac_f64_e32 v[6:7], v[6:7], v[200:201]
	v_mul_f64 v[200:201], v[198:199], v[6:7]
	v_fma_f64 v[4:5], -v[4:5], v[200:201], v[198:199]
	v_div_fmas_f64 v[4:5], v[4:5], v[6:7], v[200:201]
	v_div_fixup_f64 v[2:3], v[4:5], v[2:3], 1.0
	ds_write_b64 v234, v[2:3]
.LBB97_124:
	s_or_b64 exec, exec, s[2:3]
	s_waitcnt lgkmcnt(0)
	s_barrier
	ds_read_b64 v[0:1], v234
	v_cmp_lt_u32_e32 vcc, 24, v236
	s_and_saveexec_b64 s[2:3], vcc
	s_cbranch_execz .LBB97_126
; %bb.125:
	ds_read2_b64 v[198:201], v235 offset0:25 offset1:26
	s_waitcnt vmcnt(54) lgkmcnt(1)
	v_mul_f64 v[172:173], v[0:1], v[172:173]
	s_waitcnt vmcnt(53) lgkmcnt(0)
	v_fma_f64 v[124:125], -v[172:173], v[198:199], v[124:125]
	s_waitcnt vmcnt(52)
	v_fma_f64 v[170:171], -v[172:173], v[200:201], v[170:171]
	ds_read2_b64 v[198:201], v235 offset0:27 offset1:28
	s_waitcnt vmcnt(51) lgkmcnt(0)
	v_fma_f64 v[122:123], -v[172:173], v[198:199], v[122:123]
	s_waitcnt vmcnt(50)
	v_fma_f64 v[168:169], -v[172:173], v[200:201], v[168:169]
	ds_read2_b64 v[198:201], v235 offset0:29 offset1:30
	;; [unrolled: 5-line block ×11, first 2 shown]
	s_waitcnt vmcnt(31) lgkmcnt(0)
	v_fma_f64 v[102:103], -v[172:173], v[198:199], v[102:103]
	s_waitcnt vmcnt(30)
	v_fma_f64 v[196:197], -v[172:173], v[200:201], v[196:197]
.LBB97_126:
	s_or_b64 exec, exec, s[2:3]
	v_cmp_eq_u32_e32 vcc, 25, v236
	s_waitcnt lgkmcnt(0)
	buffer_store_dword v0, off, s[16:19], 0 offset:168 ; 4-byte Folded Spill
	s_nop 0
	buffer_store_dword v1, off, s[16:19], 0 offset:172 ; 4-byte Folded Spill
	s_waitcnt vmcnt(63) expcnt(7) lgkmcnt(15)
	s_barrier
	s_and_saveexec_b64 s[2:3], vcc
	s_cbranch_execz .LBB97_129
; %bb.127:
	s_waitcnt vmcnt(54)
	v_mov_b32_e32 v2, v170
	v_mov_b32_e32 v3, v171
	s_waitcnt vmcnt(53)
	v_mov_b32_e32 v4, v122
	v_mov_b32_e32 v5, v123
	ds_write_b64 v234, v[124:125]
	ds_write2_b64 v235, v[2:3], v[4:5] offset0:26 offset1:27
	s_waitcnt vmcnt(52)
	v_mov_b32_e32 v2, v168
	v_mov_b32_e32 v3, v169
	s_waitcnt vmcnt(51)
	v_mov_b32_e32 v4, v120
	v_mov_b32_e32 v5, v121
	ds_write2_b64 v235, v[2:3], v[4:5] offset0:28 offset1:29
	s_waitcnt vmcnt(50)
	v_mov_b32_e32 v2, v166
	v_mov_b32_e32 v3, v167
	s_waitcnt vmcnt(49)
	v_mov_b32_e32 v4, v118
	v_mov_b32_e32 v5, v119
	;; [unrolled: 7-line block ×10, first 2 shown]
	ds_write2_b64 v235, v[2:3], v[4:5] offset0:46 offset1:47
	s_waitcnt vmcnt(32)
	ds_write_b64 v235, v[196:197] offset:384
	ds_read_b64 v[2:3], v234
	s_waitcnt lgkmcnt(0)
	v_cmp_neq_f64_e32 vcc, 0, v[2:3]
	s_and_b64 exec, exec, vcc
	s_cbranch_execz .LBB97_129
; %bb.128:
	v_div_scale_f64 v[4:5], s[6:7], v[2:3], v[2:3], 1.0
	v_rcp_f64_e32 v[6:7], v[4:5]
	v_div_scale_f64 v[198:199], vcc, 1.0, v[2:3], 1.0
	v_fma_f64 v[200:201], -v[4:5], v[6:7], 1.0
	v_fmac_f64_e32 v[6:7], v[6:7], v[200:201]
	v_fma_f64 v[200:201], -v[4:5], v[6:7], 1.0
	v_fmac_f64_e32 v[6:7], v[6:7], v[200:201]
	v_mul_f64 v[200:201], v[198:199], v[6:7]
	v_fma_f64 v[4:5], -v[4:5], v[200:201], v[198:199]
	v_div_fmas_f64 v[4:5], v[4:5], v[6:7], v[200:201]
	v_div_fixup_f64 v[2:3], v[4:5], v[2:3], 1.0
	ds_write_b64 v234, v[2:3]
.LBB97_129:
	s_or_b64 exec, exec, s[2:3]
	s_waitcnt lgkmcnt(0)
	s_barrier
	ds_read_b64 v[0:1], v234
	v_cmp_lt_u32_e32 vcc, 25, v236
	s_waitcnt lgkmcnt(0)
	buffer_store_dword v0, off, s[16:19], 0 offset:88 ; 4-byte Folded Spill
	s_nop 0
	buffer_store_dword v1, off, s[16:19], 0 offset:92 ; 4-byte Folded Spill
	s_and_saveexec_b64 s[2:3], vcc
	s_cbranch_execz .LBB97_131
; %bb.130:
	buffer_load_dword v0, off, s[16:19], 0 offset:88 ; 4-byte Folded Reload
	buffer_load_dword v1, off, s[16:19], 0 offset:92 ; 4-byte Folded Reload
	ds_read2_b64 v[198:201], v235 offset0:26 offset1:27
	ds_read_b64 v[2:3], v235 offset:384
	s_waitcnt vmcnt(0)
	v_mul_f64 v[124:125], v[0:1], v[124:125]
	s_waitcnt lgkmcnt(1)
	v_fma_f64 v[170:171], -v[124:125], v[198:199], v[170:171]
	v_fma_f64 v[122:123], -v[124:125], v[200:201], v[122:123]
	ds_read2_b64 v[198:201], v235 offset0:28 offset1:29
	s_waitcnt lgkmcnt(1)
	v_fma_f64 v[196:197], -v[124:125], v[2:3], v[196:197]
	s_waitcnt lgkmcnt(0)
	v_fma_f64 v[168:169], -v[124:125], v[198:199], v[168:169]
	v_fma_f64 v[120:121], -v[124:125], v[200:201], v[120:121]
	ds_read2_b64 v[198:201], v235 offset0:30 offset1:31
	s_waitcnt lgkmcnt(0)
	v_fma_f64 v[166:167], -v[124:125], v[198:199], v[166:167]
	v_fma_f64 v[118:119], -v[124:125], v[200:201], v[118:119]
	ds_read2_b64 v[198:201], v235 offset0:32 offset1:33
	;; [unrolled: 4-line block ×9, first 2 shown]
	s_waitcnt lgkmcnt(0)
	v_fma_f64 v[150:151], -v[124:125], v[198:199], v[150:151]
	v_fma_f64 v[102:103], -v[124:125], v[200:201], v[102:103]
.LBB97_131:
	s_or_b64 exec, exec, s[2:3]
	v_cmp_eq_u32_e32 vcc, 26, v236
	s_waitcnt vmcnt(63) expcnt(7) lgkmcnt(15)
	s_barrier
	s_and_saveexec_b64 s[2:3], vcc
	s_cbranch_execz .LBB97_134
; %bb.132:
	s_waitcnt vmcnt(56)
	ds_write_b64 v234, v[170:171]
	s_waitcnt vmcnt(54)
	ds_write2_b64 v235, v[122:123], v[168:169] offset0:27 offset1:28
	s_waitcnt vmcnt(52)
	ds_write2_b64 v235, v[120:121], v[166:167] offset0:29 offset1:30
	;; [unrolled: 2-line block ×11, first 2 shown]
	ds_read_b64 v[2:3], v234
	s_waitcnt lgkmcnt(0)
	v_cmp_neq_f64_e32 vcc, 0, v[2:3]
	s_and_b64 exec, exec, vcc
	s_cbranch_execz .LBB97_134
; %bb.133:
	v_div_scale_f64 v[4:5], s[6:7], v[2:3], v[2:3], 1.0
	v_rcp_f64_e32 v[6:7], v[4:5]
	v_div_scale_f64 v[198:199], vcc, 1.0, v[2:3], 1.0
	v_fma_f64 v[200:201], -v[4:5], v[6:7], 1.0
	v_fmac_f64_e32 v[6:7], v[6:7], v[200:201]
	v_fma_f64 v[200:201], -v[4:5], v[6:7], 1.0
	v_fmac_f64_e32 v[6:7], v[6:7], v[200:201]
	v_mul_f64 v[200:201], v[198:199], v[6:7]
	v_fma_f64 v[4:5], -v[4:5], v[200:201], v[198:199]
	v_div_fmas_f64 v[4:5], v[4:5], v[6:7], v[200:201]
	v_div_fixup_f64 v[2:3], v[4:5], v[2:3], 1.0
	ds_write_b64 v234, v[2:3]
.LBB97_134:
	s_or_b64 exec, exec, s[2:3]
	s_waitcnt lgkmcnt(0)
	s_barrier
	ds_read_b64 v[0:1], v234
	v_cmp_lt_u32_e32 vcc, 26, v236
	s_and_saveexec_b64 s[2:3], vcc
	s_cbranch_execz .LBB97_136
; %bb.135:
	ds_read2_b64 v[198:201], v235 offset0:27 offset1:28
	s_waitcnt vmcnt(56) lgkmcnt(1)
	v_mul_f64 v[170:171], v[0:1], v[170:171]
	s_waitcnt vmcnt(55) lgkmcnt(0)
	v_fma_f64 v[122:123], -v[170:171], v[198:199], v[122:123]
	s_waitcnt vmcnt(54)
	v_fma_f64 v[168:169], -v[170:171], v[200:201], v[168:169]
	ds_read2_b64 v[198:201], v235 offset0:29 offset1:30
	s_waitcnt vmcnt(53) lgkmcnt(0)
	v_fma_f64 v[120:121], -v[170:171], v[198:199], v[120:121]
	s_waitcnt vmcnt(52)
	v_fma_f64 v[166:167], -v[170:171], v[200:201], v[166:167]
	ds_read2_b64 v[198:201], v235 offset0:31 offset1:32
	;; [unrolled: 5-line block ×10, first 2 shown]
	s_waitcnt vmcnt(35) lgkmcnt(0)
	v_fma_f64 v[102:103], -v[170:171], v[198:199], v[102:103]
	s_waitcnt vmcnt(34)
	v_fma_f64 v[196:197], -v[170:171], v[200:201], v[196:197]
.LBB97_136:
	s_or_b64 exec, exec, s[2:3]
	v_cmp_eq_u32_e32 vcc, 27, v236
	s_waitcnt lgkmcnt(0)
	buffer_store_dword v0, off, s[16:19], 0 offset:176 ; 4-byte Folded Spill
	s_nop 0
	buffer_store_dword v1, off, s[16:19], 0 offset:180 ; 4-byte Folded Spill
	s_waitcnt vmcnt(63) expcnt(7) lgkmcnt(15)
	s_barrier
	s_and_saveexec_b64 s[2:3], vcc
	s_cbranch_execz .LBB97_139
; %bb.137:
	s_waitcnt vmcnt(56)
	v_mov_b32_e32 v2, v168
	v_mov_b32_e32 v3, v169
	s_waitcnt vmcnt(55)
	v_mov_b32_e32 v4, v120
	v_mov_b32_e32 v5, v121
	ds_write_b64 v234, v[122:123]
	ds_write2_b64 v235, v[2:3], v[4:5] offset0:28 offset1:29
	s_waitcnt vmcnt(54)
	v_mov_b32_e32 v2, v166
	v_mov_b32_e32 v3, v167
	s_waitcnt vmcnt(53)
	v_mov_b32_e32 v4, v118
	v_mov_b32_e32 v5, v119
	ds_write2_b64 v235, v[2:3], v[4:5] offset0:30 offset1:31
	s_waitcnt vmcnt(52)
	v_mov_b32_e32 v2, v164
	v_mov_b32_e32 v3, v165
	s_waitcnt vmcnt(51)
	v_mov_b32_e32 v4, v116
	v_mov_b32_e32 v5, v117
	;; [unrolled: 7-line block ×9, first 2 shown]
	ds_write2_b64 v235, v[2:3], v[4:5] offset0:46 offset1:47
	s_waitcnt vmcnt(36)
	ds_write_b64 v235, v[196:197] offset:384
	ds_read_b64 v[2:3], v234
	s_waitcnt lgkmcnt(0)
	v_cmp_neq_f64_e32 vcc, 0, v[2:3]
	s_and_b64 exec, exec, vcc
	s_cbranch_execz .LBB97_139
; %bb.138:
	v_div_scale_f64 v[4:5], s[6:7], v[2:3], v[2:3], 1.0
	v_rcp_f64_e32 v[6:7], v[4:5]
	v_div_scale_f64 v[198:199], vcc, 1.0, v[2:3], 1.0
	v_fma_f64 v[200:201], -v[4:5], v[6:7], 1.0
	v_fmac_f64_e32 v[6:7], v[6:7], v[200:201]
	v_fma_f64 v[200:201], -v[4:5], v[6:7], 1.0
	v_fmac_f64_e32 v[6:7], v[6:7], v[200:201]
	v_mul_f64 v[200:201], v[198:199], v[6:7]
	v_fma_f64 v[4:5], -v[4:5], v[200:201], v[198:199]
	v_div_fmas_f64 v[4:5], v[4:5], v[6:7], v[200:201]
	v_div_fixup_f64 v[2:3], v[4:5], v[2:3], 1.0
	ds_write_b64 v234, v[2:3]
.LBB97_139:
	s_or_b64 exec, exec, s[2:3]
	s_waitcnt lgkmcnt(0)
	s_barrier
	ds_read_b64 v[0:1], v234
	v_cmp_lt_u32_e32 vcc, 27, v236
	s_waitcnt lgkmcnt(0)
	buffer_store_dword v0, off, s[16:19], 0 offset:96 ; 4-byte Folded Spill
	s_nop 0
	buffer_store_dword v1, off, s[16:19], 0 offset:100 ; 4-byte Folded Spill
	s_and_saveexec_b64 s[2:3], vcc
	s_cbranch_execz .LBB97_141
; %bb.140:
	buffer_load_dword v0, off, s[16:19], 0 offset:96 ; 4-byte Folded Reload
	buffer_load_dword v1, off, s[16:19], 0 offset:100 ; 4-byte Folded Reload
	ds_read2_b64 v[198:201], v235 offset0:28 offset1:29
	ds_read_b64 v[2:3], v235 offset:384
	s_waitcnt vmcnt(0)
	v_mul_f64 v[122:123], v[0:1], v[122:123]
	s_waitcnt lgkmcnt(1)
	v_fma_f64 v[168:169], -v[122:123], v[198:199], v[168:169]
	v_fma_f64 v[120:121], -v[122:123], v[200:201], v[120:121]
	ds_read2_b64 v[198:201], v235 offset0:30 offset1:31
	s_waitcnt lgkmcnt(1)
	v_fma_f64 v[196:197], -v[122:123], v[2:3], v[196:197]
	s_waitcnt lgkmcnt(0)
	v_fma_f64 v[166:167], -v[122:123], v[198:199], v[166:167]
	v_fma_f64 v[118:119], -v[122:123], v[200:201], v[118:119]
	ds_read2_b64 v[198:201], v235 offset0:32 offset1:33
	s_waitcnt lgkmcnt(0)
	v_fma_f64 v[164:165], -v[122:123], v[198:199], v[164:165]
	v_fma_f64 v[116:117], -v[122:123], v[200:201], v[116:117]
	ds_read2_b64 v[198:201], v235 offset0:34 offset1:35
	;; [unrolled: 4-line block ×8, first 2 shown]
	s_waitcnt lgkmcnt(0)
	v_fma_f64 v[150:151], -v[122:123], v[198:199], v[150:151]
	v_fma_f64 v[102:103], -v[122:123], v[200:201], v[102:103]
.LBB97_141:
	s_or_b64 exec, exec, s[2:3]
	v_cmp_eq_u32_e32 vcc, 28, v236
	s_waitcnt vmcnt(63) expcnt(7) lgkmcnt(15)
	s_barrier
	s_and_saveexec_b64 s[2:3], vcc
	s_cbranch_execz .LBB97_144
; %bb.142:
	s_waitcnt vmcnt(58)
	ds_write_b64 v234, v[168:169]
	s_waitcnt vmcnt(56)
	ds_write2_b64 v235, v[120:121], v[166:167] offset0:29 offset1:30
	s_waitcnt vmcnt(54)
	ds_write2_b64 v235, v[118:119], v[164:165] offset0:31 offset1:32
	;; [unrolled: 2-line block ×10, first 2 shown]
	ds_read_b64 v[2:3], v234
	s_waitcnt lgkmcnt(0)
	v_cmp_neq_f64_e32 vcc, 0, v[2:3]
	s_and_b64 exec, exec, vcc
	s_cbranch_execz .LBB97_144
; %bb.143:
	v_div_scale_f64 v[4:5], s[6:7], v[2:3], v[2:3], 1.0
	v_rcp_f64_e32 v[6:7], v[4:5]
	v_div_scale_f64 v[198:199], vcc, 1.0, v[2:3], 1.0
	v_fma_f64 v[200:201], -v[4:5], v[6:7], 1.0
	v_fmac_f64_e32 v[6:7], v[6:7], v[200:201]
	v_fma_f64 v[200:201], -v[4:5], v[6:7], 1.0
	v_fmac_f64_e32 v[6:7], v[6:7], v[200:201]
	v_mul_f64 v[200:201], v[198:199], v[6:7]
	v_fma_f64 v[4:5], -v[4:5], v[200:201], v[198:199]
	v_div_fmas_f64 v[4:5], v[4:5], v[6:7], v[200:201]
	v_div_fixup_f64 v[2:3], v[4:5], v[2:3], 1.0
	ds_write_b64 v234, v[2:3]
.LBB97_144:
	s_or_b64 exec, exec, s[2:3]
	s_waitcnt lgkmcnt(0)
	s_barrier
	ds_read_b64 v[0:1], v234
	v_cmp_lt_u32_e32 vcc, 28, v236
	s_and_saveexec_b64 s[2:3], vcc
	s_cbranch_execz .LBB97_146
; %bb.145:
	ds_read2_b64 v[198:201], v235 offset0:29 offset1:30
	s_waitcnt vmcnt(58) lgkmcnt(1)
	v_mul_f64 v[168:169], v[0:1], v[168:169]
	s_waitcnt vmcnt(57) lgkmcnt(0)
	v_fma_f64 v[120:121], -v[168:169], v[198:199], v[120:121]
	s_waitcnt vmcnt(56)
	v_fma_f64 v[166:167], -v[168:169], v[200:201], v[166:167]
	ds_read2_b64 v[198:201], v235 offset0:31 offset1:32
	s_waitcnt vmcnt(55) lgkmcnt(0)
	v_fma_f64 v[118:119], -v[168:169], v[198:199], v[118:119]
	s_waitcnt vmcnt(54)
	v_fma_f64 v[164:165], -v[168:169], v[200:201], v[164:165]
	ds_read2_b64 v[198:201], v235 offset0:33 offset1:34
	;; [unrolled: 5-line block ×9, first 2 shown]
	s_waitcnt vmcnt(39) lgkmcnt(0)
	v_fma_f64 v[102:103], -v[168:169], v[198:199], v[102:103]
	s_waitcnt vmcnt(38)
	v_fma_f64 v[196:197], -v[168:169], v[200:201], v[196:197]
.LBB97_146:
	s_or_b64 exec, exec, s[2:3]
	v_cmp_eq_u32_e32 vcc, 29, v236
	s_waitcnt lgkmcnt(0)
	buffer_store_dword v0, off, s[16:19], 0 offset:184 ; 4-byte Folded Spill
	s_nop 0
	buffer_store_dword v1, off, s[16:19], 0 offset:188 ; 4-byte Folded Spill
	s_waitcnt vmcnt(63) expcnt(7) lgkmcnt(15)
	s_barrier
	s_and_saveexec_b64 s[2:3], vcc
	s_cbranch_execz .LBB97_149
; %bb.147:
	s_waitcnt vmcnt(58)
	v_mov_b32_e32 v2, v166
	v_mov_b32_e32 v3, v167
	s_waitcnt vmcnt(57)
	v_mov_b32_e32 v4, v118
	v_mov_b32_e32 v5, v119
	ds_write_b64 v234, v[120:121]
	ds_write2_b64 v235, v[2:3], v[4:5] offset0:30 offset1:31
	s_waitcnt vmcnt(56)
	v_mov_b32_e32 v2, v164
	v_mov_b32_e32 v3, v165
	s_waitcnt vmcnt(55)
	v_mov_b32_e32 v4, v116
	v_mov_b32_e32 v5, v117
	ds_write2_b64 v235, v[2:3], v[4:5] offset0:32 offset1:33
	s_waitcnt vmcnt(54)
	v_mov_b32_e32 v2, v162
	v_mov_b32_e32 v3, v163
	s_waitcnt vmcnt(53)
	v_mov_b32_e32 v4, v114
	v_mov_b32_e32 v5, v115
	;; [unrolled: 7-line block ×8, first 2 shown]
	ds_write2_b64 v235, v[2:3], v[4:5] offset0:46 offset1:47
	s_waitcnt vmcnt(40)
	ds_write_b64 v235, v[196:197] offset:384
	ds_read_b64 v[2:3], v234
	s_waitcnt lgkmcnt(0)
	v_cmp_neq_f64_e32 vcc, 0, v[2:3]
	s_and_b64 exec, exec, vcc
	s_cbranch_execz .LBB97_149
; %bb.148:
	v_div_scale_f64 v[4:5], s[6:7], v[2:3], v[2:3], 1.0
	v_rcp_f64_e32 v[6:7], v[4:5]
	v_div_scale_f64 v[198:199], vcc, 1.0, v[2:3], 1.0
	v_fma_f64 v[200:201], -v[4:5], v[6:7], 1.0
	v_fmac_f64_e32 v[6:7], v[6:7], v[200:201]
	v_fma_f64 v[200:201], -v[4:5], v[6:7], 1.0
	v_fmac_f64_e32 v[6:7], v[6:7], v[200:201]
	v_mul_f64 v[200:201], v[198:199], v[6:7]
	v_fma_f64 v[4:5], -v[4:5], v[200:201], v[198:199]
	v_div_fmas_f64 v[4:5], v[4:5], v[6:7], v[200:201]
	v_div_fixup_f64 v[2:3], v[4:5], v[2:3], 1.0
	ds_write_b64 v234, v[2:3]
.LBB97_149:
	s_or_b64 exec, exec, s[2:3]
	s_waitcnt lgkmcnt(0)
	s_barrier
	ds_read_b64 v[198:199], v234
	v_cmp_lt_u32_e32 vcc, 29, v236
	s_and_saveexec_b64 s[2:3], vcc
	s_cbranch_execz .LBB97_151
; %bb.150:
	ds_read2_b64 v[200:203], v235 offset0:30 offset1:31
	ds_read_b64 v[2:3], v235 offset:384
	s_waitcnt vmcnt(59) lgkmcnt(2)
	v_mul_f64 v[120:121], v[198:199], v[120:121]
	s_waitcnt vmcnt(58) lgkmcnt(1)
	v_fma_f64 v[166:167], -v[120:121], v[200:201], v[166:167]
	s_waitcnt vmcnt(57)
	v_fma_f64 v[118:119], -v[120:121], v[202:203], v[118:119]
	ds_read2_b64 v[200:203], v235 offset0:32 offset1:33
	s_waitcnt vmcnt(40) lgkmcnt(1)
	v_fma_f64 v[196:197], -v[120:121], v[2:3], v[196:197]
	s_waitcnt lgkmcnt(0)
	v_fma_f64 v[164:165], -v[120:121], v[200:201], v[164:165]
	v_fma_f64 v[116:117], -v[120:121], v[202:203], v[116:117]
	ds_read2_b64 v[200:203], v235 offset0:34 offset1:35
	s_waitcnt lgkmcnt(0)
	v_fma_f64 v[162:163], -v[120:121], v[200:201], v[162:163]
	v_fma_f64 v[114:115], -v[120:121], v[202:203], v[114:115]
	ds_read2_b64 v[200:203], v235 offset0:36 offset1:37
	s_waitcnt lgkmcnt(0)
	v_fma_f64 v[160:161], -v[120:121], v[200:201], v[160:161]
	v_fma_f64 v[112:113], -v[120:121], v[202:203], v[112:113]
	ds_read2_b64 v[200:203], v235 offset0:38 offset1:39
	s_waitcnt lgkmcnt(0)
	v_fma_f64 v[158:159], -v[120:121], v[200:201], v[158:159]
	v_fma_f64 v[110:111], -v[120:121], v[202:203], v[110:111]
	ds_read2_b64 v[200:203], v235 offset0:40 offset1:41
	s_waitcnt lgkmcnt(0)
	v_fma_f64 v[156:157], -v[120:121], v[200:201], v[156:157]
	v_fma_f64 v[108:109], -v[120:121], v[202:203], v[108:109]
	ds_read2_b64 v[200:203], v235 offset0:42 offset1:43
	s_waitcnt lgkmcnt(0)
	v_fma_f64 v[154:155], -v[120:121], v[200:201], v[154:155]
	v_fma_f64 v[106:107], -v[120:121], v[202:203], v[106:107]
	ds_read2_b64 v[200:203], v235 offset0:44 offset1:45
	s_waitcnt lgkmcnt(0)
	v_fma_f64 v[152:153], -v[120:121], v[200:201], v[152:153]
	v_fma_f64 v[104:105], -v[120:121], v[202:203], v[104:105]
	ds_read2_b64 v[200:203], v235 offset0:46 offset1:47
	s_waitcnt lgkmcnt(0)
	v_fma_f64 v[150:151], -v[120:121], v[200:201], v[150:151]
	v_fma_f64 v[102:103], -v[120:121], v[202:203], v[102:103]
.LBB97_151:
	s_or_b64 exec, exec, s[2:3]
	v_cmp_eq_u32_e32 vcc, 30, v236
	s_waitcnt lgkmcnt(0)
	s_barrier
	s_and_saveexec_b64 s[2:3], vcc
	s_cbranch_execz .LBB97_154
; %bb.152:
	s_waitcnt vmcnt(58)
	ds_write_b64 v234, v[166:167]
	s_waitcnt vmcnt(56)
	ds_write2_b64 v235, v[118:119], v[164:165] offset0:31 offset1:32
	s_waitcnt vmcnt(54)
	ds_write2_b64 v235, v[116:117], v[162:163] offset0:33 offset1:34
	;; [unrolled: 2-line block ×9, first 2 shown]
	ds_read_b64 v[2:3], v234
	s_waitcnt lgkmcnt(0)
	v_cmp_neq_f64_e32 vcc, 0, v[2:3]
	s_and_b64 exec, exec, vcc
	s_cbranch_execz .LBB97_154
; %bb.153:
	v_div_scale_f64 v[4:5], s[6:7], v[2:3], v[2:3], 1.0
	v_rcp_f64_e32 v[6:7], v[4:5]
	v_div_scale_f64 v[200:201], vcc, 1.0, v[2:3], 1.0
	v_fma_f64 v[202:203], -v[4:5], v[6:7], 1.0
	v_fmac_f64_e32 v[6:7], v[6:7], v[202:203]
	v_fma_f64 v[202:203], -v[4:5], v[6:7], 1.0
	v_fmac_f64_e32 v[6:7], v[6:7], v[202:203]
	v_mul_f64 v[202:203], v[200:201], v[6:7]
	v_fma_f64 v[4:5], -v[4:5], v[202:203], v[200:201]
	v_div_fmas_f64 v[4:5], v[4:5], v[6:7], v[202:203]
	v_div_fixup_f64 v[2:3], v[4:5], v[2:3], 1.0
	ds_write_b64 v234, v[2:3]
.LBB97_154:
	s_or_b64 exec, exec, s[2:3]
	s_waitcnt lgkmcnt(0)
	s_barrier
	ds_read_b64 v[200:201], v234
	v_cmp_lt_u32_e32 vcc, 30, v236
	s_and_saveexec_b64 s[2:3], vcc
	s_cbranch_execz .LBB97_156
; %bb.155:
	ds_read2_b64 v[202:205], v235 offset0:31 offset1:32
	s_waitcnt vmcnt(58) lgkmcnt(1)
	v_mul_f64 v[166:167], v[200:201], v[166:167]
	s_waitcnt vmcnt(57) lgkmcnt(0)
	v_fma_f64 v[118:119], -v[166:167], v[202:203], v[118:119]
	s_waitcnt vmcnt(56)
	v_fma_f64 v[164:165], -v[166:167], v[204:205], v[164:165]
	ds_read2_b64 v[202:205], v235 offset0:33 offset1:34
	s_waitcnt vmcnt(55) lgkmcnt(0)
	v_fma_f64 v[116:117], -v[166:167], v[202:203], v[116:117]
	s_waitcnt vmcnt(54)
	v_fma_f64 v[162:163], -v[166:167], v[204:205], v[162:163]
	ds_read2_b64 v[202:205], v235 offset0:35 offset1:36
	;; [unrolled: 5-line block ×8, first 2 shown]
	s_waitcnt vmcnt(41) lgkmcnt(0)
	v_fma_f64 v[102:103], -v[166:167], v[202:203], v[102:103]
	s_waitcnt vmcnt(40)
	v_fma_f64 v[196:197], -v[166:167], v[204:205], v[196:197]
.LBB97_156:
	s_or_b64 exec, exec, s[2:3]
	v_cmp_eq_u32_e32 vcc, 31, v236
	s_waitcnt lgkmcnt(0)
	s_barrier
	s_and_saveexec_b64 s[2:3], vcc
	s_cbranch_execz .LBB97_159
; %bb.157:
	s_waitcnt vmcnt(56)
	v_mov_b32_e32 v2, v164
	v_mov_b32_e32 v3, v165
	s_waitcnt vmcnt(55)
	v_mov_b32_e32 v4, v116
	v_mov_b32_e32 v5, v117
	ds_write_b64 v234, v[118:119]
	ds_write2_b64 v235, v[2:3], v[4:5] offset0:32 offset1:33
	s_waitcnt vmcnt(54)
	v_mov_b32_e32 v2, v162
	v_mov_b32_e32 v3, v163
	s_waitcnt vmcnt(53)
	v_mov_b32_e32 v4, v114
	v_mov_b32_e32 v5, v115
	ds_write2_b64 v235, v[2:3], v[4:5] offset0:34 offset1:35
	s_waitcnt vmcnt(52)
	v_mov_b32_e32 v2, v160
	v_mov_b32_e32 v3, v161
	s_waitcnt vmcnt(51)
	v_mov_b32_e32 v4, v112
	v_mov_b32_e32 v5, v113
	;; [unrolled: 7-line block ×7, first 2 shown]
	ds_write2_b64 v235, v[2:3], v[4:5] offset0:46 offset1:47
	s_waitcnt vmcnt(40)
	ds_write_b64 v235, v[196:197] offset:384
	ds_read_b64 v[2:3], v234
	s_waitcnt lgkmcnt(0)
	v_cmp_neq_f64_e32 vcc, 0, v[2:3]
	s_and_b64 exec, exec, vcc
	s_cbranch_execz .LBB97_159
; %bb.158:
	v_div_scale_f64 v[4:5], s[6:7], v[2:3], v[2:3], 1.0
	v_rcp_f64_e32 v[6:7], v[4:5]
	v_div_scale_f64 v[202:203], vcc, 1.0, v[2:3], 1.0
	v_fma_f64 v[204:205], -v[4:5], v[6:7], 1.0
	v_fmac_f64_e32 v[6:7], v[6:7], v[204:205]
	v_fma_f64 v[204:205], -v[4:5], v[6:7], 1.0
	v_fmac_f64_e32 v[6:7], v[6:7], v[204:205]
	v_mul_f64 v[204:205], v[202:203], v[6:7]
	v_fma_f64 v[4:5], -v[4:5], v[204:205], v[202:203]
	v_div_fmas_f64 v[4:5], v[4:5], v[6:7], v[204:205]
	v_div_fixup_f64 v[2:3], v[4:5], v[2:3], 1.0
	ds_write_b64 v234, v[2:3]
.LBB97_159:
	s_or_b64 exec, exec, s[2:3]
	s_waitcnt lgkmcnt(0)
	s_barrier
	ds_read_b64 v[202:203], v234
	v_cmp_lt_u32_e32 vcc, 31, v236
	s_and_saveexec_b64 s[2:3], vcc
	s_cbranch_execz .LBB97_161
; %bb.160:
	ds_read2_b64 v[204:207], v235 offset0:32 offset1:33
	ds_read_b64 v[2:3], v235 offset:384
	s_waitcnt vmcnt(57) lgkmcnt(2)
	v_mul_f64 v[118:119], v[202:203], v[118:119]
	s_waitcnt vmcnt(56) lgkmcnt(1)
	v_fma_f64 v[164:165], -v[118:119], v[204:205], v[164:165]
	s_waitcnt vmcnt(55)
	v_fma_f64 v[116:117], -v[118:119], v[206:207], v[116:117]
	ds_read2_b64 v[204:207], v235 offset0:34 offset1:35
	s_waitcnt vmcnt(40) lgkmcnt(1)
	v_fma_f64 v[196:197], -v[118:119], v[2:3], v[196:197]
	s_waitcnt lgkmcnt(0)
	v_fma_f64 v[162:163], -v[118:119], v[204:205], v[162:163]
	v_fma_f64 v[114:115], -v[118:119], v[206:207], v[114:115]
	ds_read2_b64 v[204:207], v235 offset0:36 offset1:37
	s_waitcnt lgkmcnt(0)
	v_fma_f64 v[160:161], -v[118:119], v[204:205], v[160:161]
	v_fma_f64 v[112:113], -v[118:119], v[206:207], v[112:113]
	ds_read2_b64 v[204:207], v235 offset0:38 offset1:39
	;; [unrolled: 4-line block ×6, first 2 shown]
	s_waitcnt lgkmcnt(0)
	v_fma_f64 v[150:151], -v[118:119], v[204:205], v[150:151]
	v_fma_f64 v[102:103], -v[118:119], v[206:207], v[102:103]
.LBB97_161:
	s_or_b64 exec, exec, s[2:3]
	v_cmp_eq_u32_e32 vcc, 32, v236
	s_waitcnt lgkmcnt(0)
	s_barrier
	s_and_saveexec_b64 s[2:3], vcc
	s_cbranch_execz .LBB97_164
; %bb.162:
	s_waitcnt vmcnt(56)
	ds_write_b64 v234, v[164:165]
	s_waitcnt vmcnt(54)
	ds_write2_b64 v235, v[116:117], v[162:163] offset0:33 offset1:34
	s_waitcnt vmcnt(52)
	ds_write2_b64 v235, v[114:115], v[160:161] offset0:35 offset1:36
	;; [unrolled: 2-line block ×8, first 2 shown]
	ds_read_b64 v[2:3], v234
	s_waitcnt lgkmcnt(0)
	v_cmp_neq_f64_e32 vcc, 0, v[2:3]
	s_and_b64 exec, exec, vcc
	s_cbranch_execz .LBB97_164
; %bb.163:
	v_div_scale_f64 v[4:5], s[6:7], v[2:3], v[2:3], 1.0
	v_rcp_f64_e32 v[6:7], v[4:5]
	v_div_scale_f64 v[204:205], vcc, 1.0, v[2:3], 1.0
	v_fma_f64 v[206:207], -v[4:5], v[6:7], 1.0
	v_fmac_f64_e32 v[6:7], v[6:7], v[206:207]
	v_fma_f64 v[206:207], -v[4:5], v[6:7], 1.0
	v_fmac_f64_e32 v[6:7], v[6:7], v[206:207]
	v_mul_f64 v[206:207], v[204:205], v[6:7]
	v_fma_f64 v[4:5], -v[4:5], v[206:207], v[204:205]
	v_div_fmas_f64 v[4:5], v[4:5], v[6:7], v[206:207]
	v_div_fixup_f64 v[2:3], v[4:5], v[2:3], 1.0
	ds_write_b64 v234, v[2:3]
.LBB97_164:
	s_or_b64 exec, exec, s[2:3]
	s_waitcnt lgkmcnt(0)
	s_barrier
	ds_read_b64 v[204:205], v234
	v_cmp_lt_u32_e32 vcc, 32, v236
	s_and_saveexec_b64 s[2:3], vcc
	s_cbranch_execz .LBB97_166
; %bb.165:
	ds_read2_b64 v[206:209], v235 offset0:33 offset1:34
	s_waitcnt vmcnt(56) lgkmcnt(1)
	v_mul_f64 v[164:165], v[204:205], v[164:165]
	s_waitcnt vmcnt(55) lgkmcnt(0)
	v_fma_f64 v[116:117], -v[164:165], v[206:207], v[116:117]
	s_waitcnt vmcnt(54)
	v_fma_f64 v[162:163], -v[164:165], v[208:209], v[162:163]
	ds_read2_b64 v[206:209], v235 offset0:35 offset1:36
	s_waitcnt vmcnt(53) lgkmcnt(0)
	v_fma_f64 v[114:115], -v[164:165], v[206:207], v[114:115]
	s_waitcnt vmcnt(52)
	v_fma_f64 v[160:161], -v[164:165], v[208:209], v[160:161]
	ds_read2_b64 v[206:209], v235 offset0:37 offset1:38
	;; [unrolled: 5-line block ×7, first 2 shown]
	s_waitcnt vmcnt(41) lgkmcnt(0)
	v_fma_f64 v[102:103], -v[164:165], v[206:207], v[102:103]
	s_waitcnt vmcnt(40)
	v_fma_f64 v[196:197], -v[164:165], v[208:209], v[196:197]
.LBB97_166:
	s_or_b64 exec, exec, s[2:3]
	v_cmp_eq_u32_e32 vcc, 33, v236
	s_waitcnt lgkmcnt(0)
	s_barrier
	s_and_saveexec_b64 s[2:3], vcc
	s_cbranch_execz .LBB97_169
; %bb.167:
	s_waitcnt vmcnt(54)
	v_mov_b32_e32 v2, v162
	v_mov_b32_e32 v3, v163
	s_waitcnt vmcnt(53)
	v_mov_b32_e32 v4, v114
	v_mov_b32_e32 v5, v115
	ds_write_b64 v234, v[116:117]
	ds_write2_b64 v235, v[2:3], v[4:5] offset0:34 offset1:35
	s_waitcnt vmcnt(52)
	v_mov_b32_e32 v2, v160
	v_mov_b32_e32 v3, v161
	s_waitcnt vmcnt(51)
	v_mov_b32_e32 v4, v112
	v_mov_b32_e32 v5, v113
	ds_write2_b64 v235, v[2:3], v[4:5] offset0:36 offset1:37
	s_waitcnt vmcnt(50)
	v_mov_b32_e32 v2, v158
	v_mov_b32_e32 v3, v159
	s_waitcnt vmcnt(49)
	v_mov_b32_e32 v4, v110
	v_mov_b32_e32 v5, v111
	;; [unrolled: 7-line block ×6, first 2 shown]
	ds_write2_b64 v235, v[2:3], v[4:5] offset0:46 offset1:47
	s_waitcnt vmcnt(40)
	ds_write_b64 v235, v[196:197] offset:384
	ds_read_b64 v[2:3], v234
	s_waitcnt lgkmcnt(0)
	v_cmp_neq_f64_e32 vcc, 0, v[2:3]
	s_and_b64 exec, exec, vcc
	s_cbranch_execz .LBB97_169
; %bb.168:
	v_div_scale_f64 v[4:5], s[6:7], v[2:3], v[2:3], 1.0
	v_rcp_f64_e32 v[6:7], v[4:5]
	v_div_scale_f64 v[206:207], vcc, 1.0, v[2:3], 1.0
	v_fma_f64 v[208:209], -v[4:5], v[6:7], 1.0
	v_fmac_f64_e32 v[6:7], v[6:7], v[208:209]
	v_fma_f64 v[208:209], -v[4:5], v[6:7], 1.0
	v_fmac_f64_e32 v[6:7], v[6:7], v[208:209]
	v_mul_f64 v[208:209], v[206:207], v[6:7]
	v_fma_f64 v[4:5], -v[4:5], v[208:209], v[206:207]
	v_div_fmas_f64 v[4:5], v[4:5], v[6:7], v[208:209]
	v_div_fixup_f64 v[2:3], v[4:5], v[2:3], 1.0
	ds_write_b64 v234, v[2:3]
.LBB97_169:
	s_or_b64 exec, exec, s[2:3]
	s_waitcnt lgkmcnt(0)
	s_barrier
	ds_read_b64 v[206:207], v234
	v_cmp_lt_u32_e32 vcc, 33, v236
	s_and_saveexec_b64 s[2:3], vcc
	s_cbranch_execz .LBB97_171
; %bb.170:
	ds_read2_b64 v[208:211], v235 offset0:34 offset1:35
	ds_read_b64 v[2:3], v235 offset:384
	s_waitcnt vmcnt(55) lgkmcnt(2)
	v_mul_f64 v[116:117], v[206:207], v[116:117]
	s_waitcnt vmcnt(54) lgkmcnt(1)
	v_fma_f64 v[162:163], -v[116:117], v[208:209], v[162:163]
	s_waitcnt vmcnt(53)
	v_fma_f64 v[114:115], -v[116:117], v[210:211], v[114:115]
	ds_read2_b64 v[208:211], v235 offset0:36 offset1:37
	s_waitcnt vmcnt(40) lgkmcnt(1)
	v_fma_f64 v[196:197], -v[116:117], v[2:3], v[196:197]
	s_waitcnt lgkmcnt(0)
	v_fma_f64 v[160:161], -v[116:117], v[208:209], v[160:161]
	v_fma_f64 v[112:113], -v[116:117], v[210:211], v[112:113]
	ds_read2_b64 v[208:211], v235 offset0:38 offset1:39
	s_waitcnt lgkmcnt(0)
	v_fma_f64 v[158:159], -v[116:117], v[208:209], v[158:159]
	v_fma_f64 v[110:111], -v[116:117], v[210:211], v[110:111]
	ds_read2_b64 v[208:211], v235 offset0:40 offset1:41
	;; [unrolled: 4-line block ×5, first 2 shown]
	s_waitcnt lgkmcnt(0)
	v_fma_f64 v[150:151], -v[116:117], v[208:209], v[150:151]
	v_fma_f64 v[102:103], -v[116:117], v[210:211], v[102:103]
.LBB97_171:
	s_or_b64 exec, exec, s[2:3]
	v_cmp_eq_u32_e32 vcc, 34, v236
	s_waitcnt lgkmcnt(0)
	s_barrier
	s_and_saveexec_b64 s[2:3], vcc
	s_cbranch_execz .LBB97_174
; %bb.172:
	s_waitcnt vmcnt(54)
	ds_write_b64 v234, v[162:163]
	s_waitcnt vmcnt(52)
	ds_write2_b64 v235, v[114:115], v[160:161] offset0:35 offset1:36
	s_waitcnt vmcnt(50)
	ds_write2_b64 v235, v[112:113], v[158:159] offset0:37 offset1:38
	;; [unrolled: 2-line block ×7, first 2 shown]
	ds_read_b64 v[2:3], v234
	s_waitcnt lgkmcnt(0)
	v_cmp_neq_f64_e32 vcc, 0, v[2:3]
	s_and_b64 exec, exec, vcc
	s_cbranch_execz .LBB97_174
; %bb.173:
	v_div_scale_f64 v[4:5], s[6:7], v[2:3], v[2:3], 1.0
	v_rcp_f64_e32 v[6:7], v[4:5]
	v_div_scale_f64 v[208:209], vcc, 1.0, v[2:3], 1.0
	v_fma_f64 v[210:211], -v[4:5], v[6:7], 1.0
	v_fmac_f64_e32 v[6:7], v[6:7], v[210:211]
	v_fma_f64 v[210:211], -v[4:5], v[6:7], 1.0
	v_fmac_f64_e32 v[6:7], v[6:7], v[210:211]
	v_mul_f64 v[210:211], v[208:209], v[6:7]
	v_fma_f64 v[4:5], -v[4:5], v[210:211], v[208:209]
	v_div_fmas_f64 v[4:5], v[4:5], v[6:7], v[210:211]
	v_div_fixup_f64 v[2:3], v[4:5], v[2:3], 1.0
	ds_write_b64 v234, v[2:3]
.LBB97_174:
	s_or_b64 exec, exec, s[2:3]
	s_waitcnt lgkmcnt(0)
	s_barrier
	ds_read_b64 v[208:209], v234
	v_cmp_lt_u32_e32 vcc, 34, v236
	s_and_saveexec_b64 s[2:3], vcc
	s_cbranch_execz .LBB97_176
; %bb.175:
	ds_read2_b64 v[210:213], v235 offset0:35 offset1:36
	s_waitcnt vmcnt(54) lgkmcnt(1)
	v_mul_f64 v[162:163], v[208:209], v[162:163]
	s_waitcnt vmcnt(53) lgkmcnt(0)
	v_fma_f64 v[114:115], -v[162:163], v[210:211], v[114:115]
	s_waitcnt vmcnt(52)
	v_fma_f64 v[160:161], -v[162:163], v[212:213], v[160:161]
	ds_read2_b64 v[210:213], v235 offset0:37 offset1:38
	s_waitcnt vmcnt(51) lgkmcnt(0)
	v_fma_f64 v[112:113], -v[162:163], v[210:211], v[112:113]
	s_waitcnt vmcnt(50)
	v_fma_f64 v[158:159], -v[162:163], v[212:213], v[158:159]
	ds_read2_b64 v[210:213], v235 offset0:39 offset1:40
	;; [unrolled: 5-line block ×6, first 2 shown]
	s_waitcnt vmcnt(41) lgkmcnt(0)
	v_fma_f64 v[102:103], -v[162:163], v[210:211], v[102:103]
	s_waitcnt vmcnt(40)
	v_fma_f64 v[196:197], -v[162:163], v[212:213], v[196:197]
.LBB97_176:
	s_or_b64 exec, exec, s[2:3]
	v_cmp_eq_u32_e32 vcc, 35, v236
	s_waitcnt lgkmcnt(0)
	s_barrier
	s_and_saveexec_b64 s[2:3], vcc
	s_cbranch_execz .LBB97_179
; %bb.177:
	s_waitcnt vmcnt(52)
	v_mov_b32_e32 v2, v160
	v_mov_b32_e32 v3, v161
	s_waitcnt vmcnt(51)
	v_mov_b32_e32 v4, v112
	v_mov_b32_e32 v5, v113
	ds_write_b64 v234, v[114:115]
	ds_write2_b64 v235, v[2:3], v[4:5] offset0:36 offset1:37
	s_waitcnt vmcnt(50)
	v_mov_b32_e32 v2, v158
	v_mov_b32_e32 v3, v159
	s_waitcnt vmcnt(49)
	v_mov_b32_e32 v4, v110
	v_mov_b32_e32 v5, v111
	ds_write2_b64 v235, v[2:3], v[4:5] offset0:38 offset1:39
	s_waitcnt vmcnt(48)
	v_mov_b32_e32 v2, v156
	v_mov_b32_e32 v3, v157
	s_waitcnt vmcnt(47)
	v_mov_b32_e32 v4, v108
	v_mov_b32_e32 v5, v109
	;; [unrolled: 7-line block ×5, first 2 shown]
	ds_write2_b64 v235, v[2:3], v[4:5] offset0:46 offset1:47
	s_waitcnt vmcnt(40)
	ds_write_b64 v235, v[196:197] offset:384
	ds_read_b64 v[2:3], v234
	s_waitcnt lgkmcnt(0)
	v_cmp_neq_f64_e32 vcc, 0, v[2:3]
	s_and_b64 exec, exec, vcc
	s_cbranch_execz .LBB97_179
; %bb.178:
	v_div_scale_f64 v[4:5], s[6:7], v[2:3], v[2:3], 1.0
	v_rcp_f64_e32 v[6:7], v[4:5]
	v_div_scale_f64 v[210:211], vcc, 1.0, v[2:3], 1.0
	v_fma_f64 v[212:213], -v[4:5], v[6:7], 1.0
	v_fmac_f64_e32 v[6:7], v[6:7], v[212:213]
	v_fma_f64 v[212:213], -v[4:5], v[6:7], 1.0
	v_fmac_f64_e32 v[6:7], v[6:7], v[212:213]
	v_mul_f64 v[212:213], v[210:211], v[6:7]
	v_fma_f64 v[4:5], -v[4:5], v[212:213], v[210:211]
	v_div_fmas_f64 v[4:5], v[4:5], v[6:7], v[212:213]
	v_div_fixup_f64 v[2:3], v[4:5], v[2:3], 1.0
	ds_write_b64 v234, v[2:3]
.LBB97_179:
	s_or_b64 exec, exec, s[2:3]
	s_waitcnt lgkmcnt(0)
	s_barrier
	ds_read_b64 v[210:211], v234
	v_cmp_lt_u32_e32 vcc, 35, v236
	s_and_saveexec_b64 s[2:3], vcc
	s_cbranch_execz .LBB97_181
; %bb.180:
	ds_read2_b64 v[212:215], v235 offset0:36 offset1:37
	ds_read_b64 v[2:3], v235 offset:384
	s_waitcnt vmcnt(53) lgkmcnt(2)
	v_mul_f64 v[114:115], v[210:211], v[114:115]
	s_waitcnt vmcnt(52) lgkmcnt(1)
	v_fma_f64 v[160:161], -v[114:115], v[212:213], v[160:161]
	s_waitcnt vmcnt(51)
	v_fma_f64 v[112:113], -v[114:115], v[214:215], v[112:113]
	ds_read2_b64 v[212:215], v235 offset0:38 offset1:39
	s_waitcnt vmcnt(40) lgkmcnt(1)
	v_fma_f64 v[196:197], -v[114:115], v[2:3], v[196:197]
	s_waitcnt lgkmcnt(0)
	v_fma_f64 v[158:159], -v[114:115], v[212:213], v[158:159]
	v_fma_f64 v[110:111], -v[114:115], v[214:215], v[110:111]
	ds_read2_b64 v[212:215], v235 offset0:40 offset1:41
	s_waitcnt lgkmcnt(0)
	v_fma_f64 v[156:157], -v[114:115], v[212:213], v[156:157]
	v_fma_f64 v[108:109], -v[114:115], v[214:215], v[108:109]
	ds_read2_b64 v[212:215], v235 offset0:42 offset1:43
	;; [unrolled: 4-line block ×4, first 2 shown]
	s_waitcnt lgkmcnt(0)
	v_fma_f64 v[150:151], -v[114:115], v[212:213], v[150:151]
	v_fma_f64 v[102:103], -v[114:115], v[214:215], v[102:103]
.LBB97_181:
	s_or_b64 exec, exec, s[2:3]
	v_cmp_eq_u32_e32 vcc, 36, v236
	s_waitcnt lgkmcnt(0)
	s_barrier
	s_and_saveexec_b64 s[2:3], vcc
	s_cbranch_execz .LBB97_184
; %bb.182:
	s_waitcnt vmcnt(52)
	ds_write_b64 v234, v[160:161]
	s_waitcnt vmcnt(50)
	ds_write2_b64 v235, v[112:113], v[158:159] offset0:37 offset1:38
	s_waitcnt vmcnt(48)
	ds_write2_b64 v235, v[110:111], v[156:157] offset0:39 offset1:40
	;; [unrolled: 2-line block ×6, first 2 shown]
	ds_read_b64 v[2:3], v234
	s_waitcnt lgkmcnt(0)
	v_cmp_neq_f64_e32 vcc, 0, v[2:3]
	s_and_b64 exec, exec, vcc
	s_cbranch_execz .LBB97_184
; %bb.183:
	v_div_scale_f64 v[4:5], s[6:7], v[2:3], v[2:3], 1.0
	v_rcp_f64_e32 v[6:7], v[4:5]
	v_div_scale_f64 v[212:213], vcc, 1.0, v[2:3], 1.0
	v_fma_f64 v[214:215], -v[4:5], v[6:7], 1.0
	v_fmac_f64_e32 v[6:7], v[6:7], v[214:215]
	v_fma_f64 v[214:215], -v[4:5], v[6:7], 1.0
	v_fmac_f64_e32 v[6:7], v[6:7], v[214:215]
	v_mul_f64 v[214:215], v[212:213], v[6:7]
	v_fma_f64 v[4:5], -v[4:5], v[214:215], v[212:213]
	v_div_fmas_f64 v[4:5], v[4:5], v[6:7], v[214:215]
	v_div_fixup_f64 v[2:3], v[4:5], v[2:3], 1.0
	ds_write_b64 v234, v[2:3]
.LBB97_184:
	s_or_b64 exec, exec, s[2:3]
	s_waitcnt lgkmcnt(0)
	s_barrier
	ds_read_b64 v[212:213], v234
	v_cmp_lt_u32_e32 vcc, 36, v236
	s_and_saveexec_b64 s[2:3], vcc
	s_cbranch_execz .LBB97_186
; %bb.185:
	ds_read2_b64 v[214:217], v235 offset0:37 offset1:38
	s_waitcnt vmcnt(52) lgkmcnt(1)
	v_mul_f64 v[160:161], v[212:213], v[160:161]
	s_waitcnt vmcnt(51) lgkmcnt(0)
	v_fma_f64 v[112:113], -v[160:161], v[214:215], v[112:113]
	s_waitcnt vmcnt(50)
	v_fma_f64 v[158:159], -v[160:161], v[216:217], v[158:159]
	ds_read2_b64 v[214:217], v235 offset0:39 offset1:40
	s_waitcnt vmcnt(49) lgkmcnt(0)
	v_fma_f64 v[110:111], -v[160:161], v[214:215], v[110:111]
	s_waitcnt vmcnt(48)
	v_fma_f64 v[156:157], -v[160:161], v[216:217], v[156:157]
	ds_read2_b64 v[214:217], v235 offset0:41 offset1:42
	s_waitcnt vmcnt(47) lgkmcnt(0)
	v_fma_f64 v[108:109], -v[160:161], v[214:215], v[108:109]
	s_waitcnt vmcnt(46)
	v_fma_f64 v[154:155], -v[160:161], v[216:217], v[154:155]
	ds_read2_b64 v[214:217], v235 offset0:43 offset1:44
	s_waitcnt vmcnt(45) lgkmcnt(0)
	v_fma_f64 v[106:107], -v[160:161], v[214:215], v[106:107]
	s_waitcnt vmcnt(44)
	v_fma_f64 v[152:153], -v[160:161], v[216:217], v[152:153]
	ds_read2_b64 v[214:217], v235 offset0:45 offset1:46
	s_waitcnt vmcnt(43) lgkmcnt(0)
	v_fma_f64 v[104:105], -v[160:161], v[214:215], v[104:105]
	s_waitcnt vmcnt(42)
	v_fma_f64 v[150:151], -v[160:161], v[216:217], v[150:151]
	ds_read2_b64 v[214:217], v235 offset0:47 offset1:48
	s_waitcnt vmcnt(41) lgkmcnt(0)
	v_fma_f64 v[102:103], -v[160:161], v[214:215], v[102:103]
	s_waitcnt vmcnt(40)
	v_fma_f64 v[196:197], -v[160:161], v[216:217], v[196:197]
.LBB97_186:
	s_or_b64 exec, exec, s[2:3]
	v_cmp_eq_u32_e32 vcc, 37, v236
	s_waitcnt lgkmcnt(0)
	s_barrier
	s_and_saveexec_b64 s[2:3], vcc
	s_cbranch_execz .LBB97_189
; %bb.187:
	s_waitcnt vmcnt(50)
	v_mov_b32_e32 v2, v158
	v_mov_b32_e32 v3, v159
	s_waitcnt vmcnt(49)
	v_mov_b32_e32 v4, v110
	v_mov_b32_e32 v5, v111
	ds_write_b64 v234, v[112:113]
	ds_write2_b64 v235, v[2:3], v[4:5] offset0:38 offset1:39
	s_waitcnt vmcnt(48)
	v_mov_b32_e32 v2, v156
	v_mov_b32_e32 v3, v157
	s_waitcnt vmcnt(47)
	v_mov_b32_e32 v4, v108
	v_mov_b32_e32 v5, v109
	ds_write2_b64 v235, v[2:3], v[4:5] offset0:40 offset1:41
	s_waitcnt vmcnt(46)
	v_mov_b32_e32 v2, v154
	v_mov_b32_e32 v3, v155
	s_waitcnt vmcnt(45)
	v_mov_b32_e32 v4, v106
	v_mov_b32_e32 v5, v107
	;; [unrolled: 7-line block ×4, first 2 shown]
	ds_write2_b64 v235, v[2:3], v[4:5] offset0:46 offset1:47
	s_waitcnt vmcnt(40)
	ds_write_b64 v235, v[196:197] offset:384
	ds_read_b64 v[2:3], v234
	s_waitcnt lgkmcnt(0)
	v_cmp_neq_f64_e32 vcc, 0, v[2:3]
	s_and_b64 exec, exec, vcc
	s_cbranch_execz .LBB97_189
; %bb.188:
	v_div_scale_f64 v[4:5], s[6:7], v[2:3], v[2:3], 1.0
	v_rcp_f64_e32 v[6:7], v[4:5]
	v_div_scale_f64 v[214:215], vcc, 1.0, v[2:3], 1.0
	v_fma_f64 v[216:217], -v[4:5], v[6:7], 1.0
	v_fmac_f64_e32 v[6:7], v[6:7], v[216:217]
	v_fma_f64 v[216:217], -v[4:5], v[6:7], 1.0
	v_fmac_f64_e32 v[6:7], v[6:7], v[216:217]
	v_mul_f64 v[216:217], v[214:215], v[6:7]
	v_fma_f64 v[4:5], -v[4:5], v[216:217], v[214:215]
	v_div_fmas_f64 v[4:5], v[4:5], v[6:7], v[216:217]
	v_div_fixup_f64 v[2:3], v[4:5], v[2:3], 1.0
	ds_write_b64 v234, v[2:3]
.LBB97_189:
	s_or_b64 exec, exec, s[2:3]
	s_waitcnt lgkmcnt(0)
	s_barrier
	ds_read_b64 v[214:215], v234
	v_cmp_lt_u32_e32 vcc, 37, v236
	s_and_saveexec_b64 s[2:3], vcc
	s_cbranch_execz .LBB97_191
; %bb.190:
	ds_read2_b64 v[216:219], v235 offset0:38 offset1:39
	ds_read_b64 v[2:3], v235 offset:384
	s_waitcnt vmcnt(51) lgkmcnt(2)
	v_mul_f64 v[112:113], v[214:215], v[112:113]
	s_waitcnt vmcnt(50) lgkmcnt(1)
	v_fma_f64 v[158:159], -v[112:113], v[216:217], v[158:159]
	s_waitcnt vmcnt(49)
	v_fma_f64 v[110:111], -v[112:113], v[218:219], v[110:111]
	ds_read2_b64 v[216:219], v235 offset0:40 offset1:41
	s_waitcnt vmcnt(40) lgkmcnt(1)
	v_fma_f64 v[196:197], -v[112:113], v[2:3], v[196:197]
	s_waitcnt lgkmcnt(0)
	v_fma_f64 v[156:157], -v[112:113], v[216:217], v[156:157]
	v_fma_f64 v[108:109], -v[112:113], v[218:219], v[108:109]
	ds_read2_b64 v[216:219], v235 offset0:42 offset1:43
	s_waitcnt lgkmcnt(0)
	v_fma_f64 v[154:155], -v[112:113], v[216:217], v[154:155]
	v_fma_f64 v[106:107], -v[112:113], v[218:219], v[106:107]
	ds_read2_b64 v[216:219], v235 offset0:44 offset1:45
	;; [unrolled: 4-line block ×3, first 2 shown]
	s_waitcnt lgkmcnt(0)
	v_fma_f64 v[150:151], -v[112:113], v[216:217], v[150:151]
	v_fma_f64 v[102:103], -v[112:113], v[218:219], v[102:103]
.LBB97_191:
	s_or_b64 exec, exec, s[2:3]
	v_cmp_eq_u32_e32 vcc, 38, v236
	s_waitcnt lgkmcnt(0)
	s_barrier
	s_and_saveexec_b64 s[2:3], vcc
	s_cbranch_execz .LBB97_194
; %bb.192:
	s_waitcnt vmcnt(50)
	ds_write_b64 v234, v[158:159]
	s_waitcnt vmcnt(48)
	ds_write2_b64 v235, v[110:111], v[156:157] offset0:39 offset1:40
	s_waitcnt vmcnt(46)
	ds_write2_b64 v235, v[108:109], v[154:155] offset0:41 offset1:42
	;; [unrolled: 2-line block ×5, first 2 shown]
	ds_read_b64 v[2:3], v234
	s_waitcnt lgkmcnt(0)
	v_cmp_neq_f64_e32 vcc, 0, v[2:3]
	s_and_b64 exec, exec, vcc
	s_cbranch_execz .LBB97_194
; %bb.193:
	v_div_scale_f64 v[4:5], s[6:7], v[2:3], v[2:3], 1.0
	v_rcp_f64_e32 v[6:7], v[4:5]
	v_div_scale_f64 v[216:217], vcc, 1.0, v[2:3], 1.0
	v_fma_f64 v[218:219], -v[4:5], v[6:7], 1.0
	v_fmac_f64_e32 v[6:7], v[6:7], v[218:219]
	v_fma_f64 v[218:219], -v[4:5], v[6:7], 1.0
	v_fmac_f64_e32 v[6:7], v[6:7], v[218:219]
	v_mul_f64 v[218:219], v[216:217], v[6:7]
	v_fma_f64 v[4:5], -v[4:5], v[218:219], v[216:217]
	v_div_fmas_f64 v[4:5], v[4:5], v[6:7], v[218:219]
	v_div_fixup_f64 v[2:3], v[4:5], v[2:3], 1.0
	ds_write_b64 v234, v[2:3]
.LBB97_194:
	s_or_b64 exec, exec, s[2:3]
	s_waitcnt lgkmcnt(0)
	s_barrier
	ds_read_b64 v[216:217], v234
	v_cmp_lt_u32_e32 vcc, 38, v236
	s_and_saveexec_b64 s[2:3], vcc
	s_cbranch_execz .LBB97_196
; %bb.195:
	ds_read2_b64 v[218:221], v235 offset0:39 offset1:40
	s_waitcnt vmcnt(50) lgkmcnt(1)
	v_mul_f64 v[158:159], v[216:217], v[158:159]
	s_waitcnt vmcnt(49) lgkmcnt(0)
	v_fma_f64 v[110:111], -v[158:159], v[218:219], v[110:111]
	s_waitcnt vmcnt(48)
	v_fma_f64 v[156:157], -v[158:159], v[220:221], v[156:157]
	ds_read2_b64 v[218:221], v235 offset0:41 offset1:42
	s_waitcnt vmcnt(47) lgkmcnt(0)
	v_fma_f64 v[108:109], -v[158:159], v[218:219], v[108:109]
	s_waitcnt vmcnt(46)
	v_fma_f64 v[154:155], -v[158:159], v[220:221], v[154:155]
	ds_read2_b64 v[218:221], v235 offset0:43 offset1:44
	;; [unrolled: 5-line block ×4, first 2 shown]
	s_waitcnt vmcnt(41) lgkmcnt(0)
	v_fma_f64 v[102:103], -v[158:159], v[218:219], v[102:103]
	s_waitcnt vmcnt(40)
	v_fma_f64 v[196:197], -v[158:159], v[220:221], v[196:197]
.LBB97_196:
	s_or_b64 exec, exec, s[2:3]
	v_cmp_eq_u32_e32 vcc, 39, v236
	s_waitcnt lgkmcnt(0)
	s_barrier
	s_and_saveexec_b64 s[2:3], vcc
	s_cbranch_execz .LBB97_199
; %bb.197:
	s_waitcnt vmcnt(48)
	v_mov_b32_e32 v2, v156
	v_mov_b32_e32 v3, v157
	s_waitcnt vmcnt(47)
	v_mov_b32_e32 v4, v108
	v_mov_b32_e32 v5, v109
	ds_write_b64 v234, v[110:111]
	ds_write2_b64 v235, v[2:3], v[4:5] offset0:40 offset1:41
	s_waitcnt vmcnt(46)
	v_mov_b32_e32 v2, v154
	v_mov_b32_e32 v3, v155
	s_waitcnt vmcnt(45)
	v_mov_b32_e32 v4, v106
	v_mov_b32_e32 v5, v107
	ds_write2_b64 v235, v[2:3], v[4:5] offset0:42 offset1:43
	s_waitcnt vmcnt(44)
	v_mov_b32_e32 v2, v152
	v_mov_b32_e32 v3, v153
	s_waitcnt vmcnt(43)
	v_mov_b32_e32 v4, v104
	v_mov_b32_e32 v5, v105
	;; [unrolled: 7-line block ×3, first 2 shown]
	ds_write2_b64 v235, v[2:3], v[4:5] offset0:46 offset1:47
	s_waitcnt vmcnt(40)
	ds_write_b64 v235, v[196:197] offset:384
	ds_read_b64 v[2:3], v234
	s_waitcnt lgkmcnt(0)
	v_cmp_neq_f64_e32 vcc, 0, v[2:3]
	s_and_b64 exec, exec, vcc
	s_cbranch_execz .LBB97_199
; %bb.198:
	v_div_scale_f64 v[4:5], s[6:7], v[2:3], v[2:3], 1.0
	v_rcp_f64_e32 v[6:7], v[4:5]
	v_div_scale_f64 v[218:219], vcc, 1.0, v[2:3], 1.0
	v_fma_f64 v[220:221], -v[4:5], v[6:7], 1.0
	v_fmac_f64_e32 v[6:7], v[6:7], v[220:221]
	v_fma_f64 v[220:221], -v[4:5], v[6:7], 1.0
	v_fmac_f64_e32 v[6:7], v[6:7], v[220:221]
	v_mul_f64 v[220:221], v[218:219], v[6:7]
	v_fma_f64 v[4:5], -v[4:5], v[220:221], v[218:219]
	v_div_fmas_f64 v[4:5], v[4:5], v[6:7], v[220:221]
	v_div_fixup_f64 v[2:3], v[4:5], v[2:3], 1.0
	ds_write_b64 v234, v[2:3]
.LBB97_199:
	s_or_b64 exec, exec, s[2:3]
	s_waitcnt lgkmcnt(0)
	s_barrier
	ds_read_b64 v[218:219], v234
	v_cmp_lt_u32_e32 vcc, 39, v236
	s_and_saveexec_b64 s[2:3], vcc
	s_cbranch_execz .LBB97_201
; %bb.200:
	ds_read2_b64 v[220:223], v235 offset0:40 offset1:41
	ds_read_b64 v[2:3], v235 offset:384
	s_waitcnt vmcnt(49) lgkmcnt(2)
	v_mul_f64 v[110:111], v[218:219], v[110:111]
	s_waitcnt vmcnt(48) lgkmcnt(1)
	v_fma_f64 v[156:157], -v[110:111], v[220:221], v[156:157]
	s_waitcnt vmcnt(47)
	v_fma_f64 v[108:109], -v[110:111], v[222:223], v[108:109]
	ds_read2_b64 v[220:223], v235 offset0:42 offset1:43
	s_waitcnt vmcnt(40) lgkmcnt(1)
	v_fma_f64 v[196:197], -v[110:111], v[2:3], v[196:197]
	s_waitcnt lgkmcnt(0)
	v_fma_f64 v[154:155], -v[110:111], v[220:221], v[154:155]
	v_fma_f64 v[106:107], -v[110:111], v[222:223], v[106:107]
	ds_read2_b64 v[220:223], v235 offset0:44 offset1:45
	s_waitcnt lgkmcnt(0)
	v_fma_f64 v[152:153], -v[110:111], v[220:221], v[152:153]
	v_fma_f64 v[104:105], -v[110:111], v[222:223], v[104:105]
	ds_read2_b64 v[220:223], v235 offset0:46 offset1:47
	s_waitcnt lgkmcnt(0)
	v_fma_f64 v[150:151], -v[110:111], v[220:221], v[150:151]
	v_fma_f64 v[102:103], -v[110:111], v[222:223], v[102:103]
.LBB97_201:
	s_or_b64 exec, exec, s[2:3]
	v_cmp_eq_u32_e32 vcc, 40, v236
	s_waitcnt lgkmcnt(0)
	s_barrier
	s_and_saveexec_b64 s[2:3], vcc
	s_cbranch_execz .LBB97_204
; %bb.202:
	s_waitcnt vmcnt(48)
	ds_write_b64 v234, v[156:157]
	s_waitcnt vmcnt(46)
	ds_write2_b64 v235, v[108:109], v[154:155] offset0:41 offset1:42
	s_waitcnt vmcnt(44)
	ds_write2_b64 v235, v[106:107], v[152:153] offset0:43 offset1:44
	;; [unrolled: 2-line block ×4, first 2 shown]
	ds_read_b64 v[2:3], v234
	s_waitcnt lgkmcnt(0)
	v_cmp_neq_f64_e32 vcc, 0, v[2:3]
	s_and_b64 exec, exec, vcc
	s_cbranch_execz .LBB97_204
; %bb.203:
	v_div_scale_f64 v[4:5], s[6:7], v[2:3], v[2:3], 1.0
	v_rcp_f64_e32 v[6:7], v[4:5]
	v_div_scale_f64 v[220:221], vcc, 1.0, v[2:3], 1.0
	v_fma_f64 v[222:223], -v[4:5], v[6:7], 1.0
	v_fmac_f64_e32 v[6:7], v[6:7], v[222:223]
	v_fma_f64 v[222:223], -v[4:5], v[6:7], 1.0
	v_fmac_f64_e32 v[6:7], v[6:7], v[222:223]
	v_mul_f64 v[222:223], v[220:221], v[6:7]
	v_fma_f64 v[4:5], -v[4:5], v[222:223], v[220:221]
	v_div_fmas_f64 v[4:5], v[4:5], v[6:7], v[222:223]
	v_div_fixup_f64 v[2:3], v[4:5], v[2:3], 1.0
	ds_write_b64 v234, v[2:3]
.LBB97_204:
	s_or_b64 exec, exec, s[2:3]
	s_waitcnt lgkmcnt(0)
	s_barrier
	ds_read_b64 v[220:221], v234
	v_cmp_lt_u32_e32 vcc, 40, v236
	s_and_saveexec_b64 s[2:3], vcc
	s_cbranch_execz .LBB97_206
; %bb.205:
	ds_read2_b64 v[222:225], v235 offset0:41 offset1:42
	s_waitcnt vmcnt(48) lgkmcnt(1)
	v_mul_f64 v[156:157], v[220:221], v[156:157]
	s_waitcnt vmcnt(47) lgkmcnt(0)
	v_fma_f64 v[108:109], -v[156:157], v[222:223], v[108:109]
	s_waitcnt vmcnt(46)
	v_fma_f64 v[154:155], -v[156:157], v[224:225], v[154:155]
	ds_read2_b64 v[222:225], v235 offset0:43 offset1:44
	s_waitcnt vmcnt(45) lgkmcnt(0)
	v_fma_f64 v[106:107], -v[156:157], v[222:223], v[106:107]
	s_waitcnt vmcnt(44)
	v_fma_f64 v[152:153], -v[156:157], v[224:225], v[152:153]
	ds_read2_b64 v[222:225], v235 offset0:45 offset1:46
	;; [unrolled: 5-line block ×3, first 2 shown]
	s_waitcnt vmcnt(41) lgkmcnt(0)
	v_fma_f64 v[102:103], -v[156:157], v[222:223], v[102:103]
	s_waitcnt vmcnt(40)
	v_fma_f64 v[196:197], -v[156:157], v[224:225], v[196:197]
.LBB97_206:
	s_or_b64 exec, exec, s[2:3]
	v_cmp_eq_u32_e32 vcc, 41, v236
	s_waitcnt lgkmcnt(0)
	s_barrier
	s_and_saveexec_b64 s[2:3], vcc
	s_cbranch_execz .LBB97_209
; %bb.207:
	s_waitcnt vmcnt(46)
	v_mov_b32_e32 v2, v154
	v_mov_b32_e32 v3, v155
	s_waitcnt vmcnt(45)
	v_mov_b32_e32 v4, v106
	v_mov_b32_e32 v5, v107
	ds_write_b64 v234, v[108:109]
	ds_write2_b64 v235, v[2:3], v[4:5] offset0:42 offset1:43
	s_waitcnt vmcnt(44)
	v_mov_b32_e32 v2, v152
	v_mov_b32_e32 v3, v153
	s_waitcnt vmcnt(43)
	v_mov_b32_e32 v4, v104
	v_mov_b32_e32 v5, v105
	ds_write2_b64 v235, v[2:3], v[4:5] offset0:44 offset1:45
	s_waitcnt vmcnt(42)
	v_mov_b32_e32 v2, v150
	v_mov_b32_e32 v3, v151
	s_waitcnt vmcnt(41)
	v_mov_b32_e32 v4, v102
	v_mov_b32_e32 v5, v103
	ds_write2_b64 v235, v[2:3], v[4:5] offset0:46 offset1:47
	s_waitcnt vmcnt(40)
	ds_write_b64 v235, v[196:197] offset:384
	ds_read_b64 v[2:3], v234
	s_waitcnt lgkmcnt(0)
	v_cmp_neq_f64_e32 vcc, 0, v[2:3]
	s_and_b64 exec, exec, vcc
	s_cbranch_execz .LBB97_209
; %bb.208:
	v_div_scale_f64 v[4:5], s[6:7], v[2:3], v[2:3], 1.0
	v_rcp_f64_e32 v[6:7], v[4:5]
	v_div_scale_f64 v[222:223], vcc, 1.0, v[2:3], 1.0
	v_fma_f64 v[224:225], -v[4:5], v[6:7], 1.0
	v_fmac_f64_e32 v[6:7], v[6:7], v[224:225]
	v_fma_f64 v[224:225], -v[4:5], v[6:7], 1.0
	v_fmac_f64_e32 v[6:7], v[6:7], v[224:225]
	v_mul_f64 v[224:225], v[222:223], v[6:7]
	v_fma_f64 v[4:5], -v[4:5], v[224:225], v[222:223]
	v_div_fmas_f64 v[4:5], v[4:5], v[6:7], v[224:225]
	v_div_fixup_f64 v[2:3], v[4:5], v[2:3], 1.0
	ds_write_b64 v234, v[2:3]
.LBB97_209:
	s_or_b64 exec, exec, s[2:3]
	s_waitcnt lgkmcnt(0)
	s_barrier
	ds_read_b64 v[222:223], v234
	v_cmp_lt_u32_e32 vcc, 41, v236
	s_and_saveexec_b64 s[2:3], vcc
	s_cbranch_execz .LBB97_211
; %bb.210:
	ds_read2_b64 v[224:227], v235 offset0:42 offset1:43
	ds_read_b64 v[2:3], v235 offset:384
	s_waitcnt vmcnt(47) lgkmcnt(2)
	v_mul_f64 v[108:109], v[222:223], v[108:109]
	s_waitcnt vmcnt(46) lgkmcnt(1)
	v_fma_f64 v[154:155], -v[108:109], v[224:225], v[154:155]
	s_waitcnt vmcnt(45)
	v_fma_f64 v[106:107], -v[108:109], v[226:227], v[106:107]
	ds_read2_b64 v[224:227], v235 offset0:44 offset1:45
	s_waitcnt vmcnt(40) lgkmcnt(1)
	v_fma_f64 v[196:197], -v[108:109], v[2:3], v[196:197]
	s_waitcnt lgkmcnt(0)
	v_fma_f64 v[152:153], -v[108:109], v[224:225], v[152:153]
	v_fma_f64 v[104:105], -v[108:109], v[226:227], v[104:105]
	ds_read2_b64 v[224:227], v235 offset0:46 offset1:47
	s_waitcnt lgkmcnt(0)
	v_fma_f64 v[150:151], -v[108:109], v[224:225], v[150:151]
	v_fma_f64 v[102:103], -v[108:109], v[226:227], v[102:103]
.LBB97_211:
	s_or_b64 exec, exec, s[2:3]
	v_cmp_eq_u32_e32 vcc, 42, v236
	s_waitcnt lgkmcnt(0)
	s_barrier
	s_and_saveexec_b64 s[2:3], vcc
	s_cbranch_execz .LBB97_214
; %bb.212:
	s_waitcnt vmcnt(46)
	ds_write_b64 v234, v[154:155]
	s_waitcnt vmcnt(44)
	ds_write2_b64 v235, v[106:107], v[152:153] offset0:43 offset1:44
	s_waitcnt vmcnt(42)
	ds_write2_b64 v235, v[104:105], v[150:151] offset0:45 offset1:46
	;; [unrolled: 2-line block ×3, first 2 shown]
	ds_read_b64 v[2:3], v234
	s_waitcnt lgkmcnt(0)
	v_cmp_neq_f64_e32 vcc, 0, v[2:3]
	s_and_b64 exec, exec, vcc
	s_cbranch_execz .LBB97_214
; %bb.213:
	v_div_scale_f64 v[4:5], s[6:7], v[2:3], v[2:3], 1.0
	v_rcp_f64_e32 v[6:7], v[4:5]
	v_div_scale_f64 v[224:225], vcc, 1.0, v[2:3], 1.0
	v_fma_f64 v[226:227], -v[4:5], v[6:7], 1.0
	v_fmac_f64_e32 v[6:7], v[6:7], v[226:227]
	v_fma_f64 v[226:227], -v[4:5], v[6:7], 1.0
	v_fmac_f64_e32 v[6:7], v[6:7], v[226:227]
	v_mul_f64 v[226:227], v[224:225], v[6:7]
	v_fma_f64 v[4:5], -v[4:5], v[226:227], v[224:225]
	v_div_fmas_f64 v[4:5], v[4:5], v[6:7], v[226:227]
	v_div_fixup_f64 v[2:3], v[4:5], v[2:3], 1.0
	ds_write_b64 v234, v[2:3]
.LBB97_214:
	s_or_b64 exec, exec, s[2:3]
	s_waitcnt lgkmcnt(0)
	s_barrier
	ds_read_b64 v[224:225], v234
	v_cmp_lt_u32_e32 vcc, 42, v236
	s_and_saveexec_b64 s[2:3], vcc
	s_cbranch_execz .LBB97_216
; %bb.215:
	ds_read2_b64 v[226:229], v235 offset0:43 offset1:44
	s_waitcnt vmcnt(46) lgkmcnt(1)
	v_mul_f64 v[154:155], v[224:225], v[154:155]
	s_waitcnt vmcnt(45) lgkmcnt(0)
	v_fma_f64 v[106:107], -v[154:155], v[226:227], v[106:107]
	s_waitcnt vmcnt(44)
	v_fma_f64 v[152:153], -v[154:155], v[228:229], v[152:153]
	ds_read2_b64 v[226:229], v235 offset0:45 offset1:46
	s_waitcnt vmcnt(43) lgkmcnt(0)
	v_fma_f64 v[104:105], -v[154:155], v[226:227], v[104:105]
	s_waitcnt vmcnt(42)
	v_fma_f64 v[150:151], -v[154:155], v[228:229], v[150:151]
	ds_read2_b64 v[226:229], v235 offset0:47 offset1:48
	s_waitcnt vmcnt(41) lgkmcnt(0)
	v_fma_f64 v[102:103], -v[154:155], v[226:227], v[102:103]
	s_waitcnt vmcnt(40)
	v_fma_f64 v[196:197], -v[154:155], v[228:229], v[196:197]
.LBB97_216:
	s_or_b64 exec, exec, s[2:3]
	v_cmp_eq_u32_e32 vcc, 43, v236
	s_waitcnt lgkmcnt(0)
	s_barrier
	s_and_saveexec_b64 s[2:3], vcc
	s_cbranch_execz .LBB97_219
; %bb.217:
	s_waitcnt vmcnt(44)
	v_mov_b32_e32 v2, v152
	v_mov_b32_e32 v3, v153
	s_waitcnt vmcnt(43)
	v_mov_b32_e32 v4, v104
	v_mov_b32_e32 v5, v105
	ds_write_b64 v234, v[106:107]
	ds_write2_b64 v235, v[2:3], v[4:5] offset0:44 offset1:45
	s_waitcnt vmcnt(42)
	v_mov_b32_e32 v2, v150
	v_mov_b32_e32 v3, v151
	s_waitcnt vmcnt(41)
	v_mov_b32_e32 v4, v102
	v_mov_b32_e32 v5, v103
	ds_write2_b64 v235, v[2:3], v[4:5] offset0:46 offset1:47
	s_waitcnt vmcnt(40)
	ds_write_b64 v235, v[196:197] offset:384
	ds_read_b64 v[2:3], v234
	s_waitcnt lgkmcnt(0)
	v_cmp_neq_f64_e32 vcc, 0, v[2:3]
	s_and_b64 exec, exec, vcc
	s_cbranch_execz .LBB97_219
; %bb.218:
	v_div_scale_f64 v[4:5], s[6:7], v[2:3], v[2:3], 1.0
	v_rcp_f64_e32 v[6:7], v[4:5]
	v_div_scale_f64 v[226:227], vcc, 1.0, v[2:3], 1.0
	v_fma_f64 v[228:229], -v[4:5], v[6:7], 1.0
	v_fmac_f64_e32 v[6:7], v[6:7], v[228:229]
	v_fma_f64 v[228:229], -v[4:5], v[6:7], 1.0
	v_fmac_f64_e32 v[6:7], v[6:7], v[228:229]
	v_mul_f64 v[228:229], v[226:227], v[6:7]
	v_fma_f64 v[4:5], -v[4:5], v[228:229], v[226:227]
	v_div_fmas_f64 v[4:5], v[4:5], v[6:7], v[228:229]
	v_div_fixup_f64 v[2:3], v[4:5], v[2:3], 1.0
	ds_write_b64 v234, v[2:3]
.LBB97_219:
	s_or_b64 exec, exec, s[2:3]
	s_waitcnt lgkmcnt(0)
	s_barrier
	ds_read_b64 v[226:227], v234
	v_cmp_lt_u32_e32 vcc, 43, v236
	s_and_saveexec_b64 s[2:3], vcc
	s_cbranch_execz .LBB97_221
; %bb.220:
	ds_read2_b64 v[228:231], v235 offset0:44 offset1:45
	ds_read_b64 v[2:3], v235 offset:384
	s_waitcnt vmcnt(45) lgkmcnt(2)
	v_mul_f64 v[106:107], v[226:227], v[106:107]
	s_waitcnt vmcnt(44) lgkmcnt(1)
	v_fma_f64 v[152:153], -v[106:107], v[228:229], v[152:153]
	s_waitcnt vmcnt(43)
	v_fma_f64 v[104:105], -v[106:107], v[230:231], v[104:105]
	ds_read2_b64 v[228:231], v235 offset0:46 offset1:47
	s_waitcnt vmcnt(40) lgkmcnt(1)
	v_fma_f64 v[196:197], -v[106:107], v[2:3], v[196:197]
	s_waitcnt lgkmcnt(0)
	v_fma_f64 v[150:151], -v[106:107], v[228:229], v[150:151]
	v_fma_f64 v[102:103], -v[106:107], v[230:231], v[102:103]
.LBB97_221:
	s_or_b64 exec, exec, s[2:3]
	v_cmp_eq_u32_e32 vcc, 44, v236
	s_waitcnt lgkmcnt(0)
	s_barrier
	s_and_saveexec_b64 s[2:3], vcc
	s_cbranch_execz .LBB97_224
; %bb.222:
	s_waitcnt vmcnt(44)
	ds_write_b64 v234, v[152:153]
	s_waitcnt vmcnt(42)
	ds_write2_b64 v235, v[104:105], v[150:151] offset0:45 offset1:46
	s_waitcnt vmcnt(40)
	ds_write2_b64 v235, v[102:103], v[196:197] offset0:47 offset1:48
	ds_read_b64 v[2:3], v234
	s_waitcnt lgkmcnt(0)
	v_cmp_neq_f64_e32 vcc, 0, v[2:3]
	s_and_b64 exec, exec, vcc
	s_cbranch_execz .LBB97_224
; %bb.223:
	v_div_scale_f64 v[4:5], s[6:7], v[2:3], v[2:3], 1.0
	v_rcp_f64_e32 v[6:7], v[4:5]
	v_div_scale_f64 v[228:229], vcc, 1.0, v[2:3], 1.0
	v_fma_f64 v[230:231], -v[4:5], v[6:7], 1.0
	v_fmac_f64_e32 v[6:7], v[6:7], v[230:231]
	v_fma_f64 v[230:231], -v[4:5], v[6:7], 1.0
	v_fmac_f64_e32 v[6:7], v[6:7], v[230:231]
	v_mul_f64 v[230:231], v[228:229], v[6:7]
	v_fma_f64 v[4:5], -v[4:5], v[230:231], v[228:229]
	v_div_fmas_f64 v[4:5], v[4:5], v[6:7], v[230:231]
	v_div_fixup_f64 v[2:3], v[4:5], v[2:3], 1.0
	ds_write_b64 v234, v[2:3]
.LBB97_224:
	s_or_b64 exec, exec, s[2:3]
	s_waitcnt lgkmcnt(0)
	s_barrier
	ds_read_b64 v[2:3], v234
	v_cmp_lt_u32_e32 vcc, 44, v236
	s_and_saveexec_b64 s[2:3], vcc
	s_cbranch_execz .LBB97_226
; %bb.225:
	ds_read2_b64 v[228:231], v235 offset0:45 offset1:46
	s_waitcnt vmcnt(44) lgkmcnt(1)
	v_mul_f64 v[152:153], v[2:3], v[152:153]
	s_waitcnt vmcnt(43) lgkmcnt(0)
	v_fma_f64 v[104:105], -v[152:153], v[228:229], v[104:105]
	s_waitcnt vmcnt(42)
	v_fma_f64 v[150:151], -v[152:153], v[230:231], v[150:151]
	ds_read2_b64 v[228:231], v235 offset0:47 offset1:48
	s_waitcnt vmcnt(41) lgkmcnt(0)
	v_fma_f64 v[102:103], -v[152:153], v[228:229], v[102:103]
	s_waitcnt vmcnt(40)
	v_fma_f64 v[196:197], -v[152:153], v[230:231], v[196:197]
.LBB97_226:
	s_or_b64 exec, exec, s[2:3]
	v_cmp_eq_u32_e32 vcc, 45, v236
	s_waitcnt lgkmcnt(0)
	s_barrier
	s_and_saveexec_b64 s[2:3], vcc
	s_cbranch_execz .LBB97_229
; %bb.227:
	s_waitcnt vmcnt(42)
	v_mov_b32_e32 v4, v150
	v_mov_b32_e32 v5, v151
	s_waitcnt vmcnt(41)
	v_mov_b32_e32 v6, v102
	v_mov_b32_e32 v7, v103
	ds_write_b64 v234, v[104:105]
	ds_write2_b64 v235, v[4:5], v[6:7] offset0:46 offset1:47
	s_waitcnt vmcnt(40)
	ds_write_b64 v235, v[196:197] offset:384
	ds_read_b64 v[228:229], v234
	s_waitcnt lgkmcnt(0)
	v_cmp_neq_f64_e32 vcc, 0, v[228:229]
	s_and_b64 exec, exec, vcc
	s_cbranch_execz .LBB97_229
; %bb.228:
	v_div_scale_f64 v[4:5], s[6:7], v[228:229], v[228:229], 1.0
	v_rcp_f64_e32 v[6:7], v[4:5]
	v_div_scale_f64 v[230:231], vcc, 1.0, v[228:229], 1.0
	v_fma_f64 v[232:233], -v[4:5], v[6:7], 1.0
	v_fmac_f64_e32 v[6:7], v[6:7], v[232:233]
	v_fma_f64 v[232:233], -v[4:5], v[6:7], 1.0
	v_fmac_f64_e32 v[6:7], v[6:7], v[232:233]
	v_mul_f64 v[232:233], v[230:231], v[6:7]
	v_fma_f64 v[4:5], -v[4:5], v[232:233], v[230:231]
	v_div_fmas_f64 v[4:5], v[4:5], v[6:7], v[232:233]
	v_div_fixup_f64 v[4:5], v[4:5], v[228:229], 1.0
	ds_write_b64 v234, v[4:5]
.LBB97_229:
	s_or_b64 exec, exec, s[2:3]
	s_waitcnt lgkmcnt(0)
	s_barrier
	ds_read_b64 v[228:229], v234
	v_cmp_lt_u32_e32 vcc, 45, v236
	s_and_saveexec_b64 s[2:3], vcc
	s_cbranch_execz .LBB97_231
; %bb.230:
	ds_read2_b64 v[230:233], v235 offset0:46 offset1:47
	ds_read_b64 v[4:5], v235 offset:384
	s_waitcnt vmcnt(43) lgkmcnt(2)
	v_mul_f64 v[104:105], v[228:229], v[104:105]
	s_waitcnt vmcnt(42) lgkmcnt(1)
	v_fma_f64 v[150:151], -v[104:105], v[230:231], v[150:151]
	s_waitcnt vmcnt(41)
	v_fma_f64 v[102:103], -v[104:105], v[232:233], v[102:103]
	s_waitcnt vmcnt(40) lgkmcnt(0)
	v_fma_f64 v[196:197], -v[104:105], v[4:5], v[196:197]
.LBB97_231:
	s_or_b64 exec, exec, s[2:3]
	v_cmp_eq_u32_e32 vcc, 46, v236
	s_waitcnt lgkmcnt(0)
	s_barrier
	s_and_saveexec_b64 s[2:3], vcc
	s_cbranch_execz .LBB97_234
; %bb.232:
	s_waitcnt vmcnt(42)
	ds_write_b64 v234, v[150:151]
	s_waitcnt vmcnt(40)
	ds_write2_b64 v235, v[102:103], v[196:197] offset0:47 offset1:48
	ds_read_b64 v[230:231], v234
	s_waitcnt lgkmcnt(0)
	v_cmp_neq_f64_e32 vcc, 0, v[230:231]
	s_and_b64 exec, exec, vcc
	s_cbranch_execz .LBB97_234
; %bb.233:
	v_div_scale_f64 v[4:5], s[6:7], v[230:231], v[230:231], 1.0
	v_rcp_f64_e32 v[6:7], v[4:5]
	v_pk_mov_b32 v[0:1], v[238:239], v[238:239] op_sel:[0,1]
	v_div_scale_f64 v[232:233], vcc, 1.0, v[230:231], 1.0
	v_fma_f64 v[238:239], -v[4:5], v[6:7], 1.0
	v_fmac_f64_e32 v[6:7], v[6:7], v[238:239]
	v_fma_f64 v[238:239], -v[4:5], v[6:7], 1.0
	v_fmac_f64_e32 v[6:7], v[6:7], v[238:239]
	v_mul_f64 v[238:239], v[232:233], v[6:7]
	v_fma_f64 v[4:5], -v[4:5], v[238:239], v[232:233]
	v_div_fmas_f64 v[4:5], v[4:5], v[6:7], v[238:239]
	v_pk_mov_b32 v[238:239], v[0:1], v[0:1] op_sel:[0,1]
	v_div_fixup_f64 v[4:5], v[4:5], v[230:231], 1.0
	ds_write_b64 v234, v[4:5]
.LBB97_234:
	s_or_b64 exec, exec, s[2:3]
	s_waitcnt lgkmcnt(0)
	s_barrier
	ds_read_b64 v[230:231], v234
	v_cmp_lt_u32_e32 vcc, 46, v236
	s_and_saveexec_b64 s[2:3], vcc
	s_cbranch_execz .LBB97_236
; %bb.235:
	ds_read2_b64 v[4:7], v235 offset0:47 offset1:48
	s_waitcnt vmcnt(42) lgkmcnt(1)
	v_mul_f64 v[150:151], v[230:231], v[150:151]
	s_waitcnt vmcnt(41) lgkmcnt(0)
	v_fma_f64 v[102:103], -v[150:151], v[4:5], v[102:103]
	s_waitcnt vmcnt(40)
	v_fma_f64 v[196:197], -v[150:151], v[6:7], v[196:197]
.LBB97_236:
	s_or_b64 exec, exec, s[2:3]
	v_cmp_eq_u32_e32 vcc, 47, v236
	s_waitcnt lgkmcnt(0)
	s_barrier
	s_and_saveexec_b64 s[2:3], vcc
	s_cbranch_execz .LBB97_239
; %bb.237:
	s_waitcnt vmcnt(41)
	ds_write_b64 v234, v[102:103]
	s_waitcnt vmcnt(40)
	ds_write_b64 v235, v[196:197] offset:384
	ds_read_b64 v[232:233], v234
	s_waitcnt lgkmcnt(0)
	v_cmp_neq_f64_e32 vcc, 0, v[232:233]
	s_and_b64 exec, exec, vcc
	s_cbranch_execz .LBB97_239
; %bb.238:
	v_div_scale_f64 v[4:5], s[6:7], v[232:233], v[232:233], 1.0
	v_rcp_f64_e32 v[6:7], v[4:5]
	buffer_store_dword v236, off, s[16:19], 0 offset:192 ; 4-byte Folded Spill
	v_pk_mov_b32 v[236:237], v[132:133], v[132:133] op_sel:[0,1]
	v_pk_mov_b32 v[132:133], v[180:181], v[180:181] op_sel:[0,1]
	v_fma_f64 v[0:1], -v[4:5], v[6:7], 1.0
	v_fmac_f64_e32 v[6:7], v[6:7], v[0:1]
	v_fma_f64 v[0:1], -v[4:5], v[6:7], 1.0
	v_pk_mov_b32 v[180:181], v[134:135], v[134:135] op_sel:[0,1]
	v_pk_mov_b32 v[134:135], v[182:183], v[182:183] op_sel:[0,1]
	;; [unrolled: 1-line block ×85, first 2 shown]
	v_div_scale_f64 v[238:239], vcc, 1.0, v[232:233], 1.0
	v_fmac_f64_e32 v[6:7], v[6:7], v[0:1]
	v_mul_f64 v[0:1], v[238:239], v[6:7]
	v_fma_f64 v[4:5], -v[4:5], v[0:1], v[238:239]
	v_pk_mov_b32 v[238:239], v[8:9], v[8:9] op_sel:[0,1]
	v_pk_mov_b32 v[8:9], v[10:11], v[10:11] op_sel:[0,1]
	;; [unrolled: 1-line block ×87, first 2 shown]
	buffer_load_dword v236, off, s[16:19], 0 offset:192 ; 4-byte Folded Reload
	v_div_fmas_f64 v[0:1], v[4:5], v[6:7], v[0:1]
	v_div_fixup_f64 v[0:1], v[0:1], v[232:233], 1.0
	ds_write_b64 v234, v[0:1]
.LBB97_239:
	s_or_b64 exec, exec, s[2:3]
	s_waitcnt lgkmcnt(0)
	s_barrier
	ds_read_b64 v[232:233], v234
	s_waitcnt vmcnt(0)
	v_cmp_lt_u32_e32 vcc, 47, v236
	s_and_saveexec_b64 s[2:3], vcc
	s_cbranch_execz .LBB97_241
; %bb.240:
	ds_read_b64 v[0:1], v235 offset:384
	s_waitcnt lgkmcnt(1)
	v_mul_f64 v[102:103], v[232:233], v[102:103]
	s_waitcnt lgkmcnt(0)
	v_fma_f64 v[196:197], -v[102:103], v[0:1], v[196:197]
.LBB97_241:
	s_or_b64 exec, exec, s[2:3]
	v_cmp_eq_u32_e32 vcc, 48, v236
	s_waitcnt lgkmcnt(0)
	s_barrier
	s_and_saveexec_b64 s[2:3], vcc
	s_cbranch_execz .LBB97_244
; %bb.242:
	v_cmp_neq_f64_e32 vcc, 0, v[196:197]
	ds_write_b64 v234, v[196:197]
	s_and_b64 exec, exec, vcc
	s_cbranch_execz .LBB97_244
; %bb.243:
	v_div_scale_f64 v[0:1], s[6:7], v[196:197], v[196:197], 1.0
	v_rcp_f64_e32 v[4:5], v[0:1]
	v_mov_b32_e32 v235, v236
	v_pk_mov_b32 v[236:237], v[132:133], v[132:133] op_sel:[0,1]
	v_pk_mov_b32 v[132:133], v[180:181], v[180:181] op_sel:[0,1]
	;; [unrolled: 1-line block ×87, first 2 shown]
	v_fma_f64 v[238:239], -v[0:1], v[4:5], 1.0
	v_fmac_f64_e32 v[4:5], v[4:5], v[238:239]
	v_fma_f64 v[238:239], -v[0:1], v[4:5], 1.0
	v_div_scale_f64 v[6:7], vcc, 1.0, v[196:197], 1.0
	v_fmac_f64_e32 v[4:5], v[4:5], v[238:239]
	v_mul_f64 v[238:239], v[6:7], v[4:5]
	v_fma_f64 v[0:1], -v[0:1], v[238:239], v[6:7]
	s_nop 0
	v_div_fmas_f64 v[0:1], v[0:1], v[4:5], v[238:239]
	v_pk_mov_b32 v[238:239], v[8:9], v[8:9] op_sel:[0,1]
	v_pk_mov_b32 v[8:9], v[10:11], v[10:11] op_sel:[0,1]
	;; [unrolled: 1-line block ×87, first 2 shown]
	v_mov_b32_e32 v236, v235
	v_div_fixup_f64 v[0:1], v[0:1], v[196:197], 1.0
	ds_write_b64 v234, v[0:1]
.LBB97_244:
	s_or_b64 exec, exec, s[2:3]
	s_waitcnt lgkmcnt(0)
	s_barrier
	ds_read_b64 v[234:235], v234
	s_waitcnt lgkmcnt(0)
	s_barrier
	s_and_saveexec_b64 s[2:3], s[0:1]
	s_cbranch_execz .LBB97_247
; %bb.245:
	buffer_load_dword v4, off, s[16:19], 0 offset:24 ; 4-byte Folded Reload
	buffer_load_dword v5, off, s[16:19], 0 offset:28 ; 4-byte Folded Reload
	v_cmp_eq_f64_e32 vcc, 0, v[8:9]
	v_cmp_neq_f64_e64 s[0:1], 0, v[240:241]
	v_cndmask_b32_e64 v0, 0, 1, vcc
	s_or_b64 vcc, s[0:1], vcc
	v_cndmask_b32_e32 v0, 2, v0, vcc
	v_cmp_eq_f64_e32 vcc, 0, v[242:243]
	v_cmp_eq_u32_e64 s[0:1], 0, v0
	s_and_b64 s[0:1], vcc, s[0:1]
	v_cndmask_b32_e64 v0, v0, 3, s[0:1]
	v_cmp_eq_f64_e32 vcc, 0, v[244:245]
	v_cmp_eq_u32_e64 s[0:1], 0, v0
	s_and_b64 s[0:1], vcc, s[0:1]
	v_cndmask_b32_e64 v0, v0, 4, s[0:1]
	;; [unrolled: 4-line block ×7, first 2 shown]
	v_cmp_eq_u32_e64 s[0:1], 0, v0
	s_load_dwordx2 s[4:5], s[4:5], 0x28
	s_waitcnt vmcnt(0)
	v_cmp_eq_f64_e32 vcc, 0, v[4:5]
	buffer_load_dword v4, off, s[16:19], 0 offset:112 ; 4-byte Folded Reload
	buffer_load_dword v5, off, s[16:19], 0 offset:116 ; 4-byte Folded Reload
	s_and_b64 s[0:1], vcc, s[0:1]
	v_cndmask_b32_e64 v0, v0, 10, s[0:1]
	v_cmp_eq_u32_e64 s[0:1], 0, v0
	s_waitcnt vmcnt(0)
	v_cmp_eq_f64_e32 vcc, 0, v[4:5]
	buffer_load_dword v4, off, s[16:19], 0 offset:32 ; 4-byte Folded Reload
	buffer_load_dword v5, off, s[16:19], 0 offset:36 ; 4-byte Folded Reload
	s_and_b64 s[0:1], vcc, s[0:1]
	v_cndmask_b32_e64 v0, v0, 11, s[0:1]
	v_cmp_eq_u32_e64 s[0:1], 0, v0
	;; [unrolled: 7-line block ×19, first 2 shown]
	s_waitcnt vmcnt(0)
	v_cmp_eq_f64_e32 vcc, 0, v[4:5]
	s_and_b64 s[0:1], vcc, s[0:1]
	v_cndmask_b32_e64 v4, v0, 29, s[0:1]
	buffer_load_dword v0, off, s[16:19], 0 offset:104 ; 4-byte Folded Reload
	buffer_load_dword v1, off, s[16:19], 0 offset:108 ; 4-byte Folded Reload
	v_cmp_eq_f64_e32 vcc, 0, v[198:199]
	s_waitcnt lgkmcnt(0)
	v_mov_b32_e32 v5, s5
	s_waitcnt vmcnt(0)
	v_lshlrev_b64 v[0:1], 2, v[0:1]
	v_add_co_u32_e64 v198, s[0:1], s4, v0
	v_addc_co_u32_e64 v199, s[0:1], v5, v1, s[0:1]
	global_load_dword v0, v[198:199], off
	v_cmp_eq_u32_e64 s[0:1], 0, v4
	s_and_b64 s[0:1], vcc, s[0:1]
	v_cndmask_b32_e64 v1, v4, 30, s[0:1]
	v_cmp_eq_f64_e32 vcc, 0, v[200:201]
	v_cmp_eq_u32_e64 s[0:1], 0, v1
	s_and_b64 s[0:1], vcc, s[0:1]
	v_cndmask_b32_e64 v1, v1, 31, s[0:1]
	v_cmp_eq_f64_e32 vcc, 0, v[202:203]
	;; [unrolled: 4-line block ×19, first 2 shown]
	v_cmp_eq_u32_e64 s[0:1], 0, v1
	s_and_b64 s[0:1], vcc, s[0:1]
	v_cndmask_b32_e64 v2, v1, 49, s[0:1]
	s_waitcnt vmcnt(0)
	v_cmp_eq_u32_e32 vcc, 0, v0
	v_cmp_ne_u32_e64 s[0:1], 0, v2
	s_and_b64 s[0:1], vcc, s[0:1]
	s_and_b64 exec, exec, s[0:1]
	s_cbranch_execz .LBB97_247
; %bb.246:
	v_add_u32_e32 v0, s9, v2
	global_store_dword v[198:199], v0, off
.LBB97_247:
	s_or_b64 exec, exec, s[2:3]
	global_store_dwordx2 v[96:97], v[100:101], off
	global_store_dwordx2 v[98:99], v[148:149], off
	global_store_dwordx2 v[238:239], v[194:195], off
	buffer_load_dword v2, off, s[16:19], 0  ; 4-byte Folded Reload
	buffer_load_dword v3, off, s[16:19], 0 offset:4 ; 4-byte Folded Reload
	v_mul_f64 v[0:1], v[234:235], v[196:197]
	v_cmp_lt_u32_e32 vcc, 48, v236
	v_cndmask_b32_e32 v1, v197, v1, vcc
	v_cndmask_b32_e32 v0, v196, v0, vcc
	s_waitcnt vmcnt(0)
	global_store_dwordx2 v[2:3], v[146:147], off
	buffer_load_dword v2, off, s[16:19], 0 offset:8 ; 4-byte Folded Reload
	s_nop 0
	buffer_load_dword v3, off, s[16:19], 0 offset:12 ; 4-byte Folded Reload
	s_waitcnt vmcnt(0)
	global_store_dwordx2 v[2:3], v[192:193], off
	buffer_load_dword v2, off, s[16:19], 0 offset:16 ; 4-byte Folded Reload
	s_nop 0
	buffer_load_dword v3, off, s[16:19], 0 offset:20 ; 4-byte Folded Reload
	s_waitcnt vmcnt(0)
	global_store_dwordx2 v[2:3], v[144:145], off
	global_store_dwordx2 v[10:11], v[190:191], off
	;; [unrolled: 1-line block ×44, first 2 shown]
.LBB97_248:
	s_endpgm
	.section	.rodata,"a",@progbits
	.p2align	6, 0x0
	.amdhsa_kernel _ZN9rocsolver6v33100L23getf2_npvt_small_kernelILi49EdiiPKPdEEvT1_T3_lS5_lPT2_S5_S5_
		.amdhsa_group_segment_fixed_size 0
		.amdhsa_private_segment_fixed_size 200
		.amdhsa_kernarg_size 312
		.amdhsa_user_sgpr_count 6
		.amdhsa_user_sgpr_private_segment_buffer 1
		.amdhsa_user_sgpr_dispatch_ptr 0
		.amdhsa_user_sgpr_queue_ptr 0
		.amdhsa_user_sgpr_kernarg_segment_ptr 1
		.amdhsa_user_sgpr_dispatch_id 0
		.amdhsa_user_sgpr_flat_scratch_init 0
		.amdhsa_user_sgpr_kernarg_preload_length 0
		.amdhsa_user_sgpr_kernarg_preload_offset 0
		.amdhsa_user_sgpr_private_segment_size 0
		.amdhsa_uses_dynamic_stack 0
		.amdhsa_system_sgpr_private_segment_wavefront_offset 1
		.amdhsa_system_sgpr_workgroup_id_x 1
		.amdhsa_system_sgpr_workgroup_id_y 1
		.amdhsa_system_sgpr_workgroup_id_z 0
		.amdhsa_system_sgpr_workgroup_info 0
		.amdhsa_system_vgpr_workitem_id 1
		.amdhsa_next_free_vgpr 256
		.amdhsa_next_free_sgpr 20
		.amdhsa_accum_offset 256
		.amdhsa_reserve_vcc 1
		.amdhsa_reserve_flat_scratch 0
		.amdhsa_float_round_mode_32 0
		.amdhsa_float_round_mode_16_64 0
		.amdhsa_float_denorm_mode_32 3
		.amdhsa_float_denorm_mode_16_64 3
		.amdhsa_dx10_clamp 1
		.amdhsa_ieee_mode 1
		.amdhsa_fp16_overflow 0
		.amdhsa_tg_split 0
		.amdhsa_exception_fp_ieee_invalid_op 0
		.amdhsa_exception_fp_denorm_src 0
		.amdhsa_exception_fp_ieee_div_zero 0
		.amdhsa_exception_fp_ieee_overflow 0
		.amdhsa_exception_fp_ieee_underflow 0
		.amdhsa_exception_fp_ieee_inexact 0
		.amdhsa_exception_int_div_zero 0
	.end_amdhsa_kernel
	.section	.text._ZN9rocsolver6v33100L23getf2_npvt_small_kernelILi49EdiiPKPdEEvT1_T3_lS5_lPT2_S5_S5_,"axG",@progbits,_ZN9rocsolver6v33100L23getf2_npvt_small_kernelILi49EdiiPKPdEEvT1_T3_lS5_lPT2_S5_S5_,comdat
.Lfunc_end97:
	.size	_ZN9rocsolver6v33100L23getf2_npvt_small_kernelILi49EdiiPKPdEEvT1_T3_lS5_lPT2_S5_S5_, .Lfunc_end97-_ZN9rocsolver6v33100L23getf2_npvt_small_kernelILi49EdiiPKPdEEvT1_T3_lS5_lPT2_S5_S5_
                                        ; -- End function
	.section	.AMDGPU.csdata,"",@progbits
; Kernel info:
; codeLenInByte = 47388
; NumSgprs: 24
; NumVgprs: 256
; NumAgprs: 0
; TotalNumVgprs: 256
; ScratchSize: 200
; MemoryBound: 0
; FloatMode: 240
; IeeeMode: 1
; LDSByteSize: 0 bytes/workgroup (compile time only)
; SGPRBlocks: 2
; VGPRBlocks: 31
; NumSGPRsForWavesPerEU: 24
; NumVGPRsForWavesPerEU: 256
; AccumOffset: 256
; Occupancy: 2
; WaveLimiterHint : 1
; COMPUTE_PGM_RSRC2:SCRATCH_EN: 1
; COMPUTE_PGM_RSRC2:USER_SGPR: 6
; COMPUTE_PGM_RSRC2:TRAP_HANDLER: 0
; COMPUTE_PGM_RSRC2:TGID_X_EN: 1
; COMPUTE_PGM_RSRC2:TGID_Y_EN: 1
; COMPUTE_PGM_RSRC2:TGID_Z_EN: 0
; COMPUTE_PGM_RSRC2:TIDIG_COMP_CNT: 1
; COMPUTE_PGM_RSRC3_GFX90A:ACCUM_OFFSET: 63
; COMPUTE_PGM_RSRC3_GFX90A:TG_SPLIT: 0
	.section	.text._ZN9rocsolver6v33100L18getf2_small_kernelILi50EdiiPKPdEEvT1_T3_lS5_lPS5_llPT2_S5_S5_S7_l,"axG",@progbits,_ZN9rocsolver6v33100L18getf2_small_kernelILi50EdiiPKPdEEvT1_T3_lS5_lPS5_llPT2_S5_S5_S7_l,comdat
	.globl	_ZN9rocsolver6v33100L18getf2_small_kernelILi50EdiiPKPdEEvT1_T3_lS5_lPS5_llPT2_S5_S5_S7_l ; -- Begin function _ZN9rocsolver6v33100L18getf2_small_kernelILi50EdiiPKPdEEvT1_T3_lS5_lPS5_llPT2_S5_S5_S7_l
	.p2align	8
	.type	_ZN9rocsolver6v33100L18getf2_small_kernelILi50EdiiPKPdEEvT1_T3_lS5_lPS5_llPT2_S5_S5_S7_l,@function
_ZN9rocsolver6v33100L18getf2_small_kernelILi50EdiiPKPdEEvT1_T3_lS5_lPS5_llPT2_S5_S5_S7_l: ; @_ZN9rocsolver6v33100L18getf2_small_kernelILi50EdiiPKPdEEvT1_T3_lS5_lPS5_llPT2_S5_S5_S7_l
; %bb.0:
	s_load_dword s0, s[4:5], 0x6c
	s_load_dwordx2 s[12:13], s[4:5], 0x48
	v_bfe_u32 v104, v0, 10, 10
	s_waitcnt lgkmcnt(0)
	s_lshr_b32 s0, s0, 16
	s_mul_i32 s7, s7, s0
	v_add_u32_e32 v2, s7, v104
	v_cmp_gt_i32_e32 vcc, s12, v2
	s_and_saveexec_b64 s[0:1], vcc
	s_cbranch_execz .LBB98_847
; %bb.1:
	s_load_dwordx4 s[0:3], s[4:5], 0x8
	s_load_dwordx4 s[8:11], s[4:5], 0x50
	v_ashrrev_i32_e32 v3, 31, v2
	v_lshlrev_b64 v[4:5], 3, v[2:3]
	s_waitcnt lgkmcnt(0)
	v_mov_b32_e32 v1, s1
	v_add_co_u32_e32 v4, vcc, s0, v4
	v_addc_co_u32_e32 v5, vcc, v1, v5, vcc
	global_load_dwordx2 v[6:7], v[4:5], off
	s_cmp_eq_u64 s[8:9], 0
	s_cselect_b64 s[6:7], -1, 0
	s_and_b64 vcc, exec, s[6:7]
	v_pk_mov_b32 v[4:5], 0, 0
	s_cbranch_vccnz .LBB98_3
; %bb.2:
	v_mul_lo_u32 v1, v3, s10
	v_mul_lo_u32 v8, v2, s11
	v_mad_u64_u32 v[4:5], s[0:1], v2, s10, 0
	v_add3_u32 v5, v5, v8, v1
	v_lshlrev_b64 v[4:5], 2, v[4:5]
	v_mov_b32_e32 v1, s9
	v_add_co_u32_e32 v4, vcc, s8, v4
	v_addc_co_u32_e32 v5, vcc, v1, v5, vcc
.LBB98_3:
	s_load_dword s8, s[4:5], 0x18
	s_load_dword s18, s[4:5], 0x0
	s_lshl_b64 s[0:1], s[2:3], 3
	v_and_b32_e32 v112, 0x3ff, v0
	v_mov_b32_e32 v1, s1
	s_waitcnt lgkmcnt(0)
	s_add_i32 s12, s8, s8
	s_waitcnt vmcnt(0)
	v_add_co_u32_e32 v110, vcc, s0, v6
	v_add_u32_e32 v6, s12, v112
	v_addc_co_u32_e32 v111, vcc, v7, v1, vcc
	v_ashrrev_i32_e32 v7, 31, v6
	v_lshlrev_b64 v[0:1], 3, v[6:7]
	v_add_u32_e32 v8, s8, v6
	v_add_co_u32_e32 v0, vcc, v110, v0
	v_ashrrev_i32_e32 v9, 31, v8
	v_addc_co_u32_e32 v1, vcc, v111, v1, vcc
	v_lshlrev_b64 v[6:7], 3, v[8:9]
	v_add_u32_e32 v10, s8, v8
	v_add_co_u32_e32 v6, vcc, v110, v6
	v_ashrrev_i32_e32 v11, 31, v10
	v_addc_co_u32_e32 v7, vcc, v111, v7, vcc
	;; [unrolled: 5-line block ×47, first 2 shown]
	v_lshlrev_b64 v[10:11], 3, v[10:11]
	v_add_co_u32_e32 v160, vcc, v110, v10
	v_addc_co_u32_e32 v161, vcc, v111, v11, vcc
	v_lshlrev_b32_e32 v105, 3, v112
	v_add_co_u32_e32 v10, vcc, v110, v105
	s_ashr_i32 s9, s8, 31
	v_addc_co_u32_e32 v11, vcc, 0, v111, vcc
	s_lshl_b64 s[10:11], s[8:9], 3
	v_mov_b32_e32 v49, s11
	v_add_co_u32_e32 v48, vcc, s10, v10
	v_addc_co_u32_e32 v49, vcc, v11, v49, vcc
	s_max_i32 s0, s18, 50
	global_load_dwordx2 v[98:99], v[10:11], off
	global_load_dwordx2 v[100:101], v[48:49], off
	;; [unrolled: 1-line block ×9, first 2 shown]
                                        ; kill: killed $vgpr0 killed $vgpr1
                                        ; kill: killed $vgpr48 killed $vgpr49
                                        ; kill: killed $vgpr8 killed $vgpr9
                                        ; kill: killed $vgpr14 killed $vgpr15
                                        ; kill: killed $vgpr18 killed $vgpr19
                                        ; kill: killed $vgpr6 killed $vgpr7
                                        ; kill: killed $vgpr12 killed $vgpr13
                                        ; kill: killed $vgpr16 killed $vgpr17
                                        ; kill: killed $vgpr10 killed $vgpr11
	global_load_dwordx2 v[82:83], v[20:21], off
	global_load_dwordx2 v[80:81], v[22:23], off
	;; [unrolled: 1-line block ×9, first 2 shown]
                                        ; kill: killed $vgpr22 killed $vgpr23
                                        ; kill: killed $vgpr26 killed $vgpr27
                                        ; kill: killed $vgpr30 killed $vgpr31
                                        ; kill: killed $vgpr34 killed $vgpr35
                                        ; kill: killed $vgpr20 killed $vgpr21
                                        ; kill: killed $vgpr24 killed $vgpr25
                                        ; kill: killed $vgpr28 killed $vgpr29
                                        ; kill: killed $vgpr32 killed $vgpr33
                                        ; kill: killed $vgpr36 killed $vgpr37
	global_load_dwordx2 v[66:67], v[38:39], off
	global_load_dwordx2 v[62:63], v[40:41], off
	;; [unrolled: 1-line block ×9, first 2 shown]
                                        ; kill: killed $vgpr40 killed $vgpr41
                                        ; kill: killed $vgpr44 killed $vgpr45
                                        ; kill: killed $vgpr102 killed $vgpr103
                                        ; kill: killed $vgpr108 killed $vgpr109
                                        ; kill: killed $vgpr38 killed $vgpr39
                                        ; kill: killed $vgpr42 killed $vgpr43
                                        ; kill: killed $vgpr46 killed $vgpr47
                                        ; kill: killed $vgpr106 killed $vgpr107
                                        ; kill: killed $vgpr114 killed $vgpr115
	s_nop 0
	global_load_dwordx2 v[46:47], v[116:117], off
	global_load_dwordx2 v[44:45], v[118:119], off
	;; [unrolled: 1-line block ×9, first 2 shown]
                                        ; kill: killed $vgpr130 killed $vgpr131
                                        ; kill: killed $vgpr116 killed $vgpr117
                                        ; kill: killed $vgpr120 killed $vgpr121
                                        ; kill: killed $vgpr124 killed $vgpr125
                                        ; kill: killed $vgpr128 killed $vgpr129
                                        ; kill: killed $vgpr132 killed $vgpr133
                                        ; kill: killed $vgpr118 killed $vgpr119
                                        ; kill: killed $vgpr122 killed $vgpr123
                                        ; kill: killed $vgpr126 killed $vgpr127
	global_load_dwordx2 v[30:31], v[134:135], off
	global_load_dwordx2 v[26:27], v[136:137], off
	;; [unrolled: 1-line block ×9, first 2 shown]
                                        ; kill: killed $vgpr134 killed $vgpr135
                                        ; kill: killed $vgpr138 killed $vgpr139
                                        ; kill: killed $vgpr142 killed $vgpr143
                                        ; kill: killed $vgpr146 killed $vgpr147
                                        ; kill: killed $vgpr150 killed $vgpr151
                                        ; kill: killed $vgpr136 killed $vgpr137
                                        ; kill: killed $vgpr140 killed $vgpr141
                                        ; kill: killed $vgpr144 killed $vgpr145
                                        ; kill: killed $vgpr148 killed $vgpr149
	global_load_dwordx2 v[10:11], v[152:153], off
	global_load_dwordx2 v[8:9], v[154:155], off
	;; [unrolled: 1-line block ×5, first 2 shown]
	v_mul_lo_u32 v106, s0, v104
	v_lshl_add_u32 v108, v106, 3, 0
	v_add_u32_e32 v104, v108, v105
	s_waitcnt vmcnt(49)
	ds_write_b64 v104, v[98:99]
	s_waitcnt lgkmcnt(0)
	s_barrier
	ds_read_b64 v[104:105], v108
	s_cmp_lt_i32 s18, 2
	v_lshlrev_b32_e32 v113, 3, v106
	v_mov_b32_e32 v106, 0
	s_cbranch_scc1 .LBB98_6
; %bb.4:
	v_add3_u32 v107, v113, 0, 8
	s_mov_b32 s0, 1
	v_mov_b32_e32 v106, 0
.LBB98_5:                               ; =>This Inner Loop Header: Depth=1
	ds_read_b64 v[114:115], v107
	v_mov_b32_e32 v109, s0
	s_add_i32 s0, s0, 1
	v_add_u32_e32 v107, 8, v107
	s_cmp_eq_u32 s18, s0
	s_waitcnt lgkmcnt(0)
	v_cmp_lt_f64_e64 vcc, |v[104:105]|, |v[114:115]|
	v_cndmask_b32_e32 v105, v105, v115, vcc
	v_cndmask_b32_e32 v104, v104, v114, vcc
	;; [unrolled: 1-line block ×3, first 2 shown]
	s_cbranch_scc0 .LBB98_5
.LBB98_6:
	v_cmp_ne_u32_e32 vcc, v112, v106
                                        ; implicit-def: $vgpr109
	s_and_saveexec_b64 s[0:1], vcc
	s_xor_b64 s[0:1], exec, s[0:1]
	s_cbranch_execz .LBB98_12
; %bb.7:
	v_cmp_eq_u32_e32 vcc, 0, v112
	s_and_saveexec_b64 s[2:3], vcc
	s_cbranch_execz .LBB98_11
; %bb.8:
	v_cmp_ne_u32_e32 vcc, 0, v106
	s_xor_b64 s[14:15], s[6:7], -1
	s_and_b64 s[16:17], s[14:15], vcc
	s_and_saveexec_b64 s[14:15], s[16:17]
	s_cbranch_execz .LBB98_10
; %bb.9:
	v_ashrrev_i32_e32 v107, 31, v106
	v_lshlrev_b64 v[114:115], 2, v[106:107]
	v_add_co_u32_e32 v114, vcc, v4, v114
	v_addc_co_u32_e32 v115, vcc, v5, v115, vcc
	flat_load_dword v107, v[114:115]
	flat_load_dword v109, v[4:5]
	s_waitcnt vmcnt(0) lgkmcnt(0)
	flat_store_dword v[4:5], v107
	flat_store_dword v[114:115], v109
.LBB98_10:
	s_or_b64 exec, exec, s[14:15]
	v_mov_b32_e32 v112, v106
.LBB98_11:
	s_or_b64 exec, exec, s[2:3]
	v_mov_b32_e32 v109, v112
                                        ; implicit-def: $vgpr112
.LBB98_12:
	s_or_saveexec_b64 s[0:1], s[0:1]
	v_mov_b32_e32 v107, v109
	s_xor_b64 exec, exec, s[0:1]
	s_cbranch_execz .LBB98_14
; %bb.13:
	v_mov_b32_e32 v109, 0
	v_mov_b32_e32 v107, v112
	s_waitcnt vmcnt(0)
	ds_write2_b64 v108, v[100:101], v[96:97] offset0:1 offset1:2
	ds_write2_b64 v108, v[94:95], v[92:93] offset0:3 offset1:4
	;; [unrolled: 1-line block ×24, first 2 shown]
	ds_write_b64 v108, v[102:103] offset:392
.LBB98_14:
	s_or_b64 exec, exec, s[0:1]
	s_waitcnt lgkmcnt(0)
	v_cmp_eq_f64_e64 s[0:1], 0, v[104:105]
	v_cmp_lt_i32_e32 vcc, 0, v109
	s_barrier
	s_and_saveexec_b64 s[2:3], vcc
	s_cbranch_execz .LBB98_16
; %bb.15:
	v_div_scale_f64 v[114:115], s[14:15], v[104:105], v[104:105], 1.0
	v_rcp_f64_e32 v[116:117], v[114:115]
	v_div_scale_f64 v[118:119], vcc, 1.0, v[104:105], 1.0
	ds_read2_b64 v[122:125], v108 offset0:5 offset1:6
	v_fma_f64 v[120:121], -v[114:115], v[116:117], 1.0
	v_fmac_f64_e32 v[116:117], v[116:117], v[120:121]
	v_fma_f64 v[120:121], -v[114:115], v[116:117], 1.0
	v_fmac_f64_e32 v[116:117], v[116:117], v[120:121]
	v_mul_f64 v[120:121], v[118:119], v[116:117]
	v_fma_f64 v[114:115], -v[114:115], v[120:121], v[118:119]
	v_div_fmas_f64 v[114:115], v[114:115], v[116:117], v[120:121]
	v_div_fixup_f64 v[118:119], v[114:115], v[104:105], 1.0
	ds_read2_b64 v[114:117], v108 offset0:1 offset1:2
	v_cndmask_b32_e64 v105, v119, v105, s[0:1]
	v_cndmask_b32_e64 v104, v118, v104, s[0:1]
	ds_read2_b64 v[118:121], v108 offset0:3 offset1:4
	v_mul_f64 v[98:99], v[104:105], v[98:99]
	s_waitcnt vmcnt(0) lgkmcnt(0)
	v_fma_f64 v[100:101], -v[98:99], v[114:115], v[100:101]
	v_fma_f64 v[96:97], -v[98:99], v[116:117], v[96:97]
	ds_read2_b64 v[114:117], v108 offset0:7 offset1:8
	v_fma_f64 v[94:95], -v[98:99], v[118:119], v[94:95]
	v_fma_f64 v[92:93], -v[98:99], v[120:121], v[92:93]
	;; [unrolled: 1-line block ×3, first 2 shown]
	ds_read2_b64 v[118:121], v108 offset0:9 offset1:10
	v_fma_f64 v[88:89], -v[98:99], v[124:125], v[88:89]
	ds_read2_b64 v[122:125], v108 offset0:11 offset1:12
	s_waitcnt lgkmcnt(2)
	v_fma_f64 v[86:87], -v[98:99], v[114:115], v[86:87]
	v_fma_f64 v[84:85], -v[98:99], v[116:117], v[84:85]
	s_waitcnt lgkmcnt(1)
	v_fma_f64 v[82:83], -v[98:99], v[118:119], v[82:83]
	ds_read2_b64 v[114:117], v108 offset0:13 offset1:14
	v_fma_f64 v[80:81], -v[98:99], v[120:121], v[80:81]
	ds_read2_b64 v[118:121], v108 offset0:15 offset1:16
	s_waitcnt lgkmcnt(2)
	v_fma_f64 v[78:79], -v[98:99], v[122:123], v[78:79]
	v_fma_f64 v[76:77], -v[98:99], v[124:125], v[76:77]
	ds_read2_b64 v[122:125], v108 offset0:17 offset1:18
	s_waitcnt lgkmcnt(2)
	v_fma_f64 v[74:75], -v[98:99], v[114:115], v[74:75]
	v_fma_f64 v[72:73], -v[98:99], v[116:117], v[72:73]
	ds_read2_b64 v[114:117], v108 offset0:19 offset1:20
	s_waitcnt lgkmcnt(2)
	v_fma_f64 v[70:71], -v[98:99], v[118:119], v[70:71]
	v_fma_f64 v[68:69], -v[98:99], v[120:121], v[68:69]
	s_waitcnt lgkmcnt(1)
	v_fma_f64 v[64:65], -v[98:99], v[122:123], v[64:65]
	ds_read2_b64 v[118:121], v108 offset0:21 offset1:22
	v_fma_f64 v[66:67], -v[98:99], v[124:125], v[66:67]
	ds_read2_b64 v[122:125], v108 offset0:23 offset1:24
	s_waitcnt lgkmcnt(2)
	v_fma_f64 v[62:63], -v[98:99], v[114:115], v[62:63]
	v_fma_f64 v[60:61], -v[98:99], v[116:117], v[60:61]
	s_waitcnt lgkmcnt(1)
	v_fma_f64 v[58:59], -v[98:99], v[118:119], v[58:59]
	ds_read2_b64 v[114:117], v108 offset0:25 offset1:26
	v_fma_f64 v[56:57], -v[98:99], v[120:121], v[56:57]
	ds_read2_b64 v[118:121], v108 offset0:27 offset1:28
	s_waitcnt lgkmcnt(2)
	v_fma_f64 v[54:55], -v[98:99], v[122:123], v[54:55]
	v_fma_f64 v[52:53], -v[98:99], v[124:125], v[52:53]
	ds_read2_b64 v[122:125], v108 offset0:29 offset1:30
	s_waitcnt lgkmcnt(2)
	v_fma_f64 v[50:51], -v[98:99], v[114:115], v[50:51]
	v_fma_f64 v[48:49], -v[98:99], v[116:117], v[48:49]
	ds_read2_b64 v[114:117], v108 offset0:31 offset1:32
	s_waitcnt lgkmcnt(2)
	v_fma_f64 v[46:47], -v[98:99], v[118:119], v[46:47]
	v_fma_f64 v[44:45], -v[98:99], v[120:121], v[44:45]
	s_waitcnt lgkmcnt(1)
	v_fma_f64 v[42:43], -v[98:99], v[122:123], v[42:43]
	;; [unrolled: 24-line block ×3, first 2 shown]
	v_fma_f64 v[16:17], -v[98:99], v[124:125], v[16:17]
	ds_read2_b64 v[118:121], v108 offset0:45 offset1:46
	ds_read2_b64 v[122:125], v108 offset0:47 offset1:48
	ds_read_b64 v[104:105], v108 offset:392
	s_waitcnt lgkmcnt(3)
	v_fma_f64 v[14:15], -v[98:99], v[114:115], v[14:15]
	v_fma_f64 v[12:13], -v[98:99], v[116:117], v[12:13]
	s_waitcnt lgkmcnt(2)
	v_fma_f64 v[10:11], -v[98:99], v[118:119], v[10:11]
	v_fma_f64 v[8:9], -v[98:99], v[120:121], v[8:9]
	;; [unrolled: 3-line block ×3, first 2 shown]
	s_waitcnt lgkmcnt(0)
	v_fma_f64 v[102:103], -v[98:99], v[104:105], v[102:103]
.LBB98_16:
	s_or_b64 exec, exec, s[2:3]
	v_lshl_add_u32 v104, v109, 3, v108
	s_barrier
	s_waitcnt vmcnt(0)
	ds_write_b64 v104, v[100:101]
	s_waitcnt lgkmcnt(0)
	s_barrier
	ds_read_b64 v[104:105], v108 offset:8
	s_cmp_lt_i32 s18, 3
	v_mov_b32_e32 v106, 1
	s_cbranch_scc1 .LBB98_19
; %bb.17:
	v_add3_u32 v112, v113, 0, 16
	s_mov_b32 s2, 2
	v_mov_b32_e32 v106, 1
.LBB98_18:                              ; =>This Inner Loop Header: Depth=1
	ds_read_b64 v[114:115], v112
	v_mov_b32_e32 v116, s2
	s_add_i32 s2, s2, 1
	v_add_u32_e32 v112, 8, v112
	s_cmp_lg_u32 s18, s2
	s_waitcnt lgkmcnt(0)
	v_cmp_lt_f64_e64 vcc, |v[104:105]|, |v[114:115]|
	v_cndmask_b32_e32 v105, v105, v115, vcc
	v_cndmask_b32_e32 v104, v104, v114, vcc
	;; [unrolled: 1-line block ×3, first 2 shown]
	s_cbranch_scc1 .LBB98_18
.LBB98_19:
	v_cmp_ne_u32_e32 vcc, v109, v106
	s_and_saveexec_b64 s[2:3], vcc
	s_xor_b64 s[2:3], exec, s[2:3]
	s_cbranch_execz .LBB98_25
; %bb.20:
	v_cmp_eq_u32_e32 vcc, 1, v109
	s_and_saveexec_b64 s[14:15], vcc
	s_cbranch_execz .LBB98_24
; %bb.21:
	v_cmp_ne_u32_e32 vcc, 1, v106
	s_xor_b64 s[16:17], s[6:7], -1
	s_and_b64 s[20:21], s[16:17], vcc
	s_and_saveexec_b64 s[16:17], s[20:21]
	s_cbranch_execz .LBB98_23
; %bb.22:
	v_ashrrev_i32_e32 v107, 31, v106
	v_lshlrev_b64 v[114:115], 2, v[106:107]
	v_add_co_u32_e32 v114, vcc, v4, v114
	v_addc_co_u32_e32 v115, vcc, v5, v115, vcc
	flat_load_dword v107, v[114:115]
	flat_load_dword v109, v[4:5] offset:4
	s_waitcnt vmcnt(0) lgkmcnt(0)
	flat_store_dword v[4:5], v107 offset:4
	flat_store_dword v[114:115], v109
.LBB98_23:
	s_or_b64 exec, exec, s[16:17]
	v_mov_b32_e32 v107, v106
	v_mov_b32_e32 v109, v106
.LBB98_24:
	s_or_b64 exec, exec, s[14:15]
.LBB98_25:
	s_andn2_saveexec_b64 s[2:3], s[2:3]
	s_cbranch_execz .LBB98_27
; %bb.26:
	v_mov_b32_e32 v114, v96
	v_mov_b32_e32 v115, v97
	v_mov_b32_e32 v116, v94
	v_mov_b32_e32 v117, v95
	ds_write2_b64 v108, v[114:115], v[116:117] offset0:2 offset1:3
	v_mov_b32_e32 v114, v92
	v_mov_b32_e32 v115, v93
	v_mov_b32_e32 v116, v90
	v_mov_b32_e32 v117, v91
	ds_write2_b64 v108, v[114:115], v[116:117] offset0:4 offset1:5
	;; [unrolled: 5-line block ×23, first 2 shown]
	v_mov_b32_e32 v114, v0
	v_mov_b32_e32 v115, v1
	;; [unrolled: 1-line block ×3, first 2 shown]
	ds_write2_b64 v108, v[114:115], v[102:103] offset0:48 offset1:49
.LBB98_27:
	s_or_b64 exec, exec, s[2:3]
	s_waitcnt lgkmcnt(0)
	v_cmp_neq_f64_e64 s[2:3], 0, v[104:105]
	v_cmp_lt_i32_e32 vcc, 1, v109
	s_barrier
	s_and_saveexec_b64 s[14:15], vcc
	s_cbranch_execz .LBB98_29
; %bb.28:
	v_div_scale_f64 v[114:115], s[16:17], v[104:105], v[104:105], 1.0
	v_rcp_f64_e32 v[116:117], v[114:115]
	v_div_scale_f64 v[118:119], vcc, 1.0, v[104:105], 1.0
	ds_read2_b64 v[122:125], v108 offset0:6 offset1:7
	v_fma_f64 v[120:121], -v[114:115], v[116:117], 1.0
	v_fmac_f64_e32 v[116:117], v[116:117], v[120:121]
	v_fma_f64 v[120:121], -v[114:115], v[116:117], 1.0
	v_fmac_f64_e32 v[116:117], v[116:117], v[120:121]
	v_mul_f64 v[120:121], v[118:119], v[116:117]
	v_fma_f64 v[114:115], -v[114:115], v[120:121], v[118:119]
	v_div_fmas_f64 v[114:115], v[114:115], v[116:117], v[120:121]
	v_div_fixup_f64 v[118:119], v[114:115], v[104:105], 1.0
	ds_read2_b64 v[114:117], v108 offset0:2 offset1:3
	v_cndmask_b32_e64 v105, v105, v119, s[2:3]
	v_cndmask_b32_e64 v104, v104, v118, s[2:3]
	ds_read2_b64 v[118:121], v108 offset0:4 offset1:5
	v_mul_f64 v[100:101], v[104:105], v[100:101]
	s_waitcnt lgkmcnt(0)
	v_fma_f64 v[96:97], -v[100:101], v[114:115], v[96:97]
	v_fma_f64 v[94:95], -v[100:101], v[116:117], v[94:95]
	ds_read2_b64 v[114:117], v108 offset0:8 offset1:9
	v_fma_f64 v[92:93], -v[100:101], v[118:119], v[92:93]
	v_fma_f64 v[90:91], -v[100:101], v[120:121], v[90:91]
	v_fma_f64 v[88:89], -v[100:101], v[122:123], v[88:89]
	ds_read2_b64 v[118:121], v108 offset0:10 offset1:11
	v_fma_f64 v[86:87], -v[100:101], v[124:125], v[86:87]
	ds_read2_b64 v[122:125], v108 offset0:12 offset1:13
	s_waitcnt lgkmcnt(0)
	v_fma_f64 v[84:85], -v[100:101], v[114:115], v[84:85]
	v_fma_f64 v[82:83], -v[100:101], v[116:117], v[82:83]
	v_fma_f64 v[80:81], -v[100:101], v[118:119], v[80:81]
	ds_read2_b64 v[114:117], v108 offset0:14 offset1:15
	v_fma_f64 v[78:79], -v[100:101], v[120:121], v[78:79]
	ds_read2_b64 v[118:121], v108 offset0:16 offset1:17
	v_fma_f64 v[76:77], -v[100:101], v[122:123], v[76:77]
	v_fma_f64 v[74:75], -v[100:101], v[124:125], v[74:75]
	ds_read2_b64 v[122:125], v108 offset0:18 offset1:19
	s_waitcnt lgkmcnt(0)
	v_fma_f64 v[72:73], -v[100:101], v[114:115], v[72:73]
	v_fma_f64 v[70:71], -v[100:101], v[116:117], v[70:71]
	ds_read2_b64 v[114:117], v108 offset0:20 offset1:21
	v_fma_f64 v[68:69], -v[100:101], v[118:119], v[68:69]
	v_fma_f64 v[64:65], -v[100:101], v[120:121], v[64:65]
	v_fma_f64 v[66:67], -v[100:101], v[122:123], v[66:67]
	ds_read2_b64 v[118:121], v108 offset0:22 offset1:23
	v_fma_f64 v[62:63], -v[100:101], v[124:125], v[62:63]
	ds_read2_b64 v[122:125], v108 offset0:24 offset1:25
	s_waitcnt lgkmcnt(0)
	v_fma_f64 v[60:61], -v[100:101], v[114:115], v[60:61]
	v_fma_f64 v[58:59], -v[100:101], v[116:117], v[58:59]
	v_fma_f64 v[56:57], -v[100:101], v[118:119], v[56:57]
	ds_read2_b64 v[114:117], v108 offset0:26 offset1:27
	v_fma_f64 v[54:55], -v[100:101], v[120:121], v[54:55]
	ds_read2_b64 v[118:121], v108 offset0:28 offset1:29
	v_fma_f64 v[52:53], -v[100:101], v[122:123], v[52:53]
	v_fma_f64 v[50:51], -v[100:101], v[124:125], v[50:51]
	ds_read2_b64 v[122:125], v108 offset0:30 offset1:31
	;; [unrolled: 20-line block ×3, first 2 shown]
	s_waitcnt lgkmcnt(0)
	v_fma_f64 v[24:25], -v[100:101], v[114:115], v[24:25]
	v_fma_f64 v[22:23], -v[100:101], v[116:117], v[22:23]
	ds_read2_b64 v[114:117], v108 offset0:44 offset1:45
	v_fma_f64 v[20:21], -v[100:101], v[118:119], v[20:21]
	v_fma_f64 v[18:19], -v[100:101], v[120:121], v[18:19]
	;; [unrolled: 1-line block ×3, first 2 shown]
	ds_read2_b64 v[118:121], v108 offset0:46 offset1:47
	v_fma_f64 v[14:15], -v[100:101], v[124:125], v[14:15]
	ds_read2_b64 v[122:125], v108 offset0:48 offset1:49
	s_waitcnt lgkmcnt(0)
	v_fma_f64 v[12:13], -v[100:101], v[114:115], v[12:13]
	v_fma_f64 v[10:11], -v[100:101], v[116:117], v[10:11]
	;; [unrolled: 1-line block ×6, first 2 shown]
.LBB98_29:
	s_or_b64 exec, exec, s[14:15]
	v_lshl_add_u32 v104, v109, 3, v108
	s_barrier
	ds_write_b64 v104, v[96:97]
	s_waitcnt lgkmcnt(0)
	s_barrier
	ds_read_b64 v[104:105], v108 offset:16
	s_mov_b32 s9, 3
	s_cmp_lt_i32 s18, 4
	v_mov_b32_e32 v106, 2
	s_cbranch_scc1 .LBB98_32
; %bb.30:
	v_add3_u32 v112, v113, 0, 24
	v_mov_b32_e32 v106, 2
.LBB98_31:                              ; =>This Inner Loop Header: Depth=1
	ds_read_b64 v[114:115], v112
	v_mov_b32_e32 v116, s9
	s_add_i32 s9, s9, 1
	v_add_u32_e32 v112, 8, v112
	s_cmp_lg_u32 s18, s9
	s_waitcnt lgkmcnt(0)
	v_cmp_lt_f64_e64 vcc, |v[104:105]|, |v[114:115]|
	v_cndmask_b32_e32 v105, v105, v115, vcc
	v_cndmask_b32_e32 v104, v104, v114, vcc
	;; [unrolled: 1-line block ×3, first 2 shown]
	s_cbranch_scc1 .LBB98_31
.LBB98_32:
	v_cndmask_b32_e64 v112, 2, 1, s[0:1]
	v_cndmask_b32_e64 v114, 0, 1, s[0:1]
	;; [unrolled: 1-line block ×3, first 2 shown]
	s_waitcnt lgkmcnt(0)
	v_cmp_eq_f64_e32 vcc, 0, v[104:105]
	s_and_saveexec_b64 s[0:1], vcc
	s_xor_b64 s[0:1], exec, s[0:1]
; %bb.33:
	v_cmp_ne_u32_e32 vcc, 0, v112
	v_cndmask_b32_e32 v112, 3, v112, vcc
; %bb.34:
	s_andn2_saveexec_b64 s[0:1], s[0:1]
; %bb.35:
	v_div_scale_f64 v[114:115], s[2:3], v[104:105], v[104:105], 1.0
	v_rcp_f64_e32 v[116:117], v[114:115]
	v_div_scale_f64 v[118:119], vcc, 1.0, v[104:105], 1.0
	v_fma_f64 v[120:121], -v[114:115], v[116:117], 1.0
	v_fmac_f64_e32 v[116:117], v[116:117], v[120:121]
	v_fma_f64 v[120:121], -v[114:115], v[116:117], 1.0
	v_fmac_f64_e32 v[116:117], v[116:117], v[120:121]
	v_mul_f64 v[120:121], v[118:119], v[116:117]
	v_fma_f64 v[114:115], -v[114:115], v[120:121], v[118:119]
	v_div_fmas_f64 v[114:115], v[114:115], v[116:117], v[120:121]
	v_div_fixup_f64 v[104:105], v[114:115], v[104:105], 1.0
; %bb.36:
	s_or_b64 exec, exec, s[0:1]
	v_cmp_ne_u32_e32 vcc, v109, v106
	s_and_saveexec_b64 s[0:1], vcc
	s_xor_b64 s[0:1], exec, s[0:1]
	s_cbranch_execz .LBB98_42
; %bb.37:
	v_cmp_eq_u32_e32 vcc, 2, v109
	s_and_saveexec_b64 s[2:3], vcc
	s_cbranch_execz .LBB98_41
; %bb.38:
	v_cmp_ne_u32_e32 vcc, 2, v106
	s_xor_b64 s[14:15], s[6:7], -1
	s_and_b64 s[16:17], s[14:15], vcc
	s_and_saveexec_b64 s[14:15], s[16:17]
	s_cbranch_execz .LBB98_40
; %bb.39:
	v_ashrrev_i32_e32 v107, 31, v106
	v_lshlrev_b64 v[114:115], 2, v[106:107]
	v_add_co_u32_e32 v114, vcc, v4, v114
	v_addc_co_u32_e32 v115, vcc, v5, v115, vcc
	flat_load_dword v107, v[114:115]
	flat_load_dword v109, v[4:5] offset:8
	s_waitcnt vmcnt(0) lgkmcnt(0)
	flat_store_dword v[4:5], v107 offset:8
	flat_store_dword v[114:115], v109
.LBB98_40:
	s_or_b64 exec, exec, s[14:15]
	v_mov_b32_e32 v107, v106
	v_mov_b32_e32 v109, v106
.LBB98_41:
	s_or_b64 exec, exec, s[2:3]
.LBB98_42:
	s_andn2_saveexec_b64 s[0:1], s[0:1]
	s_cbranch_execz .LBB98_44
; %bb.43:
	v_mov_b32_e32 v109, 2
	ds_write2_b64 v108, v[94:95], v[92:93] offset0:3 offset1:4
	ds_write2_b64 v108, v[90:91], v[88:89] offset0:5 offset1:6
	;; [unrolled: 1-line block ×23, first 2 shown]
	ds_write_b64 v108, v[102:103] offset:392
.LBB98_44:
	s_or_b64 exec, exec, s[0:1]
	v_cmp_lt_i32_e32 vcc, 2, v109
	s_waitcnt lgkmcnt(0)
	s_barrier
	s_and_saveexec_b64 s[0:1], vcc
	s_cbranch_execz .LBB98_46
; %bb.45:
	ds_read2_b64 v[114:117], v108 offset0:3 offset1:4
	ds_read2_b64 v[118:121], v108 offset0:5 offset1:6
	v_mul_f64 v[96:97], v[104:105], v[96:97]
	ds_read2_b64 v[122:125], v108 offset0:7 offset1:8
	ds_read_b64 v[104:105], v108 offset:392
	s_waitcnt lgkmcnt(0)
	v_fma_f64 v[94:95], -v[96:97], v[114:115], v[94:95]
	v_fma_f64 v[92:93], -v[96:97], v[116:117], v[92:93]
	ds_read2_b64 v[114:117], v108 offset0:9 offset1:10
	v_fma_f64 v[90:91], -v[96:97], v[118:119], v[90:91]
	v_fma_f64 v[88:89], -v[96:97], v[120:121], v[88:89]
	ds_read2_b64 v[118:121], v108 offset0:11 offset1:12
	;; [unrolled: 3-line block ×3, first 2 shown]
	s_waitcnt lgkmcnt(0)
	v_fma_f64 v[82:83], -v[96:97], v[114:115], v[82:83]
	v_fma_f64 v[80:81], -v[96:97], v[116:117], v[80:81]
	;; [unrolled: 1-line block ×3, first 2 shown]
	ds_read2_b64 v[114:117], v108 offset0:15 offset1:16
	v_fma_f64 v[76:77], -v[96:97], v[120:121], v[76:77]
	ds_read2_b64 v[118:121], v108 offset0:17 offset1:18
	v_fma_f64 v[74:75], -v[96:97], v[122:123], v[74:75]
	v_fma_f64 v[72:73], -v[96:97], v[124:125], v[72:73]
	s_waitcnt lgkmcnt(0)
	v_fma_f64 v[70:71], -v[96:97], v[114:115], v[70:71]
	ds_read2_b64 v[122:125], v108 offset0:19 offset1:20
	v_fma_f64 v[68:69], -v[96:97], v[116:117], v[68:69]
	ds_read2_b64 v[114:117], v108 offset0:21 offset1:22
	v_fma_f64 v[64:65], -v[96:97], v[118:119], v[64:65]
	v_fma_f64 v[66:67], -v[96:97], v[120:121], v[66:67]
	ds_read2_b64 v[118:121], v108 offset0:23 offset1:24
	s_waitcnt lgkmcnt(0)
	v_fma_f64 v[62:63], -v[96:97], v[122:123], v[62:63]
	v_fma_f64 v[60:61], -v[96:97], v[124:125], v[60:61]
	ds_read2_b64 v[122:125], v108 offset0:25 offset1:26
	v_fma_f64 v[58:59], -v[96:97], v[114:115], v[58:59]
	v_fma_f64 v[56:57], -v[96:97], v[116:117], v[56:57]
	;; [unrolled: 1-line block ×3, first 2 shown]
	ds_read2_b64 v[114:117], v108 offset0:27 offset1:28
	v_fma_f64 v[52:53], -v[96:97], v[120:121], v[52:53]
	ds_read2_b64 v[118:121], v108 offset0:29 offset1:30
	s_waitcnt lgkmcnt(0)
	v_fma_f64 v[50:51], -v[96:97], v[122:123], v[50:51]
	v_fma_f64 v[48:49], -v[96:97], v[124:125], v[48:49]
	v_fma_f64 v[46:47], -v[96:97], v[114:115], v[46:47]
	ds_read2_b64 v[122:125], v108 offset0:31 offset1:32
	v_fma_f64 v[44:45], -v[96:97], v[116:117], v[44:45]
	ds_read2_b64 v[114:117], v108 offset0:33 offset1:34
	v_fma_f64 v[42:43], -v[96:97], v[118:119], v[42:43]
	v_fma_f64 v[40:41], -v[96:97], v[120:121], v[40:41]
	ds_read2_b64 v[118:121], v108 offset0:35 offset1:36
	s_waitcnt lgkmcnt(0)
	v_fma_f64 v[38:39], -v[96:97], v[122:123], v[38:39]
	v_fma_f64 v[36:37], -v[96:97], v[124:125], v[36:37]
	ds_read2_b64 v[122:125], v108 offset0:37 offset1:38
	v_fma_f64 v[34:35], -v[96:97], v[114:115], v[34:35]
	v_fma_f64 v[32:33], -v[96:97], v[116:117], v[32:33]
	v_fma_f64 v[28:29], -v[96:97], v[118:119], v[28:29]
	ds_read2_b64 v[114:117], v108 offset0:39 offset1:40
	v_fma_f64 v[30:31], -v[96:97], v[120:121], v[30:31]
	ds_read2_b64 v[118:121], v108 offset0:41 offset1:42
	s_waitcnt lgkmcnt(0)
	v_fma_f64 v[26:27], -v[96:97], v[122:123], v[26:27]
	v_fma_f64 v[24:25], -v[96:97], v[124:125], v[24:25]
	;; [unrolled: 1-line block ×3, first 2 shown]
	ds_read2_b64 v[122:125], v108 offset0:43 offset1:44
	v_fma_f64 v[20:21], -v[96:97], v[116:117], v[20:21]
	ds_read2_b64 v[114:117], v108 offset0:45 offset1:46
	v_fma_f64 v[18:19], -v[96:97], v[118:119], v[18:19]
	v_fma_f64 v[16:17], -v[96:97], v[120:121], v[16:17]
	ds_read2_b64 v[118:121], v108 offset0:47 offset1:48
	s_waitcnt lgkmcnt(0)
	v_fma_f64 v[14:15], -v[96:97], v[122:123], v[14:15]
	v_fma_f64 v[12:13], -v[96:97], v[124:125], v[12:13]
	;; [unrolled: 1-line block ×7, first 2 shown]
.LBB98_46:
	s_or_b64 exec, exec, s[0:1]
	v_lshl_add_u32 v104, v109, 3, v108
	s_barrier
	ds_write_b64 v104, v[94:95]
	s_waitcnt lgkmcnt(0)
	s_barrier
	ds_read_b64 v[104:105], v108 offset:24
	s_cmp_lt_i32 s18, 5
	v_mov_b32_e32 v106, 3
	s_cbranch_scc1 .LBB98_49
; %bb.47:
	v_add3_u32 v114, v113, 0, 32
	s_mov_b32 s0, 4
	v_mov_b32_e32 v106, 3
.LBB98_48:                              ; =>This Inner Loop Header: Depth=1
	ds_read_b64 v[116:117], v114
	v_mov_b32_e32 v115, s0
	s_add_i32 s0, s0, 1
	v_add_u32_e32 v114, 8, v114
	s_cmp_lg_u32 s18, s0
	s_waitcnt lgkmcnt(0)
	v_cmp_lt_f64_e64 vcc, |v[104:105]|, |v[116:117]|
	v_cndmask_b32_e32 v105, v105, v117, vcc
	v_cndmask_b32_e32 v104, v104, v116, vcc
	;; [unrolled: 1-line block ×3, first 2 shown]
	s_cbranch_scc1 .LBB98_48
.LBB98_49:
	s_waitcnt lgkmcnt(0)
	v_cmp_eq_f64_e32 vcc, 0, v[104:105]
	s_and_saveexec_b64 s[0:1], vcc
	s_xor_b64 s[0:1], exec, s[0:1]
; %bb.50:
	v_cmp_ne_u32_e32 vcc, 0, v112
	v_cndmask_b32_e32 v112, 4, v112, vcc
; %bb.51:
	s_andn2_saveexec_b64 s[0:1], s[0:1]
; %bb.52:
	v_div_scale_f64 v[114:115], s[2:3], v[104:105], v[104:105], 1.0
	v_rcp_f64_e32 v[116:117], v[114:115]
	v_div_scale_f64 v[118:119], vcc, 1.0, v[104:105], 1.0
	v_fma_f64 v[120:121], -v[114:115], v[116:117], 1.0
	v_fmac_f64_e32 v[116:117], v[116:117], v[120:121]
	v_fma_f64 v[120:121], -v[114:115], v[116:117], 1.0
	v_fmac_f64_e32 v[116:117], v[116:117], v[120:121]
	v_mul_f64 v[120:121], v[118:119], v[116:117]
	v_fma_f64 v[114:115], -v[114:115], v[120:121], v[118:119]
	v_div_fmas_f64 v[114:115], v[114:115], v[116:117], v[120:121]
	v_div_fixup_f64 v[104:105], v[114:115], v[104:105], 1.0
; %bb.53:
	s_or_b64 exec, exec, s[0:1]
	v_cmp_ne_u32_e32 vcc, v109, v106
	s_and_saveexec_b64 s[0:1], vcc
	s_xor_b64 s[0:1], exec, s[0:1]
	s_cbranch_execz .LBB98_59
; %bb.54:
	v_cmp_eq_u32_e32 vcc, 3, v109
	s_and_saveexec_b64 s[2:3], vcc
	s_cbranch_execz .LBB98_58
; %bb.55:
	v_cmp_ne_u32_e32 vcc, 3, v106
	s_xor_b64 s[14:15], s[6:7], -1
	s_and_b64 s[16:17], s[14:15], vcc
	s_and_saveexec_b64 s[14:15], s[16:17]
	s_cbranch_execz .LBB98_57
; %bb.56:
	v_ashrrev_i32_e32 v107, 31, v106
	v_lshlrev_b64 v[114:115], 2, v[106:107]
	v_add_co_u32_e32 v114, vcc, v4, v114
	v_addc_co_u32_e32 v115, vcc, v5, v115, vcc
	flat_load_dword v107, v[114:115]
	flat_load_dword v109, v[4:5] offset:12
	s_waitcnt vmcnt(0) lgkmcnt(0)
	flat_store_dword v[4:5], v107 offset:12
	flat_store_dword v[114:115], v109
.LBB98_57:
	s_or_b64 exec, exec, s[14:15]
	v_mov_b32_e32 v107, v106
	v_mov_b32_e32 v109, v106
.LBB98_58:
	s_or_b64 exec, exec, s[2:3]
.LBB98_59:
	s_andn2_saveexec_b64 s[0:1], s[0:1]
	s_cbranch_execz .LBB98_61
; %bb.60:
	v_mov_b32_e32 v114, v92
	v_mov_b32_e32 v115, v93
	v_mov_b32_e32 v116, v90
	v_mov_b32_e32 v117, v91
	ds_write2_b64 v108, v[114:115], v[116:117] offset0:4 offset1:5
	v_mov_b32_e32 v114, v88
	v_mov_b32_e32 v115, v89
	v_mov_b32_e32 v116, v86
	v_mov_b32_e32 v117, v87
	ds_write2_b64 v108, v[114:115], v[116:117] offset0:6 offset1:7
	;; [unrolled: 5-line block ×22, first 2 shown]
	v_mov_b32_e32 v114, v0
	v_mov_b32_e32 v115, v1
	;; [unrolled: 1-line block ×3, first 2 shown]
	ds_write2_b64 v108, v[114:115], v[102:103] offset0:48 offset1:49
.LBB98_61:
	s_or_b64 exec, exec, s[0:1]
	v_cmp_lt_i32_e32 vcc, 3, v109
	s_waitcnt lgkmcnt(0)
	s_barrier
	s_and_saveexec_b64 s[0:1], vcc
	s_cbranch_execz .LBB98_63
; %bb.62:
	ds_read2_b64 v[114:117], v108 offset0:4 offset1:5
	ds_read2_b64 v[118:121], v108 offset0:6 offset1:7
	v_mul_f64 v[94:95], v[104:105], v[94:95]
	ds_read2_b64 v[122:125], v108 offset0:8 offset1:9
	s_waitcnt lgkmcnt(0)
	v_fma_f64 v[92:93], -v[94:95], v[114:115], v[92:93]
	v_fma_f64 v[90:91], -v[94:95], v[116:117], v[90:91]
	ds_read2_b64 v[114:117], v108 offset0:10 offset1:11
	v_fma_f64 v[88:89], -v[94:95], v[118:119], v[88:89]
	v_fma_f64 v[86:87], -v[94:95], v[120:121], v[86:87]
	ds_read2_b64 v[118:121], v108 offset0:12 offset1:13
	;; [unrolled: 3-line block ×3, first 2 shown]
	s_waitcnt lgkmcnt(0)
	v_fma_f64 v[80:81], -v[94:95], v[114:115], v[80:81]
	v_fma_f64 v[78:79], -v[94:95], v[116:117], v[78:79]
	;; [unrolled: 1-line block ×3, first 2 shown]
	ds_read2_b64 v[114:117], v108 offset0:16 offset1:17
	v_fma_f64 v[74:75], -v[94:95], v[120:121], v[74:75]
	ds_read2_b64 v[118:121], v108 offset0:18 offset1:19
	v_fma_f64 v[72:73], -v[94:95], v[122:123], v[72:73]
	v_fma_f64 v[70:71], -v[94:95], v[124:125], v[70:71]
	s_waitcnt lgkmcnt(0)
	v_fma_f64 v[68:69], -v[94:95], v[114:115], v[68:69]
	ds_read2_b64 v[122:125], v108 offset0:20 offset1:21
	v_fma_f64 v[64:65], -v[94:95], v[116:117], v[64:65]
	ds_read2_b64 v[114:117], v108 offset0:22 offset1:23
	v_fma_f64 v[66:67], -v[94:95], v[118:119], v[66:67]
	v_fma_f64 v[62:63], -v[94:95], v[120:121], v[62:63]
	ds_read2_b64 v[118:121], v108 offset0:24 offset1:25
	s_waitcnt lgkmcnt(0)
	v_fma_f64 v[60:61], -v[94:95], v[122:123], v[60:61]
	v_fma_f64 v[58:59], -v[94:95], v[124:125], v[58:59]
	ds_read2_b64 v[122:125], v108 offset0:26 offset1:27
	v_fma_f64 v[56:57], -v[94:95], v[114:115], v[56:57]
	v_fma_f64 v[54:55], -v[94:95], v[116:117], v[54:55]
	;; [unrolled: 1-line block ×3, first 2 shown]
	ds_read2_b64 v[114:117], v108 offset0:28 offset1:29
	v_fma_f64 v[50:51], -v[94:95], v[120:121], v[50:51]
	ds_read2_b64 v[118:121], v108 offset0:30 offset1:31
	s_waitcnt lgkmcnt(0)
	v_fma_f64 v[48:49], -v[94:95], v[122:123], v[48:49]
	v_fma_f64 v[46:47], -v[94:95], v[124:125], v[46:47]
	;; [unrolled: 1-line block ×3, first 2 shown]
	ds_read2_b64 v[122:125], v108 offset0:32 offset1:33
	v_fma_f64 v[42:43], -v[94:95], v[116:117], v[42:43]
	ds_read2_b64 v[114:117], v108 offset0:34 offset1:35
	v_fma_f64 v[40:41], -v[94:95], v[118:119], v[40:41]
	v_fma_f64 v[38:39], -v[94:95], v[120:121], v[38:39]
	ds_read2_b64 v[118:121], v108 offset0:36 offset1:37
	s_waitcnt lgkmcnt(0)
	v_fma_f64 v[36:37], -v[94:95], v[122:123], v[36:37]
	v_fma_f64 v[34:35], -v[94:95], v[124:125], v[34:35]
	ds_read2_b64 v[122:125], v108 offset0:38 offset1:39
	v_fma_f64 v[32:33], -v[94:95], v[114:115], v[32:33]
	v_fma_f64 v[28:29], -v[94:95], v[116:117], v[28:29]
	;; [unrolled: 1-line block ×3, first 2 shown]
	ds_read2_b64 v[114:117], v108 offset0:40 offset1:41
	v_fma_f64 v[26:27], -v[94:95], v[120:121], v[26:27]
	ds_read2_b64 v[118:121], v108 offset0:42 offset1:43
	s_waitcnt lgkmcnt(0)
	v_fma_f64 v[24:25], -v[94:95], v[122:123], v[24:25]
	v_fma_f64 v[22:23], -v[94:95], v[124:125], v[22:23]
	;; [unrolled: 1-line block ×4, first 2 shown]
	ds_read2_b64 v[114:117], v108 offset0:44 offset1:45
	ds_read2_b64 v[122:125], v108 offset0:46 offset1:47
	v_fma_f64 v[16:17], -v[94:95], v[118:119], v[16:17]
	v_fma_f64 v[14:15], -v[94:95], v[120:121], v[14:15]
	ds_read2_b64 v[118:121], v108 offset0:48 offset1:49
	s_waitcnt lgkmcnt(0)
	v_fma_f64 v[12:13], -v[94:95], v[114:115], v[12:13]
	v_fma_f64 v[10:11], -v[94:95], v[116:117], v[10:11]
	;; [unrolled: 1-line block ×6, first 2 shown]
.LBB98_63:
	s_or_b64 exec, exec, s[0:1]
	v_lshl_add_u32 v104, v109, 3, v108
	s_barrier
	ds_write_b64 v104, v[92:93]
	s_waitcnt lgkmcnt(0)
	s_barrier
	ds_read_b64 v[104:105], v108 offset:32
	s_cmp_lt_i32 s18, 6
	v_mov_b32_e32 v106, 4
	s_cbranch_scc1 .LBB98_66
; %bb.64:
	v_add3_u32 v114, v113, 0, 40
	s_mov_b32 s0, 5
	v_mov_b32_e32 v106, 4
.LBB98_65:                              ; =>This Inner Loop Header: Depth=1
	ds_read_b64 v[116:117], v114
	v_mov_b32_e32 v115, s0
	s_add_i32 s0, s0, 1
	v_add_u32_e32 v114, 8, v114
	s_cmp_lg_u32 s18, s0
	s_waitcnt lgkmcnt(0)
	v_cmp_lt_f64_e64 vcc, |v[104:105]|, |v[116:117]|
	v_cndmask_b32_e32 v105, v105, v117, vcc
	v_cndmask_b32_e32 v104, v104, v116, vcc
	;; [unrolled: 1-line block ×3, first 2 shown]
	s_cbranch_scc1 .LBB98_65
.LBB98_66:
	s_waitcnt lgkmcnt(0)
	v_cmp_eq_f64_e32 vcc, 0, v[104:105]
	s_and_saveexec_b64 s[0:1], vcc
	s_xor_b64 s[0:1], exec, s[0:1]
; %bb.67:
	v_cmp_ne_u32_e32 vcc, 0, v112
	v_cndmask_b32_e32 v112, 5, v112, vcc
; %bb.68:
	s_andn2_saveexec_b64 s[0:1], s[0:1]
; %bb.69:
	v_div_scale_f64 v[114:115], s[2:3], v[104:105], v[104:105], 1.0
	v_rcp_f64_e32 v[116:117], v[114:115]
	v_div_scale_f64 v[118:119], vcc, 1.0, v[104:105], 1.0
	v_fma_f64 v[120:121], -v[114:115], v[116:117], 1.0
	v_fmac_f64_e32 v[116:117], v[116:117], v[120:121]
	v_fma_f64 v[120:121], -v[114:115], v[116:117], 1.0
	v_fmac_f64_e32 v[116:117], v[116:117], v[120:121]
	v_mul_f64 v[120:121], v[118:119], v[116:117]
	v_fma_f64 v[114:115], -v[114:115], v[120:121], v[118:119]
	v_div_fmas_f64 v[114:115], v[114:115], v[116:117], v[120:121]
	v_div_fixup_f64 v[104:105], v[114:115], v[104:105], 1.0
; %bb.70:
	s_or_b64 exec, exec, s[0:1]
	v_cmp_ne_u32_e32 vcc, v109, v106
	s_and_saveexec_b64 s[0:1], vcc
	s_xor_b64 s[0:1], exec, s[0:1]
	s_cbranch_execz .LBB98_76
; %bb.71:
	v_cmp_eq_u32_e32 vcc, 4, v109
	s_and_saveexec_b64 s[2:3], vcc
	s_cbranch_execz .LBB98_75
; %bb.72:
	v_cmp_ne_u32_e32 vcc, 4, v106
	s_xor_b64 s[14:15], s[6:7], -1
	s_and_b64 s[16:17], s[14:15], vcc
	s_and_saveexec_b64 s[14:15], s[16:17]
	s_cbranch_execz .LBB98_74
; %bb.73:
	v_ashrrev_i32_e32 v107, 31, v106
	v_lshlrev_b64 v[114:115], 2, v[106:107]
	v_add_co_u32_e32 v114, vcc, v4, v114
	v_addc_co_u32_e32 v115, vcc, v5, v115, vcc
	flat_load_dword v107, v[114:115]
	flat_load_dword v109, v[4:5] offset:16
	s_waitcnt vmcnt(0) lgkmcnt(0)
	flat_store_dword v[4:5], v107 offset:16
	flat_store_dword v[114:115], v109
.LBB98_74:
	s_or_b64 exec, exec, s[14:15]
	v_mov_b32_e32 v107, v106
	v_mov_b32_e32 v109, v106
.LBB98_75:
	s_or_b64 exec, exec, s[2:3]
.LBB98_76:
	s_andn2_saveexec_b64 s[0:1], s[0:1]
	s_cbranch_execz .LBB98_78
; %bb.77:
	v_mov_b32_e32 v109, 4
	ds_write2_b64 v108, v[90:91], v[88:89] offset0:5 offset1:6
	ds_write2_b64 v108, v[86:87], v[84:85] offset0:7 offset1:8
	;; [unrolled: 1-line block ×22, first 2 shown]
	ds_write_b64 v108, v[102:103] offset:392
.LBB98_78:
	s_or_b64 exec, exec, s[0:1]
	v_cmp_lt_i32_e32 vcc, 4, v109
	s_waitcnt lgkmcnt(0)
	s_barrier
	s_and_saveexec_b64 s[0:1], vcc
	s_cbranch_execz .LBB98_80
; %bb.79:
	ds_read2_b64 v[114:117], v108 offset0:5 offset1:6
	ds_read2_b64 v[118:121], v108 offset0:7 offset1:8
	v_mul_f64 v[92:93], v[104:105], v[92:93]
	ds_read2_b64 v[122:125], v108 offset0:9 offset1:10
	ds_read_b64 v[104:105], v108 offset:392
	s_waitcnt lgkmcnt(0)
	v_fma_f64 v[90:91], -v[92:93], v[114:115], v[90:91]
	v_fma_f64 v[88:89], -v[92:93], v[116:117], v[88:89]
	ds_read2_b64 v[114:117], v108 offset0:11 offset1:12
	v_fma_f64 v[86:87], -v[92:93], v[118:119], v[86:87]
	v_fma_f64 v[84:85], -v[92:93], v[120:121], v[84:85]
	;; [unrolled: 1-line block ×3, first 2 shown]
	ds_read2_b64 v[118:121], v108 offset0:13 offset1:14
	v_fma_f64 v[80:81], -v[92:93], v[124:125], v[80:81]
	ds_read2_b64 v[122:125], v108 offset0:15 offset1:16
	s_waitcnt lgkmcnt(0)
	v_fma_f64 v[78:79], -v[92:93], v[114:115], v[78:79]
	v_fma_f64 v[76:77], -v[92:93], v[116:117], v[76:77]
	ds_read2_b64 v[114:117], v108 offset0:17 offset1:18
	v_fma_f64 v[74:75], -v[92:93], v[118:119], v[74:75]
	v_fma_f64 v[72:73], -v[92:93], v[120:121], v[72:73]
	ds_read2_b64 v[118:121], v108 offset0:19 offset1:20
	v_fma_f64 v[70:71], -v[92:93], v[122:123], v[70:71]
	v_fma_f64 v[68:69], -v[92:93], v[124:125], v[68:69]
	s_waitcnt lgkmcnt(0)
	v_fma_f64 v[64:65], -v[92:93], v[114:115], v[64:65]
	ds_read2_b64 v[122:125], v108 offset0:21 offset1:22
	v_fma_f64 v[66:67], -v[92:93], v[116:117], v[66:67]
	ds_read2_b64 v[114:117], v108 offset0:23 offset1:24
	v_fma_f64 v[62:63], -v[92:93], v[118:119], v[62:63]
	v_fma_f64 v[60:61], -v[92:93], v[120:121], v[60:61]
	s_waitcnt lgkmcnt(0)
	v_fma_f64 v[58:59], -v[92:93], v[122:123], v[58:59]
	ds_read2_b64 v[118:121], v108 offset0:25 offset1:26
	v_fma_f64 v[56:57], -v[92:93], v[124:125], v[56:57]
	ds_read2_b64 v[122:125], v108 offset0:27 offset1:28
	v_fma_f64 v[54:55], -v[92:93], v[114:115], v[54:55]
	v_fma_f64 v[52:53], -v[92:93], v[116:117], v[52:53]
	ds_read2_b64 v[114:117], v108 offset0:29 offset1:30
	s_waitcnt lgkmcnt(0)
	v_fma_f64 v[50:51], -v[92:93], v[118:119], v[50:51]
	v_fma_f64 v[48:49], -v[92:93], v[120:121], v[48:49]
	ds_read2_b64 v[118:121], v108 offset0:31 offset1:32
	v_fma_f64 v[46:47], -v[92:93], v[122:123], v[46:47]
	v_fma_f64 v[44:45], -v[92:93], v[124:125], v[44:45]
	;; [unrolled: 1-line block ×3, first 2 shown]
	ds_read2_b64 v[122:125], v108 offset0:33 offset1:34
	v_fma_f64 v[40:41], -v[92:93], v[116:117], v[40:41]
	ds_read2_b64 v[114:117], v108 offset0:35 offset1:36
	s_waitcnt lgkmcnt(0)
	v_fma_f64 v[38:39], -v[92:93], v[118:119], v[38:39]
	v_fma_f64 v[36:37], -v[92:93], v[120:121], v[36:37]
	;; [unrolled: 1-line block ×3, first 2 shown]
	ds_read2_b64 v[118:121], v108 offset0:37 offset1:38
	v_fma_f64 v[32:33], -v[92:93], v[124:125], v[32:33]
	ds_read2_b64 v[122:125], v108 offset0:39 offset1:40
	v_fma_f64 v[28:29], -v[92:93], v[114:115], v[28:29]
	v_fma_f64 v[30:31], -v[92:93], v[116:117], v[30:31]
	ds_read2_b64 v[114:117], v108 offset0:41 offset1:42
	s_waitcnt lgkmcnt(0)
	v_fma_f64 v[26:27], -v[92:93], v[118:119], v[26:27]
	v_fma_f64 v[24:25], -v[92:93], v[120:121], v[24:25]
	ds_read2_b64 v[118:121], v108 offset0:43 offset1:44
	v_fma_f64 v[22:23], -v[92:93], v[122:123], v[22:23]
	v_fma_f64 v[20:21], -v[92:93], v[124:125], v[20:21]
	;; [unrolled: 1-line block ×4, first 2 shown]
	ds_read2_b64 v[114:117], v108 offset0:45 offset1:46
	ds_read2_b64 v[122:125], v108 offset0:47 offset1:48
	s_waitcnt lgkmcnt(0)
	v_fma_f64 v[14:15], -v[92:93], v[118:119], v[14:15]
	v_fma_f64 v[12:13], -v[92:93], v[120:121], v[12:13]
	;; [unrolled: 1-line block ×7, first 2 shown]
.LBB98_80:
	s_or_b64 exec, exec, s[0:1]
	v_lshl_add_u32 v104, v109, 3, v108
	s_barrier
	ds_write_b64 v104, v[90:91]
	s_waitcnt lgkmcnt(0)
	s_barrier
	ds_read_b64 v[104:105], v108 offset:40
	s_cmp_lt_i32 s18, 7
	v_mov_b32_e32 v106, 5
	s_cbranch_scc1 .LBB98_83
; %bb.81:
	v_add3_u32 v114, v113, 0, 48
	s_mov_b32 s0, 6
	v_mov_b32_e32 v106, 5
.LBB98_82:                              ; =>This Inner Loop Header: Depth=1
	ds_read_b64 v[116:117], v114
	v_mov_b32_e32 v115, s0
	s_add_i32 s0, s0, 1
	v_add_u32_e32 v114, 8, v114
	s_cmp_lg_u32 s18, s0
	s_waitcnt lgkmcnt(0)
	v_cmp_lt_f64_e64 vcc, |v[104:105]|, |v[116:117]|
	v_cndmask_b32_e32 v105, v105, v117, vcc
	v_cndmask_b32_e32 v104, v104, v116, vcc
	;; [unrolled: 1-line block ×3, first 2 shown]
	s_cbranch_scc1 .LBB98_82
.LBB98_83:
	s_waitcnt lgkmcnt(0)
	v_cmp_eq_f64_e32 vcc, 0, v[104:105]
	s_and_saveexec_b64 s[0:1], vcc
	s_xor_b64 s[0:1], exec, s[0:1]
; %bb.84:
	v_cmp_ne_u32_e32 vcc, 0, v112
	v_cndmask_b32_e32 v112, 6, v112, vcc
; %bb.85:
	s_andn2_saveexec_b64 s[0:1], s[0:1]
; %bb.86:
	v_div_scale_f64 v[114:115], s[2:3], v[104:105], v[104:105], 1.0
	v_rcp_f64_e32 v[116:117], v[114:115]
	v_div_scale_f64 v[118:119], vcc, 1.0, v[104:105], 1.0
	v_fma_f64 v[120:121], -v[114:115], v[116:117], 1.0
	v_fmac_f64_e32 v[116:117], v[116:117], v[120:121]
	v_fma_f64 v[120:121], -v[114:115], v[116:117], 1.0
	v_fmac_f64_e32 v[116:117], v[116:117], v[120:121]
	v_mul_f64 v[120:121], v[118:119], v[116:117]
	v_fma_f64 v[114:115], -v[114:115], v[120:121], v[118:119]
	v_div_fmas_f64 v[114:115], v[114:115], v[116:117], v[120:121]
	v_div_fixup_f64 v[104:105], v[114:115], v[104:105], 1.0
; %bb.87:
	s_or_b64 exec, exec, s[0:1]
	v_cmp_ne_u32_e32 vcc, v109, v106
	s_and_saveexec_b64 s[0:1], vcc
	s_xor_b64 s[0:1], exec, s[0:1]
	s_cbranch_execz .LBB98_93
; %bb.88:
	v_cmp_eq_u32_e32 vcc, 5, v109
	s_and_saveexec_b64 s[2:3], vcc
	s_cbranch_execz .LBB98_92
; %bb.89:
	v_cmp_ne_u32_e32 vcc, 5, v106
	s_xor_b64 s[14:15], s[6:7], -1
	s_and_b64 s[16:17], s[14:15], vcc
	s_and_saveexec_b64 s[14:15], s[16:17]
	s_cbranch_execz .LBB98_91
; %bb.90:
	v_ashrrev_i32_e32 v107, 31, v106
	v_lshlrev_b64 v[114:115], 2, v[106:107]
	v_add_co_u32_e32 v114, vcc, v4, v114
	v_addc_co_u32_e32 v115, vcc, v5, v115, vcc
	flat_load_dword v107, v[114:115]
	flat_load_dword v109, v[4:5] offset:20
	s_waitcnt vmcnt(0) lgkmcnt(0)
	flat_store_dword v[4:5], v107 offset:20
	flat_store_dword v[114:115], v109
.LBB98_91:
	s_or_b64 exec, exec, s[14:15]
	v_mov_b32_e32 v107, v106
	v_mov_b32_e32 v109, v106
.LBB98_92:
	s_or_b64 exec, exec, s[2:3]
.LBB98_93:
	s_andn2_saveexec_b64 s[0:1], s[0:1]
	s_cbranch_execz .LBB98_95
; %bb.94:
	v_mov_b32_e32 v114, v88
	v_mov_b32_e32 v115, v89
	v_mov_b32_e32 v116, v86
	v_mov_b32_e32 v117, v87
	ds_write2_b64 v108, v[114:115], v[116:117] offset0:6 offset1:7
	v_mov_b32_e32 v114, v84
	v_mov_b32_e32 v115, v85
	v_mov_b32_e32 v116, v82
	v_mov_b32_e32 v117, v83
	ds_write2_b64 v108, v[114:115], v[116:117] offset0:8 offset1:9
	v_mov_b32_e32 v114, v80
	v_mov_b32_e32 v115, v81
	v_mov_b32_e32 v116, v78
	v_mov_b32_e32 v117, v79
	ds_write2_b64 v108, v[114:115], v[116:117] offset0:10 offset1:11
	v_mov_b32_e32 v114, v76
	v_mov_b32_e32 v115, v77
	v_mov_b32_e32 v116, v74
	v_mov_b32_e32 v117, v75
	ds_write2_b64 v108, v[114:115], v[116:117] offset0:12 offset1:13
	v_mov_b32_e32 v114, v72
	v_mov_b32_e32 v115, v73
	v_mov_b32_e32 v116, v70
	v_mov_b32_e32 v117, v71
	ds_write2_b64 v108, v[114:115], v[116:117] offset0:14 offset1:15
	v_mov_b32_e32 v114, v68
	v_mov_b32_e32 v115, v69
	v_mov_b32_e32 v116, v64
	v_mov_b32_e32 v117, v65
	ds_write2_b64 v108, v[114:115], v[116:117] offset0:16 offset1:17
	v_mov_b32_e32 v114, v66
	v_mov_b32_e32 v115, v67
	v_mov_b32_e32 v116, v62
	v_mov_b32_e32 v117, v63
	ds_write2_b64 v108, v[114:115], v[116:117] offset0:18 offset1:19
	v_mov_b32_e32 v114, v60
	v_mov_b32_e32 v115, v61
	v_mov_b32_e32 v116, v58
	v_mov_b32_e32 v117, v59
	ds_write2_b64 v108, v[114:115], v[116:117] offset0:20 offset1:21
	v_mov_b32_e32 v114, v56
	v_mov_b32_e32 v115, v57
	v_mov_b32_e32 v116, v54
	v_mov_b32_e32 v117, v55
	ds_write2_b64 v108, v[114:115], v[116:117] offset0:22 offset1:23
	v_mov_b32_e32 v114, v52
	v_mov_b32_e32 v115, v53
	v_mov_b32_e32 v116, v50
	v_mov_b32_e32 v117, v51
	ds_write2_b64 v108, v[114:115], v[116:117] offset0:24 offset1:25
	v_mov_b32_e32 v114, v48
	v_mov_b32_e32 v115, v49
	v_mov_b32_e32 v116, v46
	v_mov_b32_e32 v117, v47
	ds_write2_b64 v108, v[114:115], v[116:117] offset0:26 offset1:27
	v_mov_b32_e32 v114, v44
	v_mov_b32_e32 v115, v45
	v_mov_b32_e32 v116, v42
	v_mov_b32_e32 v117, v43
	ds_write2_b64 v108, v[114:115], v[116:117] offset0:28 offset1:29
	v_mov_b32_e32 v114, v40
	v_mov_b32_e32 v115, v41
	v_mov_b32_e32 v116, v38
	v_mov_b32_e32 v117, v39
	ds_write2_b64 v108, v[114:115], v[116:117] offset0:30 offset1:31
	v_mov_b32_e32 v114, v36
	v_mov_b32_e32 v115, v37
	v_mov_b32_e32 v116, v34
	v_mov_b32_e32 v117, v35
	ds_write2_b64 v108, v[114:115], v[116:117] offset0:32 offset1:33
	v_mov_b32_e32 v114, v32
	v_mov_b32_e32 v115, v33
	v_mov_b32_e32 v116, v28
	v_mov_b32_e32 v117, v29
	ds_write2_b64 v108, v[114:115], v[116:117] offset0:34 offset1:35
	v_mov_b32_e32 v114, v30
	v_mov_b32_e32 v115, v31
	v_mov_b32_e32 v116, v26
	v_mov_b32_e32 v117, v27
	ds_write2_b64 v108, v[114:115], v[116:117] offset0:36 offset1:37
	v_mov_b32_e32 v114, v24
	v_mov_b32_e32 v115, v25
	v_mov_b32_e32 v116, v22
	v_mov_b32_e32 v117, v23
	ds_write2_b64 v108, v[114:115], v[116:117] offset0:38 offset1:39
	v_mov_b32_e32 v114, v20
	v_mov_b32_e32 v115, v21
	v_mov_b32_e32 v116, v18
	v_mov_b32_e32 v117, v19
	ds_write2_b64 v108, v[114:115], v[116:117] offset0:40 offset1:41
	v_mov_b32_e32 v114, v16
	v_mov_b32_e32 v115, v17
	v_mov_b32_e32 v116, v14
	v_mov_b32_e32 v117, v15
	ds_write2_b64 v108, v[114:115], v[116:117] offset0:42 offset1:43
	v_mov_b32_e32 v114, v12
	v_mov_b32_e32 v115, v13
	v_mov_b32_e32 v116, v10
	v_mov_b32_e32 v117, v11
	ds_write2_b64 v108, v[114:115], v[116:117] offset0:44 offset1:45
	v_mov_b32_e32 v114, v8
	v_mov_b32_e32 v115, v9
	v_mov_b32_e32 v116, v6
	v_mov_b32_e32 v117, v7
	ds_write2_b64 v108, v[114:115], v[116:117] offset0:46 offset1:47
	v_mov_b32_e32 v114, v0
	v_mov_b32_e32 v115, v1
	;; [unrolled: 1-line block ×3, first 2 shown]
	ds_write2_b64 v108, v[114:115], v[102:103] offset0:48 offset1:49
.LBB98_95:
	s_or_b64 exec, exec, s[0:1]
	v_cmp_lt_i32_e32 vcc, 5, v109
	s_waitcnt lgkmcnt(0)
	s_barrier
	s_and_saveexec_b64 s[0:1], vcc
	s_cbranch_execz .LBB98_97
; %bb.96:
	ds_read2_b64 v[114:117], v108 offset0:6 offset1:7
	ds_read2_b64 v[118:121], v108 offset0:8 offset1:9
	v_mul_f64 v[90:91], v[104:105], v[90:91]
	ds_read2_b64 v[122:125], v108 offset0:10 offset1:11
	s_waitcnt lgkmcnt(0)
	v_fma_f64 v[88:89], -v[90:91], v[114:115], v[88:89]
	v_fma_f64 v[86:87], -v[90:91], v[116:117], v[86:87]
	ds_read2_b64 v[114:117], v108 offset0:12 offset1:13
	v_fma_f64 v[84:85], -v[90:91], v[118:119], v[84:85]
	v_fma_f64 v[82:83], -v[90:91], v[120:121], v[82:83]
	;; [unrolled: 1-line block ×3, first 2 shown]
	ds_read2_b64 v[118:121], v108 offset0:14 offset1:15
	v_fma_f64 v[78:79], -v[90:91], v[124:125], v[78:79]
	ds_read2_b64 v[122:125], v108 offset0:16 offset1:17
	s_waitcnt lgkmcnt(0)
	v_fma_f64 v[76:77], -v[90:91], v[114:115], v[76:77]
	v_fma_f64 v[74:75], -v[90:91], v[116:117], v[74:75]
	ds_read2_b64 v[114:117], v108 offset0:18 offset1:19
	v_fma_f64 v[72:73], -v[90:91], v[118:119], v[72:73]
	v_fma_f64 v[70:71], -v[90:91], v[120:121], v[70:71]
	ds_read2_b64 v[118:121], v108 offset0:20 offset1:21
	v_fma_f64 v[68:69], -v[90:91], v[122:123], v[68:69]
	v_fma_f64 v[64:65], -v[90:91], v[124:125], v[64:65]
	s_waitcnt lgkmcnt(0)
	v_fma_f64 v[66:67], -v[90:91], v[114:115], v[66:67]
	ds_read2_b64 v[122:125], v108 offset0:22 offset1:23
	v_fma_f64 v[62:63], -v[90:91], v[116:117], v[62:63]
	ds_read2_b64 v[114:117], v108 offset0:24 offset1:25
	v_fma_f64 v[60:61], -v[90:91], v[118:119], v[60:61]
	v_fma_f64 v[58:59], -v[90:91], v[120:121], v[58:59]
	s_waitcnt lgkmcnt(0)
	v_fma_f64 v[56:57], -v[90:91], v[122:123], v[56:57]
	ds_read2_b64 v[118:121], v108 offset0:26 offset1:27
	v_fma_f64 v[54:55], -v[90:91], v[124:125], v[54:55]
	ds_read2_b64 v[122:125], v108 offset0:28 offset1:29
	v_fma_f64 v[52:53], -v[90:91], v[114:115], v[52:53]
	v_fma_f64 v[50:51], -v[90:91], v[116:117], v[50:51]
	ds_read2_b64 v[114:117], v108 offset0:30 offset1:31
	s_waitcnt lgkmcnt(0)
	v_fma_f64 v[48:49], -v[90:91], v[118:119], v[48:49]
	v_fma_f64 v[46:47], -v[90:91], v[120:121], v[46:47]
	ds_read2_b64 v[118:121], v108 offset0:32 offset1:33
	v_fma_f64 v[44:45], -v[90:91], v[122:123], v[44:45]
	v_fma_f64 v[42:43], -v[90:91], v[124:125], v[42:43]
	;; [unrolled: 1-line block ×3, first 2 shown]
	ds_read2_b64 v[122:125], v108 offset0:34 offset1:35
	v_fma_f64 v[38:39], -v[90:91], v[116:117], v[38:39]
	ds_read2_b64 v[114:117], v108 offset0:36 offset1:37
	s_waitcnt lgkmcnt(0)
	v_fma_f64 v[36:37], -v[90:91], v[118:119], v[36:37]
	v_fma_f64 v[34:35], -v[90:91], v[120:121], v[34:35]
	;; [unrolled: 1-line block ×3, first 2 shown]
	ds_read2_b64 v[118:121], v108 offset0:38 offset1:39
	v_fma_f64 v[28:29], -v[90:91], v[124:125], v[28:29]
	ds_read2_b64 v[122:125], v108 offset0:40 offset1:41
	v_fma_f64 v[30:31], -v[90:91], v[114:115], v[30:31]
	v_fma_f64 v[26:27], -v[90:91], v[116:117], v[26:27]
	ds_read2_b64 v[114:117], v108 offset0:42 offset1:43
	s_waitcnt lgkmcnt(0)
	v_fma_f64 v[24:25], -v[90:91], v[118:119], v[24:25]
	v_fma_f64 v[22:23], -v[90:91], v[120:121], v[22:23]
	ds_read2_b64 v[118:121], v108 offset0:44 offset1:45
	v_fma_f64 v[20:21], -v[90:91], v[122:123], v[20:21]
	v_fma_f64 v[18:19], -v[90:91], v[124:125], v[18:19]
	;; [unrolled: 1-line block ×3, first 2 shown]
	ds_read2_b64 v[122:125], v108 offset0:46 offset1:47
	v_fma_f64 v[14:15], -v[90:91], v[116:117], v[14:15]
	ds_read2_b64 v[114:117], v108 offset0:48 offset1:49
	s_waitcnt lgkmcnt(0)
	v_fma_f64 v[12:13], -v[90:91], v[118:119], v[12:13]
	v_fma_f64 v[10:11], -v[90:91], v[120:121], v[10:11]
	;; [unrolled: 1-line block ×6, first 2 shown]
.LBB98_97:
	s_or_b64 exec, exec, s[0:1]
	v_lshl_add_u32 v104, v109, 3, v108
	s_barrier
	ds_write_b64 v104, v[88:89]
	s_waitcnt lgkmcnt(0)
	s_barrier
	ds_read_b64 v[104:105], v108 offset:48
	s_cmp_lt_i32 s18, 8
	v_mov_b32_e32 v106, 6
	s_cbranch_scc1 .LBB98_100
; %bb.98:
	v_add3_u32 v114, v113, 0, 56
	s_mov_b32 s0, 7
	v_mov_b32_e32 v106, 6
.LBB98_99:                              ; =>This Inner Loop Header: Depth=1
	ds_read_b64 v[116:117], v114
	v_mov_b32_e32 v115, s0
	s_add_i32 s0, s0, 1
	v_add_u32_e32 v114, 8, v114
	s_cmp_lg_u32 s18, s0
	s_waitcnt lgkmcnt(0)
	v_cmp_lt_f64_e64 vcc, |v[104:105]|, |v[116:117]|
	v_cndmask_b32_e32 v105, v105, v117, vcc
	v_cndmask_b32_e32 v104, v104, v116, vcc
	;; [unrolled: 1-line block ×3, first 2 shown]
	s_cbranch_scc1 .LBB98_99
.LBB98_100:
	s_waitcnt lgkmcnt(0)
	v_cmp_eq_f64_e32 vcc, 0, v[104:105]
	s_and_saveexec_b64 s[0:1], vcc
	s_xor_b64 s[0:1], exec, s[0:1]
; %bb.101:
	v_cmp_ne_u32_e32 vcc, 0, v112
	v_cndmask_b32_e32 v112, 7, v112, vcc
; %bb.102:
	s_andn2_saveexec_b64 s[0:1], s[0:1]
; %bb.103:
	v_div_scale_f64 v[114:115], s[2:3], v[104:105], v[104:105], 1.0
	v_rcp_f64_e32 v[116:117], v[114:115]
	v_div_scale_f64 v[118:119], vcc, 1.0, v[104:105], 1.0
	v_fma_f64 v[120:121], -v[114:115], v[116:117], 1.0
	v_fmac_f64_e32 v[116:117], v[116:117], v[120:121]
	v_fma_f64 v[120:121], -v[114:115], v[116:117], 1.0
	v_fmac_f64_e32 v[116:117], v[116:117], v[120:121]
	v_mul_f64 v[120:121], v[118:119], v[116:117]
	v_fma_f64 v[114:115], -v[114:115], v[120:121], v[118:119]
	v_div_fmas_f64 v[114:115], v[114:115], v[116:117], v[120:121]
	v_div_fixup_f64 v[104:105], v[114:115], v[104:105], 1.0
; %bb.104:
	s_or_b64 exec, exec, s[0:1]
	v_cmp_ne_u32_e32 vcc, v109, v106
	s_and_saveexec_b64 s[0:1], vcc
	s_xor_b64 s[0:1], exec, s[0:1]
	s_cbranch_execz .LBB98_110
; %bb.105:
	v_cmp_eq_u32_e32 vcc, 6, v109
	s_and_saveexec_b64 s[2:3], vcc
	s_cbranch_execz .LBB98_109
; %bb.106:
	v_cmp_ne_u32_e32 vcc, 6, v106
	s_xor_b64 s[14:15], s[6:7], -1
	s_and_b64 s[16:17], s[14:15], vcc
	s_and_saveexec_b64 s[14:15], s[16:17]
	s_cbranch_execz .LBB98_108
; %bb.107:
	v_ashrrev_i32_e32 v107, 31, v106
	v_lshlrev_b64 v[114:115], 2, v[106:107]
	v_add_co_u32_e32 v114, vcc, v4, v114
	v_addc_co_u32_e32 v115, vcc, v5, v115, vcc
	flat_load_dword v107, v[114:115]
	flat_load_dword v109, v[4:5] offset:24
	s_waitcnt vmcnt(0) lgkmcnt(0)
	flat_store_dword v[4:5], v107 offset:24
	flat_store_dword v[114:115], v109
.LBB98_108:
	s_or_b64 exec, exec, s[14:15]
	v_mov_b32_e32 v107, v106
	v_mov_b32_e32 v109, v106
.LBB98_109:
	s_or_b64 exec, exec, s[2:3]
.LBB98_110:
	s_andn2_saveexec_b64 s[0:1], s[0:1]
	s_cbranch_execz .LBB98_112
; %bb.111:
	v_mov_b32_e32 v109, 6
	ds_write2_b64 v108, v[86:87], v[84:85] offset0:7 offset1:8
	ds_write2_b64 v108, v[82:83], v[80:81] offset0:9 offset1:10
	ds_write2_b64 v108, v[78:79], v[76:77] offset0:11 offset1:12
	ds_write2_b64 v108, v[74:75], v[72:73] offset0:13 offset1:14
	ds_write2_b64 v108, v[70:71], v[68:69] offset0:15 offset1:16
	ds_write2_b64 v108, v[64:65], v[66:67] offset0:17 offset1:18
	ds_write2_b64 v108, v[62:63], v[60:61] offset0:19 offset1:20
	ds_write2_b64 v108, v[58:59], v[56:57] offset0:21 offset1:22
	ds_write2_b64 v108, v[54:55], v[52:53] offset0:23 offset1:24
	ds_write2_b64 v108, v[50:51], v[48:49] offset0:25 offset1:26
	ds_write2_b64 v108, v[46:47], v[44:45] offset0:27 offset1:28
	ds_write2_b64 v108, v[42:43], v[40:41] offset0:29 offset1:30
	ds_write2_b64 v108, v[38:39], v[36:37] offset0:31 offset1:32
	ds_write2_b64 v108, v[34:35], v[32:33] offset0:33 offset1:34
	ds_write2_b64 v108, v[28:29], v[30:31] offset0:35 offset1:36
	ds_write2_b64 v108, v[26:27], v[24:25] offset0:37 offset1:38
	ds_write2_b64 v108, v[22:23], v[20:21] offset0:39 offset1:40
	ds_write2_b64 v108, v[18:19], v[16:17] offset0:41 offset1:42
	ds_write2_b64 v108, v[14:15], v[12:13] offset0:43 offset1:44
	ds_write2_b64 v108, v[10:11], v[8:9] offset0:45 offset1:46
	ds_write2_b64 v108, v[6:7], v[0:1] offset0:47 offset1:48
	ds_write_b64 v108, v[102:103] offset:392
.LBB98_112:
	s_or_b64 exec, exec, s[0:1]
	v_cmp_lt_i32_e32 vcc, 6, v109
	s_waitcnt lgkmcnt(0)
	s_barrier
	s_and_saveexec_b64 s[0:1], vcc
	s_cbranch_execz .LBB98_114
; %bb.113:
	ds_read2_b64 v[114:117], v108 offset0:7 offset1:8
	ds_read2_b64 v[118:121], v108 offset0:9 offset1:10
	ds_read2_b64 v[122:125], v108 offset0:11 offset1:12
	v_mul_f64 v[88:89], v[104:105], v[88:89]
	ds_read_b64 v[104:105], v108 offset:392
	s_waitcnt lgkmcnt(0)
	v_fma_f64 v[86:87], -v[88:89], v[114:115], v[86:87]
	v_fma_f64 v[84:85], -v[88:89], v[116:117], v[84:85]
	ds_read2_b64 v[114:117], v108 offset0:13 offset1:14
	v_fma_f64 v[82:83], -v[88:89], v[118:119], v[82:83]
	v_fma_f64 v[80:81], -v[88:89], v[120:121], v[80:81]
	v_fma_f64 v[78:79], -v[88:89], v[122:123], v[78:79]
	ds_read2_b64 v[118:121], v108 offset0:15 offset1:16
	v_fma_f64 v[76:77], -v[88:89], v[124:125], v[76:77]
	ds_read2_b64 v[122:125], v108 offset0:17 offset1:18
	s_waitcnt lgkmcnt(0)
	v_fma_f64 v[74:75], -v[88:89], v[114:115], v[74:75]
	v_fma_f64 v[72:73], -v[88:89], v[116:117], v[72:73]
	v_fma_f64 v[70:71], -v[88:89], v[118:119], v[70:71]
	ds_read2_b64 v[114:117], v108 offset0:19 offset1:20
	v_fma_f64 v[68:69], -v[88:89], v[120:121], v[68:69]
	ds_read2_b64 v[118:121], v108 offset0:21 offset1:22
	v_fma_f64 v[64:65], -v[88:89], v[122:123], v[64:65]
	v_fma_f64 v[66:67], -v[88:89], v[124:125], v[66:67]
	ds_read2_b64 v[122:125], v108 offset0:23 offset1:24
	s_waitcnt lgkmcnt(0)
	v_fma_f64 v[62:63], -v[88:89], v[114:115], v[62:63]
	v_fma_f64 v[60:61], -v[88:89], v[116:117], v[60:61]
	ds_read2_b64 v[114:117], v108 offset0:25 offset1:26
	v_fma_f64 v[58:59], -v[88:89], v[118:119], v[58:59]
	v_fma_f64 v[56:57], -v[88:89], v[120:121], v[56:57]
	v_fma_f64 v[54:55], -v[88:89], v[122:123], v[54:55]
	ds_read2_b64 v[118:121], v108 offset0:27 offset1:28
	v_fma_f64 v[52:53], -v[88:89], v[124:125], v[52:53]
	ds_read2_b64 v[122:125], v108 offset0:29 offset1:30
	s_waitcnt lgkmcnt(0)
	v_fma_f64 v[50:51], -v[88:89], v[114:115], v[50:51]
	v_fma_f64 v[48:49], -v[88:89], v[116:117], v[48:49]
	v_fma_f64 v[46:47], -v[88:89], v[118:119], v[46:47]
	ds_read2_b64 v[114:117], v108 offset0:31 offset1:32
	v_fma_f64 v[44:45], -v[88:89], v[120:121], v[44:45]
	ds_read2_b64 v[118:121], v108 offset0:33 offset1:34
	v_fma_f64 v[42:43], -v[88:89], v[122:123], v[42:43]
	v_fma_f64 v[40:41], -v[88:89], v[124:125], v[40:41]
	ds_read2_b64 v[122:125], v108 offset0:35 offset1:36
	;; [unrolled: 20-line block ×3, first 2 shown]
	s_waitcnt lgkmcnt(0)
	v_fma_f64 v[14:15], -v[88:89], v[114:115], v[14:15]
	v_fma_f64 v[12:13], -v[88:89], v[116:117], v[12:13]
	;; [unrolled: 1-line block ×7, first 2 shown]
.LBB98_114:
	s_or_b64 exec, exec, s[0:1]
	v_lshl_add_u32 v104, v109, 3, v108
	s_barrier
	ds_write_b64 v104, v[86:87]
	s_waitcnt lgkmcnt(0)
	s_barrier
	ds_read_b64 v[104:105], v108 offset:56
	s_cmp_lt_i32 s18, 9
	v_mov_b32_e32 v106, 7
	s_cbranch_scc1 .LBB98_117
; %bb.115:
	v_add3_u32 v113, v113, 0, 64
	s_mov_b32 s0, 8
	v_mov_b32_e32 v106, 7
.LBB98_116:                             ; =>This Inner Loop Header: Depth=1
	ds_read_b64 v[114:115], v113
	v_mov_b32_e32 v116, s0
	s_add_i32 s0, s0, 1
	v_add_u32_e32 v113, 8, v113
	s_cmp_lg_u32 s18, s0
	s_waitcnt lgkmcnt(0)
	v_cmp_lt_f64_e64 vcc, |v[104:105]|, |v[114:115]|
	v_cndmask_b32_e32 v105, v105, v115, vcc
	v_cndmask_b32_e32 v104, v104, v114, vcc
	;; [unrolled: 1-line block ×3, first 2 shown]
	s_cbranch_scc1 .LBB98_116
.LBB98_117:
	s_waitcnt lgkmcnt(0)
	v_cmp_eq_f64_e32 vcc, 0, v[104:105]
	s_and_saveexec_b64 s[0:1], vcc
	s_xor_b64 s[0:1], exec, s[0:1]
; %bb.118:
	v_cmp_ne_u32_e32 vcc, 0, v112
	v_cndmask_b32_e32 v112, 8, v112, vcc
; %bb.119:
	s_andn2_saveexec_b64 s[0:1], s[0:1]
; %bb.120:
	v_div_scale_f64 v[114:115], s[2:3], v[104:105], v[104:105], 1.0
	v_rcp_f64_e32 v[116:117], v[114:115]
	v_div_scale_f64 v[118:119], vcc, 1.0, v[104:105], 1.0
	v_fma_f64 v[120:121], -v[114:115], v[116:117], 1.0
	v_fmac_f64_e32 v[116:117], v[116:117], v[120:121]
	v_fma_f64 v[120:121], -v[114:115], v[116:117], 1.0
	v_fmac_f64_e32 v[116:117], v[116:117], v[120:121]
	v_mul_f64 v[120:121], v[118:119], v[116:117]
	v_fma_f64 v[114:115], -v[114:115], v[120:121], v[118:119]
	v_div_fmas_f64 v[114:115], v[114:115], v[116:117], v[120:121]
	v_div_fixup_f64 v[104:105], v[114:115], v[104:105], 1.0
; %bb.121:
	s_or_b64 exec, exec, s[0:1]
	v_cmp_ne_u32_e32 vcc, v109, v106
	s_and_saveexec_b64 s[0:1], vcc
	s_xor_b64 s[0:1], exec, s[0:1]
	s_cbranch_execz .LBB98_127
; %bb.122:
	v_cmp_eq_u32_e32 vcc, 7, v109
	s_and_saveexec_b64 s[2:3], vcc
	s_cbranch_execz .LBB98_126
; %bb.123:
	v_cmp_ne_u32_e32 vcc, 7, v106
	s_xor_b64 s[14:15], s[6:7], -1
	s_and_b64 s[16:17], s[14:15], vcc
	s_and_saveexec_b64 s[14:15], s[16:17]
	s_cbranch_execz .LBB98_125
; %bb.124:
	v_ashrrev_i32_e32 v107, 31, v106
	v_lshlrev_b64 v[114:115], 2, v[106:107]
	v_add_co_u32_e32 v114, vcc, v4, v114
	v_addc_co_u32_e32 v115, vcc, v5, v115, vcc
	flat_load_dword v107, v[114:115]
	flat_load_dword v109, v[4:5] offset:28
	s_waitcnt vmcnt(0) lgkmcnt(0)
	flat_store_dword v[4:5], v107 offset:28
	flat_store_dword v[114:115], v109
.LBB98_125:
	s_or_b64 exec, exec, s[14:15]
	v_mov_b32_e32 v107, v106
	v_mov_b32_e32 v109, v106
.LBB98_126:
	s_or_b64 exec, exec, s[2:3]
.LBB98_127:
	s_andn2_saveexec_b64 s[0:1], s[0:1]
	s_cbranch_execz .LBB98_129
; %bb.128:
	v_mov_b32_e32 v114, v84
	v_mov_b32_e32 v115, v85
	v_mov_b32_e32 v116, v82
	v_mov_b32_e32 v117, v83
	ds_write2_b64 v108, v[114:115], v[116:117] offset0:8 offset1:9
	v_mov_b32_e32 v114, v80
	v_mov_b32_e32 v115, v81
	v_mov_b32_e32 v116, v78
	v_mov_b32_e32 v117, v79
	ds_write2_b64 v108, v[114:115], v[116:117] offset0:10 offset1:11
	;; [unrolled: 5-line block ×20, first 2 shown]
	v_mov_b32_e32 v114, v0
	v_mov_b32_e32 v115, v1
	;; [unrolled: 1-line block ×3, first 2 shown]
	ds_write2_b64 v108, v[114:115], v[102:103] offset0:48 offset1:49
.LBB98_129:
	s_or_b64 exec, exec, s[0:1]
	v_cmp_lt_i32_e32 vcc, 7, v109
	s_waitcnt lgkmcnt(0)
	s_barrier
	s_and_saveexec_b64 s[0:1], vcc
	s_cbranch_execz .LBB98_131
; %bb.130:
	ds_read2_b64 v[114:117], v108 offset0:8 offset1:9
	ds_read2_b64 v[118:121], v108 offset0:10 offset1:11
	;; [unrolled: 1-line block ×3, first 2 shown]
	v_mul_f64 v[86:87], v[104:105], v[86:87]
	s_waitcnt lgkmcnt(0)
	v_fma_f64 v[84:85], -v[86:87], v[114:115], v[84:85]
	v_fma_f64 v[82:83], -v[86:87], v[116:117], v[82:83]
	ds_read2_b64 v[114:117], v108 offset0:14 offset1:15
	v_fma_f64 v[80:81], -v[86:87], v[118:119], v[80:81]
	v_fma_f64 v[78:79], -v[86:87], v[120:121], v[78:79]
	;; [unrolled: 1-line block ×3, first 2 shown]
	ds_read2_b64 v[118:121], v108 offset0:16 offset1:17
	v_fma_f64 v[74:75], -v[86:87], v[124:125], v[74:75]
	ds_read2_b64 v[122:125], v108 offset0:18 offset1:19
	s_waitcnt lgkmcnt(0)
	v_fma_f64 v[72:73], -v[86:87], v[114:115], v[72:73]
	v_fma_f64 v[70:71], -v[86:87], v[116:117], v[70:71]
	;; [unrolled: 1-line block ×3, first 2 shown]
	ds_read2_b64 v[114:117], v108 offset0:20 offset1:21
	v_fma_f64 v[64:65], -v[86:87], v[120:121], v[64:65]
	ds_read2_b64 v[118:121], v108 offset0:22 offset1:23
	v_fma_f64 v[66:67], -v[86:87], v[122:123], v[66:67]
	v_fma_f64 v[62:63], -v[86:87], v[124:125], v[62:63]
	ds_read2_b64 v[122:125], v108 offset0:24 offset1:25
	s_waitcnt lgkmcnt(0)
	v_fma_f64 v[60:61], -v[86:87], v[114:115], v[60:61]
	v_fma_f64 v[58:59], -v[86:87], v[116:117], v[58:59]
	ds_read2_b64 v[114:117], v108 offset0:26 offset1:27
	v_fma_f64 v[56:57], -v[86:87], v[118:119], v[56:57]
	v_fma_f64 v[54:55], -v[86:87], v[120:121], v[54:55]
	;; [unrolled: 1-line block ×3, first 2 shown]
	ds_read2_b64 v[118:121], v108 offset0:28 offset1:29
	v_fma_f64 v[50:51], -v[86:87], v[124:125], v[50:51]
	ds_read2_b64 v[122:125], v108 offset0:30 offset1:31
	s_waitcnt lgkmcnt(0)
	v_fma_f64 v[48:49], -v[86:87], v[114:115], v[48:49]
	v_fma_f64 v[46:47], -v[86:87], v[116:117], v[46:47]
	;; [unrolled: 1-line block ×3, first 2 shown]
	ds_read2_b64 v[114:117], v108 offset0:32 offset1:33
	v_fma_f64 v[42:43], -v[86:87], v[120:121], v[42:43]
	ds_read2_b64 v[118:121], v108 offset0:34 offset1:35
	v_fma_f64 v[40:41], -v[86:87], v[122:123], v[40:41]
	v_fma_f64 v[38:39], -v[86:87], v[124:125], v[38:39]
	ds_read2_b64 v[122:125], v108 offset0:36 offset1:37
	s_waitcnt lgkmcnt(0)
	v_fma_f64 v[36:37], -v[86:87], v[114:115], v[36:37]
	v_fma_f64 v[34:35], -v[86:87], v[116:117], v[34:35]
	ds_read2_b64 v[114:117], v108 offset0:38 offset1:39
	v_fma_f64 v[32:33], -v[86:87], v[118:119], v[32:33]
	v_fma_f64 v[28:29], -v[86:87], v[120:121], v[28:29]
	;; [unrolled: 1-line block ×3, first 2 shown]
	ds_read2_b64 v[118:121], v108 offset0:40 offset1:41
	v_fma_f64 v[26:27], -v[86:87], v[124:125], v[26:27]
	ds_read2_b64 v[122:125], v108 offset0:42 offset1:43
	s_waitcnt lgkmcnt(0)
	v_fma_f64 v[24:25], -v[86:87], v[114:115], v[24:25]
	v_fma_f64 v[22:23], -v[86:87], v[116:117], v[22:23]
	;; [unrolled: 1-line block ×4, first 2 shown]
	ds_read2_b64 v[114:117], v108 offset0:44 offset1:45
	ds_read2_b64 v[118:121], v108 offset0:46 offset1:47
	v_fma_f64 v[16:17], -v[86:87], v[122:123], v[16:17]
	v_fma_f64 v[14:15], -v[86:87], v[124:125], v[14:15]
	ds_read2_b64 v[122:125], v108 offset0:48 offset1:49
	s_waitcnt lgkmcnt(0)
	v_fma_f64 v[12:13], -v[86:87], v[114:115], v[12:13]
	v_fma_f64 v[10:11], -v[86:87], v[116:117], v[10:11]
	;; [unrolled: 1-line block ×6, first 2 shown]
.LBB98_131:
	s_or_b64 exec, exec, s[0:1]
	v_lshl_add_u32 v104, v109, 3, v108
	s_barrier
	ds_write_b64 v104, v[84:85]
	s_waitcnt lgkmcnt(0)
	s_barrier
	ds_read_b64 v[104:105], v108 offset:64
	s_cmp_lt_i32 s18, 10
	v_mov_b32_e32 v106, 8
	s_cbranch_scc1 .LBB98_134
; %bb.132:
	v_add_u32_e32 v113, 0x48, v108
	s_mov_b32 s0, 9
	v_mov_b32_e32 v106, 8
.LBB98_133:                             ; =>This Inner Loop Header: Depth=1
	ds_read_b64 v[114:115], v113
	v_mov_b32_e32 v116, s0
	s_add_i32 s0, s0, 1
	v_add_u32_e32 v113, 8, v113
	s_cmp_lg_u32 s18, s0
	s_waitcnt lgkmcnt(0)
	v_cmp_lt_f64_e64 vcc, |v[104:105]|, |v[114:115]|
	v_cndmask_b32_e32 v105, v105, v115, vcc
	v_cndmask_b32_e32 v104, v104, v114, vcc
	;; [unrolled: 1-line block ×3, first 2 shown]
	s_cbranch_scc1 .LBB98_133
.LBB98_134:
	s_waitcnt lgkmcnt(0)
	v_cmp_eq_f64_e32 vcc, 0, v[104:105]
	s_and_saveexec_b64 s[0:1], vcc
	s_xor_b64 s[0:1], exec, s[0:1]
; %bb.135:
	v_cmp_ne_u32_e32 vcc, 0, v112
	v_cndmask_b32_e32 v112, 9, v112, vcc
; %bb.136:
	s_andn2_saveexec_b64 s[0:1], s[0:1]
; %bb.137:
	v_div_scale_f64 v[114:115], s[2:3], v[104:105], v[104:105], 1.0
	v_rcp_f64_e32 v[116:117], v[114:115]
	v_div_scale_f64 v[118:119], vcc, 1.0, v[104:105], 1.0
	v_fma_f64 v[120:121], -v[114:115], v[116:117], 1.0
	v_fmac_f64_e32 v[116:117], v[116:117], v[120:121]
	v_fma_f64 v[120:121], -v[114:115], v[116:117], 1.0
	v_fmac_f64_e32 v[116:117], v[116:117], v[120:121]
	v_mul_f64 v[120:121], v[118:119], v[116:117]
	v_fma_f64 v[114:115], -v[114:115], v[120:121], v[118:119]
	v_div_fmas_f64 v[114:115], v[114:115], v[116:117], v[120:121]
	v_div_fixup_f64 v[104:105], v[114:115], v[104:105], 1.0
; %bb.138:
	s_or_b64 exec, exec, s[0:1]
	v_cmp_ne_u32_e32 vcc, v109, v106
	s_and_saveexec_b64 s[0:1], vcc
	s_xor_b64 s[0:1], exec, s[0:1]
	s_cbranch_execz .LBB98_144
; %bb.139:
	v_cmp_eq_u32_e32 vcc, 8, v109
	s_and_saveexec_b64 s[2:3], vcc
	s_cbranch_execz .LBB98_143
; %bb.140:
	v_cmp_ne_u32_e32 vcc, 8, v106
	s_xor_b64 s[14:15], s[6:7], -1
	s_and_b64 s[16:17], s[14:15], vcc
	s_and_saveexec_b64 s[14:15], s[16:17]
	s_cbranch_execz .LBB98_142
; %bb.141:
	v_ashrrev_i32_e32 v107, 31, v106
	v_lshlrev_b64 v[114:115], 2, v[106:107]
	v_add_co_u32_e32 v114, vcc, v4, v114
	v_addc_co_u32_e32 v115, vcc, v5, v115, vcc
	flat_load_dword v107, v[114:115]
	flat_load_dword v109, v[4:5] offset:32
	s_waitcnt vmcnt(0) lgkmcnt(0)
	flat_store_dword v[4:5], v107 offset:32
	flat_store_dword v[114:115], v109
.LBB98_142:
	s_or_b64 exec, exec, s[14:15]
	v_mov_b32_e32 v107, v106
	v_mov_b32_e32 v109, v106
.LBB98_143:
	s_or_b64 exec, exec, s[2:3]
.LBB98_144:
	s_andn2_saveexec_b64 s[0:1], s[0:1]
	s_cbranch_execz .LBB98_146
; %bb.145:
	v_mov_b32_e32 v109, 8
	ds_write2_b64 v108, v[82:83], v[80:81] offset0:9 offset1:10
	ds_write2_b64 v108, v[78:79], v[76:77] offset0:11 offset1:12
	;; [unrolled: 1-line block ×20, first 2 shown]
	ds_write_b64 v108, v[102:103] offset:392
.LBB98_146:
	s_or_b64 exec, exec, s[0:1]
	v_cmp_lt_i32_e32 vcc, 8, v109
	s_waitcnt lgkmcnt(0)
	s_barrier
	s_and_saveexec_b64 s[0:1], vcc
	s_cbranch_execz .LBB98_148
; %bb.147:
	ds_read2_b64 v[114:117], v108 offset0:9 offset1:10
	ds_read2_b64 v[118:121], v108 offset0:11 offset1:12
	v_mul_f64 v[84:85], v[104:105], v[84:85]
	ds_read2_b64 v[122:125], v108 offset0:13 offset1:14
	ds_read_b64 v[104:105], v108 offset:392
	s_waitcnt lgkmcnt(0)
	v_fma_f64 v[82:83], -v[84:85], v[114:115], v[82:83]
	v_fma_f64 v[80:81], -v[84:85], v[116:117], v[80:81]
	ds_read2_b64 v[114:117], v108 offset0:15 offset1:16
	v_fma_f64 v[78:79], -v[84:85], v[118:119], v[78:79]
	v_fma_f64 v[76:77], -v[84:85], v[120:121], v[76:77]
	ds_read2_b64 v[118:121], v108 offset0:17 offset1:18
	;; [unrolled: 3-line block ×3, first 2 shown]
	s_waitcnt lgkmcnt(0)
	v_fma_f64 v[70:71], -v[84:85], v[114:115], v[70:71]
	v_fma_f64 v[68:69], -v[84:85], v[116:117], v[68:69]
	;; [unrolled: 1-line block ×3, first 2 shown]
	ds_read2_b64 v[114:117], v108 offset0:21 offset1:22
	v_fma_f64 v[66:67], -v[84:85], v[120:121], v[66:67]
	ds_read2_b64 v[118:121], v108 offset0:23 offset1:24
	v_fma_f64 v[62:63], -v[84:85], v[122:123], v[62:63]
	v_fma_f64 v[60:61], -v[84:85], v[124:125], v[60:61]
	s_waitcnt lgkmcnt(0)
	v_fma_f64 v[58:59], -v[84:85], v[114:115], v[58:59]
	ds_read2_b64 v[122:125], v108 offset0:25 offset1:26
	v_fma_f64 v[56:57], -v[84:85], v[116:117], v[56:57]
	ds_read2_b64 v[114:117], v108 offset0:27 offset1:28
	v_fma_f64 v[54:55], -v[84:85], v[118:119], v[54:55]
	v_fma_f64 v[52:53], -v[84:85], v[120:121], v[52:53]
	ds_read2_b64 v[118:121], v108 offset0:29 offset1:30
	s_waitcnt lgkmcnt(0)
	v_fma_f64 v[50:51], -v[84:85], v[122:123], v[50:51]
	v_fma_f64 v[48:49], -v[84:85], v[124:125], v[48:49]
	ds_read2_b64 v[122:125], v108 offset0:31 offset1:32
	v_fma_f64 v[46:47], -v[84:85], v[114:115], v[46:47]
	v_fma_f64 v[44:45], -v[84:85], v[116:117], v[44:45]
	;; [unrolled: 1-line block ×3, first 2 shown]
	ds_read2_b64 v[114:117], v108 offset0:33 offset1:34
	v_fma_f64 v[40:41], -v[84:85], v[120:121], v[40:41]
	ds_read2_b64 v[118:121], v108 offset0:35 offset1:36
	s_waitcnt lgkmcnt(0)
	v_fma_f64 v[38:39], -v[84:85], v[122:123], v[38:39]
	v_fma_f64 v[36:37], -v[84:85], v[124:125], v[36:37]
	;; [unrolled: 1-line block ×3, first 2 shown]
	ds_read2_b64 v[122:125], v108 offset0:37 offset1:38
	v_fma_f64 v[32:33], -v[84:85], v[116:117], v[32:33]
	ds_read2_b64 v[114:117], v108 offset0:39 offset1:40
	v_fma_f64 v[28:29], -v[84:85], v[118:119], v[28:29]
	v_fma_f64 v[30:31], -v[84:85], v[120:121], v[30:31]
	ds_read2_b64 v[118:121], v108 offset0:41 offset1:42
	s_waitcnt lgkmcnt(0)
	v_fma_f64 v[26:27], -v[84:85], v[122:123], v[26:27]
	v_fma_f64 v[24:25], -v[84:85], v[124:125], v[24:25]
	ds_read2_b64 v[122:125], v108 offset0:43 offset1:44
	v_fma_f64 v[22:23], -v[84:85], v[114:115], v[22:23]
	v_fma_f64 v[20:21], -v[84:85], v[116:117], v[20:21]
	;; [unrolled: 1-line block ×4, first 2 shown]
	ds_read2_b64 v[114:117], v108 offset0:45 offset1:46
	ds_read2_b64 v[118:121], v108 offset0:47 offset1:48
	s_waitcnt lgkmcnt(0)
	v_fma_f64 v[14:15], -v[84:85], v[122:123], v[14:15]
	v_fma_f64 v[12:13], -v[84:85], v[124:125], v[12:13]
	;; [unrolled: 1-line block ×7, first 2 shown]
.LBB98_148:
	s_or_b64 exec, exec, s[0:1]
	v_lshl_add_u32 v104, v109, 3, v108
	s_barrier
	ds_write_b64 v104, v[82:83]
	s_waitcnt lgkmcnt(0)
	s_barrier
	ds_read_b64 v[104:105], v108 offset:72
	s_cmp_lt_i32 s18, 11
	v_mov_b32_e32 v106, 9
	s_cbranch_scc1 .LBB98_151
; %bb.149:
	v_add_u32_e32 v113, 0x50, v108
	s_mov_b32 s0, 10
	v_mov_b32_e32 v106, 9
.LBB98_150:                             ; =>This Inner Loop Header: Depth=1
	ds_read_b64 v[114:115], v113
	v_mov_b32_e32 v116, s0
	s_add_i32 s0, s0, 1
	v_add_u32_e32 v113, 8, v113
	s_cmp_lg_u32 s18, s0
	s_waitcnt lgkmcnt(0)
	v_cmp_lt_f64_e64 vcc, |v[104:105]|, |v[114:115]|
	v_cndmask_b32_e32 v105, v105, v115, vcc
	v_cndmask_b32_e32 v104, v104, v114, vcc
	;; [unrolled: 1-line block ×3, first 2 shown]
	s_cbranch_scc1 .LBB98_150
.LBB98_151:
	s_waitcnt lgkmcnt(0)
	v_cmp_eq_f64_e32 vcc, 0, v[104:105]
	s_and_saveexec_b64 s[0:1], vcc
	s_xor_b64 s[0:1], exec, s[0:1]
; %bb.152:
	v_cmp_ne_u32_e32 vcc, 0, v112
	v_cndmask_b32_e32 v112, 10, v112, vcc
; %bb.153:
	s_andn2_saveexec_b64 s[0:1], s[0:1]
; %bb.154:
	v_div_scale_f64 v[114:115], s[2:3], v[104:105], v[104:105], 1.0
	v_rcp_f64_e32 v[116:117], v[114:115]
	v_div_scale_f64 v[118:119], vcc, 1.0, v[104:105], 1.0
	v_fma_f64 v[120:121], -v[114:115], v[116:117], 1.0
	v_fmac_f64_e32 v[116:117], v[116:117], v[120:121]
	v_fma_f64 v[120:121], -v[114:115], v[116:117], 1.0
	v_fmac_f64_e32 v[116:117], v[116:117], v[120:121]
	v_mul_f64 v[120:121], v[118:119], v[116:117]
	v_fma_f64 v[114:115], -v[114:115], v[120:121], v[118:119]
	v_div_fmas_f64 v[114:115], v[114:115], v[116:117], v[120:121]
	v_div_fixup_f64 v[104:105], v[114:115], v[104:105], 1.0
; %bb.155:
	s_or_b64 exec, exec, s[0:1]
	v_cmp_ne_u32_e32 vcc, v109, v106
	s_and_saveexec_b64 s[0:1], vcc
	s_xor_b64 s[0:1], exec, s[0:1]
	s_cbranch_execz .LBB98_161
; %bb.156:
	v_cmp_eq_u32_e32 vcc, 9, v109
	s_and_saveexec_b64 s[2:3], vcc
	s_cbranch_execz .LBB98_160
; %bb.157:
	v_cmp_ne_u32_e32 vcc, 9, v106
	s_xor_b64 s[14:15], s[6:7], -1
	s_and_b64 s[16:17], s[14:15], vcc
	s_and_saveexec_b64 s[14:15], s[16:17]
	s_cbranch_execz .LBB98_159
; %bb.158:
	v_ashrrev_i32_e32 v107, 31, v106
	v_lshlrev_b64 v[114:115], 2, v[106:107]
	v_add_co_u32_e32 v114, vcc, v4, v114
	v_addc_co_u32_e32 v115, vcc, v5, v115, vcc
	flat_load_dword v107, v[114:115]
	flat_load_dword v109, v[4:5] offset:36
	s_waitcnt vmcnt(0) lgkmcnt(0)
	flat_store_dword v[4:5], v107 offset:36
	flat_store_dword v[114:115], v109
.LBB98_159:
	s_or_b64 exec, exec, s[14:15]
	v_mov_b32_e32 v107, v106
	v_mov_b32_e32 v109, v106
.LBB98_160:
	s_or_b64 exec, exec, s[2:3]
.LBB98_161:
	s_andn2_saveexec_b64 s[0:1], s[0:1]
	s_cbranch_execz .LBB98_163
; %bb.162:
	v_mov_b32_e32 v114, v80
	v_mov_b32_e32 v115, v81
	v_mov_b32_e32 v116, v78
	v_mov_b32_e32 v117, v79
	ds_write2_b64 v108, v[114:115], v[116:117] offset0:10 offset1:11
	v_mov_b32_e32 v114, v76
	v_mov_b32_e32 v115, v77
	v_mov_b32_e32 v116, v74
	v_mov_b32_e32 v117, v75
	ds_write2_b64 v108, v[114:115], v[116:117] offset0:12 offset1:13
	;; [unrolled: 5-line block ×19, first 2 shown]
	v_mov_b32_e32 v114, v0
	v_mov_b32_e32 v115, v1
	v_mov_b32_e32 v109, 9
	ds_write2_b64 v108, v[114:115], v[102:103] offset0:48 offset1:49
.LBB98_163:
	s_or_b64 exec, exec, s[0:1]
	v_cmp_lt_i32_e32 vcc, 9, v109
	s_waitcnt lgkmcnt(0)
	s_barrier
	s_and_saveexec_b64 s[0:1], vcc
	s_cbranch_execz .LBB98_165
; %bb.164:
	ds_read2_b64 v[114:117], v108 offset0:10 offset1:11
	ds_read2_b64 v[118:121], v108 offset0:12 offset1:13
	v_mul_f64 v[82:83], v[104:105], v[82:83]
	ds_read2_b64 v[122:125], v108 offset0:14 offset1:15
	s_waitcnt lgkmcnt(0)
	v_fma_f64 v[80:81], -v[82:83], v[114:115], v[80:81]
	v_fma_f64 v[78:79], -v[82:83], v[116:117], v[78:79]
	ds_read2_b64 v[114:117], v108 offset0:16 offset1:17
	v_fma_f64 v[76:77], -v[82:83], v[118:119], v[76:77]
	v_fma_f64 v[74:75], -v[82:83], v[120:121], v[74:75]
	ds_read2_b64 v[118:121], v108 offset0:18 offset1:19
	v_fma_f64 v[72:73], -v[82:83], v[122:123], v[72:73]
	v_fma_f64 v[70:71], -v[82:83], v[124:125], v[70:71]
	ds_read2_b64 v[122:125], v108 offset0:20 offset1:21
	s_waitcnt lgkmcnt(0)
	v_fma_f64 v[68:69], -v[82:83], v[114:115], v[68:69]
	v_fma_f64 v[64:65], -v[82:83], v[116:117], v[64:65]
	;; [unrolled: 1-line block ×3, first 2 shown]
	ds_read2_b64 v[114:117], v108 offset0:22 offset1:23
	v_fma_f64 v[62:63], -v[82:83], v[120:121], v[62:63]
	ds_read2_b64 v[118:121], v108 offset0:24 offset1:25
	v_fma_f64 v[60:61], -v[82:83], v[122:123], v[60:61]
	v_fma_f64 v[58:59], -v[82:83], v[124:125], v[58:59]
	s_waitcnt lgkmcnt(0)
	v_fma_f64 v[56:57], -v[82:83], v[114:115], v[56:57]
	ds_read2_b64 v[122:125], v108 offset0:26 offset1:27
	v_fma_f64 v[54:55], -v[82:83], v[116:117], v[54:55]
	ds_read2_b64 v[114:117], v108 offset0:28 offset1:29
	v_fma_f64 v[52:53], -v[82:83], v[118:119], v[52:53]
	v_fma_f64 v[50:51], -v[82:83], v[120:121], v[50:51]
	ds_read2_b64 v[118:121], v108 offset0:30 offset1:31
	s_waitcnt lgkmcnt(0)
	v_fma_f64 v[48:49], -v[82:83], v[122:123], v[48:49]
	v_fma_f64 v[46:47], -v[82:83], v[124:125], v[46:47]
	ds_read2_b64 v[122:125], v108 offset0:32 offset1:33
	v_fma_f64 v[44:45], -v[82:83], v[114:115], v[44:45]
	v_fma_f64 v[42:43], -v[82:83], v[116:117], v[42:43]
	;; [unrolled: 1-line block ×3, first 2 shown]
	ds_read2_b64 v[114:117], v108 offset0:34 offset1:35
	v_fma_f64 v[38:39], -v[82:83], v[120:121], v[38:39]
	ds_read2_b64 v[118:121], v108 offset0:36 offset1:37
	s_waitcnt lgkmcnt(0)
	v_fma_f64 v[36:37], -v[82:83], v[122:123], v[36:37]
	v_fma_f64 v[34:35], -v[82:83], v[124:125], v[34:35]
	;; [unrolled: 1-line block ×3, first 2 shown]
	ds_read2_b64 v[122:125], v108 offset0:38 offset1:39
	v_fma_f64 v[28:29], -v[82:83], v[116:117], v[28:29]
	ds_read2_b64 v[114:117], v108 offset0:40 offset1:41
	v_fma_f64 v[30:31], -v[82:83], v[118:119], v[30:31]
	v_fma_f64 v[26:27], -v[82:83], v[120:121], v[26:27]
	ds_read2_b64 v[118:121], v108 offset0:42 offset1:43
	s_waitcnt lgkmcnt(0)
	v_fma_f64 v[24:25], -v[82:83], v[122:123], v[24:25]
	v_fma_f64 v[22:23], -v[82:83], v[124:125], v[22:23]
	;; [unrolled: 1-line block ×4, first 2 shown]
	ds_read2_b64 v[114:117], v108 offset0:44 offset1:45
	v_fma_f64 v[16:17], -v[82:83], v[118:119], v[16:17]
	ds_read2_b64 v[122:125], v108 offset0:46 offset1:47
	v_fma_f64 v[14:15], -v[82:83], v[120:121], v[14:15]
	ds_read2_b64 v[118:121], v108 offset0:48 offset1:49
	s_waitcnt lgkmcnt(0)
	v_fma_f64 v[12:13], -v[82:83], v[114:115], v[12:13]
	v_fma_f64 v[10:11], -v[82:83], v[116:117], v[10:11]
	;; [unrolled: 1-line block ×6, first 2 shown]
.LBB98_165:
	s_or_b64 exec, exec, s[0:1]
	v_lshl_add_u32 v104, v109, 3, v108
	s_barrier
	ds_write_b64 v104, v[80:81]
	s_waitcnt lgkmcnt(0)
	s_barrier
	ds_read_b64 v[104:105], v108 offset:80
	s_cmp_lt_i32 s18, 12
	v_mov_b32_e32 v106, 10
	s_cbranch_scc1 .LBB98_168
; %bb.166:
	v_add_u32_e32 v113, 0x58, v108
	s_mov_b32 s0, 11
	v_mov_b32_e32 v106, 10
.LBB98_167:                             ; =>This Inner Loop Header: Depth=1
	ds_read_b64 v[114:115], v113
	v_mov_b32_e32 v116, s0
	s_add_i32 s0, s0, 1
	v_add_u32_e32 v113, 8, v113
	s_cmp_lg_u32 s18, s0
	s_waitcnt lgkmcnt(0)
	v_cmp_lt_f64_e64 vcc, |v[104:105]|, |v[114:115]|
	v_cndmask_b32_e32 v105, v105, v115, vcc
	v_cndmask_b32_e32 v104, v104, v114, vcc
	;; [unrolled: 1-line block ×3, first 2 shown]
	s_cbranch_scc1 .LBB98_167
.LBB98_168:
	s_waitcnt lgkmcnt(0)
	v_cmp_eq_f64_e32 vcc, 0, v[104:105]
	s_and_saveexec_b64 s[0:1], vcc
	s_xor_b64 s[0:1], exec, s[0:1]
; %bb.169:
	v_cmp_ne_u32_e32 vcc, 0, v112
	v_cndmask_b32_e32 v112, 11, v112, vcc
; %bb.170:
	s_andn2_saveexec_b64 s[0:1], s[0:1]
; %bb.171:
	v_div_scale_f64 v[114:115], s[2:3], v[104:105], v[104:105], 1.0
	v_rcp_f64_e32 v[116:117], v[114:115]
	v_div_scale_f64 v[118:119], vcc, 1.0, v[104:105], 1.0
	v_fma_f64 v[120:121], -v[114:115], v[116:117], 1.0
	v_fmac_f64_e32 v[116:117], v[116:117], v[120:121]
	v_fma_f64 v[120:121], -v[114:115], v[116:117], 1.0
	v_fmac_f64_e32 v[116:117], v[116:117], v[120:121]
	v_mul_f64 v[120:121], v[118:119], v[116:117]
	v_fma_f64 v[114:115], -v[114:115], v[120:121], v[118:119]
	v_div_fmas_f64 v[114:115], v[114:115], v[116:117], v[120:121]
	v_div_fixup_f64 v[104:105], v[114:115], v[104:105], 1.0
; %bb.172:
	s_or_b64 exec, exec, s[0:1]
	v_cmp_ne_u32_e32 vcc, v109, v106
	s_and_saveexec_b64 s[0:1], vcc
	s_xor_b64 s[0:1], exec, s[0:1]
	s_cbranch_execz .LBB98_178
; %bb.173:
	v_cmp_eq_u32_e32 vcc, 10, v109
	s_and_saveexec_b64 s[2:3], vcc
	s_cbranch_execz .LBB98_177
; %bb.174:
	v_cmp_ne_u32_e32 vcc, 10, v106
	s_xor_b64 s[14:15], s[6:7], -1
	s_and_b64 s[16:17], s[14:15], vcc
	s_and_saveexec_b64 s[14:15], s[16:17]
	s_cbranch_execz .LBB98_176
; %bb.175:
	v_ashrrev_i32_e32 v107, 31, v106
	v_lshlrev_b64 v[114:115], 2, v[106:107]
	v_add_co_u32_e32 v114, vcc, v4, v114
	v_addc_co_u32_e32 v115, vcc, v5, v115, vcc
	flat_load_dword v107, v[114:115]
	flat_load_dword v109, v[4:5] offset:40
	s_waitcnt vmcnt(0) lgkmcnt(0)
	flat_store_dword v[4:5], v107 offset:40
	flat_store_dword v[114:115], v109
.LBB98_176:
	s_or_b64 exec, exec, s[14:15]
	v_mov_b32_e32 v107, v106
	v_mov_b32_e32 v109, v106
.LBB98_177:
	s_or_b64 exec, exec, s[2:3]
.LBB98_178:
	s_andn2_saveexec_b64 s[0:1], s[0:1]
	s_cbranch_execz .LBB98_180
; %bb.179:
	v_mov_b32_e32 v109, 10
	ds_write2_b64 v108, v[78:79], v[76:77] offset0:11 offset1:12
	ds_write2_b64 v108, v[74:75], v[72:73] offset0:13 offset1:14
	;; [unrolled: 1-line block ×19, first 2 shown]
	ds_write_b64 v108, v[102:103] offset:392
.LBB98_180:
	s_or_b64 exec, exec, s[0:1]
	v_cmp_lt_i32_e32 vcc, 10, v109
	s_waitcnt lgkmcnt(0)
	s_barrier
	s_and_saveexec_b64 s[0:1], vcc
	s_cbranch_execz .LBB98_182
; %bb.181:
	ds_read2_b64 v[114:117], v108 offset0:11 offset1:12
	ds_read2_b64 v[118:121], v108 offset0:13 offset1:14
	v_mul_f64 v[80:81], v[104:105], v[80:81]
	ds_read2_b64 v[122:125], v108 offset0:15 offset1:16
	ds_read_b64 v[104:105], v108 offset:392
	s_waitcnt lgkmcnt(0)
	v_fma_f64 v[78:79], -v[80:81], v[114:115], v[78:79]
	v_fma_f64 v[76:77], -v[80:81], v[116:117], v[76:77]
	ds_read2_b64 v[114:117], v108 offset0:17 offset1:18
	v_fma_f64 v[74:75], -v[80:81], v[118:119], v[74:75]
	v_fma_f64 v[72:73], -v[80:81], v[120:121], v[72:73]
	;; [unrolled: 1-line block ×3, first 2 shown]
	ds_read2_b64 v[118:121], v108 offset0:19 offset1:20
	v_fma_f64 v[68:69], -v[80:81], v[124:125], v[68:69]
	ds_read2_b64 v[122:125], v108 offset0:21 offset1:22
	s_waitcnt lgkmcnt(0)
	v_fma_f64 v[64:65], -v[80:81], v[114:115], v[64:65]
	v_fma_f64 v[66:67], -v[80:81], v[116:117], v[66:67]
	ds_read2_b64 v[114:117], v108 offset0:23 offset1:24
	v_fma_f64 v[62:63], -v[80:81], v[118:119], v[62:63]
	v_fma_f64 v[60:61], -v[80:81], v[120:121], v[60:61]
	ds_read2_b64 v[118:121], v108 offset0:25 offset1:26
	v_fma_f64 v[58:59], -v[80:81], v[122:123], v[58:59]
	v_fma_f64 v[56:57], -v[80:81], v[124:125], v[56:57]
	s_waitcnt lgkmcnt(0)
	v_fma_f64 v[54:55], -v[80:81], v[114:115], v[54:55]
	ds_read2_b64 v[122:125], v108 offset0:27 offset1:28
	v_fma_f64 v[52:53], -v[80:81], v[116:117], v[52:53]
	ds_read2_b64 v[114:117], v108 offset0:29 offset1:30
	v_fma_f64 v[50:51], -v[80:81], v[118:119], v[50:51]
	v_fma_f64 v[48:49], -v[80:81], v[120:121], v[48:49]
	s_waitcnt lgkmcnt(0)
	v_fma_f64 v[46:47], -v[80:81], v[122:123], v[46:47]
	ds_read2_b64 v[118:121], v108 offset0:31 offset1:32
	v_fma_f64 v[44:45], -v[80:81], v[124:125], v[44:45]
	ds_read2_b64 v[122:125], v108 offset0:33 offset1:34
	v_fma_f64 v[42:43], -v[80:81], v[114:115], v[42:43]
	v_fma_f64 v[40:41], -v[80:81], v[116:117], v[40:41]
	ds_read2_b64 v[114:117], v108 offset0:35 offset1:36
	s_waitcnt lgkmcnt(0)
	v_fma_f64 v[38:39], -v[80:81], v[118:119], v[38:39]
	v_fma_f64 v[36:37], -v[80:81], v[120:121], v[36:37]
	ds_read2_b64 v[118:121], v108 offset0:37 offset1:38
	v_fma_f64 v[34:35], -v[80:81], v[122:123], v[34:35]
	v_fma_f64 v[32:33], -v[80:81], v[124:125], v[32:33]
	;; [unrolled: 1-line block ×3, first 2 shown]
	ds_read2_b64 v[122:125], v108 offset0:39 offset1:40
	v_fma_f64 v[30:31], -v[80:81], v[116:117], v[30:31]
	ds_read2_b64 v[114:117], v108 offset0:41 offset1:42
	s_waitcnt lgkmcnt(0)
	v_fma_f64 v[26:27], -v[80:81], v[118:119], v[26:27]
	v_fma_f64 v[24:25], -v[80:81], v[120:121], v[24:25]
	;; [unrolled: 1-line block ×3, first 2 shown]
	ds_read2_b64 v[118:121], v108 offset0:43 offset1:44
	v_fma_f64 v[20:21], -v[80:81], v[124:125], v[20:21]
	v_fma_f64 v[18:19], -v[80:81], v[114:115], v[18:19]
	;; [unrolled: 1-line block ×3, first 2 shown]
	ds_read2_b64 v[114:117], v108 offset0:45 offset1:46
	ds_read2_b64 v[122:125], v108 offset0:47 offset1:48
	s_waitcnt lgkmcnt(0)
	v_fma_f64 v[14:15], -v[80:81], v[118:119], v[14:15]
	v_fma_f64 v[12:13], -v[80:81], v[120:121], v[12:13]
	;; [unrolled: 1-line block ×7, first 2 shown]
.LBB98_182:
	s_or_b64 exec, exec, s[0:1]
	v_lshl_add_u32 v104, v109, 3, v108
	s_barrier
	ds_write_b64 v104, v[78:79]
	s_waitcnt lgkmcnt(0)
	s_barrier
	ds_read_b64 v[104:105], v108 offset:88
	s_cmp_lt_i32 s18, 13
	v_mov_b32_e32 v106, 11
	s_cbranch_scc1 .LBB98_185
; %bb.183:
	v_add_u32_e32 v113, 0x60, v108
	s_mov_b32 s0, 12
	v_mov_b32_e32 v106, 11
.LBB98_184:                             ; =>This Inner Loop Header: Depth=1
	ds_read_b64 v[114:115], v113
	v_mov_b32_e32 v116, s0
	s_add_i32 s0, s0, 1
	v_add_u32_e32 v113, 8, v113
	s_cmp_lg_u32 s18, s0
	s_waitcnt lgkmcnt(0)
	v_cmp_lt_f64_e64 vcc, |v[104:105]|, |v[114:115]|
	v_cndmask_b32_e32 v105, v105, v115, vcc
	v_cndmask_b32_e32 v104, v104, v114, vcc
	v_cndmask_b32_e32 v106, v106, v116, vcc
	s_cbranch_scc1 .LBB98_184
.LBB98_185:
	s_waitcnt lgkmcnt(0)
	v_cmp_eq_f64_e32 vcc, 0, v[104:105]
	s_and_saveexec_b64 s[0:1], vcc
	s_xor_b64 s[0:1], exec, s[0:1]
; %bb.186:
	v_cmp_ne_u32_e32 vcc, 0, v112
	v_cndmask_b32_e32 v112, 12, v112, vcc
; %bb.187:
	s_andn2_saveexec_b64 s[0:1], s[0:1]
; %bb.188:
	v_div_scale_f64 v[114:115], s[2:3], v[104:105], v[104:105], 1.0
	v_rcp_f64_e32 v[116:117], v[114:115]
	v_div_scale_f64 v[118:119], vcc, 1.0, v[104:105], 1.0
	v_fma_f64 v[120:121], -v[114:115], v[116:117], 1.0
	v_fmac_f64_e32 v[116:117], v[116:117], v[120:121]
	v_fma_f64 v[120:121], -v[114:115], v[116:117], 1.0
	v_fmac_f64_e32 v[116:117], v[116:117], v[120:121]
	v_mul_f64 v[120:121], v[118:119], v[116:117]
	v_fma_f64 v[114:115], -v[114:115], v[120:121], v[118:119]
	v_div_fmas_f64 v[114:115], v[114:115], v[116:117], v[120:121]
	v_div_fixup_f64 v[104:105], v[114:115], v[104:105], 1.0
; %bb.189:
	s_or_b64 exec, exec, s[0:1]
	v_cmp_ne_u32_e32 vcc, v109, v106
	s_and_saveexec_b64 s[0:1], vcc
	s_xor_b64 s[0:1], exec, s[0:1]
	s_cbranch_execz .LBB98_195
; %bb.190:
	v_cmp_eq_u32_e32 vcc, 11, v109
	s_and_saveexec_b64 s[2:3], vcc
	s_cbranch_execz .LBB98_194
; %bb.191:
	v_cmp_ne_u32_e32 vcc, 11, v106
	s_xor_b64 s[14:15], s[6:7], -1
	s_and_b64 s[16:17], s[14:15], vcc
	s_and_saveexec_b64 s[14:15], s[16:17]
	s_cbranch_execz .LBB98_193
; %bb.192:
	v_ashrrev_i32_e32 v107, 31, v106
	v_lshlrev_b64 v[114:115], 2, v[106:107]
	v_add_co_u32_e32 v114, vcc, v4, v114
	v_addc_co_u32_e32 v115, vcc, v5, v115, vcc
	flat_load_dword v107, v[114:115]
	flat_load_dword v109, v[4:5] offset:44
	s_waitcnt vmcnt(0) lgkmcnt(0)
	flat_store_dword v[4:5], v107 offset:44
	flat_store_dword v[114:115], v109
.LBB98_193:
	s_or_b64 exec, exec, s[14:15]
	v_mov_b32_e32 v107, v106
	v_mov_b32_e32 v109, v106
.LBB98_194:
	s_or_b64 exec, exec, s[2:3]
.LBB98_195:
	s_andn2_saveexec_b64 s[0:1], s[0:1]
	s_cbranch_execz .LBB98_197
; %bb.196:
	v_mov_b32_e32 v114, v76
	v_mov_b32_e32 v115, v77
	v_mov_b32_e32 v116, v74
	v_mov_b32_e32 v117, v75
	ds_write2_b64 v108, v[114:115], v[116:117] offset0:12 offset1:13
	v_mov_b32_e32 v114, v72
	v_mov_b32_e32 v115, v73
	v_mov_b32_e32 v116, v70
	v_mov_b32_e32 v117, v71
	ds_write2_b64 v108, v[114:115], v[116:117] offset0:14 offset1:15
	;; [unrolled: 5-line block ×18, first 2 shown]
	v_mov_b32_e32 v114, v0
	v_mov_b32_e32 v115, v1
	;; [unrolled: 1-line block ×3, first 2 shown]
	ds_write2_b64 v108, v[114:115], v[102:103] offset0:48 offset1:49
.LBB98_197:
	s_or_b64 exec, exec, s[0:1]
	v_cmp_lt_i32_e32 vcc, 11, v109
	s_waitcnt lgkmcnt(0)
	s_barrier
	s_and_saveexec_b64 s[0:1], vcc
	s_cbranch_execz .LBB98_199
; %bb.198:
	ds_read2_b64 v[114:117], v108 offset0:12 offset1:13
	ds_read2_b64 v[118:121], v108 offset0:14 offset1:15
	v_mul_f64 v[78:79], v[104:105], v[78:79]
	ds_read2_b64 v[122:125], v108 offset0:16 offset1:17
	s_waitcnt lgkmcnt(0)
	v_fma_f64 v[76:77], -v[78:79], v[114:115], v[76:77]
	v_fma_f64 v[74:75], -v[78:79], v[116:117], v[74:75]
	ds_read2_b64 v[114:117], v108 offset0:18 offset1:19
	v_fma_f64 v[72:73], -v[78:79], v[118:119], v[72:73]
	v_fma_f64 v[70:71], -v[78:79], v[120:121], v[70:71]
	v_fma_f64 v[68:69], -v[78:79], v[122:123], v[68:69]
	ds_read2_b64 v[118:121], v108 offset0:20 offset1:21
	v_fma_f64 v[64:65], -v[78:79], v[124:125], v[64:65]
	ds_read2_b64 v[122:125], v108 offset0:22 offset1:23
	s_waitcnt lgkmcnt(0)
	v_fma_f64 v[66:67], -v[78:79], v[114:115], v[66:67]
	v_fma_f64 v[62:63], -v[78:79], v[116:117], v[62:63]
	ds_read2_b64 v[114:117], v108 offset0:24 offset1:25
	v_fma_f64 v[60:61], -v[78:79], v[118:119], v[60:61]
	v_fma_f64 v[58:59], -v[78:79], v[120:121], v[58:59]
	ds_read2_b64 v[118:121], v108 offset0:26 offset1:27
	v_fma_f64 v[56:57], -v[78:79], v[122:123], v[56:57]
	v_fma_f64 v[54:55], -v[78:79], v[124:125], v[54:55]
	s_waitcnt lgkmcnt(0)
	v_fma_f64 v[52:53], -v[78:79], v[114:115], v[52:53]
	ds_read2_b64 v[122:125], v108 offset0:28 offset1:29
	v_fma_f64 v[50:51], -v[78:79], v[116:117], v[50:51]
	ds_read2_b64 v[114:117], v108 offset0:30 offset1:31
	v_fma_f64 v[48:49], -v[78:79], v[118:119], v[48:49]
	v_fma_f64 v[46:47], -v[78:79], v[120:121], v[46:47]
	s_waitcnt lgkmcnt(0)
	v_fma_f64 v[44:45], -v[78:79], v[122:123], v[44:45]
	ds_read2_b64 v[118:121], v108 offset0:32 offset1:33
	v_fma_f64 v[42:43], -v[78:79], v[124:125], v[42:43]
	ds_read2_b64 v[122:125], v108 offset0:34 offset1:35
	v_fma_f64 v[40:41], -v[78:79], v[114:115], v[40:41]
	v_fma_f64 v[38:39], -v[78:79], v[116:117], v[38:39]
	ds_read2_b64 v[114:117], v108 offset0:36 offset1:37
	s_waitcnt lgkmcnt(0)
	v_fma_f64 v[36:37], -v[78:79], v[118:119], v[36:37]
	v_fma_f64 v[34:35], -v[78:79], v[120:121], v[34:35]
	ds_read2_b64 v[118:121], v108 offset0:38 offset1:39
	v_fma_f64 v[32:33], -v[78:79], v[122:123], v[32:33]
	v_fma_f64 v[28:29], -v[78:79], v[124:125], v[28:29]
	;; [unrolled: 1-line block ×3, first 2 shown]
	ds_read2_b64 v[122:125], v108 offset0:40 offset1:41
	v_fma_f64 v[26:27], -v[78:79], v[116:117], v[26:27]
	ds_read2_b64 v[114:117], v108 offset0:42 offset1:43
	s_waitcnt lgkmcnt(0)
	v_fma_f64 v[24:25], -v[78:79], v[118:119], v[24:25]
	v_fma_f64 v[22:23], -v[78:79], v[120:121], v[22:23]
	;; [unrolled: 1-line block ×4, first 2 shown]
	ds_read2_b64 v[118:121], v108 offset0:44 offset1:45
	ds_read2_b64 v[122:125], v108 offset0:46 offset1:47
	v_fma_f64 v[16:17], -v[78:79], v[114:115], v[16:17]
	v_fma_f64 v[14:15], -v[78:79], v[116:117], v[14:15]
	ds_read2_b64 v[114:117], v108 offset0:48 offset1:49
	s_waitcnt lgkmcnt(0)
	v_fma_f64 v[12:13], -v[78:79], v[118:119], v[12:13]
	v_fma_f64 v[10:11], -v[78:79], v[120:121], v[10:11]
	;; [unrolled: 1-line block ×6, first 2 shown]
.LBB98_199:
	s_or_b64 exec, exec, s[0:1]
	v_lshl_add_u32 v104, v109, 3, v108
	s_barrier
	ds_write_b64 v104, v[76:77]
	s_waitcnt lgkmcnt(0)
	s_barrier
	ds_read_b64 v[104:105], v108 offset:96
	s_cmp_lt_i32 s18, 14
	v_mov_b32_e32 v106, 12
	s_cbranch_scc1 .LBB98_202
; %bb.200:
	v_add_u32_e32 v113, 0x68, v108
	s_mov_b32 s0, 13
	v_mov_b32_e32 v106, 12
.LBB98_201:                             ; =>This Inner Loop Header: Depth=1
	ds_read_b64 v[114:115], v113
	v_mov_b32_e32 v116, s0
	s_add_i32 s0, s0, 1
	v_add_u32_e32 v113, 8, v113
	s_cmp_lg_u32 s18, s0
	s_waitcnt lgkmcnt(0)
	v_cmp_lt_f64_e64 vcc, |v[104:105]|, |v[114:115]|
	v_cndmask_b32_e32 v105, v105, v115, vcc
	v_cndmask_b32_e32 v104, v104, v114, vcc
	;; [unrolled: 1-line block ×3, first 2 shown]
	s_cbranch_scc1 .LBB98_201
.LBB98_202:
	s_waitcnt lgkmcnt(0)
	v_cmp_eq_f64_e32 vcc, 0, v[104:105]
	s_and_saveexec_b64 s[0:1], vcc
	s_xor_b64 s[0:1], exec, s[0:1]
; %bb.203:
	v_cmp_ne_u32_e32 vcc, 0, v112
	v_cndmask_b32_e32 v112, 13, v112, vcc
; %bb.204:
	s_andn2_saveexec_b64 s[0:1], s[0:1]
; %bb.205:
	v_div_scale_f64 v[114:115], s[2:3], v[104:105], v[104:105], 1.0
	v_rcp_f64_e32 v[116:117], v[114:115]
	v_div_scale_f64 v[118:119], vcc, 1.0, v[104:105], 1.0
	v_fma_f64 v[120:121], -v[114:115], v[116:117], 1.0
	v_fmac_f64_e32 v[116:117], v[116:117], v[120:121]
	v_fma_f64 v[120:121], -v[114:115], v[116:117], 1.0
	v_fmac_f64_e32 v[116:117], v[116:117], v[120:121]
	v_mul_f64 v[120:121], v[118:119], v[116:117]
	v_fma_f64 v[114:115], -v[114:115], v[120:121], v[118:119]
	v_div_fmas_f64 v[114:115], v[114:115], v[116:117], v[120:121]
	v_div_fixup_f64 v[104:105], v[114:115], v[104:105], 1.0
; %bb.206:
	s_or_b64 exec, exec, s[0:1]
	v_cmp_ne_u32_e32 vcc, v109, v106
	s_and_saveexec_b64 s[0:1], vcc
	s_xor_b64 s[0:1], exec, s[0:1]
	s_cbranch_execz .LBB98_212
; %bb.207:
	v_cmp_eq_u32_e32 vcc, 12, v109
	s_and_saveexec_b64 s[2:3], vcc
	s_cbranch_execz .LBB98_211
; %bb.208:
	v_cmp_ne_u32_e32 vcc, 12, v106
	s_xor_b64 s[14:15], s[6:7], -1
	s_and_b64 s[16:17], s[14:15], vcc
	s_and_saveexec_b64 s[14:15], s[16:17]
	s_cbranch_execz .LBB98_210
; %bb.209:
	v_ashrrev_i32_e32 v107, 31, v106
	v_lshlrev_b64 v[114:115], 2, v[106:107]
	v_add_co_u32_e32 v114, vcc, v4, v114
	v_addc_co_u32_e32 v115, vcc, v5, v115, vcc
	flat_load_dword v107, v[114:115]
	flat_load_dword v109, v[4:5] offset:48
	s_waitcnt vmcnt(0) lgkmcnt(0)
	flat_store_dword v[4:5], v107 offset:48
	flat_store_dword v[114:115], v109
.LBB98_210:
	s_or_b64 exec, exec, s[14:15]
	v_mov_b32_e32 v107, v106
	v_mov_b32_e32 v109, v106
.LBB98_211:
	s_or_b64 exec, exec, s[2:3]
.LBB98_212:
	s_andn2_saveexec_b64 s[0:1], s[0:1]
	s_cbranch_execz .LBB98_214
; %bb.213:
	v_mov_b32_e32 v109, 12
	ds_write2_b64 v108, v[74:75], v[72:73] offset0:13 offset1:14
	ds_write2_b64 v108, v[70:71], v[68:69] offset0:15 offset1:16
	;; [unrolled: 1-line block ×18, first 2 shown]
	ds_write_b64 v108, v[102:103] offset:392
.LBB98_214:
	s_or_b64 exec, exec, s[0:1]
	v_cmp_lt_i32_e32 vcc, 12, v109
	s_waitcnt lgkmcnt(0)
	s_barrier
	s_and_saveexec_b64 s[0:1], vcc
	s_cbranch_execz .LBB98_216
; %bb.215:
	ds_read2_b64 v[114:117], v108 offset0:13 offset1:14
	ds_read2_b64 v[118:121], v108 offset0:15 offset1:16
	;; [unrolled: 1-line block ×3, first 2 shown]
	v_mul_f64 v[76:77], v[104:105], v[76:77]
	ds_read_b64 v[104:105], v108 offset:392
	s_waitcnt lgkmcnt(0)
	v_fma_f64 v[74:75], -v[76:77], v[114:115], v[74:75]
	v_fma_f64 v[72:73], -v[76:77], v[116:117], v[72:73]
	ds_read2_b64 v[114:117], v108 offset0:19 offset1:20
	v_fma_f64 v[70:71], -v[76:77], v[118:119], v[70:71]
	v_fma_f64 v[68:69], -v[76:77], v[120:121], v[68:69]
	;; [unrolled: 1-line block ×3, first 2 shown]
	ds_read2_b64 v[118:121], v108 offset0:21 offset1:22
	v_fma_f64 v[66:67], -v[76:77], v[124:125], v[66:67]
	ds_read2_b64 v[122:125], v108 offset0:23 offset1:24
	s_waitcnt lgkmcnt(0)
	v_fma_f64 v[62:63], -v[76:77], v[114:115], v[62:63]
	v_fma_f64 v[60:61], -v[76:77], v[116:117], v[60:61]
	;; [unrolled: 1-line block ×3, first 2 shown]
	ds_read2_b64 v[114:117], v108 offset0:25 offset1:26
	v_fma_f64 v[56:57], -v[76:77], v[120:121], v[56:57]
	ds_read2_b64 v[118:121], v108 offset0:27 offset1:28
	v_fma_f64 v[54:55], -v[76:77], v[122:123], v[54:55]
	v_fma_f64 v[52:53], -v[76:77], v[124:125], v[52:53]
	ds_read2_b64 v[122:125], v108 offset0:29 offset1:30
	s_waitcnt lgkmcnt(0)
	v_fma_f64 v[50:51], -v[76:77], v[114:115], v[50:51]
	v_fma_f64 v[48:49], -v[76:77], v[116:117], v[48:49]
	ds_read2_b64 v[114:117], v108 offset0:31 offset1:32
	v_fma_f64 v[46:47], -v[76:77], v[118:119], v[46:47]
	v_fma_f64 v[44:45], -v[76:77], v[120:121], v[44:45]
	;; [unrolled: 1-line block ×3, first 2 shown]
	ds_read2_b64 v[118:121], v108 offset0:33 offset1:34
	v_fma_f64 v[40:41], -v[76:77], v[124:125], v[40:41]
	ds_read2_b64 v[122:125], v108 offset0:35 offset1:36
	s_waitcnt lgkmcnt(0)
	v_fma_f64 v[38:39], -v[76:77], v[114:115], v[38:39]
	v_fma_f64 v[36:37], -v[76:77], v[116:117], v[36:37]
	;; [unrolled: 1-line block ×3, first 2 shown]
	ds_read2_b64 v[114:117], v108 offset0:37 offset1:38
	v_fma_f64 v[32:33], -v[76:77], v[120:121], v[32:33]
	ds_read2_b64 v[118:121], v108 offset0:39 offset1:40
	v_fma_f64 v[28:29], -v[76:77], v[122:123], v[28:29]
	v_fma_f64 v[30:31], -v[76:77], v[124:125], v[30:31]
	ds_read2_b64 v[122:125], v108 offset0:41 offset1:42
	s_waitcnt lgkmcnt(0)
	v_fma_f64 v[26:27], -v[76:77], v[114:115], v[26:27]
	v_fma_f64 v[24:25], -v[76:77], v[116:117], v[24:25]
	ds_read2_b64 v[114:117], v108 offset0:43 offset1:44
	v_fma_f64 v[22:23], -v[76:77], v[118:119], v[22:23]
	v_fma_f64 v[20:21], -v[76:77], v[120:121], v[20:21]
	;; [unrolled: 1-line block ×4, first 2 shown]
	ds_read2_b64 v[118:121], v108 offset0:45 offset1:46
	ds_read2_b64 v[122:125], v108 offset0:47 offset1:48
	s_waitcnt lgkmcnt(0)
	v_fma_f64 v[14:15], -v[76:77], v[114:115], v[14:15]
	v_fma_f64 v[12:13], -v[76:77], v[116:117], v[12:13]
	;; [unrolled: 1-line block ×7, first 2 shown]
.LBB98_216:
	s_or_b64 exec, exec, s[0:1]
	v_lshl_add_u32 v104, v109, 3, v108
	s_barrier
	ds_write_b64 v104, v[74:75]
	s_waitcnt lgkmcnt(0)
	s_barrier
	ds_read_b64 v[104:105], v108 offset:104
	s_cmp_lt_i32 s18, 15
	v_mov_b32_e32 v106, 13
	s_cbranch_scc1 .LBB98_219
; %bb.217:
	v_add_u32_e32 v113, 0x70, v108
	s_mov_b32 s0, 14
	v_mov_b32_e32 v106, 13
.LBB98_218:                             ; =>This Inner Loop Header: Depth=1
	ds_read_b64 v[114:115], v113
	v_mov_b32_e32 v116, s0
	s_add_i32 s0, s0, 1
	v_add_u32_e32 v113, 8, v113
	s_cmp_lg_u32 s18, s0
	s_waitcnt lgkmcnt(0)
	v_cmp_lt_f64_e64 vcc, |v[104:105]|, |v[114:115]|
	v_cndmask_b32_e32 v105, v105, v115, vcc
	v_cndmask_b32_e32 v104, v104, v114, vcc
	;; [unrolled: 1-line block ×3, first 2 shown]
	s_cbranch_scc1 .LBB98_218
.LBB98_219:
	s_waitcnt lgkmcnt(0)
	v_cmp_eq_f64_e32 vcc, 0, v[104:105]
	s_and_saveexec_b64 s[0:1], vcc
	s_xor_b64 s[0:1], exec, s[0:1]
; %bb.220:
	v_cmp_ne_u32_e32 vcc, 0, v112
	v_cndmask_b32_e32 v112, 14, v112, vcc
; %bb.221:
	s_andn2_saveexec_b64 s[0:1], s[0:1]
; %bb.222:
	v_div_scale_f64 v[114:115], s[2:3], v[104:105], v[104:105], 1.0
	v_rcp_f64_e32 v[116:117], v[114:115]
	v_div_scale_f64 v[118:119], vcc, 1.0, v[104:105], 1.0
	v_fma_f64 v[120:121], -v[114:115], v[116:117], 1.0
	v_fmac_f64_e32 v[116:117], v[116:117], v[120:121]
	v_fma_f64 v[120:121], -v[114:115], v[116:117], 1.0
	v_fmac_f64_e32 v[116:117], v[116:117], v[120:121]
	v_mul_f64 v[120:121], v[118:119], v[116:117]
	v_fma_f64 v[114:115], -v[114:115], v[120:121], v[118:119]
	v_div_fmas_f64 v[114:115], v[114:115], v[116:117], v[120:121]
	v_div_fixup_f64 v[104:105], v[114:115], v[104:105], 1.0
; %bb.223:
	s_or_b64 exec, exec, s[0:1]
	v_cmp_ne_u32_e32 vcc, v109, v106
	s_and_saveexec_b64 s[0:1], vcc
	s_xor_b64 s[0:1], exec, s[0:1]
	s_cbranch_execz .LBB98_229
; %bb.224:
	v_cmp_eq_u32_e32 vcc, 13, v109
	s_and_saveexec_b64 s[2:3], vcc
	s_cbranch_execz .LBB98_228
; %bb.225:
	v_cmp_ne_u32_e32 vcc, 13, v106
	s_xor_b64 s[14:15], s[6:7], -1
	s_and_b64 s[16:17], s[14:15], vcc
	s_and_saveexec_b64 s[14:15], s[16:17]
	s_cbranch_execz .LBB98_227
; %bb.226:
	v_ashrrev_i32_e32 v107, 31, v106
	v_lshlrev_b64 v[114:115], 2, v[106:107]
	v_add_co_u32_e32 v114, vcc, v4, v114
	v_addc_co_u32_e32 v115, vcc, v5, v115, vcc
	flat_load_dword v107, v[114:115]
	flat_load_dword v109, v[4:5] offset:52
	s_waitcnt vmcnt(0) lgkmcnt(0)
	flat_store_dword v[4:5], v107 offset:52
	flat_store_dword v[114:115], v109
.LBB98_227:
	s_or_b64 exec, exec, s[14:15]
	v_mov_b32_e32 v107, v106
	v_mov_b32_e32 v109, v106
.LBB98_228:
	s_or_b64 exec, exec, s[2:3]
.LBB98_229:
	s_andn2_saveexec_b64 s[0:1], s[0:1]
	s_cbranch_execz .LBB98_231
; %bb.230:
	v_mov_b32_e32 v114, v72
	v_mov_b32_e32 v115, v73
	v_mov_b32_e32 v116, v70
	v_mov_b32_e32 v117, v71
	ds_write2_b64 v108, v[114:115], v[116:117] offset0:14 offset1:15
	v_mov_b32_e32 v114, v68
	v_mov_b32_e32 v115, v69
	v_mov_b32_e32 v116, v64
	v_mov_b32_e32 v117, v65
	ds_write2_b64 v108, v[114:115], v[116:117] offset0:16 offset1:17
	;; [unrolled: 5-line block ×17, first 2 shown]
	v_mov_b32_e32 v114, v0
	v_mov_b32_e32 v115, v1
	;; [unrolled: 1-line block ×3, first 2 shown]
	ds_write2_b64 v108, v[114:115], v[102:103] offset0:48 offset1:49
.LBB98_231:
	s_or_b64 exec, exec, s[0:1]
	v_cmp_lt_i32_e32 vcc, 13, v109
	s_waitcnt lgkmcnt(0)
	s_barrier
	s_and_saveexec_b64 s[0:1], vcc
	s_cbranch_execz .LBB98_233
; %bb.232:
	ds_read2_b64 v[114:117], v108 offset0:14 offset1:15
	ds_read2_b64 v[118:121], v108 offset0:16 offset1:17
	;; [unrolled: 1-line block ×3, first 2 shown]
	v_mul_f64 v[74:75], v[104:105], v[74:75]
	s_waitcnt lgkmcnt(0)
	v_fma_f64 v[72:73], -v[74:75], v[114:115], v[72:73]
	v_fma_f64 v[70:71], -v[74:75], v[116:117], v[70:71]
	ds_read2_b64 v[114:117], v108 offset0:20 offset1:21
	v_fma_f64 v[68:69], -v[74:75], v[118:119], v[68:69]
	v_fma_f64 v[64:65], -v[74:75], v[120:121], v[64:65]
	;; [unrolled: 1-line block ×3, first 2 shown]
	ds_read2_b64 v[118:121], v108 offset0:22 offset1:23
	v_fma_f64 v[62:63], -v[74:75], v[124:125], v[62:63]
	ds_read2_b64 v[122:125], v108 offset0:24 offset1:25
	s_waitcnt lgkmcnt(0)
	v_fma_f64 v[60:61], -v[74:75], v[114:115], v[60:61]
	v_fma_f64 v[58:59], -v[74:75], v[116:117], v[58:59]
	;; [unrolled: 1-line block ×3, first 2 shown]
	ds_read2_b64 v[114:117], v108 offset0:26 offset1:27
	v_fma_f64 v[54:55], -v[74:75], v[120:121], v[54:55]
	ds_read2_b64 v[118:121], v108 offset0:28 offset1:29
	v_fma_f64 v[52:53], -v[74:75], v[122:123], v[52:53]
	v_fma_f64 v[50:51], -v[74:75], v[124:125], v[50:51]
	ds_read2_b64 v[122:125], v108 offset0:30 offset1:31
	s_waitcnt lgkmcnt(0)
	v_fma_f64 v[48:49], -v[74:75], v[114:115], v[48:49]
	v_fma_f64 v[46:47], -v[74:75], v[116:117], v[46:47]
	ds_read2_b64 v[114:117], v108 offset0:32 offset1:33
	v_fma_f64 v[44:45], -v[74:75], v[118:119], v[44:45]
	v_fma_f64 v[42:43], -v[74:75], v[120:121], v[42:43]
	v_fma_f64 v[40:41], -v[74:75], v[122:123], v[40:41]
	ds_read2_b64 v[118:121], v108 offset0:34 offset1:35
	v_fma_f64 v[38:39], -v[74:75], v[124:125], v[38:39]
	ds_read2_b64 v[122:125], v108 offset0:36 offset1:37
	s_waitcnt lgkmcnt(0)
	v_fma_f64 v[36:37], -v[74:75], v[114:115], v[36:37]
	v_fma_f64 v[34:35], -v[74:75], v[116:117], v[34:35]
	;; [unrolled: 1-line block ×3, first 2 shown]
	ds_read2_b64 v[114:117], v108 offset0:38 offset1:39
	v_fma_f64 v[28:29], -v[74:75], v[120:121], v[28:29]
	ds_read2_b64 v[118:121], v108 offset0:40 offset1:41
	v_fma_f64 v[30:31], -v[74:75], v[122:123], v[30:31]
	v_fma_f64 v[26:27], -v[74:75], v[124:125], v[26:27]
	ds_read2_b64 v[122:125], v108 offset0:42 offset1:43
	s_waitcnt lgkmcnt(0)
	v_fma_f64 v[24:25], -v[74:75], v[114:115], v[24:25]
	v_fma_f64 v[22:23], -v[74:75], v[116:117], v[22:23]
	ds_read2_b64 v[114:117], v108 offset0:44 offset1:45
	v_fma_f64 v[20:21], -v[74:75], v[118:119], v[20:21]
	v_fma_f64 v[18:19], -v[74:75], v[120:121], v[18:19]
	;; [unrolled: 1-line block ×3, first 2 shown]
	ds_read2_b64 v[118:121], v108 offset0:46 offset1:47
	v_fma_f64 v[14:15], -v[74:75], v[124:125], v[14:15]
	ds_read2_b64 v[122:125], v108 offset0:48 offset1:49
	s_waitcnt lgkmcnt(0)
	v_fma_f64 v[12:13], -v[74:75], v[114:115], v[12:13]
	v_fma_f64 v[10:11], -v[74:75], v[116:117], v[10:11]
	;; [unrolled: 1-line block ×6, first 2 shown]
.LBB98_233:
	s_or_b64 exec, exec, s[0:1]
	v_lshl_add_u32 v104, v109, 3, v108
	s_barrier
	ds_write_b64 v104, v[72:73]
	s_waitcnt lgkmcnt(0)
	s_barrier
	ds_read_b64 v[104:105], v108 offset:112
	s_cmp_lt_i32 s18, 16
	v_mov_b32_e32 v106, 14
	s_cbranch_scc1 .LBB98_236
; %bb.234:
	v_add_u32_e32 v113, 0x78, v108
	s_mov_b32 s0, 15
	v_mov_b32_e32 v106, 14
.LBB98_235:                             ; =>This Inner Loop Header: Depth=1
	ds_read_b64 v[114:115], v113
	v_mov_b32_e32 v116, s0
	s_add_i32 s0, s0, 1
	v_add_u32_e32 v113, 8, v113
	s_cmp_lg_u32 s18, s0
	s_waitcnt lgkmcnt(0)
	v_cmp_lt_f64_e64 vcc, |v[104:105]|, |v[114:115]|
	v_cndmask_b32_e32 v105, v105, v115, vcc
	v_cndmask_b32_e32 v104, v104, v114, vcc
	v_cndmask_b32_e32 v106, v106, v116, vcc
	s_cbranch_scc1 .LBB98_235
.LBB98_236:
	s_waitcnt lgkmcnt(0)
	v_cmp_eq_f64_e32 vcc, 0, v[104:105]
	s_and_saveexec_b64 s[0:1], vcc
	s_xor_b64 s[0:1], exec, s[0:1]
; %bb.237:
	v_cmp_ne_u32_e32 vcc, 0, v112
	v_cndmask_b32_e32 v112, 15, v112, vcc
; %bb.238:
	s_andn2_saveexec_b64 s[0:1], s[0:1]
; %bb.239:
	v_div_scale_f64 v[114:115], s[2:3], v[104:105], v[104:105], 1.0
	v_rcp_f64_e32 v[116:117], v[114:115]
	v_div_scale_f64 v[118:119], vcc, 1.0, v[104:105], 1.0
	v_fma_f64 v[120:121], -v[114:115], v[116:117], 1.0
	v_fmac_f64_e32 v[116:117], v[116:117], v[120:121]
	v_fma_f64 v[120:121], -v[114:115], v[116:117], 1.0
	v_fmac_f64_e32 v[116:117], v[116:117], v[120:121]
	v_mul_f64 v[120:121], v[118:119], v[116:117]
	v_fma_f64 v[114:115], -v[114:115], v[120:121], v[118:119]
	v_div_fmas_f64 v[114:115], v[114:115], v[116:117], v[120:121]
	v_div_fixup_f64 v[104:105], v[114:115], v[104:105], 1.0
; %bb.240:
	s_or_b64 exec, exec, s[0:1]
	v_cmp_ne_u32_e32 vcc, v109, v106
	s_and_saveexec_b64 s[0:1], vcc
	s_xor_b64 s[0:1], exec, s[0:1]
	s_cbranch_execz .LBB98_246
; %bb.241:
	v_cmp_eq_u32_e32 vcc, 14, v109
	s_and_saveexec_b64 s[2:3], vcc
	s_cbranch_execz .LBB98_245
; %bb.242:
	v_cmp_ne_u32_e32 vcc, 14, v106
	s_xor_b64 s[14:15], s[6:7], -1
	s_and_b64 s[16:17], s[14:15], vcc
	s_and_saveexec_b64 s[14:15], s[16:17]
	s_cbranch_execz .LBB98_244
; %bb.243:
	v_ashrrev_i32_e32 v107, 31, v106
	v_lshlrev_b64 v[114:115], 2, v[106:107]
	v_add_co_u32_e32 v114, vcc, v4, v114
	v_addc_co_u32_e32 v115, vcc, v5, v115, vcc
	flat_load_dword v107, v[114:115]
	flat_load_dword v109, v[4:5] offset:56
	s_waitcnt vmcnt(0) lgkmcnt(0)
	flat_store_dword v[4:5], v107 offset:56
	flat_store_dword v[114:115], v109
.LBB98_244:
	s_or_b64 exec, exec, s[14:15]
	v_mov_b32_e32 v107, v106
	v_mov_b32_e32 v109, v106
.LBB98_245:
	s_or_b64 exec, exec, s[2:3]
.LBB98_246:
	s_andn2_saveexec_b64 s[0:1], s[0:1]
	s_cbranch_execz .LBB98_248
; %bb.247:
	v_mov_b32_e32 v109, 14
	ds_write2_b64 v108, v[70:71], v[68:69] offset0:15 offset1:16
	ds_write2_b64 v108, v[64:65], v[66:67] offset0:17 offset1:18
	;; [unrolled: 1-line block ×17, first 2 shown]
	ds_write_b64 v108, v[102:103] offset:392
.LBB98_248:
	s_or_b64 exec, exec, s[0:1]
	v_cmp_lt_i32_e32 vcc, 14, v109
	s_waitcnt lgkmcnt(0)
	s_barrier
	s_and_saveexec_b64 s[0:1], vcc
	s_cbranch_execz .LBB98_250
; %bb.249:
	ds_read2_b64 v[114:117], v108 offset0:15 offset1:16
	ds_read2_b64 v[118:121], v108 offset0:17 offset1:18
	v_mul_f64 v[72:73], v[104:105], v[72:73]
	ds_read2_b64 v[122:125], v108 offset0:19 offset1:20
	ds_read_b64 v[104:105], v108 offset:392
	s_waitcnt lgkmcnt(0)
	v_fma_f64 v[70:71], -v[72:73], v[114:115], v[70:71]
	v_fma_f64 v[68:69], -v[72:73], v[116:117], v[68:69]
	ds_read2_b64 v[114:117], v108 offset0:21 offset1:22
	v_fma_f64 v[64:65], -v[72:73], v[118:119], v[64:65]
	v_fma_f64 v[66:67], -v[72:73], v[120:121], v[66:67]
	ds_read2_b64 v[118:121], v108 offset0:23 offset1:24
	;; [unrolled: 3-line block ×3, first 2 shown]
	s_waitcnt lgkmcnt(0)
	v_fma_f64 v[58:59], -v[72:73], v[114:115], v[58:59]
	v_fma_f64 v[56:57], -v[72:73], v[116:117], v[56:57]
	v_fma_f64 v[54:55], -v[72:73], v[118:119], v[54:55]
	ds_read2_b64 v[114:117], v108 offset0:27 offset1:28
	v_fma_f64 v[52:53], -v[72:73], v[120:121], v[52:53]
	ds_read2_b64 v[118:121], v108 offset0:29 offset1:30
	v_fma_f64 v[50:51], -v[72:73], v[122:123], v[50:51]
	v_fma_f64 v[48:49], -v[72:73], v[124:125], v[48:49]
	s_waitcnt lgkmcnt(0)
	v_fma_f64 v[46:47], -v[72:73], v[114:115], v[46:47]
	ds_read2_b64 v[122:125], v108 offset0:31 offset1:32
	v_fma_f64 v[44:45], -v[72:73], v[116:117], v[44:45]
	ds_read2_b64 v[114:117], v108 offset0:33 offset1:34
	v_fma_f64 v[42:43], -v[72:73], v[118:119], v[42:43]
	v_fma_f64 v[40:41], -v[72:73], v[120:121], v[40:41]
	ds_read2_b64 v[118:121], v108 offset0:35 offset1:36
	s_waitcnt lgkmcnt(0)
	v_fma_f64 v[38:39], -v[72:73], v[122:123], v[38:39]
	v_fma_f64 v[36:37], -v[72:73], v[124:125], v[36:37]
	ds_read2_b64 v[122:125], v108 offset0:37 offset1:38
	v_fma_f64 v[34:35], -v[72:73], v[114:115], v[34:35]
	v_fma_f64 v[32:33], -v[72:73], v[116:117], v[32:33]
	;; [unrolled: 1-line block ×3, first 2 shown]
	ds_read2_b64 v[114:117], v108 offset0:39 offset1:40
	v_fma_f64 v[30:31], -v[72:73], v[120:121], v[30:31]
	ds_read2_b64 v[118:121], v108 offset0:41 offset1:42
	s_waitcnt lgkmcnt(0)
	v_fma_f64 v[26:27], -v[72:73], v[122:123], v[26:27]
	v_fma_f64 v[24:25], -v[72:73], v[124:125], v[24:25]
	;; [unrolled: 1-line block ×3, first 2 shown]
	ds_read2_b64 v[122:125], v108 offset0:43 offset1:44
	v_fma_f64 v[20:21], -v[72:73], v[116:117], v[20:21]
	ds_read2_b64 v[114:117], v108 offset0:45 offset1:46
	v_fma_f64 v[18:19], -v[72:73], v[118:119], v[18:19]
	v_fma_f64 v[16:17], -v[72:73], v[120:121], v[16:17]
	ds_read2_b64 v[118:121], v108 offset0:47 offset1:48
	s_waitcnt lgkmcnt(0)
	v_fma_f64 v[14:15], -v[72:73], v[122:123], v[14:15]
	v_fma_f64 v[12:13], -v[72:73], v[124:125], v[12:13]
	;; [unrolled: 1-line block ×7, first 2 shown]
.LBB98_250:
	s_or_b64 exec, exec, s[0:1]
	v_lshl_add_u32 v104, v109, 3, v108
	s_barrier
	ds_write_b64 v104, v[70:71]
	s_waitcnt lgkmcnt(0)
	s_barrier
	ds_read_b64 v[104:105], v108 offset:120
	s_cmp_lt_i32 s18, 17
	v_mov_b32_e32 v106, 15
	s_cbranch_scc1 .LBB98_253
; %bb.251:
	v_add_u32_e32 v113, 0x80, v108
	s_mov_b32 s0, 16
	v_mov_b32_e32 v106, 15
.LBB98_252:                             ; =>This Inner Loop Header: Depth=1
	ds_read_b64 v[114:115], v113
	v_mov_b32_e32 v116, s0
	s_add_i32 s0, s0, 1
	v_add_u32_e32 v113, 8, v113
	s_cmp_lg_u32 s18, s0
	s_waitcnt lgkmcnt(0)
	v_cmp_lt_f64_e64 vcc, |v[104:105]|, |v[114:115]|
	v_cndmask_b32_e32 v105, v105, v115, vcc
	v_cndmask_b32_e32 v104, v104, v114, vcc
	;; [unrolled: 1-line block ×3, first 2 shown]
	s_cbranch_scc1 .LBB98_252
.LBB98_253:
	s_waitcnt lgkmcnt(0)
	v_cmp_eq_f64_e32 vcc, 0, v[104:105]
	s_and_saveexec_b64 s[0:1], vcc
	s_xor_b64 s[0:1], exec, s[0:1]
; %bb.254:
	v_cmp_ne_u32_e32 vcc, 0, v112
	v_cndmask_b32_e32 v112, 16, v112, vcc
; %bb.255:
	s_andn2_saveexec_b64 s[0:1], s[0:1]
; %bb.256:
	v_div_scale_f64 v[114:115], s[2:3], v[104:105], v[104:105], 1.0
	v_rcp_f64_e32 v[116:117], v[114:115]
	v_div_scale_f64 v[118:119], vcc, 1.0, v[104:105], 1.0
	v_fma_f64 v[120:121], -v[114:115], v[116:117], 1.0
	v_fmac_f64_e32 v[116:117], v[116:117], v[120:121]
	v_fma_f64 v[120:121], -v[114:115], v[116:117], 1.0
	v_fmac_f64_e32 v[116:117], v[116:117], v[120:121]
	v_mul_f64 v[120:121], v[118:119], v[116:117]
	v_fma_f64 v[114:115], -v[114:115], v[120:121], v[118:119]
	v_div_fmas_f64 v[114:115], v[114:115], v[116:117], v[120:121]
	v_div_fixup_f64 v[104:105], v[114:115], v[104:105], 1.0
; %bb.257:
	s_or_b64 exec, exec, s[0:1]
	v_cmp_ne_u32_e32 vcc, v109, v106
	s_and_saveexec_b64 s[0:1], vcc
	s_xor_b64 s[0:1], exec, s[0:1]
	s_cbranch_execz .LBB98_263
; %bb.258:
	v_cmp_eq_u32_e32 vcc, 15, v109
	s_and_saveexec_b64 s[2:3], vcc
	s_cbranch_execz .LBB98_262
; %bb.259:
	v_cmp_ne_u32_e32 vcc, 15, v106
	s_xor_b64 s[14:15], s[6:7], -1
	s_and_b64 s[16:17], s[14:15], vcc
	s_and_saveexec_b64 s[14:15], s[16:17]
	s_cbranch_execz .LBB98_261
; %bb.260:
	v_ashrrev_i32_e32 v107, 31, v106
	v_lshlrev_b64 v[114:115], 2, v[106:107]
	v_add_co_u32_e32 v114, vcc, v4, v114
	v_addc_co_u32_e32 v115, vcc, v5, v115, vcc
	flat_load_dword v107, v[114:115]
	flat_load_dword v109, v[4:5] offset:60
	s_waitcnt vmcnt(0) lgkmcnt(0)
	flat_store_dword v[4:5], v107 offset:60
	flat_store_dword v[114:115], v109
.LBB98_261:
	s_or_b64 exec, exec, s[14:15]
	v_mov_b32_e32 v107, v106
	v_mov_b32_e32 v109, v106
.LBB98_262:
	s_or_b64 exec, exec, s[2:3]
.LBB98_263:
	s_andn2_saveexec_b64 s[0:1], s[0:1]
	s_cbranch_execz .LBB98_265
; %bb.264:
	v_mov_b32_e32 v114, v68
	v_mov_b32_e32 v115, v69
	v_mov_b32_e32 v116, v64
	v_mov_b32_e32 v117, v65
	ds_write2_b64 v108, v[114:115], v[116:117] offset0:16 offset1:17
	v_mov_b32_e32 v114, v66
	v_mov_b32_e32 v115, v67
	v_mov_b32_e32 v116, v62
	v_mov_b32_e32 v117, v63
	ds_write2_b64 v108, v[114:115], v[116:117] offset0:18 offset1:19
	;; [unrolled: 5-line block ×16, first 2 shown]
	v_mov_b32_e32 v114, v0
	v_mov_b32_e32 v115, v1
	;; [unrolled: 1-line block ×3, first 2 shown]
	ds_write2_b64 v108, v[114:115], v[102:103] offset0:48 offset1:49
.LBB98_265:
	s_or_b64 exec, exec, s[0:1]
	v_cmp_lt_i32_e32 vcc, 15, v109
	s_waitcnt lgkmcnt(0)
	s_barrier
	s_and_saveexec_b64 s[0:1], vcc
	s_cbranch_execz .LBB98_267
; %bb.266:
	ds_read2_b64 v[114:117], v108 offset0:16 offset1:17
	ds_read2_b64 v[118:121], v108 offset0:18 offset1:19
	v_mul_f64 v[70:71], v[104:105], v[70:71]
	ds_read2_b64 v[122:125], v108 offset0:20 offset1:21
	s_waitcnt lgkmcnt(0)
	v_fma_f64 v[68:69], -v[70:71], v[114:115], v[68:69]
	v_fma_f64 v[64:65], -v[70:71], v[116:117], v[64:65]
	ds_read2_b64 v[114:117], v108 offset0:22 offset1:23
	v_fma_f64 v[66:67], -v[70:71], v[118:119], v[66:67]
	v_fma_f64 v[62:63], -v[70:71], v[120:121], v[62:63]
	ds_read2_b64 v[118:121], v108 offset0:24 offset1:25
	;; [unrolled: 3-line block ×3, first 2 shown]
	s_waitcnt lgkmcnt(0)
	v_fma_f64 v[56:57], -v[70:71], v[114:115], v[56:57]
	v_fma_f64 v[54:55], -v[70:71], v[116:117], v[54:55]
	;; [unrolled: 1-line block ×3, first 2 shown]
	ds_read2_b64 v[114:117], v108 offset0:28 offset1:29
	v_fma_f64 v[50:51], -v[70:71], v[120:121], v[50:51]
	ds_read2_b64 v[118:121], v108 offset0:30 offset1:31
	v_fma_f64 v[48:49], -v[70:71], v[122:123], v[48:49]
	v_fma_f64 v[46:47], -v[70:71], v[124:125], v[46:47]
	s_waitcnt lgkmcnt(0)
	v_fma_f64 v[44:45], -v[70:71], v[114:115], v[44:45]
	ds_read2_b64 v[122:125], v108 offset0:32 offset1:33
	v_fma_f64 v[42:43], -v[70:71], v[116:117], v[42:43]
	ds_read2_b64 v[114:117], v108 offset0:34 offset1:35
	v_fma_f64 v[40:41], -v[70:71], v[118:119], v[40:41]
	v_fma_f64 v[38:39], -v[70:71], v[120:121], v[38:39]
	ds_read2_b64 v[118:121], v108 offset0:36 offset1:37
	s_waitcnt lgkmcnt(0)
	v_fma_f64 v[36:37], -v[70:71], v[122:123], v[36:37]
	v_fma_f64 v[34:35], -v[70:71], v[124:125], v[34:35]
	ds_read2_b64 v[122:125], v108 offset0:38 offset1:39
	v_fma_f64 v[32:33], -v[70:71], v[114:115], v[32:33]
	v_fma_f64 v[28:29], -v[70:71], v[116:117], v[28:29]
	;; [unrolled: 1-line block ×3, first 2 shown]
	ds_read2_b64 v[114:117], v108 offset0:40 offset1:41
	v_fma_f64 v[26:27], -v[70:71], v[120:121], v[26:27]
	ds_read2_b64 v[118:121], v108 offset0:42 offset1:43
	s_waitcnt lgkmcnt(0)
	v_fma_f64 v[24:25], -v[70:71], v[122:123], v[24:25]
	v_fma_f64 v[22:23], -v[70:71], v[124:125], v[22:23]
	v_fma_f64 v[20:21], -v[70:71], v[114:115], v[20:21]
	v_fma_f64 v[18:19], -v[70:71], v[116:117], v[18:19]
	ds_read2_b64 v[114:117], v108 offset0:44 offset1:45
	ds_read2_b64 v[122:125], v108 offset0:46 offset1:47
	v_fma_f64 v[16:17], -v[70:71], v[118:119], v[16:17]
	v_fma_f64 v[14:15], -v[70:71], v[120:121], v[14:15]
	ds_read2_b64 v[118:121], v108 offset0:48 offset1:49
	s_waitcnt lgkmcnt(0)
	v_fma_f64 v[12:13], -v[70:71], v[114:115], v[12:13]
	v_fma_f64 v[10:11], -v[70:71], v[116:117], v[10:11]
	;; [unrolled: 1-line block ×6, first 2 shown]
.LBB98_267:
	s_or_b64 exec, exec, s[0:1]
	v_lshl_add_u32 v104, v109, 3, v108
	s_barrier
	ds_write_b64 v104, v[68:69]
	s_waitcnt lgkmcnt(0)
	s_barrier
	ds_read_b64 v[104:105], v108 offset:128
	s_cmp_lt_i32 s18, 18
	v_mov_b32_e32 v106, 16
	s_cbranch_scc1 .LBB98_270
; %bb.268:
	v_add_u32_e32 v113, 0x88, v108
	s_mov_b32 s0, 17
	v_mov_b32_e32 v106, 16
.LBB98_269:                             ; =>This Inner Loop Header: Depth=1
	ds_read_b64 v[114:115], v113
	v_mov_b32_e32 v116, s0
	s_add_i32 s0, s0, 1
	v_add_u32_e32 v113, 8, v113
	s_cmp_lg_u32 s18, s0
	s_waitcnt lgkmcnt(0)
	v_cmp_lt_f64_e64 vcc, |v[104:105]|, |v[114:115]|
	v_cndmask_b32_e32 v105, v105, v115, vcc
	v_cndmask_b32_e32 v104, v104, v114, vcc
	;; [unrolled: 1-line block ×3, first 2 shown]
	s_cbranch_scc1 .LBB98_269
.LBB98_270:
	s_waitcnt lgkmcnt(0)
	v_cmp_eq_f64_e32 vcc, 0, v[104:105]
	s_and_saveexec_b64 s[0:1], vcc
	s_xor_b64 s[0:1], exec, s[0:1]
; %bb.271:
	v_cmp_ne_u32_e32 vcc, 0, v112
	v_cndmask_b32_e32 v112, 17, v112, vcc
; %bb.272:
	s_andn2_saveexec_b64 s[0:1], s[0:1]
; %bb.273:
	v_div_scale_f64 v[114:115], s[2:3], v[104:105], v[104:105], 1.0
	v_rcp_f64_e32 v[116:117], v[114:115]
	v_div_scale_f64 v[118:119], vcc, 1.0, v[104:105], 1.0
	v_fma_f64 v[120:121], -v[114:115], v[116:117], 1.0
	v_fmac_f64_e32 v[116:117], v[116:117], v[120:121]
	v_fma_f64 v[120:121], -v[114:115], v[116:117], 1.0
	v_fmac_f64_e32 v[116:117], v[116:117], v[120:121]
	v_mul_f64 v[120:121], v[118:119], v[116:117]
	v_fma_f64 v[114:115], -v[114:115], v[120:121], v[118:119]
	v_div_fmas_f64 v[114:115], v[114:115], v[116:117], v[120:121]
	v_div_fixup_f64 v[104:105], v[114:115], v[104:105], 1.0
; %bb.274:
	s_or_b64 exec, exec, s[0:1]
	v_cmp_ne_u32_e32 vcc, v109, v106
	s_and_saveexec_b64 s[0:1], vcc
	s_xor_b64 s[0:1], exec, s[0:1]
	s_cbranch_execz .LBB98_280
; %bb.275:
	v_cmp_eq_u32_e32 vcc, 16, v109
	s_and_saveexec_b64 s[2:3], vcc
	s_cbranch_execz .LBB98_279
; %bb.276:
	v_cmp_ne_u32_e32 vcc, 16, v106
	s_xor_b64 s[14:15], s[6:7], -1
	s_and_b64 s[16:17], s[14:15], vcc
	s_and_saveexec_b64 s[14:15], s[16:17]
	s_cbranch_execz .LBB98_278
; %bb.277:
	v_ashrrev_i32_e32 v107, 31, v106
	v_lshlrev_b64 v[114:115], 2, v[106:107]
	v_add_co_u32_e32 v114, vcc, v4, v114
	v_addc_co_u32_e32 v115, vcc, v5, v115, vcc
	flat_load_dword v107, v[114:115]
	flat_load_dword v109, v[4:5] offset:64
	s_waitcnt vmcnt(0) lgkmcnt(0)
	flat_store_dword v[4:5], v107 offset:64
	flat_store_dword v[114:115], v109
.LBB98_278:
	s_or_b64 exec, exec, s[14:15]
	v_mov_b32_e32 v107, v106
	v_mov_b32_e32 v109, v106
.LBB98_279:
	s_or_b64 exec, exec, s[2:3]
.LBB98_280:
	s_andn2_saveexec_b64 s[0:1], s[0:1]
	s_cbranch_execz .LBB98_282
; %bb.281:
	v_mov_b32_e32 v109, 16
	ds_write2_b64 v108, v[64:65], v[66:67] offset0:17 offset1:18
	ds_write2_b64 v108, v[62:63], v[60:61] offset0:19 offset1:20
	;; [unrolled: 1-line block ×16, first 2 shown]
	ds_write_b64 v108, v[102:103] offset:392
.LBB98_282:
	s_or_b64 exec, exec, s[0:1]
	v_cmp_lt_i32_e32 vcc, 16, v109
	s_waitcnt lgkmcnt(0)
	s_barrier
	s_and_saveexec_b64 s[0:1], vcc
	s_cbranch_execz .LBB98_284
; %bb.283:
	ds_read2_b64 v[114:117], v108 offset0:17 offset1:18
	ds_read2_b64 v[118:121], v108 offset0:19 offset1:20
	v_mul_f64 v[68:69], v[104:105], v[68:69]
	ds_read2_b64 v[122:125], v108 offset0:21 offset1:22
	ds_read_b64 v[104:105], v108 offset:392
	s_waitcnt lgkmcnt(0)
	v_fma_f64 v[64:65], -v[68:69], v[114:115], v[64:65]
	v_fma_f64 v[66:67], -v[68:69], v[116:117], v[66:67]
	ds_read2_b64 v[114:117], v108 offset0:23 offset1:24
	v_fma_f64 v[62:63], -v[68:69], v[118:119], v[62:63]
	v_fma_f64 v[60:61], -v[68:69], v[120:121], v[60:61]
	;; [unrolled: 1-line block ×3, first 2 shown]
	ds_read2_b64 v[118:121], v108 offset0:25 offset1:26
	v_fma_f64 v[56:57], -v[68:69], v[124:125], v[56:57]
	ds_read2_b64 v[122:125], v108 offset0:27 offset1:28
	s_waitcnt lgkmcnt(0)
	v_fma_f64 v[54:55], -v[68:69], v[114:115], v[54:55]
	v_fma_f64 v[52:53], -v[68:69], v[116:117], v[52:53]
	ds_read2_b64 v[114:117], v108 offset0:29 offset1:30
	v_fma_f64 v[50:51], -v[68:69], v[118:119], v[50:51]
	v_fma_f64 v[48:49], -v[68:69], v[120:121], v[48:49]
	ds_read2_b64 v[118:121], v108 offset0:31 offset1:32
	v_fma_f64 v[46:47], -v[68:69], v[122:123], v[46:47]
	v_fma_f64 v[44:45], -v[68:69], v[124:125], v[44:45]
	s_waitcnt lgkmcnt(0)
	v_fma_f64 v[42:43], -v[68:69], v[114:115], v[42:43]
	ds_read2_b64 v[122:125], v108 offset0:33 offset1:34
	v_fma_f64 v[40:41], -v[68:69], v[116:117], v[40:41]
	ds_read2_b64 v[114:117], v108 offset0:35 offset1:36
	v_fma_f64 v[38:39], -v[68:69], v[118:119], v[38:39]
	v_fma_f64 v[36:37], -v[68:69], v[120:121], v[36:37]
	s_waitcnt lgkmcnt(0)
	v_fma_f64 v[34:35], -v[68:69], v[122:123], v[34:35]
	ds_read2_b64 v[118:121], v108 offset0:37 offset1:38
	v_fma_f64 v[32:33], -v[68:69], v[124:125], v[32:33]
	ds_read2_b64 v[122:125], v108 offset0:39 offset1:40
	v_fma_f64 v[28:29], -v[68:69], v[114:115], v[28:29]
	v_fma_f64 v[30:31], -v[68:69], v[116:117], v[30:31]
	ds_read2_b64 v[114:117], v108 offset0:41 offset1:42
	s_waitcnt lgkmcnt(0)
	v_fma_f64 v[26:27], -v[68:69], v[118:119], v[26:27]
	v_fma_f64 v[24:25], -v[68:69], v[120:121], v[24:25]
	ds_read2_b64 v[118:121], v108 offset0:43 offset1:44
	v_fma_f64 v[22:23], -v[68:69], v[122:123], v[22:23]
	v_fma_f64 v[20:21], -v[68:69], v[124:125], v[20:21]
	;; [unrolled: 1-line block ×4, first 2 shown]
	ds_read2_b64 v[114:117], v108 offset0:45 offset1:46
	ds_read2_b64 v[122:125], v108 offset0:47 offset1:48
	s_waitcnt lgkmcnt(0)
	v_fma_f64 v[14:15], -v[68:69], v[118:119], v[14:15]
	v_fma_f64 v[12:13], -v[68:69], v[120:121], v[12:13]
	;; [unrolled: 1-line block ×7, first 2 shown]
.LBB98_284:
	s_or_b64 exec, exec, s[0:1]
	v_lshl_add_u32 v104, v109, 3, v108
	s_barrier
	ds_write_b64 v104, v[64:65]
	s_waitcnt lgkmcnt(0)
	s_barrier
	ds_read_b64 v[104:105], v108 offset:136
	s_cmp_lt_i32 s18, 19
	v_mov_b32_e32 v106, 17
	s_cbranch_scc1 .LBB98_287
; %bb.285:
	v_add_u32_e32 v113, 0x90, v108
	s_mov_b32 s0, 18
	v_mov_b32_e32 v106, 17
.LBB98_286:                             ; =>This Inner Loop Header: Depth=1
	ds_read_b64 v[114:115], v113
	v_mov_b32_e32 v116, s0
	s_add_i32 s0, s0, 1
	v_add_u32_e32 v113, 8, v113
	s_cmp_lg_u32 s18, s0
	s_waitcnt lgkmcnt(0)
	v_cmp_lt_f64_e64 vcc, |v[104:105]|, |v[114:115]|
	v_cndmask_b32_e32 v105, v105, v115, vcc
	v_cndmask_b32_e32 v104, v104, v114, vcc
	;; [unrolled: 1-line block ×3, first 2 shown]
	s_cbranch_scc1 .LBB98_286
.LBB98_287:
	s_waitcnt lgkmcnt(0)
	v_cmp_eq_f64_e32 vcc, 0, v[104:105]
	s_and_saveexec_b64 s[0:1], vcc
	s_xor_b64 s[0:1], exec, s[0:1]
; %bb.288:
	v_cmp_ne_u32_e32 vcc, 0, v112
	v_cndmask_b32_e32 v112, 18, v112, vcc
; %bb.289:
	s_andn2_saveexec_b64 s[0:1], s[0:1]
; %bb.290:
	v_div_scale_f64 v[114:115], s[2:3], v[104:105], v[104:105], 1.0
	v_rcp_f64_e32 v[116:117], v[114:115]
	v_div_scale_f64 v[118:119], vcc, 1.0, v[104:105], 1.0
	v_fma_f64 v[120:121], -v[114:115], v[116:117], 1.0
	v_fmac_f64_e32 v[116:117], v[116:117], v[120:121]
	v_fma_f64 v[120:121], -v[114:115], v[116:117], 1.0
	v_fmac_f64_e32 v[116:117], v[116:117], v[120:121]
	v_mul_f64 v[120:121], v[118:119], v[116:117]
	v_fma_f64 v[114:115], -v[114:115], v[120:121], v[118:119]
	v_div_fmas_f64 v[114:115], v[114:115], v[116:117], v[120:121]
	v_div_fixup_f64 v[104:105], v[114:115], v[104:105], 1.0
; %bb.291:
	s_or_b64 exec, exec, s[0:1]
	v_cmp_ne_u32_e32 vcc, v109, v106
	s_and_saveexec_b64 s[0:1], vcc
	s_xor_b64 s[0:1], exec, s[0:1]
	s_cbranch_execz .LBB98_297
; %bb.292:
	v_cmp_eq_u32_e32 vcc, 17, v109
	s_and_saveexec_b64 s[2:3], vcc
	s_cbranch_execz .LBB98_296
; %bb.293:
	v_cmp_ne_u32_e32 vcc, 17, v106
	s_xor_b64 s[14:15], s[6:7], -1
	s_and_b64 s[16:17], s[14:15], vcc
	s_and_saveexec_b64 s[14:15], s[16:17]
	s_cbranch_execz .LBB98_295
; %bb.294:
	v_ashrrev_i32_e32 v107, 31, v106
	v_lshlrev_b64 v[114:115], 2, v[106:107]
	v_add_co_u32_e32 v114, vcc, v4, v114
	v_addc_co_u32_e32 v115, vcc, v5, v115, vcc
	flat_load_dword v107, v[114:115]
	flat_load_dword v109, v[4:5] offset:68
	s_waitcnt vmcnt(0) lgkmcnt(0)
	flat_store_dword v[4:5], v107 offset:68
	flat_store_dword v[114:115], v109
.LBB98_295:
	s_or_b64 exec, exec, s[14:15]
	v_mov_b32_e32 v107, v106
	v_mov_b32_e32 v109, v106
.LBB98_296:
	s_or_b64 exec, exec, s[2:3]
.LBB98_297:
	s_andn2_saveexec_b64 s[0:1], s[0:1]
	s_cbranch_execz .LBB98_299
; %bb.298:
	v_mov_b32_e32 v114, v66
	v_mov_b32_e32 v115, v67
	v_mov_b32_e32 v116, v62
	v_mov_b32_e32 v117, v63
	ds_write2_b64 v108, v[114:115], v[116:117] offset0:18 offset1:19
	v_mov_b32_e32 v114, v60
	v_mov_b32_e32 v115, v61
	v_mov_b32_e32 v116, v58
	v_mov_b32_e32 v117, v59
	ds_write2_b64 v108, v[114:115], v[116:117] offset0:20 offset1:21
	;; [unrolled: 5-line block ×15, first 2 shown]
	v_mov_b32_e32 v114, v0
	v_mov_b32_e32 v115, v1
	;; [unrolled: 1-line block ×3, first 2 shown]
	ds_write2_b64 v108, v[114:115], v[102:103] offset0:48 offset1:49
.LBB98_299:
	s_or_b64 exec, exec, s[0:1]
	v_cmp_lt_i32_e32 vcc, 17, v109
	s_waitcnt lgkmcnt(0)
	s_barrier
	s_and_saveexec_b64 s[0:1], vcc
	s_cbranch_execz .LBB98_301
; %bb.300:
	ds_read2_b64 v[114:117], v108 offset0:18 offset1:19
	ds_read2_b64 v[118:121], v108 offset0:20 offset1:21
	v_mul_f64 v[64:65], v[104:105], v[64:65]
	ds_read2_b64 v[122:125], v108 offset0:22 offset1:23
	s_waitcnt lgkmcnt(0)
	v_fma_f64 v[66:67], -v[64:65], v[114:115], v[66:67]
	v_fma_f64 v[62:63], -v[64:65], v[116:117], v[62:63]
	ds_read2_b64 v[114:117], v108 offset0:24 offset1:25
	v_fma_f64 v[60:61], -v[64:65], v[118:119], v[60:61]
	v_fma_f64 v[58:59], -v[64:65], v[120:121], v[58:59]
	;; [unrolled: 1-line block ×3, first 2 shown]
	ds_read2_b64 v[118:121], v108 offset0:26 offset1:27
	v_fma_f64 v[54:55], -v[64:65], v[124:125], v[54:55]
	ds_read2_b64 v[122:125], v108 offset0:28 offset1:29
	s_waitcnt lgkmcnt(0)
	v_fma_f64 v[52:53], -v[64:65], v[114:115], v[52:53]
	v_fma_f64 v[50:51], -v[64:65], v[116:117], v[50:51]
	ds_read2_b64 v[114:117], v108 offset0:30 offset1:31
	v_fma_f64 v[48:49], -v[64:65], v[118:119], v[48:49]
	v_fma_f64 v[46:47], -v[64:65], v[120:121], v[46:47]
	ds_read2_b64 v[118:121], v108 offset0:32 offset1:33
	v_fma_f64 v[44:45], -v[64:65], v[122:123], v[44:45]
	v_fma_f64 v[42:43], -v[64:65], v[124:125], v[42:43]
	s_waitcnt lgkmcnt(0)
	v_fma_f64 v[40:41], -v[64:65], v[114:115], v[40:41]
	ds_read2_b64 v[122:125], v108 offset0:34 offset1:35
	v_fma_f64 v[38:39], -v[64:65], v[116:117], v[38:39]
	ds_read2_b64 v[114:117], v108 offset0:36 offset1:37
	v_fma_f64 v[36:37], -v[64:65], v[118:119], v[36:37]
	v_fma_f64 v[34:35], -v[64:65], v[120:121], v[34:35]
	s_waitcnt lgkmcnt(0)
	v_fma_f64 v[32:33], -v[64:65], v[122:123], v[32:33]
	ds_read2_b64 v[118:121], v108 offset0:38 offset1:39
	v_fma_f64 v[28:29], -v[64:65], v[124:125], v[28:29]
	ds_read2_b64 v[122:125], v108 offset0:40 offset1:41
	v_fma_f64 v[30:31], -v[64:65], v[114:115], v[30:31]
	v_fma_f64 v[26:27], -v[64:65], v[116:117], v[26:27]
	ds_read2_b64 v[114:117], v108 offset0:42 offset1:43
	s_waitcnt lgkmcnt(0)
	v_fma_f64 v[24:25], -v[64:65], v[118:119], v[24:25]
	v_fma_f64 v[22:23], -v[64:65], v[120:121], v[22:23]
	ds_read2_b64 v[118:121], v108 offset0:44 offset1:45
	v_fma_f64 v[20:21], -v[64:65], v[122:123], v[20:21]
	v_fma_f64 v[18:19], -v[64:65], v[124:125], v[18:19]
	;; [unrolled: 1-line block ×3, first 2 shown]
	ds_read2_b64 v[122:125], v108 offset0:46 offset1:47
	v_fma_f64 v[14:15], -v[64:65], v[116:117], v[14:15]
	ds_read2_b64 v[114:117], v108 offset0:48 offset1:49
	s_waitcnt lgkmcnt(0)
	v_fma_f64 v[12:13], -v[64:65], v[118:119], v[12:13]
	v_fma_f64 v[10:11], -v[64:65], v[120:121], v[10:11]
	;; [unrolled: 1-line block ×6, first 2 shown]
.LBB98_301:
	s_or_b64 exec, exec, s[0:1]
	v_lshl_add_u32 v104, v109, 3, v108
	s_barrier
	ds_write_b64 v104, v[66:67]
	s_waitcnt lgkmcnt(0)
	s_barrier
	ds_read_b64 v[104:105], v108 offset:144
	s_cmp_lt_i32 s18, 20
	v_mov_b32_e32 v106, 18
	s_cbranch_scc1 .LBB98_304
; %bb.302:
	v_add_u32_e32 v113, 0x98, v108
	s_mov_b32 s0, 19
	v_mov_b32_e32 v106, 18
.LBB98_303:                             ; =>This Inner Loop Header: Depth=1
	ds_read_b64 v[114:115], v113
	v_mov_b32_e32 v116, s0
	s_add_i32 s0, s0, 1
	v_add_u32_e32 v113, 8, v113
	s_cmp_lg_u32 s18, s0
	s_waitcnt lgkmcnt(0)
	v_cmp_lt_f64_e64 vcc, |v[104:105]|, |v[114:115]|
	v_cndmask_b32_e32 v105, v105, v115, vcc
	v_cndmask_b32_e32 v104, v104, v114, vcc
	;; [unrolled: 1-line block ×3, first 2 shown]
	s_cbranch_scc1 .LBB98_303
.LBB98_304:
	s_waitcnt lgkmcnt(0)
	v_cmp_eq_f64_e32 vcc, 0, v[104:105]
	s_and_saveexec_b64 s[0:1], vcc
	s_xor_b64 s[0:1], exec, s[0:1]
; %bb.305:
	v_cmp_ne_u32_e32 vcc, 0, v112
	v_cndmask_b32_e32 v112, 19, v112, vcc
; %bb.306:
	s_andn2_saveexec_b64 s[0:1], s[0:1]
; %bb.307:
	v_div_scale_f64 v[114:115], s[2:3], v[104:105], v[104:105], 1.0
	v_rcp_f64_e32 v[116:117], v[114:115]
	v_div_scale_f64 v[118:119], vcc, 1.0, v[104:105], 1.0
	v_fma_f64 v[120:121], -v[114:115], v[116:117], 1.0
	v_fmac_f64_e32 v[116:117], v[116:117], v[120:121]
	v_fma_f64 v[120:121], -v[114:115], v[116:117], 1.0
	v_fmac_f64_e32 v[116:117], v[116:117], v[120:121]
	v_mul_f64 v[120:121], v[118:119], v[116:117]
	v_fma_f64 v[114:115], -v[114:115], v[120:121], v[118:119]
	v_div_fmas_f64 v[114:115], v[114:115], v[116:117], v[120:121]
	v_div_fixup_f64 v[104:105], v[114:115], v[104:105], 1.0
; %bb.308:
	s_or_b64 exec, exec, s[0:1]
	v_cmp_ne_u32_e32 vcc, v109, v106
	s_and_saveexec_b64 s[0:1], vcc
	s_xor_b64 s[0:1], exec, s[0:1]
	s_cbranch_execz .LBB98_314
; %bb.309:
	v_cmp_eq_u32_e32 vcc, 18, v109
	s_and_saveexec_b64 s[2:3], vcc
	s_cbranch_execz .LBB98_313
; %bb.310:
	v_cmp_ne_u32_e32 vcc, 18, v106
	s_xor_b64 s[14:15], s[6:7], -1
	s_and_b64 s[16:17], s[14:15], vcc
	s_and_saveexec_b64 s[14:15], s[16:17]
	s_cbranch_execz .LBB98_312
; %bb.311:
	v_ashrrev_i32_e32 v107, 31, v106
	v_lshlrev_b64 v[114:115], 2, v[106:107]
	v_add_co_u32_e32 v114, vcc, v4, v114
	v_addc_co_u32_e32 v115, vcc, v5, v115, vcc
	flat_load_dword v107, v[114:115]
	flat_load_dword v109, v[4:5] offset:72
	s_waitcnt vmcnt(0) lgkmcnt(0)
	flat_store_dword v[4:5], v107 offset:72
	flat_store_dword v[114:115], v109
.LBB98_312:
	s_or_b64 exec, exec, s[14:15]
	v_mov_b32_e32 v107, v106
	v_mov_b32_e32 v109, v106
.LBB98_313:
	s_or_b64 exec, exec, s[2:3]
.LBB98_314:
	s_andn2_saveexec_b64 s[0:1], s[0:1]
	s_cbranch_execz .LBB98_316
; %bb.315:
	v_mov_b32_e32 v109, 18
	ds_write2_b64 v108, v[62:63], v[60:61] offset0:19 offset1:20
	ds_write2_b64 v108, v[58:59], v[56:57] offset0:21 offset1:22
	ds_write2_b64 v108, v[54:55], v[52:53] offset0:23 offset1:24
	ds_write2_b64 v108, v[50:51], v[48:49] offset0:25 offset1:26
	ds_write2_b64 v108, v[46:47], v[44:45] offset0:27 offset1:28
	ds_write2_b64 v108, v[42:43], v[40:41] offset0:29 offset1:30
	ds_write2_b64 v108, v[38:39], v[36:37] offset0:31 offset1:32
	ds_write2_b64 v108, v[34:35], v[32:33] offset0:33 offset1:34
	ds_write2_b64 v108, v[28:29], v[30:31] offset0:35 offset1:36
	ds_write2_b64 v108, v[26:27], v[24:25] offset0:37 offset1:38
	ds_write2_b64 v108, v[22:23], v[20:21] offset0:39 offset1:40
	ds_write2_b64 v108, v[18:19], v[16:17] offset0:41 offset1:42
	ds_write2_b64 v108, v[14:15], v[12:13] offset0:43 offset1:44
	ds_write2_b64 v108, v[10:11], v[8:9] offset0:45 offset1:46
	ds_write2_b64 v108, v[6:7], v[0:1] offset0:47 offset1:48
	ds_write_b64 v108, v[102:103] offset:392
.LBB98_316:
	s_or_b64 exec, exec, s[0:1]
	v_cmp_lt_i32_e32 vcc, 18, v109
	s_waitcnt lgkmcnt(0)
	s_barrier
	s_and_saveexec_b64 s[0:1], vcc
	s_cbranch_execz .LBB98_318
; %bb.317:
	ds_read2_b64 v[114:117], v108 offset0:19 offset1:20
	ds_read2_b64 v[118:121], v108 offset0:21 offset1:22
	;; [unrolled: 1-line block ×3, first 2 shown]
	v_mul_f64 v[66:67], v[104:105], v[66:67]
	ds_read_b64 v[104:105], v108 offset:392
	s_waitcnt lgkmcnt(0)
	v_fma_f64 v[62:63], -v[66:67], v[114:115], v[62:63]
	v_fma_f64 v[60:61], -v[66:67], v[116:117], v[60:61]
	ds_read2_b64 v[114:117], v108 offset0:25 offset1:26
	v_fma_f64 v[58:59], -v[66:67], v[118:119], v[58:59]
	v_fma_f64 v[56:57], -v[66:67], v[120:121], v[56:57]
	;; [unrolled: 1-line block ×3, first 2 shown]
	ds_read2_b64 v[118:121], v108 offset0:27 offset1:28
	v_fma_f64 v[52:53], -v[66:67], v[124:125], v[52:53]
	ds_read2_b64 v[122:125], v108 offset0:29 offset1:30
	s_waitcnt lgkmcnt(0)
	v_fma_f64 v[50:51], -v[66:67], v[114:115], v[50:51]
	v_fma_f64 v[48:49], -v[66:67], v[116:117], v[48:49]
	;; [unrolled: 1-line block ×3, first 2 shown]
	ds_read2_b64 v[114:117], v108 offset0:31 offset1:32
	v_fma_f64 v[44:45], -v[66:67], v[120:121], v[44:45]
	ds_read2_b64 v[118:121], v108 offset0:33 offset1:34
	v_fma_f64 v[42:43], -v[66:67], v[122:123], v[42:43]
	v_fma_f64 v[40:41], -v[66:67], v[124:125], v[40:41]
	ds_read2_b64 v[122:125], v108 offset0:35 offset1:36
	s_waitcnt lgkmcnt(0)
	v_fma_f64 v[38:39], -v[66:67], v[114:115], v[38:39]
	v_fma_f64 v[36:37], -v[66:67], v[116:117], v[36:37]
	ds_read2_b64 v[114:117], v108 offset0:37 offset1:38
	v_fma_f64 v[34:35], -v[66:67], v[118:119], v[34:35]
	v_fma_f64 v[32:33], -v[66:67], v[120:121], v[32:33]
	;; [unrolled: 1-line block ×3, first 2 shown]
	ds_read2_b64 v[118:121], v108 offset0:39 offset1:40
	v_fma_f64 v[30:31], -v[66:67], v[124:125], v[30:31]
	ds_read2_b64 v[122:125], v108 offset0:41 offset1:42
	s_waitcnt lgkmcnt(0)
	v_fma_f64 v[26:27], -v[66:67], v[114:115], v[26:27]
	v_fma_f64 v[24:25], -v[66:67], v[116:117], v[24:25]
	;; [unrolled: 1-line block ×3, first 2 shown]
	ds_read2_b64 v[114:117], v108 offset0:43 offset1:44
	v_fma_f64 v[20:21], -v[66:67], v[120:121], v[20:21]
	ds_read2_b64 v[118:121], v108 offset0:45 offset1:46
	v_fma_f64 v[18:19], -v[66:67], v[122:123], v[18:19]
	v_fma_f64 v[16:17], -v[66:67], v[124:125], v[16:17]
	ds_read2_b64 v[122:125], v108 offset0:47 offset1:48
	s_waitcnt lgkmcnt(0)
	v_fma_f64 v[14:15], -v[66:67], v[114:115], v[14:15]
	v_fma_f64 v[12:13], -v[66:67], v[116:117], v[12:13]
	;; [unrolled: 1-line block ×7, first 2 shown]
.LBB98_318:
	s_or_b64 exec, exec, s[0:1]
	v_lshl_add_u32 v104, v109, 3, v108
	s_barrier
	ds_write_b64 v104, v[62:63]
	s_waitcnt lgkmcnt(0)
	s_barrier
	ds_read_b64 v[104:105], v108 offset:152
	s_cmp_lt_i32 s18, 21
	v_mov_b32_e32 v106, 19
	s_cbranch_scc1 .LBB98_321
; %bb.319:
	v_add_u32_e32 v113, 0xa0, v108
	s_mov_b32 s0, 20
	v_mov_b32_e32 v106, 19
.LBB98_320:                             ; =>This Inner Loop Header: Depth=1
	ds_read_b64 v[114:115], v113
	v_mov_b32_e32 v116, s0
	s_add_i32 s0, s0, 1
	v_add_u32_e32 v113, 8, v113
	s_cmp_lg_u32 s18, s0
	s_waitcnt lgkmcnt(0)
	v_cmp_lt_f64_e64 vcc, |v[104:105]|, |v[114:115]|
	v_cndmask_b32_e32 v105, v105, v115, vcc
	v_cndmask_b32_e32 v104, v104, v114, vcc
	;; [unrolled: 1-line block ×3, first 2 shown]
	s_cbranch_scc1 .LBB98_320
.LBB98_321:
	s_waitcnt lgkmcnt(0)
	v_cmp_eq_f64_e32 vcc, 0, v[104:105]
	s_and_saveexec_b64 s[0:1], vcc
	s_xor_b64 s[0:1], exec, s[0:1]
; %bb.322:
	v_cmp_ne_u32_e32 vcc, 0, v112
	v_cndmask_b32_e32 v112, 20, v112, vcc
; %bb.323:
	s_andn2_saveexec_b64 s[0:1], s[0:1]
; %bb.324:
	v_div_scale_f64 v[114:115], s[2:3], v[104:105], v[104:105], 1.0
	v_rcp_f64_e32 v[116:117], v[114:115]
	v_div_scale_f64 v[118:119], vcc, 1.0, v[104:105], 1.0
	v_fma_f64 v[120:121], -v[114:115], v[116:117], 1.0
	v_fmac_f64_e32 v[116:117], v[116:117], v[120:121]
	v_fma_f64 v[120:121], -v[114:115], v[116:117], 1.0
	v_fmac_f64_e32 v[116:117], v[116:117], v[120:121]
	v_mul_f64 v[120:121], v[118:119], v[116:117]
	v_fma_f64 v[114:115], -v[114:115], v[120:121], v[118:119]
	v_div_fmas_f64 v[114:115], v[114:115], v[116:117], v[120:121]
	v_div_fixup_f64 v[104:105], v[114:115], v[104:105], 1.0
; %bb.325:
	s_or_b64 exec, exec, s[0:1]
	v_cmp_ne_u32_e32 vcc, v109, v106
	s_and_saveexec_b64 s[0:1], vcc
	s_xor_b64 s[0:1], exec, s[0:1]
	s_cbranch_execz .LBB98_331
; %bb.326:
	v_cmp_eq_u32_e32 vcc, 19, v109
	s_and_saveexec_b64 s[2:3], vcc
	s_cbranch_execz .LBB98_330
; %bb.327:
	v_cmp_ne_u32_e32 vcc, 19, v106
	s_xor_b64 s[14:15], s[6:7], -1
	s_and_b64 s[16:17], s[14:15], vcc
	s_and_saveexec_b64 s[14:15], s[16:17]
	s_cbranch_execz .LBB98_329
; %bb.328:
	v_ashrrev_i32_e32 v107, 31, v106
	v_lshlrev_b64 v[114:115], 2, v[106:107]
	v_add_co_u32_e32 v114, vcc, v4, v114
	v_addc_co_u32_e32 v115, vcc, v5, v115, vcc
	flat_load_dword v107, v[114:115]
	flat_load_dword v109, v[4:5] offset:76
	s_waitcnt vmcnt(0) lgkmcnt(0)
	flat_store_dword v[4:5], v107 offset:76
	flat_store_dword v[114:115], v109
.LBB98_329:
	s_or_b64 exec, exec, s[14:15]
	v_mov_b32_e32 v107, v106
	v_mov_b32_e32 v109, v106
.LBB98_330:
	s_or_b64 exec, exec, s[2:3]
.LBB98_331:
	s_andn2_saveexec_b64 s[0:1], s[0:1]
	s_cbranch_execz .LBB98_333
; %bb.332:
	v_mov_b32_e32 v114, v60
	v_mov_b32_e32 v115, v61
	v_mov_b32_e32 v116, v58
	v_mov_b32_e32 v117, v59
	ds_write2_b64 v108, v[114:115], v[116:117] offset0:20 offset1:21
	v_mov_b32_e32 v114, v56
	v_mov_b32_e32 v115, v57
	v_mov_b32_e32 v116, v54
	v_mov_b32_e32 v117, v55
	ds_write2_b64 v108, v[114:115], v[116:117] offset0:22 offset1:23
	;; [unrolled: 5-line block ×14, first 2 shown]
	v_mov_b32_e32 v114, v0
	v_mov_b32_e32 v115, v1
	;; [unrolled: 1-line block ×3, first 2 shown]
	ds_write2_b64 v108, v[114:115], v[102:103] offset0:48 offset1:49
.LBB98_333:
	s_or_b64 exec, exec, s[0:1]
	v_cmp_lt_i32_e32 vcc, 19, v109
	s_waitcnt lgkmcnt(0)
	s_barrier
	s_and_saveexec_b64 s[0:1], vcc
	s_cbranch_execz .LBB98_335
; %bb.334:
	ds_read2_b64 v[114:117], v108 offset0:20 offset1:21
	ds_read2_b64 v[118:121], v108 offset0:22 offset1:23
	;; [unrolled: 1-line block ×3, first 2 shown]
	v_mul_f64 v[62:63], v[104:105], v[62:63]
	s_waitcnt lgkmcnt(0)
	v_fma_f64 v[60:61], -v[62:63], v[114:115], v[60:61]
	v_fma_f64 v[58:59], -v[62:63], v[116:117], v[58:59]
	ds_read2_b64 v[114:117], v108 offset0:26 offset1:27
	v_fma_f64 v[56:57], -v[62:63], v[118:119], v[56:57]
	v_fma_f64 v[54:55], -v[62:63], v[120:121], v[54:55]
	;; [unrolled: 1-line block ×3, first 2 shown]
	ds_read2_b64 v[118:121], v108 offset0:28 offset1:29
	v_fma_f64 v[50:51], -v[62:63], v[124:125], v[50:51]
	ds_read2_b64 v[122:125], v108 offset0:30 offset1:31
	s_waitcnt lgkmcnt(0)
	v_fma_f64 v[48:49], -v[62:63], v[114:115], v[48:49]
	v_fma_f64 v[46:47], -v[62:63], v[116:117], v[46:47]
	;; [unrolled: 1-line block ×3, first 2 shown]
	ds_read2_b64 v[114:117], v108 offset0:32 offset1:33
	v_fma_f64 v[42:43], -v[62:63], v[120:121], v[42:43]
	ds_read2_b64 v[118:121], v108 offset0:34 offset1:35
	v_fma_f64 v[40:41], -v[62:63], v[122:123], v[40:41]
	v_fma_f64 v[38:39], -v[62:63], v[124:125], v[38:39]
	ds_read2_b64 v[122:125], v108 offset0:36 offset1:37
	s_waitcnt lgkmcnt(0)
	v_fma_f64 v[36:37], -v[62:63], v[114:115], v[36:37]
	v_fma_f64 v[34:35], -v[62:63], v[116:117], v[34:35]
	ds_read2_b64 v[114:117], v108 offset0:38 offset1:39
	v_fma_f64 v[32:33], -v[62:63], v[118:119], v[32:33]
	v_fma_f64 v[28:29], -v[62:63], v[120:121], v[28:29]
	v_fma_f64 v[30:31], -v[62:63], v[122:123], v[30:31]
	ds_read2_b64 v[118:121], v108 offset0:40 offset1:41
	v_fma_f64 v[26:27], -v[62:63], v[124:125], v[26:27]
	ds_read2_b64 v[122:125], v108 offset0:42 offset1:43
	s_waitcnt lgkmcnt(0)
	v_fma_f64 v[24:25], -v[62:63], v[114:115], v[24:25]
	v_fma_f64 v[22:23], -v[62:63], v[116:117], v[22:23]
	;; [unrolled: 1-line block ×4, first 2 shown]
	ds_read2_b64 v[114:117], v108 offset0:44 offset1:45
	ds_read2_b64 v[118:121], v108 offset0:46 offset1:47
	v_fma_f64 v[16:17], -v[62:63], v[122:123], v[16:17]
	v_fma_f64 v[14:15], -v[62:63], v[124:125], v[14:15]
	ds_read2_b64 v[122:125], v108 offset0:48 offset1:49
	s_waitcnt lgkmcnt(0)
	v_fma_f64 v[12:13], -v[62:63], v[114:115], v[12:13]
	v_fma_f64 v[10:11], -v[62:63], v[116:117], v[10:11]
	;; [unrolled: 1-line block ×6, first 2 shown]
.LBB98_335:
	s_or_b64 exec, exec, s[0:1]
	v_lshl_add_u32 v104, v109, 3, v108
	s_barrier
	ds_write_b64 v104, v[60:61]
	s_waitcnt lgkmcnt(0)
	s_barrier
	ds_read_b64 v[104:105], v108 offset:160
	s_cmp_lt_i32 s18, 22
	v_mov_b32_e32 v106, 20
	s_cbranch_scc1 .LBB98_338
; %bb.336:
	v_add_u32_e32 v113, 0xa8, v108
	s_mov_b32 s0, 21
	v_mov_b32_e32 v106, 20
.LBB98_337:                             ; =>This Inner Loop Header: Depth=1
	ds_read_b64 v[114:115], v113
	v_mov_b32_e32 v116, s0
	s_add_i32 s0, s0, 1
	v_add_u32_e32 v113, 8, v113
	s_cmp_lg_u32 s18, s0
	s_waitcnt lgkmcnt(0)
	v_cmp_lt_f64_e64 vcc, |v[104:105]|, |v[114:115]|
	v_cndmask_b32_e32 v105, v105, v115, vcc
	v_cndmask_b32_e32 v104, v104, v114, vcc
	v_cndmask_b32_e32 v106, v106, v116, vcc
	s_cbranch_scc1 .LBB98_337
.LBB98_338:
	s_waitcnt lgkmcnt(0)
	v_cmp_eq_f64_e32 vcc, 0, v[104:105]
	s_and_saveexec_b64 s[0:1], vcc
	s_xor_b64 s[0:1], exec, s[0:1]
; %bb.339:
	v_cmp_ne_u32_e32 vcc, 0, v112
	v_cndmask_b32_e32 v112, 21, v112, vcc
; %bb.340:
	s_andn2_saveexec_b64 s[0:1], s[0:1]
; %bb.341:
	v_div_scale_f64 v[114:115], s[2:3], v[104:105], v[104:105], 1.0
	v_rcp_f64_e32 v[116:117], v[114:115]
	v_div_scale_f64 v[118:119], vcc, 1.0, v[104:105], 1.0
	v_fma_f64 v[120:121], -v[114:115], v[116:117], 1.0
	v_fmac_f64_e32 v[116:117], v[116:117], v[120:121]
	v_fma_f64 v[120:121], -v[114:115], v[116:117], 1.0
	v_fmac_f64_e32 v[116:117], v[116:117], v[120:121]
	v_mul_f64 v[120:121], v[118:119], v[116:117]
	v_fma_f64 v[114:115], -v[114:115], v[120:121], v[118:119]
	v_div_fmas_f64 v[114:115], v[114:115], v[116:117], v[120:121]
	v_div_fixup_f64 v[104:105], v[114:115], v[104:105], 1.0
; %bb.342:
	s_or_b64 exec, exec, s[0:1]
	v_cmp_ne_u32_e32 vcc, v109, v106
	s_and_saveexec_b64 s[0:1], vcc
	s_xor_b64 s[0:1], exec, s[0:1]
	s_cbranch_execz .LBB98_348
; %bb.343:
	v_cmp_eq_u32_e32 vcc, 20, v109
	s_and_saveexec_b64 s[2:3], vcc
	s_cbranch_execz .LBB98_347
; %bb.344:
	v_cmp_ne_u32_e32 vcc, 20, v106
	s_xor_b64 s[14:15], s[6:7], -1
	s_and_b64 s[16:17], s[14:15], vcc
	s_and_saveexec_b64 s[14:15], s[16:17]
	s_cbranch_execz .LBB98_346
; %bb.345:
	v_ashrrev_i32_e32 v107, 31, v106
	v_lshlrev_b64 v[114:115], 2, v[106:107]
	v_add_co_u32_e32 v114, vcc, v4, v114
	v_addc_co_u32_e32 v115, vcc, v5, v115, vcc
	flat_load_dword v107, v[114:115]
	flat_load_dword v109, v[4:5] offset:80
	s_waitcnt vmcnt(0) lgkmcnt(0)
	flat_store_dword v[4:5], v107 offset:80
	flat_store_dword v[114:115], v109
.LBB98_346:
	s_or_b64 exec, exec, s[14:15]
	v_mov_b32_e32 v107, v106
	v_mov_b32_e32 v109, v106
.LBB98_347:
	s_or_b64 exec, exec, s[2:3]
.LBB98_348:
	s_andn2_saveexec_b64 s[0:1], s[0:1]
	s_cbranch_execz .LBB98_350
; %bb.349:
	v_mov_b32_e32 v109, 20
	ds_write2_b64 v108, v[58:59], v[56:57] offset0:21 offset1:22
	ds_write2_b64 v108, v[54:55], v[52:53] offset0:23 offset1:24
	;; [unrolled: 1-line block ×14, first 2 shown]
	ds_write_b64 v108, v[102:103] offset:392
.LBB98_350:
	s_or_b64 exec, exec, s[0:1]
	v_cmp_lt_i32_e32 vcc, 20, v109
	s_waitcnt lgkmcnt(0)
	s_barrier
	s_and_saveexec_b64 s[0:1], vcc
	s_cbranch_execz .LBB98_352
; %bb.351:
	ds_read2_b64 v[114:117], v108 offset0:21 offset1:22
	ds_read2_b64 v[118:121], v108 offset0:23 offset1:24
	v_mul_f64 v[60:61], v[104:105], v[60:61]
	ds_read2_b64 v[122:125], v108 offset0:25 offset1:26
	ds_read_b64 v[104:105], v108 offset:392
	s_waitcnt lgkmcnt(0)
	v_fma_f64 v[58:59], -v[60:61], v[114:115], v[58:59]
	v_fma_f64 v[56:57], -v[60:61], v[116:117], v[56:57]
	ds_read2_b64 v[114:117], v108 offset0:27 offset1:28
	v_fma_f64 v[54:55], -v[60:61], v[118:119], v[54:55]
	v_fma_f64 v[52:53], -v[60:61], v[120:121], v[52:53]
	ds_read2_b64 v[118:121], v108 offset0:29 offset1:30
	;; [unrolled: 3-line block ×3, first 2 shown]
	s_waitcnt lgkmcnt(0)
	v_fma_f64 v[46:47], -v[60:61], v[114:115], v[46:47]
	v_fma_f64 v[44:45], -v[60:61], v[116:117], v[44:45]
	;; [unrolled: 1-line block ×3, first 2 shown]
	ds_read2_b64 v[114:117], v108 offset0:33 offset1:34
	v_fma_f64 v[40:41], -v[60:61], v[120:121], v[40:41]
	ds_read2_b64 v[118:121], v108 offset0:35 offset1:36
	v_fma_f64 v[38:39], -v[60:61], v[122:123], v[38:39]
	v_fma_f64 v[36:37], -v[60:61], v[124:125], v[36:37]
	s_waitcnt lgkmcnt(0)
	v_fma_f64 v[34:35], -v[60:61], v[114:115], v[34:35]
	ds_read2_b64 v[122:125], v108 offset0:37 offset1:38
	v_fma_f64 v[32:33], -v[60:61], v[116:117], v[32:33]
	ds_read2_b64 v[114:117], v108 offset0:39 offset1:40
	v_fma_f64 v[28:29], -v[60:61], v[118:119], v[28:29]
	v_fma_f64 v[30:31], -v[60:61], v[120:121], v[30:31]
	ds_read2_b64 v[118:121], v108 offset0:41 offset1:42
	s_waitcnt lgkmcnt(0)
	v_fma_f64 v[26:27], -v[60:61], v[122:123], v[26:27]
	v_fma_f64 v[24:25], -v[60:61], v[124:125], v[24:25]
	ds_read2_b64 v[122:125], v108 offset0:43 offset1:44
	v_fma_f64 v[22:23], -v[60:61], v[114:115], v[22:23]
	v_fma_f64 v[20:21], -v[60:61], v[116:117], v[20:21]
	;; [unrolled: 1-line block ×4, first 2 shown]
	ds_read2_b64 v[114:117], v108 offset0:45 offset1:46
	ds_read2_b64 v[118:121], v108 offset0:47 offset1:48
	s_waitcnt lgkmcnt(0)
	v_fma_f64 v[14:15], -v[60:61], v[122:123], v[14:15]
	v_fma_f64 v[12:13], -v[60:61], v[124:125], v[12:13]
	;; [unrolled: 1-line block ×7, first 2 shown]
.LBB98_352:
	s_or_b64 exec, exec, s[0:1]
	v_lshl_add_u32 v104, v109, 3, v108
	s_barrier
	ds_write_b64 v104, v[58:59]
	s_waitcnt lgkmcnt(0)
	s_barrier
	ds_read_b64 v[104:105], v108 offset:168
	s_cmp_lt_i32 s18, 23
	v_mov_b32_e32 v106, 21
	s_cbranch_scc1 .LBB98_355
; %bb.353:
	v_add_u32_e32 v113, 0xb0, v108
	s_mov_b32 s0, 22
	v_mov_b32_e32 v106, 21
.LBB98_354:                             ; =>This Inner Loop Header: Depth=1
	ds_read_b64 v[114:115], v113
	v_mov_b32_e32 v116, s0
	s_add_i32 s0, s0, 1
	v_add_u32_e32 v113, 8, v113
	s_cmp_lg_u32 s18, s0
	s_waitcnt lgkmcnt(0)
	v_cmp_lt_f64_e64 vcc, |v[104:105]|, |v[114:115]|
	v_cndmask_b32_e32 v105, v105, v115, vcc
	v_cndmask_b32_e32 v104, v104, v114, vcc
	;; [unrolled: 1-line block ×3, first 2 shown]
	s_cbranch_scc1 .LBB98_354
.LBB98_355:
	s_waitcnt lgkmcnt(0)
	v_cmp_eq_f64_e32 vcc, 0, v[104:105]
	s_and_saveexec_b64 s[0:1], vcc
	s_xor_b64 s[0:1], exec, s[0:1]
; %bb.356:
	v_cmp_ne_u32_e32 vcc, 0, v112
	v_cndmask_b32_e32 v112, 22, v112, vcc
; %bb.357:
	s_andn2_saveexec_b64 s[0:1], s[0:1]
; %bb.358:
	v_div_scale_f64 v[114:115], s[2:3], v[104:105], v[104:105], 1.0
	v_rcp_f64_e32 v[116:117], v[114:115]
	v_div_scale_f64 v[118:119], vcc, 1.0, v[104:105], 1.0
	v_fma_f64 v[120:121], -v[114:115], v[116:117], 1.0
	v_fmac_f64_e32 v[116:117], v[116:117], v[120:121]
	v_fma_f64 v[120:121], -v[114:115], v[116:117], 1.0
	v_fmac_f64_e32 v[116:117], v[116:117], v[120:121]
	v_mul_f64 v[120:121], v[118:119], v[116:117]
	v_fma_f64 v[114:115], -v[114:115], v[120:121], v[118:119]
	v_div_fmas_f64 v[114:115], v[114:115], v[116:117], v[120:121]
	v_div_fixup_f64 v[104:105], v[114:115], v[104:105], 1.0
; %bb.359:
	s_or_b64 exec, exec, s[0:1]
	v_cmp_ne_u32_e32 vcc, v109, v106
	s_and_saveexec_b64 s[0:1], vcc
	s_xor_b64 s[0:1], exec, s[0:1]
	s_cbranch_execz .LBB98_365
; %bb.360:
	v_cmp_eq_u32_e32 vcc, 21, v109
	s_and_saveexec_b64 s[2:3], vcc
	s_cbranch_execz .LBB98_364
; %bb.361:
	v_cmp_ne_u32_e32 vcc, 21, v106
	s_xor_b64 s[14:15], s[6:7], -1
	s_and_b64 s[16:17], s[14:15], vcc
	s_and_saveexec_b64 s[14:15], s[16:17]
	s_cbranch_execz .LBB98_363
; %bb.362:
	v_ashrrev_i32_e32 v107, 31, v106
	v_lshlrev_b64 v[114:115], 2, v[106:107]
	v_add_co_u32_e32 v114, vcc, v4, v114
	v_addc_co_u32_e32 v115, vcc, v5, v115, vcc
	flat_load_dword v107, v[114:115]
	flat_load_dword v109, v[4:5] offset:84
	s_waitcnt vmcnt(0) lgkmcnt(0)
	flat_store_dword v[4:5], v107 offset:84
	flat_store_dword v[114:115], v109
.LBB98_363:
	s_or_b64 exec, exec, s[14:15]
	v_mov_b32_e32 v107, v106
	v_mov_b32_e32 v109, v106
.LBB98_364:
	s_or_b64 exec, exec, s[2:3]
.LBB98_365:
	s_andn2_saveexec_b64 s[0:1], s[0:1]
	s_cbranch_execz .LBB98_367
; %bb.366:
	v_mov_b32_e32 v114, v56
	v_mov_b32_e32 v115, v57
	v_mov_b32_e32 v116, v54
	v_mov_b32_e32 v117, v55
	ds_write2_b64 v108, v[114:115], v[116:117] offset0:22 offset1:23
	v_mov_b32_e32 v114, v52
	v_mov_b32_e32 v115, v53
	v_mov_b32_e32 v116, v50
	v_mov_b32_e32 v117, v51
	ds_write2_b64 v108, v[114:115], v[116:117] offset0:24 offset1:25
	;; [unrolled: 5-line block ×13, first 2 shown]
	v_mov_b32_e32 v114, v0
	v_mov_b32_e32 v115, v1
	;; [unrolled: 1-line block ×3, first 2 shown]
	ds_write2_b64 v108, v[114:115], v[102:103] offset0:48 offset1:49
.LBB98_367:
	s_or_b64 exec, exec, s[0:1]
	v_cmp_lt_i32_e32 vcc, 21, v109
	s_waitcnt lgkmcnt(0)
	s_barrier
	s_and_saveexec_b64 s[0:1], vcc
	s_cbranch_execz .LBB98_369
; %bb.368:
	ds_read2_b64 v[114:117], v108 offset0:22 offset1:23
	ds_read2_b64 v[118:121], v108 offset0:24 offset1:25
	v_mul_f64 v[58:59], v[104:105], v[58:59]
	ds_read2_b64 v[122:125], v108 offset0:26 offset1:27
	s_waitcnt lgkmcnt(0)
	v_fma_f64 v[56:57], -v[58:59], v[114:115], v[56:57]
	v_fma_f64 v[54:55], -v[58:59], v[116:117], v[54:55]
	ds_read2_b64 v[114:117], v108 offset0:28 offset1:29
	v_fma_f64 v[52:53], -v[58:59], v[118:119], v[52:53]
	v_fma_f64 v[50:51], -v[58:59], v[120:121], v[50:51]
	ds_read2_b64 v[118:121], v108 offset0:30 offset1:31
	;; [unrolled: 3-line block ×3, first 2 shown]
	s_waitcnt lgkmcnt(0)
	v_fma_f64 v[44:45], -v[58:59], v[114:115], v[44:45]
	v_fma_f64 v[42:43], -v[58:59], v[116:117], v[42:43]
	;; [unrolled: 1-line block ×3, first 2 shown]
	ds_read2_b64 v[114:117], v108 offset0:34 offset1:35
	v_fma_f64 v[38:39], -v[58:59], v[120:121], v[38:39]
	ds_read2_b64 v[118:121], v108 offset0:36 offset1:37
	v_fma_f64 v[36:37], -v[58:59], v[122:123], v[36:37]
	v_fma_f64 v[34:35], -v[58:59], v[124:125], v[34:35]
	s_waitcnt lgkmcnt(0)
	v_fma_f64 v[32:33], -v[58:59], v[114:115], v[32:33]
	ds_read2_b64 v[122:125], v108 offset0:38 offset1:39
	v_fma_f64 v[28:29], -v[58:59], v[116:117], v[28:29]
	ds_read2_b64 v[114:117], v108 offset0:40 offset1:41
	v_fma_f64 v[30:31], -v[58:59], v[118:119], v[30:31]
	v_fma_f64 v[26:27], -v[58:59], v[120:121], v[26:27]
	ds_read2_b64 v[118:121], v108 offset0:42 offset1:43
	s_waitcnt lgkmcnt(0)
	v_fma_f64 v[24:25], -v[58:59], v[122:123], v[24:25]
	v_fma_f64 v[22:23], -v[58:59], v[124:125], v[22:23]
	;; [unrolled: 1-line block ×4, first 2 shown]
	ds_read2_b64 v[114:117], v108 offset0:44 offset1:45
	v_fma_f64 v[16:17], -v[58:59], v[118:119], v[16:17]
	ds_read2_b64 v[122:125], v108 offset0:46 offset1:47
	v_fma_f64 v[14:15], -v[58:59], v[120:121], v[14:15]
	ds_read2_b64 v[118:121], v108 offset0:48 offset1:49
	s_waitcnt lgkmcnt(0)
	v_fma_f64 v[12:13], -v[58:59], v[114:115], v[12:13]
	v_fma_f64 v[10:11], -v[58:59], v[116:117], v[10:11]
	;; [unrolled: 1-line block ×6, first 2 shown]
.LBB98_369:
	s_or_b64 exec, exec, s[0:1]
	v_lshl_add_u32 v104, v109, 3, v108
	s_barrier
	ds_write_b64 v104, v[56:57]
	s_waitcnt lgkmcnt(0)
	s_barrier
	ds_read_b64 v[104:105], v108 offset:176
	s_cmp_lt_i32 s18, 24
	v_mov_b32_e32 v106, 22
	s_cbranch_scc1 .LBB98_372
; %bb.370:
	v_add_u32_e32 v113, 0xb8, v108
	s_mov_b32 s0, 23
	v_mov_b32_e32 v106, 22
.LBB98_371:                             ; =>This Inner Loop Header: Depth=1
	ds_read_b64 v[114:115], v113
	v_mov_b32_e32 v116, s0
	s_add_i32 s0, s0, 1
	v_add_u32_e32 v113, 8, v113
	s_cmp_lg_u32 s18, s0
	s_waitcnt lgkmcnt(0)
	v_cmp_lt_f64_e64 vcc, |v[104:105]|, |v[114:115]|
	v_cndmask_b32_e32 v105, v105, v115, vcc
	v_cndmask_b32_e32 v104, v104, v114, vcc
	;; [unrolled: 1-line block ×3, first 2 shown]
	s_cbranch_scc1 .LBB98_371
.LBB98_372:
	s_waitcnt lgkmcnt(0)
	v_cmp_eq_f64_e32 vcc, 0, v[104:105]
	s_and_saveexec_b64 s[0:1], vcc
	s_xor_b64 s[0:1], exec, s[0:1]
; %bb.373:
	v_cmp_ne_u32_e32 vcc, 0, v112
	v_cndmask_b32_e32 v112, 23, v112, vcc
; %bb.374:
	s_andn2_saveexec_b64 s[0:1], s[0:1]
; %bb.375:
	v_div_scale_f64 v[114:115], s[2:3], v[104:105], v[104:105], 1.0
	v_rcp_f64_e32 v[116:117], v[114:115]
	v_div_scale_f64 v[118:119], vcc, 1.0, v[104:105], 1.0
	v_fma_f64 v[120:121], -v[114:115], v[116:117], 1.0
	v_fmac_f64_e32 v[116:117], v[116:117], v[120:121]
	v_fma_f64 v[120:121], -v[114:115], v[116:117], 1.0
	v_fmac_f64_e32 v[116:117], v[116:117], v[120:121]
	v_mul_f64 v[120:121], v[118:119], v[116:117]
	v_fma_f64 v[114:115], -v[114:115], v[120:121], v[118:119]
	v_div_fmas_f64 v[114:115], v[114:115], v[116:117], v[120:121]
	v_div_fixup_f64 v[104:105], v[114:115], v[104:105], 1.0
; %bb.376:
	s_or_b64 exec, exec, s[0:1]
	v_cmp_ne_u32_e32 vcc, v109, v106
	s_and_saveexec_b64 s[0:1], vcc
	s_xor_b64 s[0:1], exec, s[0:1]
	s_cbranch_execz .LBB98_382
; %bb.377:
	v_cmp_eq_u32_e32 vcc, 22, v109
	s_and_saveexec_b64 s[2:3], vcc
	s_cbranch_execz .LBB98_381
; %bb.378:
	v_cmp_ne_u32_e32 vcc, 22, v106
	s_xor_b64 s[14:15], s[6:7], -1
	s_and_b64 s[16:17], s[14:15], vcc
	s_and_saveexec_b64 s[14:15], s[16:17]
	s_cbranch_execz .LBB98_380
; %bb.379:
	v_ashrrev_i32_e32 v107, 31, v106
	v_lshlrev_b64 v[114:115], 2, v[106:107]
	v_add_co_u32_e32 v114, vcc, v4, v114
	v_addc_co_u32_e32 v115, vcc, v5, v115, vcc
	flat_load_dword v107, v[114:115]
	flat_load_dword v109, v[4:5] offset:88
	s_waitcnt vmcnt(0) lgkmcnt(0)
	flat_store_dword v[4:5], v107 offset:88
	flat_store_dword v[114:115], v109
.LBB98_380:
	s_or_b64 exec, exec, s[14:15]
	v_mov_b32_e32 v107, v106
	v_mov_b32_e32 v109, v106
.LBB98_381:
	s_or_b64 exec, exec, s[2:3]
.LBB98_382:
	s_andn2_saveexec_b64 s[0:1], s[0:1]
	s_cbranch_execz .LBB98_384
; %bb.383:
	v_mov_b32_e32 v109, 22
	ds_write2_b64 v108, v[54:55], v[52:53] offset0:23 offset1:24
	ds_write2_b64 v108, v[50:51], v[48:49] offset0:25 offset1:26
	;; [unrolled: 1-line block ×13, first 2 shown]
	ds_write_b64 v108, v[102:103] offset:392
.LBB98_384:
	s_or_b64 exec, exec, s[0:1]
	v_cmp_lt_i32_e32 vcc, 22, v109
	s_waitcnt lgkmcnt(0)
	s_barrier
	s_and_saveexec_b64 s[0:1], vcc
	s_cbranch_execz .LBB98_386
; %bb.385:
	ds_read2_b64 v[114:117], v108 offset0:23 offset1:24
	ds_read2_b64 v[118:121], v108 offset0:25 offset1:26
	v_mul_f64 v[56:57], v[104:105], v[56:57]
	ds_read2_b64 v[122:125], v108 offset0:27 offset1:28
	ds_read_b64 v[104:105], v108 offset:392
	s_waitcnt lgkmcnt(0)
	v_fma_f64 v[54:55], -v[56:57], v[114:115], v[54:55]
	v_fma_f64 v[52:53], -v[56:57], v[116:117], v[52:53]
	ds_read2_b64 v[114:117], v108 offset0:29 offset1:30
	v_fma_f64 v[50:51], -v[56:57], v[118:119], v[50:51]
	v_fma_f64 v[48:49], -v[56:57], v[120:121], v[48:49]
	;; [unrolled: 1-line block ×3, first 2 shown]
	ds_read2_b64 v[118:121], v108 offset0:31 offset1:32
	v_fma_f64 v[44:45], -v[56:57], v[124:125], v[44:45]
	ds_read2_b64 v[122:125], v108 offset0:33 offset1:34
	s_waitcnt lgkmcnt(0)
	v_fma_f64 v[42:43], -v[56:57], v[114:115], v[42:43]
	v_fma_f64 v[40:41], -v[56:57], v[116:117], v[40:41]
	ds_read2_b64 v[114:117], v108 offset0:35 offset1:36
	v_fma_f64 v[38:39], -v[56:57], v[118:119], v[38:39]
	v_fma_f64 v[36:37], -v[56:57], v[120:121], v[36:37]
	ds_read2_b64 v[118:121], v108 offset0:37 offset1:38
	v_fma_f64 v[34:35], -v[56:57], v[122:123], v[34:35]
	v_fma_f64 v[32:33], -v[56:57], v[124:125], v[32:33]
	s_waitcnt lgkmcnt(0)
	v_fma_f64 v[28:29], -v[56:57], v[114:115], v[28:29]
	ds_read2_b64 v[122:125], v108 offset0:39 offset1:40
	v_fma_f64 v[30:31], -v[56:57], v[116:117], v[30:31]
	ds_read2_b64 v[114:117], v108 offset0:41 offset1:42
	v_fma_f64 v[26:27], -v[56:57], v[118:119], v[26:27]
	v_fma_f64 v[24:25], -v[56:57], v[120:121], v[24:25]
	s_waitcnt lgkmcnt(0)
	v_fma_f64 v[22:23], -v[56:57], v[122:123], v[22:23]
	ds_read2_b64 v[118:121], v108 offset0:43 offset1:44
	v_fma_f64 v[20:21], -v[56:57], v[124:125], v[20:21]
	v_fma_f64 v[18:19], -v[56:57], v[114:115], v[18:19]
	;; [unrolled: 1-line block ×3, first 2 shown]
	ds_read2_b64 v[114:117], v108 offset0:45 offset1:46
	ds_read2_b64 v[122:125], v108 offset0:47 offset1:48
	s_waitcnt lgkmcnt(0)
	v_fma_f64 v[14:15], -v[56:57], v[118:119], v[14:15]
	v_fma_f64 v[12:13], -v[56:57], v[120:121], v[12:13]
	;; [unrolled: 1-line block ×7, first 2 shown]
.LBB98_386:
	s_or_b64 exec, exec, s[0:1]
	v_lshl_add_u32 v104, v109, 3, v108
	s_barrier
	ds_write_b64 v104, v[54:55]
	s_waitcnt lgkmcnt(0)
	s_barrier
	ds_read_b64 v[104:105], v108 offset:184
	s_cmp_lt_i32 s18, 25
	v_mov_b32_e32 v106, 23
	s_cbranch_scc1 .LBB98_389
; %bb.387:
	v_add_u32_e32 v113, 0xc0, v108
	s_mov_b32 s0, 24
	v_mov_b32_e32 v106, 23
.LBB98_388:                             ; =>This Inner Loop Header: Depth=1
	ds_read_b64 v[114:115], v113
	v_mov_b32_e32 v116, s0
	s_add_i32 s0, s0, 1
	v_add_u32_e32 v113, 8, v113
	s_cmp_lg_u32 s18, s0
	s_waitcnt lgkmcnt(0)
	v_cmp_lt_f64_e64 vcc, |v[104:105]|, |v[114:115]|
	v_cndmask_b32_e32 v105, v105, v115, vcc
	v_cndmask_b32_e32 v104, v104, v114, vcc
	v_cndmask_b32_e32 v106, v106, v116, vcc
	s_cbranch_scc1 .LBB98_388
.LBB98_389:
	s_waitcnt lgkmcnt(0)
	v_cmp_eq_f64_e32 vcc, 0, v[104:105]
	s_and_saveexec_b64 s[0:1], vcc
	s_xor_b64 s[0:1], exec, s[0:1]
; %bb.390:
	v_cmp_ne_u32_e32 vcc, 0, v112
	v_cndmask_b32_e32 v112, 24, v112, vcc
; %bb.391:
	s_andn2_saveexec_b64 s[0:1], s[0:1]
; %bb.392:
	v_div_scale_f64 v[114:115], s[2:3], v[104:105], v[104:105], 1.0
	v_rcp_f64_e32 v[116:117], v[114:115]
	v_div_scale_f64 v[118:119], vcc, 1.0, v[104:105], 1.0
	v_fma_f64 v[120:121], -v[114:115], v[116:117], 1.0
	v_fmac_f64_e32 v[116:117], v[116:117], v[120:121]
	v_fma_f64 v[120:121], -v[114:115], v[116:117], 1.0
	v_fmac_f64_e32 v[116:117], v[116:117], v[120:121]
	v_mul_f64 v[120:121], v[118:119], v[116:117]
	v_fma_f64 v[114:115], -v[114:115], v[120:121], v[118:119]
	v_div_fmas_f64 v[114:115], v[114:115], v[116:117], v[120:121]
	v_div_fixup_f64 v[104:105], v[114:115], v[104:105], 1.0
; %bb.393:
	s_or_b64 exec, exec, s[0:1]
	v_cmp_ne_u32_e32 vcc, v109, v106
	s_and_saveexec_b64 s[0:1], vcc
	s_xor_b64 s[0:1], exec, s[0:1]
	s_cbranch_execz .LBB98_399
; %bb.394:
	v_cmp_eq_u32_e32 vcc, 23, v109
	s_and_saveexec_b64 s[2:3], vcc
	s_cbranch_execz .LBB98_398
; %bb.395:
	v_cmp_ne_u32_e32 vcc, 23, v106
	s_xor_b64 s[14:15], s[6:7], -1
	s_and_b64 s[16:17], s[14:15], vcc
	s_and_saveexec_b64 s[14:15], s[16:17]
	s_cbranch_execz .LBB98_397
; %bb.396:
	v_ashrrev_i32_e32 v107, 31, v106
	v_lshlrev_b64 v[114:115], 2, v[106:107]
	v_add_co_u32_e32 v114, vcc, v4, v114
	v_addc_co_u32_e32 v115, vcc, v5, v115, vcc
	flat_load_dword v107, v[114:115]
	flat_load_dword v109, v[4:5] offset:92
	s_waitcnt vmcnt(0) lgkmcnt(0)
	flat_store_dword v[4:5], v107 offset:92
	flat_store_dword v[114:115], v109
.LBB98_397:
	s_or_b64 exec, exec, s[14:15]
	v_mov_b32_e32 v107, v106
	v_mov_b32_e32 v109, v106
.LBB98_398:
	s_or_b64 exec, exec, s[2:3]
.LBB98_399:
	s_andn2_saveexec_b64 s[0:1], s[0:1]
	s_cbranch_execz .LBB98_401
; %bb.400:
	v_mov_b32_e32 v114, v52
	v_mov_b32_e32 v115, v53
	v_mov_b32_e32 v116, v50
	v_mov_b32_e32 v117, v51
	ds_write2_b64 v108, v[114:115], v[116:117] offset0:24 offset1:25
	v_mov_b32_e32 v114, v48
	v_mov_b32_e32 v115, v49
	v_mov_b32_e32 v116, v46
	v_mov_b32_e32 v117, v47
	ds_write2_b64 v108, v[114:115], v[116:117] offset0:26 offset1:27
	;; [unrolled: 5-line block ×12, first 2 shown]
	v_mov_b32_e32 v114, v0
	v_mov_b32_e32 v115, v1
	;; [unrolled: 1-line block ×3, first 2 shown]
	ds_write2_b64 v108, v[114:115], v[102:103] offset0:48 offset1:49
.LBB98_401:
	s_or_b64 exec, exec, s[0:1]
	v_cmp_lt_i32_e32 vcc, 23, v109
	s_waitcnt lgkmcnt(0)
	s_barrier
	s_and_saveexec_b64 s[0:1], vcc
	s_cbranch_execz .LBB98_403
; %bb.402:
	ds_read2_b64 v[114:117], v108 offset0:24 offset1:25
	ds_read2_b64 v[118:121], v108 offset0:26 offset1:27
	v_mul_f64 v[54:55], v[104:105], v[54:55]
	ds_read2_b64 v[122:125], v108 offset0:28 offset1:29
	s_waitcnt lgkmcnt(0)
	v_fma_f64 v[52:53], -v[54:55], v[114:115], v[52:53]
	v_fma_f64 v[50:51], -v[54:55], v[116:117], v[50:51]
	ds_read2_b64 v[114:117], v108 offset0:30 offset1:31
	v_fma_f64 v[48:49], -v[54:55], v[118:119], v[48:49]
	v_fma_f64 v[46:47], -v[54:55], v[120:121], v[46:47]
	;; [unrolled: 1-line block ×3, first 2 shown]
	ds_read2_b64 v[118:121], v108 offset0:32 offset1:33
	v_fma_f64 v[42:43], -v[54:55], v[124:125], v[42:43]
	ds_read2_b64 v[122:125], v108 offset0:34 offset1:35
	s_waitcnt lgkmcnt(0)
	v_fma_f64 v[40:41], -v[54:55], v[114:115], v[40:41]
	v_fma_f64 v[38:39], -v[54:55], v[116:117], v[38:39]
	ds_read2_b64 v[114:117], v108 offset0:36 offset1:37
	v_fma_f64 v[36:37], -v[54:55], v[118:119], v[36:37]
	v_fma_f64 v[34:35], -v[54:55], v[120:121], v[34:35]
	ds_read2_b64 v[118:121], v108 offset0:38 offset1:39
	v_fma_f64 v[32:33], -v[54:55], v[122:123], v[32:33]
	v_fma_f64 v[28:29], -v[54:55], v[124:125], v[28:29]
	s_waitcnt lgkmcnt(0)
	v_fma_f64 v[30:31], -v[54:55], v[114:115], v[30:31]
	ds_read2_b64 v[122:125], v108 offset0:40 offset1:41
	v_fma_f64 v[26:27], -v[54:55], v[116:117], v[26:27]
	ds_read2_b64 v[114:117], v108 offset0:42 offset1:43
	v_fma_f64 v[24:25], -v[54:55], v[118:119], v[24:25]
	v_fma_f64 v[22:23], -v[54:55], v[120:121], v[22:23]
	s_waitcnt lgkmcnt(0)
	v_fma_f64 v[20:21], -v[54:55], v[122:123], v[20:21]
	v_fma_f64 v[18:19], -v[54:55], v[124:125], v[18:19]
	ds_read2_b64 v[118:121], v108 offset0:44 offset1:45
	ds_read2_b64 v[122:125], v108 offset0:46 offset1:47
	v_fma_f64 v[16:17], -v[54:55], v[114:115], v[16:17]
	v_fma_f64 v[14:15], -v[54:55], v[116:117], v[14:15]
	ds_read2_b64 v[114:117], v108 offset0:48 offset1:49
	s_waitcnt lgkmcnt(0)
	v_fma_f64 v[12:13], -v[54:55], v[118:119], v[12:13]
	v_fma_f64 v[10:11], -v[54:55], v[120:121], v[10:11]
	;; [unrolled: 1-line block ×6, first 2 shown]
.LBB98_403:
	s_or_b64 exec, exec, s[0:1]
	v_lshl_add_u32 v104, v109, 3, v108
	s_barrier
	ds_write_b64 v104, v[52:53]
	s_waitcnt lgkmcnt(0)
	s_barrier
	ds_read_b64 v[104:105], v108 offset:192
	s_cmp_lt_i32 s18, 26
	v_mov_b32_e32 v106, 24
	s_cbranch_scc1 .LBB98_406
; %bb.404:
	v_add_u32_e32 v113, 0xc8, v108
	s_mov_b32 s0, 25
	v_mov_b32_e32 v106, 24
.LBB98_405:                             ; =>This Inner Loop Header: Depth=1
	ds_read_b64 v[114:115], v113
	v_mov_b32_e32 v116, s0
	s_add_i32 s0, s0, 1
	v_add_u32_e32 v113, 8, v113
	s_cmp_lg_u32 s18, s0
	s_waitcnt lgkmcnt(0)
	v_cmp_lt_f64_e64 vcc, |v[104:105]|, |v[114:115]|
	v_cndmask_b32_e32 v105, v105, v115, vcc
	v_cndmask_b32_e32 v104, v104, v114, vcc
	;; [unrolled: 1-line block ×3, first 2 shown]
	s_cbranch_scc1 .LBB98_405
.LBB98_406:
	s_waitcnt lgkmcnt(0)
	v_cmp_eq_f64_e32 vcc, 0, v[104:105]
	s_and_saveexec_b64 s[0:1], vcc
	s_xor_b64 s[0:1], exec, s[0:1]
; %bb.407:
	v_cmp_ne_u32_e32 vcc, 0, v112
	v_cndmask_b32_e32 v112, 25, v112, vcc
; %bb.408:
	s_andn2_saveexec_b64 s[0:1], s[0:1]
; %bb.409:
	v_div_scale_f64 v[114:115], s[2:3], v[104:105], v[104:105], 1.0
	v_rcp_f64_e32 v[116:117], v[114:115]
	v_div_scale_f64 v[118:119], vcc, 1.0, v[104:105], 1.0
	v_fma_f64 v[120:121], -v[114:115], v[116:117], 1.0
	v_fmac_f64_e32 v[116:117], v[116:117], v[120:121]
	v_fma_f64 v[120:121], -v[114:115], v[116:117], 1.0
	v_fmac_f64_e32 v[116:117], v[116:117], v[120:121]
	v_mul_f64 v[120:121], v[118:119], v[116:117]
	v_fma_f64 v[114:115], -v[114:115], v[120:121], v[118:119]
	v_div_fmas_f64 v[114:115], v[114:115], v[116:117], v[120:121]
	v_div_fixup_f64 v[104:105], v[114:115], v[104:105], 1.0
; %bb.410:
	s_or_b64 exec, exec, s[0:1]
	v_cmp_ne_u32_e32 vcc, v109, v106
	s_and_saveexec_b64 s[0:1], vcc
	s_xor_b64 s[0:1], exec, s[0:1]
	s_cbranch_execz .LBB98_416
; %bb.411:
	v_cmp_eq_u32_e32 vcc, 24, v109
	s_and_saveexec_b64 s[2:3], vcc
	s_cbranch_execz .LBB98_415
; %bb.412:
	v_cmp_ne_u32_e32 vcc, 24, v106
	s_xor_b64 s[14:15], s[6:7], -1
	s_and_b64 s[16:17], s[14:15], vcc
	s_and_saveexec_b64 s[14:15], s[16:17]
	s_cbranch_execz .LBB98_414
; %bb.413:
	v_ashrrev_i32_e32 v107, 31, v106
	v_lshlrev_b64 v[114:115], 2, v[106:107]
	v_add_co_u32_e32 v114, vcc, v4, v114
	v_addc_co_u32_e32 v115, vcc, v5, v115, vcc
	flat_load_dword v107, v[114:115]
	flat_load_dword v109, v[4:5] offset:96
	s_waitcnt vmcnt(0) lgkmcnt(0)
	flat_store_dword v[4:5], v107 offset:96
	flat_store_dword v[114:115], v109
.LBB98_414:
	s_or_b64 exec, exec, s[14:15]
	v_mov_b32_e32 v107, v106
	v_mov_b32_e32 v109, v106
.LBB98_415:
	s_or_b64 exec, exec, s[2:3]
.LBB98_416:
	s_andn2_saveexec_b64 s[0:1], s[0:1]
	s_cbranch_execz .LBB98_418
; %bb.417:
	v_mov_b32_e32 v109, 24
	ds_write2_b64 v108, v[50:51], v[48:49] offset0:25 offset1:26
	ds_write2_b64 v108, v[46:47], v[44:45] offset0:27 offset1:28
	;; [unrolled: 1-line block ×12, first 2 shown]
	ds_write_b64 v108, v[102:103] offset:392
.LBB98_418:
	s_or_b64 exec, exec, s[0:1]
	v_cmp_lt_i32_e32 vcc, 24, v109
	s_waitcnt lgkmcnt(0)
	s_barrier
	s_and_saveexec_b64 s[0:1], vcc
	s_cbranch_execz .LBB98_420
; %bb.419:
	ds_read2_b64 v[114:117], v108 offset0:25 offset1:26
	ds_read2_b64 v[118:121], v108 offset0:27 offset1:28
	;; [unrolled: 1-line block ×3, first 2 shown]
	v_mul_f64 v[52:53], v[104:105], v[52:53]
	ds_read_b64 v[104:105], v108 offset:392
	s_waitcnt lgkmcnt(0)
	v_fma_f64 v[50:51], -v[52:53], v[114:115], v[50:51]
	v_fma_f64 v[48:49], -v[52:53], v[116:117], v[48:49]
	ds_read2_b64 v[114:117], v108 offset0:31 offset1:32
	v_fma_f64 v[46:47], -v[52:53], v[118:119], v[46:47]
	v_fma_f64 v[44:45], -v[52:53], v[120:121], v[44:45]
	;; [unrolled: 1-line block ×3, first 2 shown]
	ds_read2_b64 v[118:121], v108 offset0:33 offset1:34
	v_fma_f64 v[40:41], -v[52:53], v[124:125], v[40:41]
	ds_read2_b64 v[122:125], v108 offset0:35 offset1:36
	s_waitcnt lgkmcnt(0)
	v_fma_f64 v[38:39], -v[52:53], v[114:115], v[38:39]
	v_fma_f64 v[36:37], -v[52:53], v[116:117], v[36:37]
	;; [unrolled: 1-line block ×3, first 2 shown]
	ds_read2_b64 v[114:117], v108 offset0:37 offset1:38
	v_fma_f64 v[32:33], -v[52:53], v[120:121], v[32:33]
	ds_read2_b64 v[118:121], v108 offset0:39 offset1:40
	v_fma_f64 v[28:29], -v[52:53], v[122:123], v[28:29]
	v_fma_f64 v[30:31], -v[52:53], v[124:125], v[30:31]
	ds_read2_b64 v[122:125], v108 offset0:41 offset1:42
	s_waitcnt lgkmcnt(0)
	v_fma_f64 v[26:27], -v[52:53], v[114:115], v[26:27]
	v_fma_f64 v[24:25], -v[52:53], v[116:117], v[24:25]
	ds_read2_b64 v[114:117], v108 offset0:43 offset1:44
	v_fma_f64 v[22:23], -v[52:53], v[118:119], v[22:23]
	v_fma_f64 v[20:21], -v[52:53], v[120:121], v[20:21]
	;; [unrolled: 1-line block ×4, first 2 shown]
	ds_read2_b64 v[118:121], v108 offset0:45 offset1:46
	ds_read2_b64 v[122:125], v108 offset0:47 offset1:48
	s_waitcnt lgkmcnt(0)
	v_fma_f64 v[14:15], -v[52:53], v[114:115], v[14:15]
	v_fma_f64 v[12:13], -v[52:53], v[116:117], v[12:13]
	;; [unrolled: 1-line block ×7, first 2 shown]
.LBB98_420:
	s_or_b64 exec, exec, s[0:1]
	v_lshl_add_u32 v104, v109, 3, v108
	s_barrier
	ds_write_b64 v104, v[50:51]
	s_waitcnt lgkmcnt(0)
	s_barrier
	ds_read_b64 v[104:105], v108 offset:200
	s_cmp_lt_i32 s18, 27
	v_mov_b32_e32 v106, 25
	s_cbranch_scc1 .LBB98_423
; %bb.421:
	v_add_u32_e32 v113, 0xd0, v108
	s_mov_b32 s0, 26
	v_mov_b32_e32 v106, 25
.LBB98_422:                             ; =>This Inner Loop Header: Depth=1
	ds_read_b64 v[114:115], v113
	v_mov_b32_e32 v116, s0
	s_add_i32 s0, s0, 1
	v_add_u32_e32 v113, 8, v113
	s_cmp_lg_u32 s18, s0
	s_waitcnt lgkmcnt(0)
	v_cmp_lt_f64_e64 vcc, |v[104:105]|, |v[114:115]|
	v_cndmask_b32_e32 v105, v105, v115, vcc
	v_cndmask_b32_e32 v104, v104, v114, vcc
	;; [unrolled: 1-line block ×3, first 2 shown]
	s_cbranch_scc1 .LBB98_422
.LBB98_423:
	s_waitcnt lgkmcnt(0)
	v_cmp_eq_f64_e32 vcc, 0, v[104:105]
	s_and_saveexec_b64 s[0:1], vcc
	s_xor_b64 s[0:1], exec, s[0:1]
; %bb.424:
	v_cmp_ne_u32_e32 vcc, 0, v112
	v_cndmask_b32_e32 v112, 26, v112, vcc
; %bb.425:
	s_andn2_saveexec_b64 s[0:1], s[0:1]
; %bb.426:
	v_div_scale_f64 v[114:115], s[2:3], v[104:105], v[104:105], 1.0
	v_rcp_f64_e32 v[116:117], v[114:115]
	v_div_scale_f64 v[118:119], vcc, 1.0, v[104:105], 1.0
	v_fma_f64 v[120:121], -v[114:115], v[116:117], 1.0
	v_fmac_f64_e32 v[116:117], v[116:117], v[120:121]
	v_fma_f64 v[120:121], -v[114:115], v[116:117], 1.0
	v_fmac_f64_e32 v[116:117], v[116:117], v[120:121]
	v_mul_f64 v[120:121], v[118:119], v[116:117]
	v_fma_f64 v[114:115], -v[114:115], v[120:121], v[118:119]
	v_div_fmas_f64 v[114:115], v[114:115], v[116:117], v[120:121]
	v_div_fixup_f64 v[104:105], v[114:115], v[104:105], 1.0
; %bb.427:
	s_or_b64 exec, exec, s[0:1]
	v_cmp_ne_u32_e32 vcc, v109, v106
	s_and_saveexec_b64 s[0:1], vcc
	s_xor_b64 s[0:1], exec, s[0:1]
	s_cbranch_execz .LBB98_433
; %bb.428:
	v_cmp_eq_u32_e32 vcc, 25, v109
	s_and_saveexec_b64 s[2:3], vcc
	s_cbranch_execz .LBB98_432
; %bb.429:
	v_cmp_ne_u32_e32 vcc, 25, v106
	s_xor_b64 s[14:15], s[6:7], -1
	s_and_b64 s[16:17], s[14:15], vcc
	s_and_saveexec_b64 s[14:15], s[16:17]
	s_cbranch_execz .LBB98_431
; %bb.430:
	v_ashrrev_i32_e32 v107, 31, v106
	v_lshlrev_b64 v[114:115], 2, v[106:107]
	v_add_co_u32_e32 v114, vcc, v4, v114
	v_addc_co_u32_e32 v115, vcc, v5, v115, vcc
	flat_load_dword v107, v[114:115]
	flat_load_dword v109, v[4:5] offset:100
	s_waitcnt vmcnt(0) lgkmcnt(0)
	flat_store_dword v[4:5], v107 offset:100
	flat_store_dword v[114:115], v109
.LBB98_431:
	s_or_b64 exec, exec, s[14:15]
	v_mov_b32_e32 v107, v106
	v_mov_b32_e32 v109, v106
.LBB98_432:
	s_or_b64 exec, exec, s[2:3]
.LBB98_433:
	s_andn2_saveexec_b64 s[0:1], s[0:1]
	s_cbranch_execz .LBB98_435
; %bb.434:
	v_mov_b32_e32 v114, v48
	v_mov_b32_e32 v115, v49
	v_mov_b32_e32 v116, v46
	v_mov_b32_e32 v117, v47
	ds_write2_b64 v108, v[114:115], v[116:117] offset0:26 offset1:27
	v_mov_b32_e32 v114, v44
	v_mov_b32_e32 v115, v45
	v_mov_b32_e32 v116, v42
	v_mov_b32_e32 v117, v43
	ds_write2_b64 v108, v[114:115], v[116:117] offset0:28 offset1:29
	;; [unrolled: 5-line block ×11, first 2 shown]
	v_mov_b32_e32 v114, v0
	v_mov_b32_e32 v115, v1
	;; [unrolled: 1-line block ×3, first 2 shown]
	ds_write2_b64 v108, v[114:115], v[102:103] offset0:48 offset1:49
.LBB98_435:
	s_or_b64 exec, exec, s[0:1]
	v_cmp_lt_i32_e32 vcc, 25, v109
	s_waitcnt lgkmcnt(0)
	s_barrier
	s_and_saveexec_b64 s[0:1], vcc
	s_cbranch_execz .LBB98_437
; %bb.436:
	ds_read2_b64 v[114:117], v108 offset0:26 offset1:27
	ds_read2_b64 v[118:121], v108 offset0:28 offset1:29
	;; [unrolled: 1-line block ×3, first 2 shown]
	v_mul_f64 v[50:51], v[104:105], v[50:51]
	s_waitcnt lgkmcnt(0)
	v_fma_f64 v[48:49], -v[50:51], v[114:115], v[48:49]
	v_fma_f64 v[46:47], -v[50:51], v[116:117], v[46:47]
	ds_read2_b64 v[114:117], v108 offset0:32 offset1:33
	v_fma_f64 v[44:45], -v[50:51], v[118:119], v[44:45]
	v_fma_f64 v[42:43], -v[50:51], v[120:121], v[42:43]
	;; [unrolled: 1-line block ×3, first 2 shown]
	ds_read2_b64 v[118:121], v108 offset0:34 offset1:35
	v_fma_f64 v[38:39], -v[50:51], v[124:125], v[38:39]
	ds_read2_b64 v[122:125], v108 offset0:36 offset1:37
	s_waitcnt lgkmcnt(0)
	v_fma_f64 v[36:37], -v[50:51], v[114:115], v[36:37]
	v_fma_f64 v[34:35], -v[50:51], v[116:117], v[34:35]
	;; [unrolled: 1-line block ×3, first 2 shown]
	ds_read2_b64 v[114:117], v108 offset0:38 offset1:39
	v_fma_f64 v[28:29], -v[50:51], v[120:121], v[28:29]
	ds_read2_b64 v[118:121], v108 offset0:40 offset1:41
	v_fma_f64 v[30:31], -v[50:51], v[122:123], v[30:31]
	v_fma_f64 v[26:27], -v[50:51], v[124:125], v[26:27]
	ds_read2_b64 v[122:125], v108 offset0:42 offset1:43
	s_waitcnt lgkmcnt(0)
	v_fma_f64 v[24:25], -v[50:51], v[114:115], v[24:25]
	v_fma_f64 v[22:23], -v[50:51], v[116:117], v[22:23]
	ds_read2_b64 v[114:117], v108 offset0:44 offset1:45
	v_fma_f64 v[20:21], -v[50:51], v[118:119], v[20:21]
	v_fma_f64 v[18:19], -v[50:51], v[120:121], v[18:19]
	;; [unrolled: 1-line block ×3, first 2 shown]
	ds_read2_b64 v[118:121], v108 offset0:46 offset1:47
	v_fma_f64 v[14:15], -v[50:51], v[124:125], v[14:15]
	ds_read2_b64 v[122:125], v108 offset0:48 offset1:49
	s_waitcnt lgkmcnt(0)
	v_fma_f64 v[12:13], -v[50:51], v[114:115], v[12:13]
	v_fma_f64 v[10:11], -v[50:51], v[116:117], v[10:11]
	;; [unrolled: 1-line block ×6, first 2 shown]
.LBB98_437:
	s_or_b64 exec, exec, s[0:1]
	v_lshl_add_u32 v104, v109, 3, v108
	s_barrier
	ds_write_b64 v104, v[48:49]
	s_waitcnt lgkmcnt(0)
	s_barrier
	ds_read_b64 v[104:105], v108 offset:208
	s_cmp_lt_i32 s18, 28
	v_mov_b32_e32 v106, 26
	s_cbranch_scc1 .LBB98_440
; %bb.438:
	v_add_u32_e32 v113, 0xd8, v108
	s_mov_b32 s0, 27
	v_mov_b32_e32 v106, 26
.LBB98_439:                             ; =>This Inner Loop Header: Depth=1
	ds_read_b64 v[114:115], v113
	v_mov_b32_e32 v116, s0
	s_add_i32 s0, s0, 1
	v_add_u32_e32 v113, 8, v113
	s_cmp_lg_u32 s18, s0
	s_waitcnt lgkmcnt(0)
	v_cmp_lt_f64_e64 vcc, |v[104:105]|, |v[114:115]|
	v_cndmask_b32_e32 v105, v105, v115, vcc
	v_cndmask_b32_e32 v104, v104, v114, vcc
	;; [unrolled: 1-line block ×3, first 2 shown]
	s_cbranch_scc1 .LBB98_439
.LBB98_440:
	s_waitcnt lgkmcnt(0)
	v_cmp_eq_f64_e32 vcc, 0, v[104:105]
	s_and_saveexec_b64 s[0:1], vcc
	s_xor_b64 s[0:1], exec, s[0:1]
; %bb.441:
	v_cmp_ne_u32_e32 vcc, 0, v112
	v_cndmask_b32_e32 v112, 27, v112, vcc
; %bb.442:
	s_andn2_saveexec_b64 s[0:1], s[0:1]
; %bb.443:
	v_div_scale_f64 v[114:115], s[2:3], v[104:105], v[104:105], 1.0
	v_rcp_f64_e32 v[116:117], v[114:115]
	v_div_scale_f64 v[118:119], vcc, 1.0, v[104:105], 1.0
	v_fma_f64 v[120:121], -v[114:115], v[116:117], 1.0
	v_fmac_f64_e32 v[116:117], v[116:117], v[120:121]
	v_fma_f64 v[120:121], -v[114:115], v[116:117], 1.0
	v_fmac_f64_e32 v[116:117], v[116:117], v[120:121]
	v_mul_f64 v[120:121], v[118:119], v[116:117]
	v_fma_f64 v[114:115], -v[114:115], v[120:121], v[118:119]
	v_div_fmas_f64 v[114:115], v[114:115], v[116:117], v[120:121]
	v_div_fixup_f64 v[104:105], v[114:115], v[104:105], 1.0
; %bb.444:
	s_or_b64 exec, exec, s[0:1]
	v_cmp_ne_u32_e32 vcc, v109, v106
	s_and_saveexec_b64 s[0:1], vcc
	s_xor_b64 s[0:1], exec, s[0:1]
	s_cbranch_execz .LBB98_450
; %bb.445:
	v_cmp_eq_u32_e32 vcc, 26, v109
	s_and_saveexec_b64 s[2:3], vcc
	s_cbranch_execz .LBB98_449
; %bb.446:
	v_cmp_ne_u32_e32 vcc, 26, v106
	s_xor_b64 s[14:15], s[6:7], -1
	s_and_b64 s[16:17], s[14:15], vcc
	s_and_saveexec_b64 s[14:15], s[16:17]
	s_cbranch_execz .LBB98_448
; %bb.447:
	v_ashrrev_i32_e32 v107, 31, v106
	v_lshlrev_b64 v[114:115], 2, v[106:107]
	v_add_co_u32_e32 v114, vcc, v4, v114
	v_addc_co_u32_e32 v115, vcc, v5, v115, vcc
	flat_load_dword v107, v[114:115]
	flat_load_dword v109, v[4:5] offset:104
	s_waitcnt vmcnt(0) lgkmcnt(0)
	flat_store_dword v[4:5], v107 offset:104
	flat_store_dword v[114:115], v109
.LBB98_448:
	s_or_b64 exec, exec, s[14:15]
	v_mov_b32_e32 v107, v106
	v_mov_b32_e32 v109, v106
.LBB98_449:
	s_or_b64 exec, exec, s[2:3]
.LBB98_450:
	s_andn2_saveexec_b64 s[0:1], s[0:1]
	s_cbranch_execz .LBB98_452
; %bb.451:
	v_mov_b32_e32 v109, 26
	ds_write2_b64 v108, v[46:47], v[44:45] offset0:27 offset1:28
	ds_write2_b64 v108, v[42:43], v[40:41] offset0:29 offset1:30
	;; [unrolled: 1-line block ×11, first 2 shown]
	ds_write_b64 v108, v[102:103] offset:392
.LBB98_452:
	s_or_b64 exec, exec, s[0:1]
	v_cmp_lt_i32_e32 vcc, 26, v109
	s_waitcnt lgkmcnt(0)
	s_barrier
	s_and_saveexec_b64 s[0:1], vcc
	s_cbranch_execz .LBB98_454
; %bb.453:
	ds_read2_b64 v[114:117], v108 offset0:27 offset1:28
	ds_read2_b64 v[118:121], v108 offset0:29 offset1:30
	v_mul_f64 v[48:49], v[104:105], v[48:49]
	ds_read2_b64 v[122:125], v108 offset0:31 offset1:32
	ds_read_b64 v[104:105], v108 offset:392
	s_waitcnt lgkmcnt(0)
	v_fma_f64 v[46:47], -v[48:49], v[114:115], v[46:47]
	v_fma_f64 v[44:45], -v[48:49], v[116:117], v[44:45]
	ds_read2_b64 v[114:117], v108 offset0:33 offset1:34
	v_fma_f64 v[42:43], -v[48:49], v[118:119], v[42:43]
	v_fma_f64 v[40:41], -v[48:49], v[120:121], v[40:41]
	ds_read2_b64 v[118:121], v108 offset0:35 offset1:36
	;; [unrolled: 3-line block ×3, first 2 shown]
	s_waitcnt lgkmcnt(0)
	v_fma_f64 v[34:35], -v[48:49], v[114:115], v[34:35]
	v_fma_f64 v[32:33], -v[48:49], v[116:117], v[32:33]
	;; [unrolled: 1-line block ×3, first 2 shown]
	ds_read2_b64 v[114:117], v108 offset0:39 offset1:40
	v_fma_f64 v[30:31], -v[48:49], v[120:121], v[30:31]
	ds_read2_b64 v[118:121], v108 offset0:41 offset1:42
	v_fma_f64 v[26:27], -v[48:49], v[122:123], v[26:27]
	v_fma_f64 v[24:25], -v[48:49], v[124:125], v[24:25]
	s_waitcnt lgkmcnt(0)
	v_fma_f64 v[22:23], -v[48:49], v[114:115], v[22:23]
	ds_read2_b64 v[122:125], v108 offset0:43 offset1:44
	v_fma_f64 v[20:21], -v[48:49], v[116:117], v[20:21]
	ds_read2_b64 v[114:117], v108 offset0:45 offset1:46
	v_fma_f64 v[18:19], -v[48:49], v[118:119], v[18:19]
	v_fma_f64 v[16:17], -v[48:49], v[120:121], v[16:17]
	ds_read2_b64 v[118:121], v108 offset0:47 offset1:48
	s_waitcnt lgkmcnt(0)
	v_fma_f64 v[14:15], -v[48:49], v[122:123], v[14:15]
	v_fma_f64 v[12:13], -v[48:49], v[124:125], v[12:13]
	;; [unrolled: 1-line block ×7, first 2 shown]
.LBB98_454:
	s_or_b64 exec, exec, s[0:1]
	v_lshl_add_u32 v104, v109, 3, v108
	s_barrier
	ds_write_b64 v104, v[46:47]
	s_waitcnt lgkmcnt(0)
	s_barrier
	ds_read_b64 v[104:105], v108 offset:216
	s_cmp_lt_i32 s18, 29
	v_mov_b32_e32 v106, 27
	s_cbranch_scc1 .LBB98_457
; %bb.455:
	v_add_u32_e32 v113, 0xe0, v108
	s_mov_b32 s0, 28
	v_mov_b32_e32 v106, 27
.LBB98_456:                             ; =>This Inner Loop Header: Depth=1
	ds_read_b64 v[114:115], v113
	v_mov_b32_e32 v116, s0
	s_add_i32 s0, s0, 1
	v_add_u32_e32 v113, 8, v113
	s_cmp_lg_u32 s18, s0
	s_waitcnt lgkmcnt(0)
	v_cmp_lt_f64_e64 vcc, |v[104:105]|, |v[114:115]|
	v_cndmask_b32_e32 v105, v105, v115, vcc
	v_cndmask_b32_e32 v104, v104, v114, vcc
	;; [unrolled: 1-line block ×3, first 2 shown]
	s_cbranch_scc1 .LBB98_456
.LBB98_457:
	s_waitcnt lgkmcnt(0)
	v_cmp_eq_f64_e32 vcc, 0, v[104:105]
	s_and_saveexec_b64 s[0:1], vcc
	s_xor_b64 s[0:1], exec, s[0:1]
; %bb.458:
	v_cmp_ne_u32_e32 vcc, 0, v112
	v_cndmask_b32_e32 v112, 28, v112, vcc
; %bb.459:
	s_andn2_saveexec_b64 s[0:1], s[0:1]
; %bb.460:
	v_div_scale_f64 v[114:115], s[2:3], v[104:105], v[104:105], 1.0
	v_rcp_f64_e32 v[116:117], v[114:115]
	v_div_scale_f64 v[118:119], vcc, 1.0, v[104:105], 1.0
	v_fma_f64 v[120:121], -v[114:115], v[116:117], 1.0
	v_fmac_f64_e32 v[116:117], v[116:117], v[120:121]
	v_fma_f64 v[120:121], -v[114:115], v[116:117], 1.0
	v_fmac_f64_e32 v[116:117], v[116:117], v[120:121]
	v_mul_f64 v[120:121], v[118:119], v[116:117]
	v_fma_f64 v[114:115], -v[114:115], v[120:121], v[118:119]
	v_div_fmas_f64 v[114:115], v[114:115], v[116:117], v[120:121]
	v_div_fixup_f64 v[104:105], v[114:115], v[104:105], 1.0
; %bb.461:
	s_or_b64 exec, exec, s[0:1]
	v_cmp_ne_u32_e32 vcc, v109, v106
	s_and_saveexec_b64 s[0:1], vcc
	s_xor_b64 s[0:1], exec, s[0:1]
	s_cbranch_execz .LBB98_467
; %bb.462:
	v_cmp_eq_u32_e32 vcc, 27, v109
	s_and_saveexec_b64 s[2:3], vcc
	s_cbranch_execz .LBB98_466
; %bb.463:
	v_cmp_ne_u32_e32 vcc, 27, v106
	s_xor_b64 s[14:15], s[6:7], -1
	s_and_b64 s[16:17], s[14:15], vcc
	s_and_saveexec_b64 s[14:15], s[16:17]
	s_cbranch_execz .LBB98_465
; %bb.464:
	v_ashrrev_i32_e32 v107, 31, v106
	v_lshlrev_b64 v[114:115], 2, v[106:107]
	v_add_co_u32_e32 v114, vcc, v4, v114
	v_addc_co_u32_e32 v115, vcc, v5, v115, vcc
	flat_load_dword v107, v[114:115]
	flat_load_dword v109, v[4:5] offset:108
	s_waitcnt vmcnt(0) lgkmcnt(0)
	flat_store_dword v[4:5], v107 offset:108
	flat_store_dword v[114:115], v109
.LBB98_465:
	s_or_b64 exec, exec, s[14:15]
	v_mov_b32_e32 v107, v106
	v_mov_b32_e32 v109, v106
.LBB98_466:
	s_or_b64 exec, exec, s[2:3]
.LBB98_467:
	s_andn2_saveexec_b64 s[0:1], s[0:1]
	s_cbranch_execz .LBB98_469
; %bb.468:
	v_mov_b32_e32 v114, v44
	v_mov_b32_e32 v115, v45
	v_mov_b32_e32 v116, v42
	v_mov_b32_e32 v117, v43
	ds_write2_b64 v108, v[114:115], v[116:117] offset0:28 offset1:29
	v_mov_b32_e32 v114, v40
	v_mov_b32_e32 v115, v41
	v_mov_b32_e32 v116, v38
	v_mov_b32_e32 v117, v39
	ds_write2_b64 v108, v[114:115], v[116:117] offset0:30 offset1:31
	;; [unrolled: 5-line block ×10, first 2 shown]
	v_mov_b32_e32 v114, v0
	v_mov_b32_e32 v115, v1
	;; [unrolled: 1-line block ×3, first 2 shown]
	ds_write2_b64 v108, v[114:115], v[102:103] offset0:48 offset1:49
.LBB98_469:
	s_or_b64 exec, exec, s[0:1]
	v_cmp_lt_i32_e32 vcc, 27, v109
	s_waitcnt lgkmcnt(0)
	s_barrier
	s_and_saveexec_b64 s[0:1], vcc
	s_cbranch_execz .LBB98_471
; %bb.470:
	ds_read2_b64 v[114:117], v108 offset0:28 offset1:29
	ds_read2_b64 v[118:121], v108 offset0:30 offset1:31
	v_mul_f64 v[46:47], v[104:105], v[46:47]
	ds_read2_b64 v[122:125], v108 offset0:32 offset1:33
	s_waitcnt lgkmcnt(0)
	v_fma_f64 v[44:45], -v[46:47], v[114:115], v[44:45]
	v_fma_f64 v[42:43], -v[46:47], v[116:117], v[42:43]
	ds_read2_b64 v[114:117], v108 offset0:34 offset1:35
	v_fma_f64 v[40:41], -v[46:47], v[118:119], v[40:41]
	v_fma_f64 v[38:39], -v[46:47], v[120:121], v[38:39]
	ds_read2_b64 v[118:121], v108 offset0:36 offset1:37
	;; [unrolled: 3-line block ×3, first 2 shown]
	s_waitcnt lgkmcnt(0)
	v_fma_f64 v[32:33], -v[46:47], v[114:115], v[32:33]
	v_fma_f64 v[28:29], -v[46:47], v[116:117], v[28:29]
	;; [unrolled: 1-line block ×3, first 2 shown]
	ds_read2_b64 v[114:117], v108 offset0:40 offset1:41
	v_fma_f64 v[26:27], -v[46:47], v[120:121], v[26:27]
	ds_read2_b64 v[118:121], v108 offset0:42 offset1:43
	v_fma_f64 v[24:25], -v[46:47], v[122:123], v[24:25]
	v_fma_f64 v[22:23], -v[46:47], v[124:125], v[22:23]
	s_waitcnt lgkmcnt(0)
	v_fma_f64 v[20:21], -v[46:47], v[114:115], v[20:21]
	v_fma_f64 v[18:19], -v[46:47], v[116:117], v[18:19]
	ds_read2_b64 v[114:117], v108 offset0:44 offset1:45
	ds_read2_b64 v[122:125], v108 offset0:46 offset1:47
	v_fma_f64 v[16:17], -v[46:47], v[118:119], v[16:17]
	v_fma_f64 v[14:15], -v[46:47], v[120:121], v[14:15]
	ds_read2_b64 v[118:121], v108 offset0:48 offset1:49
	s_waitcnt lgkmcnt(0)
	v_fma_f64 v[12:13], -v[46:47], v[114:115], v[12:13]
	v_fma_f64 v[10:11], -v[46:47], v[116:117], v[10:11]
	;; [unrolled: 1-line block ×6, first 2 shown]
.LBB98_471:
	s_or_b64 exec, exec, s[0:1]
	v_lshl_add_u32 v104, v109, 3, v108
	s_barrier
	ds_write_b64 v104, v[44:45]
	s_waitcnt lgkmcnt(0)
	s_barrier
	ds_read_b64 v[104:105], v108 offset:224
	s_cmp_lt_i32 s18, 30
	v_mov_b32_e32 v106, 28
	s_cbranch_scc1 .LBB98_474
; %bb.472:
	v_add_u32_e32 v113, 0xe8, v108
	s_mov_b32 s0, 29
	v_mov_b32_e32 v106, 28
.LBB98_473:                             ; =>This Inner Loop Header: Depth=1
	ds_read_b64 v[114:115], v113
	v_mov_b32_e32 v116, s0
	s_add_i32 s0, s0, 1
	v_add_u32_e32 v113, 8, v113
	s_cmp_lg_u32 s18, s0
	s_waitcnt lgkmcnt(0)
	v_cmp_lt_f64_e64 vcc, |v[104:105]|, |v[114:115]|
	v_cndmask_b32_e32 v105, v105, v115, vcc
	v_cndmask_b32_e32 v104, v104, v114, vcc
	;; [unrolled: 1-line block ×3, first 2 shown]
	s_cbranch_scc1 .LBB98_473
.LBB98_474:
	s_waitcnt lgkmcnt(0)
	v_cmp_eq_f64_e32 vcc, 0, v[104:105]
	s_and_saveexec_b64 s[0:1], vcc
	s_xor_b64 s[0:1], exec, s[0:1]
; %bb.475:
	v_cmp_ne_u32_e32 vcc, 0, v112
	v_cndmask_b32_e32 v112, 29, v112, vcc
; %bb.476:
	s_andn2_saveexec_b64 s[0:1], s[0:1]
; %bb.477:
	v_div_scale_f64 v[114:115], s[2:3], v[104:105], v[104:105], 1.0
	v_rcp_f64_e32 v[116:117], v[114:115]
	v_div_scale_f64 v[118:119], vcc, 1.0, v[104:105], 1.0
	v_fma_f64 v[120:121], -v[114:115], v[116:117], 1.0
	v_fmac_f64_e32 v[116:117], v[116:117], v[120:121]
	v_fma_f64 v[120:121], -v[114:115], v[116:117], 1.0
	v_fmac_f64_e32 v[116:117], v[116:117], v[120:121]
	v_mul_f64 v[120:121], v[118:119], v[116:117]
	v_fma_f64 v[114:115], -v[114:115], v[120:121], v[118:119]
	v_div_fmas_f64 v[114:115], v[114:115], v[116:117], v[120:121]
	v_div_fixup_f64 v[104:105], v[114:115], v[104:105], 1.0
; %bb.478:
	s_or_b64 exec, exec, s[0:1]
	v_cmp_ne_u32_e32 vcc, v109, v106
	s_and_saveexec_b64 s[0:1], vcc
	s_xor_b64 s[0:1], exec, s[0:1]
	s_cbranch_execz .LBB98_484
; %bb.479:
	v_cmp_eq_u32_e32 vcc, 28, v109
	s_and_saveexec_b64 s[2:3], vcc
	s_cbranch_execz .LBB98_483
; %bb.480:
	v_cmp_ne_u32_e32 vcc, 28, v106
	s_xor_b64 s[14:15], s[6:7], -1
	s_and_b64 s[16:17], s[14:15], vcc
	s_and_saveexec_b64 s[14:15], s[16:17]
	s_cbranch_execz .LBB98_482
; %bb.481:
	v_ashrrev_i32_e32 v107, 31, v106
	v_lshlrev_b64 v[114:115], 2, v[106:107]
	v_add_co_u32_e32 v114, vcc, v4, v114
	v_addc_co_u32_e32 v115, vcc, v5, v115, vcc
	flat_load_dword v107, v[114:115]
	flat_load_dword v109, v[4:5] offset:112
	s_waitcnt vmcnt(0) lgkmcnt(0)
	flat_store_dword v[4:5], v107 offset:112
	flat_store_dword v[114:115], v109
.LBB98_482:
	s_or_b64 exec, exec, s[14:15]
	v_mov_b32_e32 v107, v106
	v_mov_b32_e32 v109, v106
.LBB98_483:
	s_or_b64 exec, exec, s[2:3]
.LBB98_484:
	s_andn2_saveexec_b64 s[0:1], s[0:1]
	s_cbranch_execz .LBB98_486
; %bb.485:
	v_mov_b32_e32 v109, 28
	ds_write2_b64 v108, v[42:43], v[40:41] offset0:29 offset1:30
	ds_write2_b64 v108, v[38:39], v[36:37] offset0:31 offset1:32
	;; [unrolled: 1-line block ×10, first 2 shown]
	ds_write_b64 v108, v[102:103] offset:392
.LBB98_486:
	s_or_b64 exec, exec, s[0:1]
	v_cmp_lt_i32_e32 vcc, 28, v109
	s_waitcnt lgkmcnt(0)
	s_barrier
	s_and_saveexec_b64 s[0:1], vcc
	s_cbranch_execz .LBB98_488
; %bb.487:
	ds_read2_b64 v[114:117], v108 offset0:29 offset1:30
	ds_read2_b64 v[118:121], v108 offset0:31 offset1:32
	v_mul_f64 v[44:45], v[104:105], v[44:45]
	ds_read2_b64 v[122:125], v108 offset0:33 offset1:34
	ds_read_b64 v[104:105], v108 offset:392
	s_waitcnt lgkmcnt(0)
	v_fma_f64 v[42:43], -v[44:45], v[114:115], v[42:43]
	v_fma_f64 v[40:41], -v[44:45], v[116:117], v[40:41]
	ds_read2_b64 v[114:117], v108 offset0:35 offset1:36
	v_fma_f64 v[38:39], -v[44:45], v[118:119], v[38:39]
	v_fma_f64 v[36:37], -v[44:45], v[120:121], v[36:37]
	;; [unrolled: 1-line block ×3, first 2 shown]
	ds_read2_b64 v[118:121], v108 offset0:37 offset1:38
	v_fma_f64 v[32:33], -v[44:45], v[124:125], v[32:33]
	ds_read2_b64 v[122:125], v108 offset0:39 offset1:40
	s_waitcnt lgkmcnt(0)
	v_fma_f64 v[28:29], -v[44:45], v[114:115], v[28:29]
	v_fma_f64 v[30:31], -v[44:45], v[116:117], v[30:31]
	ds_read2_b64 v[114:117], v108 offset0:41 offset1:42
	v_fma_f64 v[26:27], -v[44:45], v[118:119], v[26:27]
	v_fma_f64 v[24:25], -v[44:45], v[120:121], v[24:25]
	ds_read2_b64 v[118:121], v108 offset0:43 offset1:44
	v_fma_f64 v[22:23], -v[44:45], v[122:123], v[22:23]
	v_fma_f64 v[20:21], -v[44:45], v[124:125], v[20:21]
	s_waitcnt lgkmcnt(0)
	v_fma_f64 v[18:19], -v[44:45], v[114:115], v[18:19]
	v_fma_f64 v[16:17], -v[44:45], v[116:117], v[16:17]
	ds_read2_b64 v[114:117], v108 offset0:45 offset1:46
	ds_read2_b64 v[122:125], v108 offset0:47 offset1:48
	v_fma_f64 v[14:15], -v[44:45], v[118:119], v[14:15]
	v_fma_f64 v[12:13], -v[44:45], v[120:121], v[12:13]
	;; [unrolled: 1-line block ×3, first 2 shown]
	s_waitcnt lgkmcnt(0)
	v_fma_f64 v[10:11], -v[44:45], v[114:115], v[10:11]
	v_fma_f64 v[8:9], -v[44:45], v[116:117], v[8:9]
	;; [unrolled: 1-line block ×4, first 2 shown]
.LBB98_488:
	s_or_b64 exec, exec, s[0:1]
	v_lshl_add_u32 v104, v109, 3, v108
	s_barrier
	ds_write_b64 v104, v[42:43]
	s_waitcnt lgkmcnt(0)
	s_barrier
	ds_read_b64 v[104:105], v108 offset:232
	s_cmp_lt_i32 s18, 31
	v_mov_b32_e32 v106, 29
	s_cbranch_scc1 .LBB98_491
; %bb.489:
	v_add_u32_e32 v113, 0xf0, v108
	s_mov_b32 s0, 30
	v_mov_b32_e32 v106, 29
.LBB98_490:                             ; =>This Inner Loop Header: Depth=1
	ds_read_b64 v[114:115], v113
	v_mov_b32_e32 v116, s0
	s_add_i32 s0, s0, 1
	v_add_u32_e32 v113, 8, v113
	s_cmp_lg_u32 s18, s0
	s_waitcnt lgkmcnt(0)
	v_cmp_lt_f64_e64 vcc, |v[104:105]|, |v[114:115]|
	v_cndmask_b32_e32 v105, v105, v115, vcc
	v_cndmask_b32_e32 v104, v104, v114, vcc
	;; [unrolled: 1-line block ×3, first 2 shown]
	s_cbranch_scc1 .LBB98_490
.LBB98_491:
	s_waitcnt lgkmcnt(0)
	v_cmp_eq_f64_e32 vcc, 0, v[104:105]
	s_and_saveexec_b64 s[0:1], vcc
	s_xor_b64 s[0:1], exec, s[0:1]
; %bb.492:
	v_cmp_ne_u32_e32 vcc, 0, v112
	v_cndmask_b32_e32 v112, 30, v112, vcc
; %bb.493:
	s_andn2_saveexec_b64 s[0:1], s[0:1]
; %bb.494:
	v_div_scale_f64 v[114:115], s[2:3], v[104:105], v[104:105], 1.0
	v_rcp_f64_e32 v[116:117], v[114:115]
	v_div_scale_f64 v[118:119], vcc, 1.0, v[104:105], 1.0
	v_fma_f64 v[120:121], -v[114:115], v[116:117], 1.0
	v_fmac_f64_e32 v[116:117], v[116:117], v[120:121]
	v_fma_f64 v[120:121], -v[114:115], v[116:117], 1.0
	v_fmac_f64_e32 v[116:117], v[116:117], v[120:121]
	v_mul_f64 v[120:121], v[118:119], v[116:117]
	v_fma_f64 v[114:115], -v[114:115], v[120:121], v[118:119]
	v_div_fmas_f64 v[114:115], v[114:115], v[116:117], v[120:121]
	v_div_fixup_f64 v[104:105], v[114:115], v[104:105], 1.0
; %bb.495:
	s_or_b64 exec, exec, s[0:1]
	v_cmp_ne_u32_e32 vcc, v109, v106
	s_and_saveexec_b64 s[0:1], vcc
	s_xor_b64 s[0:1], exec, s[0:1]
	s_cbranch_execz .LBB98_501
; %bb.496:
	v_cmp_eq_u32_e32 vcc, 29, v109
	s_and_saveexec_b64 s[2:3], vcc
	s_cbranch_execz .LBB98_500
; %bb.497:
	v_cmp_ne_u32_e32 vcc, 29, v106
	s_xor_b64 s[14:15], s[6:7], -1
	s_and_b64 s[16:17], s[14:15], vcc
	s_and_saveexec_b64 s[14:15], s[16:17]
	s_cbranch_execz .LBB98_499
; %bb.498:
	v_ashrrev_i32_e32 v107, 31, v106
	v_lshlrev_b64 v[114:115], 2, v[106:107]
	v_add_co_u32_e32 v114, vcc, v4, v114
	v_addc_co_u32_e32 v115, vcc, v5, v115, vcc
	flat_load_dword v107, v[114:115]
	flat_load_dword v109, v[4:5] offset:116
	s_waitcnt vmcnt(0) lgkmcnt(0)
	flat_store_dword v[4:5], v107 offset:116
	flat_store_dword v[114:115], v109
.LBB98_499:
	s_or_b64 exec, exec, s[14:15]
	v_mov_b32_e32 v107, v106
	v_mov_b32_e32 v109, v106
.LBB98_500:
	s_or_b64 exec, exec, s[2:3]
.LBB98_501:
	s_andn2_saveexec_b64 s[0:1], s[0:1]
	s_cbranch_execz .LBB98_503
; %bb.502:
	v_mov_b32_e32 v114, v40
	v_mov_b32_e32 v115, v41
	v_mov_b32_e32 v116, v38
	v_mov_b32_e32 v117, v39
	ds_write2_b64 v108, v[114:115], v[116:117] offset0:30 offset1:31
	v_mov_b32_e32 v114, v36
	v_mov_b32_e32 v115, v37
	v_mov_b32_e32 v116, v34
	v_mov_b32_e32 v117, v35
	ds_write2_b64 v108, v[114:115], v[116:117] offset0:32 offset1:33
	;; [unrolled: 5-line block ×9, first 2 shown]
	v_mov_b32_e32 v114, v0
	v_mov_b32_e32 v115, v1
	;; [unrolled: 1-line block ×3, first 2 shown]
	ds_write2_b64 v108, v[114:115], v[102:103] offset0:48 offset1:49
.LBB98_503:
	s_or_b64 exec, exec, s[0:1]
	v_cmp_lt_i32_e32 vcc, 29, v109
	s_waitcnt lgkmcnt(0)
	s_barrier
	s_and_saveexec_b64 s[0:1], vcc
	s_cbranch_execz .LBB98_505
; %bb.504:
	ds_read2_b64 v[114:117], v108 offset0:30 offset1:31
	ds_read2_b64 v[118:121], v108 offset0:32 offset1:33
	v_mul_f64 v[42:43], v[104:105], v[42:43]
	ds_read2_b64 v[122:125], v108 offset0:34 offset1:35
	s_waitcnt lgkmcnt(0)
	v_fma_f64 v[40:41], -v[42:43], v[114:115], v[40:41]
	v_fma_f64 v[38:39], -v[42:43], v[116:117], v[38:39]
	ds_read2_b64 v[114:117], v108 offset0:36 offset1:37
	v_fma_f64 v[36:37], -v[42:43], v[118:119], v[36:37]
	v_fma_f64 v[34:35], -v[42:43], v[120:121], v[34:35]
	;; [unrolled: 1-line block ×3, first 2 shown]
	ds_read2_b64 v[118:121], v108 offset0:38 offset1:39
	v_fma_f64 v[28:29], -v[42:43], v[124:125], v[28:29]
	ds_read2_b64 v[122:125], v108 offset0:40 offset1:41
	s_waitcnt lgkmcnt(0)
	v_fma_f64 v[30:31], -v[42:43], v[114:115], v[30:31]
	v_fma_f64 v[26:27], -v[42:43], v[116:117], v[26:27]
	ds_read2_b64 v[114:117], v108 offset0:42 offset1:43
	v_fma_f64 v[24:25], -v[42:43], v[118:119], v[24:25]
	v_fma_f64 v[22:23], -v[42:43], v[120:121], v[22:23]
	ds_read2_b64 v[118:121], v108 offset0:44 offset1:45
	v_fma_f64 v[20:21], -v[42:43], v[122:123], v[20:21]
	v_fma_f64 v[18:19], -v[42:43], v[124:125], v[18:19]
	s_waitcnt lgkmcnt(0)
	v_fma_f64 v[16:17], -v[42:43], v[114:115], v[16:17]
	ds_read2_b64 v[122:125], v108 offset0:46 offset1:47
	v_fma_f64 v[14:15], -v[42:43], v[116:117], v[14:15]
	ds_read2_b64 v[114:117], v108 offset0:48 offset1:49
	v_fma_f64 v[12:13], -v[42:43], v[118:119], v[12:13]
	v_fma_f64 v[10:11], -v[42:43], v[120:121], v[10:11]
	s_waitcnt lgkmcnt(0)
	v_fma_f64 v[8:9], -v[42:43], v[122:123], v[8:9]
	v_fma_f64 v[6:7], -v[42:43], v[124:125], v[6:7]
	;; [unrolled: 1-line block ×4, first 2 shown]
.LBB98_505:
	s_or_b64 exec, exec, s[0:1]
	v_lshl_add_u32 v104, v109, 3, v108
	s_barrier
	ds_write_b64 v104, v[40:41]
	s_waitcnt lgkmcnt(0)
	s_barrier
	ds_read_b64 v[104:105], v108 offset:240
	s_cmp_lt_i32 s18, 32
	v_mov_b32_e32 v106, 30
	s_cbranch_scc1 .LBB98_508
; %bb.506:
	v_add_u32_e32 v113, 0xf8, v108
	s_mov_b32 s0, 31
	v_mov_b32_e32 v106, 30
.LBB98_507:                             ; =>This Inner Loop Header: Depth=1
	ds_read_b64 v[114:115], v113
	v_mov_b32_e32 v116, s0
	s_add_i32 s0, s0, 1
	v_add_u32_e32 v113, 8, v113
	s_cmp_lg_u32 s18, s0
	s_waitcnt lgkmcnt(0)
	v_cmp_lt_f64_e64 vcc, |v[104:105]|, |v[114:115]|
	v_cndmask_b32_e32 v105, v105, v115, vcc
	v_cndmask_b32_e32 v104, v104, v114, vcc
	;; [unrolled: 1-line block ×3, first 2 shown]
	s_cbranch_scc1 .LBB98_507
.LBB98_508:
	s_waitcnt lgkmcnt(0)
	v_cmp_eq_f64_e32 vcc, 0, v[104:105]
	s_and_saveexec_b64 s[0:1], vcc
	s_xor_b64 s[0:1], exec, s[0:1]
; %bb.509:
	v_cmp_ne_u32_e32 vcc, 0, v112
	v_cndmask_b32_e32 v112, 31, v112, vcc
; %bb.510:
	s_andn2_saveexec_b64 s[0:1], s[0:1]
; %bb.511:
	v_div_scale_f64 v[114:115], s[2:3], v[104:105], v[104:105], 1.0
	v_rcp_f64_e32 v[116:117], v[114:115]
	v_div_scale_f64 v[118:119], vcc, 1.0, v[104:105], 1.0
	v_fma_f64 v[120:121], -v[114:115], v[116:117], 1.0
	v_fmac_f64_e32 v[116:117], v[116:117], v[120:121]
	v_fma_f64 v[120:121], -v[114:115], v[116:117], 1.0
	v_fmac_f64_e32 v[116:117], v[116:117], v[120:121]
	v_mul_f64 v[120:121], v[118:119], v[116:117]
	v_fma_f64 v[114:115], -v[114:115], v[120:121], v[118:119]
	v_div_fmas_f64 v[114:115], v[114:115], v[116:117], v[120:121]
	v_div_fixup_f64 v[104:105], v[114:115], v[104:105], 1.0
; %bb.512:
	s_or_b64 exec, exec, s[0:1]
	v_cmp_ne_u32_e32 vcc, v109, v106
	s_and_saveexec_b64 s[0:1], vcc
	s_xor_b64 s[0:1], exec, s[0:1]
	s_cbranch_execz .LBB98_518
; %bb.513:
	v_cmp_eq_u32_e32 vcc, 30, v109
	s_and_saveexec_b64 s[2:3], vcc
	s_cbranch_execz .LBB98_517
; %bb.514:
	v_cmp_ne_u32_e32 vcc, 30, v106
	s_xor_b64 s[14:15], s[6:7], -1
	s_and_b64 s[16:17], s[14:15], vcc
	s_and_saveexec_b64 s[14:15], s[16:17]
	s_cbranch_execz .LBB98_516
; %bb.515:
	v_ashrrev_i32_e32 v107, 31, v106
	v_lshlrev_b64 v[114:115], 2, v[106:107]
	v_add_co_u32_e32 v114, vcc, v4, v114
	v_addc_co_u32_e32 v115, vcc, v5, v115, vcc
	flat_load_dword v107, v[114:115]
	flat_load_dword v109, v[4:5] offset:120
	s_waitcnt vmcnt(0) lgkmcnt(0)
	flat_store_dword v[4:5], v107 offset:120
	flat_store_dword v[114:115], v109
.LBB98_516:
	s_or_b64 exec, exec, s[14:15]
	v_mov_b32_e32 v107, v106
	v_mov_b32_e32 v109, v106
.LBB98_517:
	s_or_b64 exec, exec, s[2:3]
.LBB98_518:
	s_andn2_saveexec_b64 s[0:1], s[0:1]
	s_cbranch_execz .LBB98_520
; %bb.519:
	v_mov_b32_e32 v109, 30
	ds_write2_b64 v108, v[38:39], v[36:37] offset0:31 offset1:32
	ds_write2_b64 v108, v[34:35], v[32:33] offset0:33 offset1:34
	;; [unrolled: 1-line block ×9, first 2 shown]
	ds_write_b64 v108, v[102:103] offset:392
.LBB98_520:
	s_or_b64 exec, exec, s[0:1]
	v_cmp_lt_i32_e32 vcc, 30, v109
	s_waitcnt lgkmcnt(0)
	s_barrier
	s_and_saveexec_b64 s[0:1], vcc
	s_cbranch_execz .LBB98_522
; %bb.521:
	ds_read2_b64 v[114:117], v108 offset0:31 offset1:32
	ds_read2_b64 v[118:121], v108 offset0:33 offset1:34
	;; [unrolled: 1-line block ×3, first 2 shown]
	v_mul_f64 v[40:41], v[104:105], v[40:41]
	ds_read_b64 v[104:105], v108 offset:392
	s_waitcnt lgkmcnt(0)
	v_fma_f64 v[38:39], -v[40:41], v[114:115], v[38:39]
	v_fma_f64 v[36:37], -v[40:41], v[116:117], v[36:37]
	ds_read2_b64 v[114:117], v108 offset0:37 offset1:38
	v_fma_f64 v[34:35], -v[40:41], v[118:119], v[34:35]
	v_fma_f64 v[32:33], -v[40:41], v[120:121], v[32:33]
	;; [unrolled: 1-line block ×3, first 2 shown]
	ds_read2_b64 v[118:121], v108 offset0:39 offset1:40
	v_fma_f64 v[30:31], -v[40:41], v[124:125], v[30:31]
	ds_read2_b64 v[122:125], v108 offset0:41 offset1:42
	s_waitcnt lgkmcnt(0)
	v_fma_f64 v[26:27], -v[40:41], v[114:115], v[26:27]
	v_fma_f64 v[24:25], -v[40:41], v[116:117], v[24:25]
	;; [unrolled: 1-line block ×3, first 2 shown]
	ds_read2_b64 v[114:117], v108 offset0:43 offset1:44
	v_fma_f64 v[20:21], -v[40:41], v[120:121], v[20:21]
	ds_read2_b64 v[118:121], v108 offset0:45 offset1:46
	v_fma_f64 v[18:19], -v[40:41], v[122:123], v[18:19]
	v_fma_f64 v[16:17], -v[40:41], v[124:125], v[16:17]
	ds_read2_b64 v[122:125], v108 offset0:47 offset1:48
	s_waitcnt lgkmcnt(0)
	v_fma_f64 v[14:15], -v[40:41], v[114:115], v[14:15]
	v_fma_f64 v[12:13], -v[40:41], v[116:117], v[12:13]
	;; [unrolled: 1-line block ×7, first 2 shown]
.LBB98_522:
	s_or_b64 exec, exec, s[0:1]
	v_lshl_add_u32 v104, v109, 3, v108
	s_barrier
	ds_write_b64 v104, v[38:39]
	s_waitcnt lgkmcnt(0)
	s_barrier
	ds_read_b64 v[104:105], v108 offset:248
	s_cmp_lt_i32 s18, 33
	v_mov_b32_e32 v106, 31
	s_cbranch_scc1 .LBB98_525
; %bb.523:
	v_add_u32_e32 v113, 0x100, v108
	s_mov_b32 s0, 32
	v_mov_b32_e32 v106, 31
.LBB98_524:                             ; =>This Inner Loop Header: Depth=1
	ds_read_b64 v[114:115], v113
	v_mov_b32_e32 v116, s0
	s_add_i32 s0, s0, 1
	v_add_u32_e32 v113, 8, v113
	s_cmp_lg_u32 s18, s0
	s_waitcnt lgkmcnt(0)
	v_cmp_lt_f64_e64 vcc, |v[104:105]|, |v[114:115]|
	v_cndmask_b32_e32 v105, v105, v115, vcc
	v_cndmask_b32_e32 v104, v104, v114, vcc
	;; [unrolled: 1-line block ×3, first 2 shown]
	s_cbranch_scc1 .LBB98_524
.LBB98_525:
	s_waitcnt lgkmcnt(0)
	v_cmp_eq_f64_e32 vcc, 0, v[104:105]
	s_and_saveexec_b64 s[0:1], vcc
	s_xor_b64 s[0:1], exec, s[0:1]
; %bb.526:
	v_cmp_ne_u32_e32 vcc, 0, v112
	v_cndmask_b32_e32 v112, 32, v112, vcc
; %bb.527:
	s_andn2_saveexec_b64 s[0:1], s[0:1]
; %bb.528:
	v_div_scale_f64 v[114:115], s[2:3], v[104:105], v[104:105], 1.0
	v_rcp_f64_e32 v[116:117], v[114:115]
	v_div_scale_f64 v[118:119], vcc, 1.0, v[104:105], 1.0
	v_fma_f64 v[120:121], -v[114:115], v[116:117], 1.0
	v_fmac_f64_e32 v[116:117], v[116:117], v[120:121]
	v_fma_f64 v[120:121], -v[114:115], v[116:117], 1.0
	v_fmac_f64_e32 v[116:117], v[116:117], v[120:121]
	v_mul_f64 v[120:121], v[118:119], v[116:117]
	v_fma_f64 v[114:115], -v[114:115], v[120:121], v[118:119]
	v_div_fmas_f64 v[114:115], v[114:115], v[116:117], v[120:121]
	v_div_fixup_f64 v[104:105], v[114:115], v[104:105], 1.0
; %bb.529:
	s_or_b64 exec, exec, s[0:1]
	v_cmp_ne_u32_e32 vcc, v109, v106
	s_and_saveexec_b64 s[0:1], vcc
	s_xor_b64 s[0:1], exec, s[0:1]
	s_cbranch_execz .LBB98_535
; %bb.530:
	v_cmp_eq_u32_e32 vcc, 31, v109
	s_and_saveexec_b64 s[2:3], vcc
	s_cbranch_execz .LBB98_534
; %bb.531:
	v_cmp_ne_u32_e32 vcc, 31, v106
	s_xor_b64 s[14:15], s[6:7], -1
	s_and_b64 s[16:17], s[14:15], vcc
	s_and_saveexec_b64 s[14:15], s[16:17]
	s_cbranch_execz .LBB98_533
; %bb.532:
	v_ashrrev_i32_e32 v107, 31, v106
	v_lshlrev_b64 v[114:115], 2, v[106:107]
	v_add_co_u32_e32 v114, vcc, v4, v114
	v_addc_co_u32_e32 v115, vcc, v5, v115, vcc
	flat_load_dword v107, v[114:115]
	flat_load_dword v109, v[4:5] offset:124
	s_waitcnt vmcnt(0) lgkmcnt(0)
	flat_store_dword v[4:5], v107 offset:124
	flat_store_dword v[114:115], v109
.LBB98_533:
	s_or_b64 exec, exec, s[14:15]
	v_mov_b32_e32 v107, v106
	v_mov_b32_e32 v109, v106
.LBB98_534:
	s_or_b64 exec, exec, s[2:3]
.LBB98_535:
	s_andn2_saveexec_b64 s[0:1], s[0:1]
	s_cbranch_execz .LBB98_537
; %bb.536:
	v_mov_b32_e32 v114, v36
	v_mov_b32_e32 v115, v37
	v_mov_b32_e32 v116, v34
	v_mov_b32_e32 v117, v35
	ds_write2_b64 v108, v[114:115], v[116:117] offset0:32 offset1:33
	v_mov_b32_e32 v114, v32
	v_mov_b32_e32 v115, v33
	v_mov_b32_e32 v116, v28
	v_mov_b32_e32 v117, v29
	ds_write2_b64 v108, v[114:115], v[116:117] offset0:34 offset1:35
	;; [unrolled: 5-line block ×8, first 2 shown]
	v_mov_b32_e32 v114, v0
	v_mov_b32_e32 v115, v1
	v_mov_b32_e32 v109, 31
	ds_write2_b64 v108, v[114:115], v[102:103] offset0:48 offset1:49
.LBB98_537:
	s_or_b64 exec, exec, s[0:1]
	v_cmp_lt_i32_e32 vcc, 31, v109
	s_waitcnt lgkmcnt(0)
	s_barrier
	s_and_saveexec_b64 s[0:1], vcc
	s_cbranch_execz .LBB98_539
; %bb.538:
	ds_read2_b64 v[114:117], v108 offset0:32 offset1:33
	ds_read2_b64 v[118:121], v108 offset0:34 offset1:35
	;; [unrolled: 1-line block ×3, first 2 shown]
	v_mul_f64 v[38:39], v[104:105], v[38:39]
	s_waitcnt lgkmcnt(0)
	v_fma_f64 v[36:37], -v[38:39], v[114:115], v[36:37]
	v_fma_f64 v[34:35], -v[38:39], v[116:117], v[34:35]
	ds_read2_b64 v[114:117], v108 offset0:38 offset1:39
	v_fma_f64 v[32:33], -v[38:39], v[118:119], v[32:33]
	v_fma_f64 v[28:29], -v[38:39], v[120:121], v[28:29]
	;; [unrolled: 1-line block ×3, first 2 shown]
	ds_read2_b64 v[118:121], v108 offset0:40 offset1:41
	v_fma_f64 v[26:27], -v[38:39], v[124:125], v[26:27]
	ds_read2_b64 v[122:125], v108 offset0:42 offset1:43
	s_waitcnt lgkmcnt(0)
	v_fma_f64 v[24:25], -v[38:39], v[114:115], v[24:25]
	v_fma_f64 v[22:23], -v[38:39], v[116:117], v[22:23]
	;; [unrolled: 1-line block ×4, first 2 shown]
	ds_read2_b64 v[114:117], v108 offset0:44 offset1:45
	ds_read2_b64 v[118:121], v108 offset0:46 offset1:47
	v_fma_f64 v[16:17], -v[38:39], v[122:123], v[16:17]
	v_fma_f64 v[14:15], -v[38:39], v[124:125], v[14:15]
	ds_read2_b64 v[122:125], v108 offset0:48 offset1:49
	s_waitcnt lgkmcnt(0)
	v_fma_f64 v[12:13], -v[38:39], v[114:115], v[12:13]
	v_fma_f64 v[10:11], -v[38:39], v[116:117], v[10:11]
	;; [unrolled: 1-line block ×6, first 2 shown]
.LBB98_539:
	s_or_b64 exec, exec, s[0:1]
	v_lshl_add_u32 v104, v109, 3, v108
	s_barrier
	ds_write_b64 v104, v[36:37]
	s_waitcnt lgkmcnt(0)
	s_barrier
	ds_read_b64 v[104:105], v108 offset:256
	s_cmp_lt_i32 s18, 34
	v_mov_b32_e32 v106, 32
	s_cbranch_scc1 .LBB98_542
; %bb.540:
	v_add_u32_e32 v113, 0x108, v108
	s_mov_b32 s0, 33
	v_mov_b32_e32 v106, 32
.LBB98_541:                             ; =>This Inner Loop Header: Depth=1
	ds_read_b64 v[114:115], v113
	v_mov_b32_e32 v116, s0
	s_add_i32 s0, s0, 1
	v_add_u32_e32 v113, 8, v113
	s_cmp_lg_u32 s18, s0
	s_waitcnt lgkmcnt(0)
	v_cmp_lt_f64_e64 vcc, |v[104:105]|, |v[114:115]|
	v_cndmask_b32_e32 v105, v105, v115, vcc
	v_cndmask_b32_e32 v104, v104, v114, vcc
	v_cndmask_b32_e32 v106, v106, v116, vcc
	s_cbranch_scc1 .LBB98_541
.LBB98_542:
	s_waitcnt lgkmcnt(0)
	v_cmp_eq_f64_e32 vcc, 0, v[104:105]
	s_and_saveexec_b64 s[0:1], vcc
	s_xor_b64 s[0:1], exec, s[0:1]
; %bb.543:
	v_cmp_ne_u32_e32 vcc, 0, v112
	v_cndmask_b32_e32 v112, 33, v112, vcc
; %bb.544:
	s_andn2_saveexec_b64 s[0:1], s[0:1]
; %bb.545:
	v_div_scale_f64 v[114:115], s[2:3], v[104:105], v[104:105], 1.0
	v_rcp_f64_e32 v[116:117], v[114:115]
	v_div_scale_f64 v[118:119], vcc, 1.0, v[104:105], 1.0
	v_fma_f64 v[120:121], -v[114:115], v[116:117], 1.0
	v_fmac_f64_e32 v[116:117], v[116:117], v[120:121]
	v_fma_f64 v[120:121], -v[114:115], v[116:117], 1.0
	v_fmac_f64_e32 v[116:117], v[116:117], v[120:121]
	v_mul_f64 v[120:121], v[118:119], v[116:117]
	v_fma_f64 v[114:115], -v[114:115], v[120:121], v[118:119]
	v_div_fmas_f64 v[114:115], v[114:115], v[116:117], v[120:121]
	v_div_fixup_f64 v[104:105], v[114:115], v[104:105], 1.0
; %bb.546:
	s_or_b64 exec, exec, s[0:1]
	v_cmp_ne_u32_e32 vcc, v109, v106
	s_and_saveexec_b64 s[0:1], vcc
	s_xor_b64 s[0:1], exec, s[0:1]
	s_cbranch_execz .LBB98_552
; %bb.547:
	v_cmp_eq_u32_e32 vcc, 32, v109
	s_and_saveexec_b64 s[2:3], vcc
	s_cbranch_execz .LBB98_551
; %bb.548:
	v_cmp_ne_u32_e32 vcc, 32, v106
	s_xor_b64 s[14:15], s[6:7], -1
	s_and_b64 s[16:17], s[14:15], vcc
	s_and_saveexec_b64 s[14:15], s[16:17]
	s_cbranch_execz .LBB98_550
; %bb.549:
	v_ashrrev_i32_e32 v107, 31, v106
	v_lshlrev_b64 v[114:115], 2, v[106:107]
	v_add_co_u32_e32 v114, vcc, v4, v114
	v_addc_co_u32_e32 v115, vcc, v5, v115, vcc
	flat_load_dword v107, v[114:115]
	flat_load_dword v109, v[4:5] offset:128
	s_waitcnt vmcnt(0) lgkmcnt(0)
	flat_store_dword v[4:5], v107 offset:128
	flat_store_dword v[114:115], v109
.LBB98_550:
	s_or_b64 exec, exec, s[14:15]
	v_mov_b32_e32 v107, v106
	v_mov_b32_e32 v109, v106
.LBB98_551:
	s_or_b64 exec, exec, s[2:3]
.LBB98_552:
	s_andn2_saveexec_b64 s[0:1], s[0:1]
	s_cbranch_execz .LBB98_554
; %bb.553:
	v_mov_b32_e32 v109, 32
	ds_write2_b64 v108, v[34:35], v[32:33] offset0:33 offset1:34
	ds_write2_b64 v108, v[28:29], v[30:31] offset0:35 offset1:36
	;; [unrolled: 1-line block ×8, first 2 shown]
	ds_write_b64 v108, v[102:103] offset:392
.LBB98_554:
	s_or_b64 exec, exec, s[0:1]
	v_cmp_lt_i32_e32 vcc, 32, v109
	s_waitcnt lgkmcnt(0)
	s_barrier
	s_and_saveexec_b64 s[0:1], vcc
	s_cbranch_execz .LBB98_556
; %bb.555:
	ds_read2_b64 v[114:117], v108 offset0:33 offset1:34
	ds_read2_b64 v[118:121], v108 offset0:35 offset1:36
	v_mul_f64 v[36:37], v[104:105], v[36:37]
	ds_read2_b64 v[122:125], v108 offset0:37 offset1:38
	ds_read_b64 v[104:105], v108 offset:392
	s_waitcnt lgkmcnt(0)
	v_fma_f64 v[34:35], -v[36:37], v[114:115], v[34:35]
	v_fma_f64 v[32:33], -v[36:37], v[116:117], v[32:33]
	ds_read2_b64 v[114:117], v108 offset0:39 offset1:40
	v_fma_f64 v[28:29], -v[36:37], v[118:119], v[28:29]
	v_fma_f64 v[30:31], -v[36:37], v[120:121], v[30:31]
	ds_read2_b64 v[118:121], v108 offset0:41 offset1:42
	;; [unrolled: 3-line block ×3, first 2 shown]
	s_waitcnt lgkmcnt(0)
	v_fma_f64 v[22:23], -v[36:37], v[114:115], v[22:23]
	v_fma_f64 v[20:21], -v[36:37], v[116:117], v[20:21]
	;; [unrolled: 1-line block ×4, first 2 shown]
	ds_read2_b64 v[114:117], v108 offset0:45 offset1:46
	ds_read2_b64 v[118:121], v108 offset0:47 offset1:48
	v_fma_f64 v[14:15], -v[36:37], v[122:123], v[14:15]
	v_fma_f64 v[12:13], -v[36:37], v[124:125], v[12:13]
	;; [unrolled: 1-line block ×3, first 2 shown]
	s_waitcnt lgkmcnt(0)
	v_fma_f64 v[10:11], -v[36:37], v[114:115], v[10:11]
	v_fma_f64 v[8:9], -v[36:37], v[116:117], v[8:9]
	;; [unrolled: 1-line block ×4, first 2 shown]
.LBB98_556:
	s_or_b64 exec, exec, s[0:1]
	v_lshl_add_u32 v104, v109, 3, v108
	s_barrier
	ds_write_b64 v104, v[34:35]
	s_waitcnt lgkmcnt(0)
	s_barrier
	ds_read_b64 v[104:105], v108 offset:264
	s_cmp_lt_i32 s18, 35
	v_mov_b32_e32 v106, 33
	s_cbranch_scc1 .LBB98_559
; %bb.557:
	v_add_u32_e32 v113, 0x110, v108
	s_mov_b32 s0, 34
	v_mov_b32_e32 v106, 33
.LBB98_558:                             ; =>This Inner Loop Header: Depth=1
	ds_read_b64 v[114:115], v113
	v_mov_b32_e32 v116, s0
	s_add_i32 s0, s0, 1
	v_add_u32_e32 v113, 8, v113
	s_cmp_lg_u32 s18, s0
	s_waitcnt lgkmcnt(0)
	v_cmp_lt_f64_e64 vcc, |v[104:105]|, |v[114:115]|
	v_cndmask_b32_e32 v105, v105, v115, vcc
	v_cndmask_b32_e32 v104, v104, v114, vcc
	;; [unrolled: 1-line block ×3, first 2 shown]
	s_cbranch_scc1 .LBB98_558
.LBB98_559:
	s_waitcnt lgkmcnt(0)
	v_cmp_eq_f64_e32 vcc, 0, v[104:105]
	s_and_saveexec_b64 s[0:1], vcc
	s_xor_b64 s[0:1], exec, s[0:1]
; %bb.560:
	v_cmp_ne_u32_e32 vcc, 0, v112
	v_cndmask_b32_e32 v112, 34, v112, vcc
; %bb.561:
	s_andn2_saveexec_b64 s[0:1], s[0:1]
; %bb.562:
	v_div_scale_f64 v[114:115], s[2:3], v[104:105], v[104:105], 1.0
	v_rcp_f64_e32 v[116:117], v[114:115]
	v_div_scale_f64 v[118:119], vcc, 1.0, v[104:105], 1.0
	v_fma_f64 v[120:121], -v[114:115], v[116:117], 1.0
	v_fmac_f64_e32 v[116:117], v[116:117], v[120:121]
	v_fma_f64 v[120:121], -v[114:115], v[116:117], 1.0
	v_fmac_f64_e32 v[116:117], v[116:117], v[120:121]
	v_mul_f64 v[120:121], v[118:119], v[116:117]
	v_fma_f64 v[114:115], -v[114:115], v[120:121], v[118:119]
	v_div_fmas_f64 v[114:115], v[114:115], v[116:117], v[120:121]
	v_div_fixup_f64 v[104:105], v[114:115], v[104:105], 1.0
; %bb.563:
	s_or_b64 exec, exec, s[0:1]
	v_cmp_ne_u32_e32 vcc, v109, v106
	s_and_saveexec_b64 s[0:1], vcc
	s_xor_b64 s[0:1], exec, s[0:1]
	s_cbranch_execz .LBB98_569
; %bb.564:
	v_cmp_eq_u32_e32 vcc, 33, v109
	s_and_saveexec_b64 s[2:3], vcc
	s_cbranch_execz .LBB98_568
; %bb.565:
	v_cmp_ne_u32_e32 vcc, 33, v106
	s_xor_b64 s[14:15], s[6:7], -1
	s_and_b64 s[16:17], s[14:15], vcc
	s_and_saveexec_b64 s[14:15], s[16:17]
	s_cbranch_execz .LBB98_567
; %bb.566:
	v_ashrrev_i32_e32 v107, 31, v106
	v_lshlrev_b64 v[114:115], 2, v[106:107]
	v_add_co_u32_e32 v114, vcc, v4, v114
	v_addc_co_u32_e32 v115, vcc, v5, v115, vcc
	flat_load_dword v107, v[114:115]
	flat_load_dword v109, v[4:5] offset:132
	s_waitcnt vmcnt(0) lgkmcnt(0)
	flat_store_dword v[4:5], v107 offset:132
	flat_store_dword v[114:115], v109
.LBB98_567:
	s_or_b64 exec, exec, s[14:15]
	v_mov_b32_e32 v107, v106
	v_mov_b32_e32 v109, v106
.LBB98_568:
	s_or_b64 exec, exec, s[2:3]
.LBB98_569:
	s_andn2_saveexec_b64 s[0:1], s[0:1]
	s_cbranch_execz .LBB98_571
; %bb.570:
	v_mov_b32_e32 v114, v32
	v_mov_b32_e32 v115, v33
	v_mov_b32_e32 v116, v28
	v_mov_b32_e32 v117, v29
	ds_write2_b64 v108, v[114:115], v[116:117] offset0:34 offset1:35
	v_mov_b32_e32 v114, v30
	v_mov_b32_e32 v115, v31
	v_mov_b32_e32 v116, v26
	v_mov_b32_e32 v117, v27
	ds_write2_b64 v108, v[114:115], v[116:117] offset0:36 offset1:37
	;; [unrolled: 5-line block ×7, first 2 shown]
	v_mov_b32_e32 v114, v0
	v_mov_b32_e32 v115, v1
	;; [unrolled: 1-line block ×3, first 2 shown]
	ds_write2_b64 v108, v[114:115], v[102:103] offset0:48 offset1:49
.LBB98_571:
	s_or_b64 exec, exec, s[0:1]
	v_cmp_lt_i32_e32 vcc, 33, v109
	s_waitcnt lgkmcnt(0)
	s_barrier
	s_and_saveexec_b64 s[0:1], vcc
	s_cbranch_execz .LBB98_573
; %bb.572:
	ds_read2_b64 v[114:117], v108 offset0:34 offset1:35
	ds_read2_b64 v[118:121], v108 offset0:36 offset1:37
	v_mul_f64 v[34:35], v[104:105], v[34:35]
	ds_read2_b64 v[122:125], v108 offset0:38 offset1:39
	s_waitcnt lgkmcnt(0)
	v_fma_f64 v[32:33], -v[34:35], v[114:115], v[32:33]
	v_fma_f64 v[28:29], -v[34:35], v[116:117], v[28:29]
	ds_read2_b64 v[114:117], v108 offset0:40 offset1:41
	v_fma_f64 v[30:31], -v[34:35], v[118:119], v[30:31]
	v_fma_f64 v[26:27], -v[34:35], v[120:121], v[26:27]
	ds_read2_b64 v[118:121], v108 offset0:42 offset1:43
	v_fma_f64 v[24:25], -v[34:35], v[122:123], v[24:25]
	v_fma_f64 v[22:23], -v[34:35], v[124:125], v[22:23]
	s_waitcnt lgkmcnt(0)
	v_fma_f64 v[20:21], -v[34:35], v[114:115], v[20:21]
	v_fma_f64 v[18:19], -v[34:35], v[116:117], v[18:19]
	ds_read2_b64 v[114:117], v108 offset0:44 offset1:45
	v_fma_f64 v[16:17], -v[34:35], v[118:119], v[16:17]
	ds_read2_b64 v[122:125], v108 offset0:46 offset1:47
	;; [unrolled: 2-line block ×3, first 2 shown]
	s_waitcnt lgkmcnt(0)
	v_fma_f64 v[12:13], -v[34:35], v[114:115], v[12:13]
	v_fma_f64 v[10:11], -v[34:35], v[116:117], v[10:11]
	;; [unrolled: 1-line block ×6, first 2 shown]
.LBB98_573:
	s_or_b64 exec, exec, s[0:1]
	v_lshl_add_u32 v104, v109, 3, v108
	s_barrier
	ds_write_b64 v104, v[32:33]
	s_waitcnt lgkmcnt(0)
	s_barrier
	ds_read_b64 v[104:105], v108 offset:272
	s_cmp_lt_i32 s18, 36
	v_mov_b32_e32 v106, 34
	s_cbranch_scc1 .LBB98_576
; %bb.574:
	v_add_u32_e32 v113, 0x118, v108
	s_mov_b32 s0, 35
	v_mov_b32_e32 v106, 34
.LBB98_575:                             ; =>This Inner Loop Header: Depth=1
	ds_read_b64 v[114:115], v113
	v_mov_b32_e32 v116, s0
	s_add_i32 s0, s0, 1
	v_add_u32_e32 v113, 8, v113
	s_cmp_lg_u32 s18, s0
	s_waitcnt lgkmcnt(0)
	v_cmp_lt_f64_e64 vcc, |v[104:105]|, |v[114:115]|
	v_cndmask_b32_e32 v105, v105, v115, vcc
	v_cndmask_b32_e32 v104, v104, v114, vcc
	;; [unrolled: 1-line block ×3, first 2 shown]
	s_cbranch_scc1 .LBB98_575
.LBB98_576:
	s_waitcnt lgkmcnt(0)
	v_cmp_eq_f64_e32 vcc, 0, v[104:105]
	s_and_saveexec_b64 s[0:1], vcc
	s_xor_b64 s[0:1], exec, s[0:1]
; %bb.577:
	v_cmp_ne_u32_e32 vcc, 0, v112
	v_cndmask_b32_e32 v112, 35, v112, vcc
; %bb.578:
	s_andn2_saveexec_b64 s[0:1], s[0:1]
; %bb.579:
	v_div_scale_f64 v[114:115], s[2:3], v[104:105], v[104:105], 1.0
	v_rcp_f64_e32 v[116:117], v[114:115]
	v_div_scale_f64 v[118:119], vcc, 1.0, v[104:105], 1.0
	v_fma_f64 v[120:121], -v[114:115], v[116:117], 1.0
	v_fmac_f64_e32 v[116:117], v[116:117], v[120:121]
	v_fma_f64 v[120:121], -v[114:115], v[116:117], 1.0
	v_fmac_f64_e32 v[116:117], v[116:117], v[120:121]
	v_mul_f64 v[120:121], v[118:119], v[116:117]
	v_fma_f64 v[114:115], -v[114:115], v[120:121], v[118:119]
	v_div_fmas_f64 v[114:115], v[114:115], v[116:117], v[120:121]
	v_div_fixup_f64 v[104:105], v[114:115], v[104:105], 1.0
; %bb.580:
	s_or_b64 exec, exec, s[0:1]
	v_cmp_ne_u32_e32 vcc, v109, v106
	s_and_saveexec_b64 s[0:1], vcc
	s_xor_b64 s[0:1], exec, s[0:1]
	s_cbranch_execz .LBB98_586
; %bb.581:
	v_cmp_eq_u32_e32 vcc, 34, v109
	s_and_saveexec_b64 s[2:3], vcc
	s_cbranch_execz .LBB98_585
; %bb.582:
	v_cmp_ne_u32_e32 vcc, 34, v106
	s_xor_b64 s[14:15], s[6:7], -1
	s_and_b64 s[16:17], s[14:15], vcc
	s_and_saveexec_b64 s[14:15], s[16:17]
	s_cbranch_execz .LBB98_584
; %bb.583:
	v_ashrrev_i32_e32 v107, 31, v106
	v_lshlrev_b64 v[114:115], 2, v[106:107]
	v_add_co_u32_e32 v114, vcc, v4, v114
	v_addc_co_u32_e32 v115, vcc, v5, v115, vcc
	flat_load_dword v107, v[114:115]
	flat_load_dword v109, v[4:5] offset:136
	s_waitcnt vmcnt(0) lgkmcnt(0)
	flat_store_dword v[4:5], v107 offset:136
	flat_store_dword v[114:115], v109
.LBB98_584:
	s_or_b64 exec, exec, s[14:15]
	v_mov_b32_e32 v107, v106
	v_mov_b32_e32 v109, v106
.LBB98_585:
	s_or_b64 exec, exec, s[2:3]
.LBB98_586:
	s_andn2_saveexec_b64 s[0:1], s[0:1]
	s_cbranch_execz .LBB98_588
; %bb.587:
	v_mov_b32_e32 v109, 34
	ds_write2_b64 v108, v[28:29], v[30:31] offset0:35 offset1:36
	ds_write2_b64 v108, v[26:27], v[24:25] offset0:37 offset1:38
	;; [unrolled: 1-line block ×7, first 2 shown]
	ds_write_b64 v108, v[102:103] offset:392
.LBB98_588:
	s_or_b64 exec, exec, s[0:1]
	v_cmp_lt_i32_e32 vcc, 34, v109
	s_waitcnt lgkmcnt(0)
	s_barrier
	s_and_saveexec_b64 s[0:1], vcc
	s_cbranch_execz .LBB98_590
; %bb.589:
	ds_read2_b64 v[114:117], v108 offset0:35 offset1:36
	ds_read2_b64 v[118:121], v108 offset0:37 offset1:38
	v_mul_f64 v[32:33], v[104:105], v[32:33]
	ds_read2_b64 v[122:125], v108 offset0:39 offset1:40
	ds_read_b64 v[104:105], v108 offset:392
	s_waitcnt lgkmcnt(0)
	v_fma_f64 v[28:29], -v[32:33], v[114:115], v[28:29]
	v_fma_f64 v[30:31], -v[32:33], v[116:117], v[30:31]
	ds_read2_b64 v[114:117], v108 offset0:41 offset1:42
	v_fma_f64 v[26:27], -v[32:33], v[118:119], v[26:27]
	v_fma_f64 v[24:25], -v[32:33], v[120:121], v[24:25]
	;; [unrolled: 1-line block ×3, first 2 shown]
	ds_read2_b64 v[118:121], v108 offset0:43 offset1:44
	v_fma_f64 v[20:21], -v[32:33], v[124:125], v[20:21]
	s_waitcnt lgkmcnt(0)
	v_fma_f64 v[18:19], -v[32:33], v[114:115], v[18:19]
	v_fma_f64 v[16:17], -v[32:33], v[116:117], v[16:17]
	ds_read2_b64 v[114:117], v108 offset0:45 offset1:46
	ds_read2_b64 v[122:125], v108 offset0:47 offset1:48
	v_fma_f64 v[14:15], -v[32:33], v[118:119], v[14:15]
	v_fma_f64 v[12:13], -v[32:33], v[120:121], v[12:13]
	;; [unrolled: 1-line block ×3, first 2 shown]
	s_waitcnt lgkmcnt(0)
	v_fma_f64 v[10:11], -v[32:33], v[114:115], v[10:11]
	v_fma_f64 v[8:9], -v[32:33], v[116:117], v[8:9]
	;; [unrolled: 1-line block ×4, first 2 shown]
.LBB98_590:
	s_or_b64 exec, exec, s[0:1]
	v_lshl_add_u32 v104, v109, 3, v108
	s_barrier
	ds_write_b64 v104, v[28:29]
	s_waitcnt lgkmcnt(0)
	s_barrier
	ds_read_b64 v[104:105], v108 offset:280
	s_cmp_lt_i32 s18, 37
	v_mov_b32_e32 v106, 35
	s_cbranch_scc1 .LBB98_593
; %bb.591:
	v_add_u32_e32 v113, 0x120, v108
	s_mov_b32 s0, 36
	v_mov_b32_e32 v106, 35
.LBB98_592:                             ; =>This Inner Loop Header: Depth=1
	ds_read_b64 v[114:115], v113
	v_mov_b32_e32 v116, s0
	s_add_i32 s0, s0, 1
	v_add_u32_e32 v113, 8, v113
	s_cmp_lg_u32 s18, s0
	s_waitcnt lgkmcnt(0)
	v_cmp_lt_f64_e64 vcc, |v[104:105]|, |v[114:115]|
	v_cndmask_b32_e32 v105, v105, v115, vcc
	v_cndmask_b32_e32 v104, v104, v114, vcc
	;; [unrolled: 1-line block ×3, first 2 shown]
	s_cbranch_scc1 .LBB98_592
.LBB98_593:
	s_waitcnt lgkmcnt(0)
	v_cmp_eq_f64_e32 vcc, 0, v[104:105]
	s_and_saveexec_b64 s[0:1], vcc
	s_xor_b64 s[0:1], exec, s[0:1]
; %bb.594:
	v_cmp_ne_u32_e32 vcc, 0, v112
	v_cndmask_b32_e32 v112, 36, v112, vcc
; %bb.595:
	s_andn2_saveexec_b64 s[0:1], s[0:1]
; %bb.596:
	v_div_scale_f64 v[114:115], s[2:3], v[104:105], v[104:105], 1.0
	v_rcp_f64_e32 v[116:117], v[114:115]
	v_div_scale_f64 v[118:119], vcc, 1.0, v[104:105], 1.0
	v_fma_f64 v[120:121], -v[114:115], v[116:117], 1.0
	v_fmac_f64_e32 v[116:117], v[116:117], v[120:121]
	v_fma_f64 v[120:121], -v[114:115], v[116:117], 1.0
	v_fmac_f64_e32 v[116:117], v[116:117], v[120:121]
	v_mul_f64 v[120:121], v[118:119], v[116:117]
	v_fma_f64 v[114:115], -v[114:115], v[120:121], v[118:119]
	v_div_fmas_f64 v[114:115], v[114:115], v[116:117], v[120:121]
	v_div_fixup_f64 v[104:105], v[114:115], v[104:105], 1.0
; %bb.597:
	s_or_b64 exec, exec, s[0:1]
	v_cmp_ne_u32_e32 vcc, v109, v106
	s_and_saveexec_b64 s[0:1], vcc
	s_xor_b64 s[0:1], exec, s[0:1]
	s_cbranch_execz .LBB98_603
; %bb.598:
	v_cmp_eq_u32_e32 vcc, 35, v109
	s_and_saveexec_b64 s[2:3], vcc
	s_cbranch_execz .LBB98_602
; %bb.599:
	v_cmp_ne_u32_e32 vcc, 35, v106
	s_xor_b64 s[14:15], s[6:7], -1
	s_and_b64 s[16:17], s[14:15], vcc
	s_and_saveexec_b64 s[14:15], s[16:17]
	s_cbranch_execz .LBB98_601
; %bb.600:
	v_ashrrev_i32_e32 v107, 31, v106
	v_lshlrev_b64 v[114:115], 2, v[106:107]
	v_add_co_u32_e32 v114, vcc, v4, v114
	v_addc_co_u32_e32 v115, vcc, v5, v115, vcc
	flat_load_dword v107, v[114:115]
	flat_load_dword v109, v[4:5] offset:140
	s_waitcnt vmcnt(0) lgkmcnt(0)
	flat_store_dword v[4:5], v107 offset:140
	flat_store_dword v[114:115], v109
.LBB98_601:
	s_or_b64 exec, exec, s[14:15]
	v_mov_b32_e32 v107, v106
	v_mov_b32_e32 v109, v106
.LBB98_602:
	s_or_b64 exec, exec, s[2:3]
.LBB98_603:
	s_andn2_saveexec_b64 s[0:1], s[0:1]
	s_cbranch_execz .LBB98_605
; %bb.604:
	v_mov_b32_e32 v114, v30
	v_mov_b32_e32 v115, v31
	v_mov_b32_e32 v116, v26
	v_mov_b32_e32 v117, v27
	ds_write2_b64 v108, v[114:115], v[116:117] offset0:36 offset1:37
	v_mov_b32_e32 v114, v24
	v_mov_b32_e32 v115, v25
	v_mov_b32_e32 v116, v22
	v_mov_b32_e32 v117, v23
	ds_write2_b64 v108, v[114:115], v[116:117] offset0:38 offset1:39
	;; [unrolled: 5-line block ×6, first 2 shown]
	v_mov_b32_e32 v114, v0
	v_mov_b32_e32 v115, v1
	;; [unrolled: 1-line block ×3, first 2 shown]
	ds_write2_b64 v108, v[114:115], v[102:103] offset0:48 offset1:49
.LBB98_605:
	s_or_b64 exec, exec, s[0:1]
	v_cmp_lt_i32_e32 vcc, 35, v109
	s_waitcnt lgkmcnt(0)
	s_barrier
	s_and_saveexec_b64 s[0:1], vcc
	s_cbranch_execz .LBB98_607
; %bb.606:
	ds_read2_b64 v[114:117], v108 offset0:36 offset1:37
	ds_read2_b64 v[118:121], v108 offset0:38 offset1:39
	v_mul_f64 v[28:29], v[104:105], v[28:29]
	ds_read2_b64 v[122:125], v108 offset0:40 offset1:41
	s_waitcnt lgkmcnt(0)
	v_fma_f64 v[30:31], -v[28:29], v[114:115], v[30:31]
	v_fma_f64 v[26:27], -v[28:29], v[116:117], v[26:27]
	ds_read2_b64 v[114:117], v108 offset0:42 offset1:43
	v_fma_f64 v[24:25], -v[28:29], v[118:119], v[24:25]
	v_fma_f64 v[22:23], -v[28:29], v[120:121], v[22:23]
	;; [unrolled: 1-line block ×4, first 2 shown]
	ds_read2_b64 v[118:121], v108 offset0:44 offset1:45
	ds_read2_b64 v[122:125], v108 offset0:46 offset1:47
	s_waitcnt lgkmcnt(0)
	v_fma_f64 v[16:17], -v[28:29], v[114:115], v[16:17]
	v_fma_f64 v[14:15], -v[28:29], v[116:117], v[14:15]
	ds_read2_b64 v[114:117], v108 offset0:48 offset1:49
	v_fma_f64 v[12:13], -v[28:29], v[118:119], v[12:13]
	v_fma_f64 v[10:11], -v[28:29], v[120:121], v[10:11]
	;; [unrolled: 1-line block ×4, first 2 shown]
	s_waitcnt lgkmcnt(0)
	v_fma_f64 v[0:1], -v[28:29], v[114:115], v[0:1]
	v_fma_f64 v[102:103], -v[28:29], v[116:117], v[102:103]
.LBB98_607:
	s_or_b64 exec, exec, s[0:1]
	v_lshl_add_u32 v104, v109, 3, v108
	s_barrier
	ds_write_b64 v104, v[30:31]
	s_waitcnt lgkmcnt(0)
	s_barrier
	ds_read_b64 v[104:105], v108 offset:288
	s_cmp_lt_i32 s18, 38
	v_mov_b32_e32 v106, 36
	s_cbranch_scc1 .LBB98_610
; %bb.608:
	v_add_u32_e32 v113, 0x128, v108
	s_mov_b32 s0, 37
	v_mov_b32_e32 v106, 36
.LBB98_609:                             ; =>This Inner Loop Header: Depth=1
	ds_read_b64 v[114:115], v113
	v_mov_b32_e32 v116, s0
	s_add_i32 s0, s0, 1
	v_add_u32_e32 v113, 8, v113
	s_cmp_lg_u32 s18, s0
	s_waitcnt lgkmcnt(0)
	v_cmp_lt_f64_e64 vcc, |v[104:105]|, |v[114:115]|
	v_cndmask_b32_e32 v105, v105, v115, vcc
	v_cndmask_b32_e32 v104, v104, v114, vcc
	;; [unrolled: 1-line block ×3, first 2 shown]
	s_cbranch_scc1 .LBB98_609
.LBB98_610:
	s_waitcnt lgkmcnt(0)
	v_cmp_eq_f64_e32 vcc, 0, v[104:105]
	s_and_saveexec_b64 s[0:1], vcc
	s_xor_b64 s[0:1], exec, s[0:1]
; %bb.611:
	v_cmp_ne_u32_e32 vcc, 0, v112
	v_cndmask_b32_e32 v112, 37, v112, vcc
; %bb.612:
	s_andn2_saveexec_b64 s[0:1], s[0:1]
; %bb.613:
	v_div_scale_f64 v[114:115], s[2:3], v[104:105], v[104:105], 1.0
	v_rcp_f64_e32 v[116:117], v[114:115]
	v_div_scale_f64 v[118:119], vcc, 1.0, v[104:105], 1.0
	v_fma_f64 v[120:121], -v[114:115], v[116:117], 1.0
	v_fmac_f64_e32 v[116:117], v[116:117], v[120:121]
	v_fma_f64 v[120:121], -v[114:115], v[116:117], 1.0
	v_fmac_f64_e32 v[116:117], v[116:117], v[120:121]
	v_mul_f64 v[120:121], v[118:119], v[116:117]
	v_fma_f64 v[114:115], -v[114:115], v[120:121], v[118:119]
	v_div_fmas_f64 v[114:115], v[114:115], v[116:117], v[120:121]
	v_div_fixup_f64 v[104:105], v[114:115], v[104:105], 1.0
; %bb.614:
	s_or_b64 exec, exec, s[0:1]
	v_cmp_ne_u32_e32 vcc, v109, v106
	s_and_saveexec_b64 s[0:1], vcc
	s_xor_b64 s[0:1], exec, s[0:1]
	s_cbranch_execz .LBB98_620
; %bb.615:
	v_cmp_eq_u32_e32 vcc, 36, v109
	s_and_saveexec_b64 s[2:3], vcc
	s_cbranch_execz .LBB98_619
; %bb.616:
	v_cmp_ne_u32_e32 vcc, 36, v106
	s_xor_b64 s[14:15], s[6:7], -1
	s_and_b64 s[16:17], s[14:15], vcc
	s_and_saveexec_b64 s[14:15], s[16:17]
	s_cbranch_execz .LBB98_618
; %bb.617:
	v_ashrrev_i32_e32 v107, 31, v106
	v_lshlrev_b64 v[114:115], 2, v[106:107]
	v_add_co_u32_e32 v114, vcc, v4, v114
	v_addc_co_u32_e32 v115, vcc, v5, v115, vcc
	flat_load_dword v107, v[114:115]
	flat_load_dword v109, v[4:5] offset:144
	s_waitcnt vmcnt(0) lgkmcnt(0)
	flat_store_dword v[4:5], v107 offset:144
	flat_store_dword v[114:115], v109
.LBB98_618:
	s_or_b64 exec, exec, s[14:15]
	v_mov_b32_e32 v107, v106
	v_mov_b32_e32 v109, v106
.LBB98_619:
	s_or_b64 exec, exec, s[2:3]
.LBB98_620:
	s_andn2_saveexec_b64 s[0:1], s[0:1]
	s_cbranch_execz .LBB98_622
; %bb.621:
	v_mov_b32_e32 v109, 36
	ds_write2_b64 v108, v[26:27], v[24:25] offset0:37 offset1:38
	ds_write2_b64 v108, v[22:23], v[20:21] offset0:39 offset1:40
	;; [unrolled: 1-line block ×6, first 2 shown]
	ds_write_b64 v108, v[102:103] offset:392
.LBB98_622:
	s_or_b64 exec, exec, s[0:1]
	v_cmp_lt_i32_e32 vcc, 36, v109
	s_waitcnt lgkmcnt(0)
	s_barrier
	s_and_saveexec_b64 s[0:1], vcc
	s_cbranch_execz .LBB98_624
; %bb.623:
	ds_read2_b64 v[114:117], v108 offset0:37 offset1:38
	ds_read2_b64 v[118:121], v108 offset0:39 offset1:40
	;; [unrolled: 1-line block ×3, first 2 shown]
	v_mul_f64 v[30:31], v[104:105], v[30:31]
	ds_read_b64 v[104:105], v108 offset:392
	s_waitcnt lgkmcnt(0)
	v_fma_f64 v[26:27], -v[30:31], v[114:115], v[26:27]
	v_fma_f64 v[24:25], -v[30:31], v[116:117], v[24:25]
	ds_read2_b64 v[114:117], v108 offset0:43 offset1:44
	v_fma_f64 v[22:23], -v[30:31], v[118:119], v[22:23]
	v_fma_f64 v[20:21], -v[30:31], v[120:121], v[20:21]
	;; [unrolled: 1-line block ×4, first 2 shown]
	ds_read2_b64 v[118:121], v108 offset0:45 offset1:46
	ds_read2_b64 v[122:125], v108 offset0:47 offset1:48
	s_waitcnt lgkmcnt(0)
	v_fma_f64 v[14:15], -v[30:31], v[114:115], v[14:15]
	v_fma_f64 v[12:13], -v[30:31], v[116:117], v[12:13]
	;; [unrolled: 1-line block ×7, first 2 shown]
.LBB98_624:
	s_or_b64 exec, exec, s[0:1]
	v_lshl_add_u32 v104, v109, 3, v108
	s_barrier
	ds_write_b64 v104, v[26:27]
	s_waitcnt lgkmcnt(0)
	s_barrier
	ds_read_b64 v[104:105], v108 offset:296
	s_cmp_lt_i32 s18, 39
	v_mov_b32_e32 v106, 37
	s_cbranch_scc1 .LBB98_627
; %bb.625:
	v_add_u32_e32 v113, 0x130, v108
	s_mov_b32 s0, 38
	v_mov_b32_e32 v106, 37
.LBB98_626:                             ; =>This Inner Loop Header: Depth=1
	ds_read_b64 v[114:115], v113
	v_mov_b32_e32 v116, s0
	s_add_i32 s0, s0, 1
	v_add_u32_e32 v113, 8, v113
	s_cmp_lg_u32 s18, s0
	s_waitcnt lgkmcnt(0)
	v_cmp_lt_f64_e64 vcc, |v[104:105]|, |v[114:115]|
	v_cndmask_b32_e32 v105, v105, v115, vcc
	v_cndmask_b32_e32 v104, v104, v114, vcc
	;; [unrolled: 1-line block ×3, first 2 shown]
	s_cbranch_scc1 .LBB98_626
.LBB98_627:
	s_waitcnt lgkmcnt(0)
	v_cmp_eq_f64_e32 vcc, 0, v[104:105]
	s_and_saveexec_b64 s[0:1], vcc
	s_xor_b64 s[0:1], exec, s[0:1]
; %bb.628:
	v_cmp_ne_u32_e32 vcc, 0, v112
	v_cndmask_b32_e32 v112, 38, v112, vcc
; %bb.629:
	s_andn2_saveexec_b64 s[0:1], s[0:1]
; %bb.630:
	v_div_scale_f64 v[114:115], s[2:3], v[104:105], v[104:105], 1.0
	v_rcp_f64_e32 v[116:117], v[114:115]
	v_div_scale_f64 v[118:119], vcc, 1.0, v[104:105], 1.0
	v_fma_f64 v[120:121], -v[114:115], v[116:117], 1.0
	v_fmac_f64_e32 v[116:117], v[116:117], v[120:121]
	v_fma_f64 v[120:121], -v[114:115], v[116:117], 1.0
	v_fmac_f64_e32 v[116:117], v[116:117], v[120:121]
	v_mul_f64 v[120:121], v[118:119], v[116:117]
	v_fma_f64 v[114:115], -v[114:115], v[120:121], v[118:119]
	v_div_fmas_f64 v[114:115], v[114:115], v[116:117], v[120:121]
	v_div_fixup_f64 v[104:105], v[114:115], v[104:105], 1.0
; %bb.631:
	s_or_b64 exec, exec, s[0:1]
	v_cmp_ne_u32_e32 vcc, v109, v106
	s_and_saveexec_b64 s[0:1], vcc
	s_xor_b64 s[0:1], exec, s[0:1]
	s_cbranch_execz .LBB98_637
; %bb.632:
	v_cmp_eq_u32_e32 vcc, 37, v109
	s_and_saveexec_b64 s[2:3], vcc
	s_cbranch_execz .LBB98_636
; %bb.633:
	v_cmp_ne_u32_e32 vcc, 37, v106
	s_xor_b64 s[14:15], s[6:7], -1
	s_and_b64 s[16:17], s[14:15], vcc
	s_and_saveexec_b64 s[14:15], s[16:17]
	s_cbranch_execz .LBB98_635
; %bb.634:
	v_ashrrev_i32_e32 v107, 31, v106
	v_lshlrev_b64 v[114:115], 2, v[106:107]
	v_add_co_u32_e32 v114, vcc, v4, v114
	v_addc_co_u32_e32 v115, vcc, v5, v115, vcc
	flat_load_dword v107, v[114:115]
	flat_load_dword v109, v[4:5] offset:148
	s_waitcnt vmcnt(0) lgkmcnt(0)
	flat_store_dword v[4:5], v107 offset:148
	flat_store_dword v[114:115], v109
.LBB98_635:
	s_or_b64 exec, exec, s[14:15]
	v_mov_b32_e32 v107, v106
	v_mov_b32_e32 v109, v106
.LBB98_636:
	s_or_b64 exec, exec, s[2:3]
.LBB98_637:
	s_andn2_saveexec_b64 s[0:1], s[0:1]
	s_cbranch_execz .LBB98_639
; %bb.638:
	v_mov_b32_e32 v114, v24
	v_mov_b32_e32 v115, v25
	v_mov_b32_e32 v116, v22
	v_mov_b32_e32 v117, v23
	ds_write2_b64 v108, v[114:115], v[116:117] offset0:38 offset1:39
	v_mov_b32_e32 v114, v20
	v_mov_b32_e32 v115, v21
	v_mov_b32_e32 v116, v18
	v_mov_b32_e32 v117, v19
	ds_write2_b64 v108, v[114:115], v[116:117] offset0:40 offset1:41
	;; [unrolled: 5-line block ×5, first 2 shown]
	v_mov_b32_e32 v114, v0
	v_mov_b32_e32 v115, v1
	;; [unrolled: 1-line block ×3, first 2 shown]
	ds_write2_b64 v108, v[114:115], v[102:103] offset0:48 offset1:49
.LBB98_639:
	s_or_b64 exec, exec, s[0:1]
	v_cmp_lt_i32_e32 vcc, 37, v109
	s_waitcnt lgkmcnt(0)
	s_barrier
	s_and_saveexec_b64 s[0:1], vcc
	s_cbranch_execz .LBB98_641
; %bb.640:
	ds_read2_b64 v[114:117], v108 offset0:38 offset1:39
	ds_read2_b64 v[118:121], v108 offset0:40 offset1:41
	;; [unrolled: 1-line block ×3, first 2 shown]
	v_mul_f64 v[26:27], v[104:105], v[26:27]
	s_waitcnt lgkmcnt(0)
	v_fma_f64 v[24:25], -v[26:27], v[114:115], v[24:25]
	v_fma_f64 v[22:23], -v[26:27], v[116:117], v[22:23]
	ds_read2_b64 v[114:117], v108 offset0:44 offset1:45
	v_fma_f64 v[20:21], -v[26:27], v[118:119], v[20:21]
	v_fma_f64 v[18:19], -v[26:27], v[120:121], v[18:19]
	;; [unrolled: 1-line block ×3, first 2 shown]
	ds_read2_b64 v[118:121], v108 offset0:46 offset1:47
	v_fma_f64 v[14:15], -v[26:27], v[124:125], v[14:15]
	ds_read2_b64 v[122:125], v108 offset0:48 offset1:49
	s_waitcnt lgkmcnt(0)
	v_fma_f64 v[12:13], -v[26:27], v[114:115], v[12:13]
	v_fma_f64 v[10:11], -v[26:27], v[116:117], v[10:11]
	;; [unrolled: 1-line block ×6, first 2 shown]
.LBB98_641:
	s_or_b64 exec, exec, s[0:1]
	v_lshl_add_u32 v104, v109, 3, v108
	s_barrier
	ds_write_b64 v104, v[24:25]
	s_waitcnt lgkmcnt(0)
	s_barrier
	ds_read_b64 v[104:105], v108 offset:304
	s_cmp_lt_i32 s18, 40
	v_mov_b32_e32 v106, 38
	s_cbranch_scc1 .LBB98_644
; %bb.642:
	v_add_u32_e32 v113, 0x138, v108
	s_mov_b32 s0, 39
	v_mov_b32_e32 v106, 38
.LBB98_643:                             ; =>This Inner Loop Header: Depth=1
	ds_read_b64 v[114:115], v113
	v_mov_b32_e32 v116, s0
	s_add_i32 s0, s0, 1
	v_add_u32_e32 v113, 8, v113
	s_cmp_lg_u32 s18, s0
	s_waitcnt lgkmcnt(0)
	v_cmp_lt_f64_e64 vcc, |v[104:105]|, |v[114:115]|
	v_cndmask_b32_e32 v105, v105, v115, vcc
	v_cndmask_b32_e32 v104, v104, v114, vcc
	;; [unrolled: 1-line block ×3, first 2 shown]
	s_cbranch_scc1 .LBB98_643
.LBB98_644:
	s_waitcnt lgkmcnt(0)
	v_cmp_eq_f64_e32 vcc, 0, v[104:105]
	s_and_saveexec_b64 s[0:1], vcc
	s_xor_b64 s[0:1], exec, s[0:1]
; %bb.645:
	v_cmp_ne_u32_e32 vcc, 0, v112
	v_cndmask_b32_e32 v112, 39, v112, vcc
; %bb.646:
	s_andn2_saveexec_b64 s[0:1], s[0:1]
; %bb.647:
	v_div_scale_f64 v[114:115], s[2:3], v[104:105], v[104:105], 1.0
	v_rcp_f64_e32 v[116:117], v[114:115]
	v_div_scale_f64 v[118:119], vcc, 1.0, v[104:105], 1.0
	v_fma_f64 v[120:121], -v[114:115], v[116:117], 1.0
	v_fmac_f64_e32 v[116:117], v[116:117], v[120:121]
	v_fma_f64 v[120:121], -v[114:115], v[116:117], 1.0
	v_fmac_f64_e32 v[116:117], v[116:117], v[120:121]
	v_mul_f64 v[120:121], v[118:119], v[116:117]
	v_fma_f64 v[114:115], -v[114:115], v[120:121], v[118:119]
	v_div_fmas_f64 v[114:115], v[114:115], v[116:117], v[120:121]
	v_div_fixup_f64 v[104:105], v[114:115], v[104:105], 1.0
; %bb.648:
	s_or_b64 exec, exec, s[0:1]
	v_cmp_ne_u32_e32 vcc, v109, v106
	s_and_saveexec_b64 s[0:1], vcc
	s_xor_b64 s[0:1], exec, s[0:1]
	s_cbranch_execz .LBB98_654
; %bb.649:
	v_cmp_eq_u32_e32 vcc, 38, v109
	s_and_saveexec_b64 s[2:3], vcc
	s_cbranch_execz .LBB98_653
; %bb.650:
	v_cmp_ne_u32_e32 vcc, 38, v106
	s_xor_b64 s[14:15], s[6:7], -1
	s_and_b64 s[16:17], s[14:15], vcc
	s_and_saveexec_b64 s[14:15], s[16:17]
	s_cbranch_execz .LBB98_652
; %bb.651:
	v_ashrrev_i32_e32 v107, 31, v106
	v_lshlrev_b64 v[114:115], 2, v[106:107]
	v_add_co_u32_e32 v114, vcc, v4, v114
	v_addc_co_u32_e32 v115, vcc, v5, v115, vcc
	flat_load_dword v107, v[114:115]
	flat_load_dword v109, v[4:5] offset:152
	s_waitcnt vmcnt(0) lgkmcnt(0)
	flat_store_dword v[4:5], v107 offset:152
	flat_store_dword v[114:115], v109
.LBB98_652:
	s_or_b64 exec, exec, s[14:15]
	v_mov_b32_e32 v107, v106
	v_mov_b32_e32 v109, v106
.LBB98_653:
	s_or_b64 exec, exec, s[2:3]
.LBB98_654:
	s_andn2_saveexec_b64 s[0:1], s[0:1]
	s_cbranch_execz .LBB98_656
; %bb.655:
	v_mov_b32_e32 v109, 38
	ds_write2_b64 v108, v[22:23], v[20:21] offset0:39 offset1:40
	ds_write2_b64 v108, v[18:19], v[16:17] offset0:41 offset1:42
	;; [unrolled: 1-line block ×5, first 2 shown]
	ds_write_b64 v108, v[102:103] offset:392
.LBB98_656:
	s_or_b64 exec, exec, s[0:1]
	v_cmp_lt_i32_e32 vcc, 38, v109
	s_waitcnt lgkmcnt(0)
	s_barrier
	s_and_saveexec_b64 s[0:1], vcc
	s_cbranch_execz .LBB98_658
; %bb.657:
	ds_read2_b64 v[114:117], v108 offset0:39 offset1:40
	ds_read2_b64 v[118:121], v108 offset0:41 offset1:42
	v_mul_f64 v[24:25], v[104:105], v[24:25]
	ds_read2_b64 v[122:125], v108 offset0:43 offset1:44
	ds_read_b64 v[104:105], v108 offset:392
	s_waitcnt lgkmcnt(0)
	v_fma_f64 v[22:23], -v[24:25], v[114:115], v[22:23]
	v_fma_f64 v[20:21], -v[24:25], v[116:117], v[20:21]
	ds_read2_b64 v[114:117], v108 offset0:45 offset1:46
	v_fma_f64 v[18:19], -v[24:25], v[118:119], v[18:19]
	v_fma_f64 v[16:17], -v[24:25], v[120:121], v[16:17]
	ds_read2_b64 v[118:121], v108 offset0:47 offset1:48
	v_fma_f64 v[14:15], -v[24:25], v[122:123], v[14:15]
	v_fma_f64 v[12:13], -v[24:25], v[124:125], v[12:13]
	s_waitcnt lgkmcnt(0)
	v_fma_f64 v[10:11], -v[24:25], v[114:115], v[10:11]
	v_fma_f64 v[8:9], -v[24:25], v[116:117], v[8:9]
	;; [unrolled: 1-line block ×5, first 2 shown]
.LBB98_658:
	s_or_b64 exec, exec, s[0:1]
	v_lshl_add_u32 v104, v109, 3, v108
	s_barrier
	ds_write_b64 v104, v[22:23]
	s_waitcnt lgkmcnt(0)
	s_barrier
	ds_read_b64 v[104:105], v108 offset:312
	s_cmp_lt_i32 s18, 41
	v_mov_b32_e32 v106, 39
	s_cbranch_scc1 .LBB98_661
; %bb.659:
	v_add_u32_e32 v113, 0x140, v108
	s_mov_b32 s0, 40
	v_mov_b32_e32 v106, 39
.LBB98_660:                             ; =>This Inner Loop Header: Depth=1
	ds_read_b64 v[114:115], v113
	v_mov_b32_e32 v116, s0
	s_add_i32 s0, s0, 1
	v_add_u32_e32 v113, 8, v113
	s_cmp_lg_u32 s18, s0
	s_waitcnt lgkmcnt(0)
	v_cmp_lt_f64_e64 vcc, |v[104:105]|, |v[114:115]|
	v_cndmask_b32_e32 v105, v105, v115, vcc
	v_cndmask_b32_e32 v104, v104, v114, vcc
	v_cndmask_b32_e32 v106, v106, v116, vcc
	s_cbranch_scc1 .LBB98_660
.LBB98_661:
	s_waitcnt lgkmcnt(0)
	v_cmp_eq_f64_e32 vcc, 0, v[104:105]
	s_and_saveexec_b64 s[0:1], vcc
	s_xor_b64 s[0:1], exec, s[0:1]
; %bb.662:
	v_cmp_ne_u32_e32 vcc, 0, v112
	v_cndmask_b32_e32 v112, 40, v112, vcc
; %bb.663:
	s_andn2_saveexec_b64 s[0:1], s[0:1]
; %bb.664:
	v_div_scale_f64 v[114:115], s[2:3], v[104:105], v[104:105], 1.0
	v_rcp_f64_e32 v[116:117], v[114:115]
	v_div_scale_f64 v[118:119], vcc, 1.0, v[104:105], 1.0
	v_fma_f64 v[120:121], -v[114:115], v[116:117], 1.0
	v_fmac_f64_e32 v[116:117], v[116:117], v[120:121]
	v_fma_f64 v[120:121], -v[114:115], v[116:117], 1.0
	v_fmac_f64_e32 v[116:117], v[116:117], v[120:121]
	v_mul_f64 v[120:121], v[118:119], v[116:117]
	v_fma_f64 v[114:115], -v[114:115], v[120:121], v[118:119]
	v_div_fmas_f64 v[114:115], v[114:115], v[116:117], v[120:121]
	v_div_fixup_f64 v[104:105], v[114:115], v[104:105], 1.0
; %bb.665:
	s_or_b64 exec, exec, s[0:1]
	v_cmp_ne_u32_e32 vcc, v109, v106
	s_and_saveexec_b64 s[0:1], vcc
	s_xor_b64 s[0:1], exec, s[0:1]
	s_cbranch_execz .LBB98_671
; %bb.666:
	v_cmp_eq_u32_e32 vcc, 39, v109
	s_and_saveexec_b64 s[2:3], vcc
	s_cbranch_execz .LBB98_670
; %bb.667:
	v_cmp_ne_u32_e32 vcc, 39, v106
	s_xor_b64 s[14:15], s[6:7], -1
	s_and_b64 s[16:17], s[14:15], vcc
	s_and_saveexec_b64 s[14:15], s[16:17]
	s_cbranch_execz .LBB98_669
; %bb.668:
	v_ashrrev_i32_e32 v107, 31, v106
	v_lshlrev_b64 v[114:115], 2, v[106:107]
	v_add_co_u32_e32 v114, vcc, v4, v114
	v_addc_co_u32_e32 v115, vcc, v5, v115, vcc
	flat_load_dword v107, v[114:115]
	flat_load_dword v109, v[4:5] offset:156
	s_waitcnt vmcnt(0) lgkmcnt(0)
	flat_store_dword v[4:5], v107 offset:156
	flat_store_dword v[114:115], v109
.LBB98_669:
	s_or_b64 exec, exec, s[14:15]
	v_mov_b32_e32 v107, v106
	v_mov_b32_e32 v109, v106
.LBB98_670:
	s_or_b64 exec, exec, s[2:3]
.LBB98_671:
	s_andn2_saveexec_b64 s[0:1], s[0:1]
	s_cbranch_execz .LBB98_673
; %bb.672:
	v_mov_b32_e32 v114, v20
	v_mov_b32_e32 v115, v21
	v_mov_b32_e32 v116, v18
	v_mov_b32_e32 v117, v19
	ds_write2_b64 v108, v[114:115], v[116:117] offset0:40 offset1:41
	v_mov_b32_e32 v114, v16
	v_mov_b32_e32 v115, v17
	v_mov_b32_e32 v116, v14
	v_mov_b32_e32 v117, v15
	ds_write2_b64 v108, v[114:115], v[116:117] offset0:42 offset1:43
	v_mov_b32_e32 v114, v12
	v_mov_b32_e32 v115, v13
	v_mov_b32_e32 v116, v10
	v_mov_b32_e32 v117, v11
	ds_write2_b64 v108, v[114:115], v[116:117] offset0:44 offset1:45
	v_mov_b32_e32 v114, v8
	v_mov_b32_e32 v115, v9
	v_mov_b32_e32 v116, v6
	v_mov_b32_e32 v117, v7
	ds_write2_b64 v108, v[114:115], v[116:117] offset0:46 offset1:47
	v_mov_b32_e32 v114, v0
	v_mov_b32_e32 v115, v1
	v_mov_b32_e32 v109, 39
	ds_write2_b64 v108, v[114:115], v[102:103] offset0:48 offset1:49
.LBB98_673:
	s_or_b64 exec, exec, s[0:1]
	v_cmp_lt_i32_e32 vcc, 39, v109
	s_waitcnt lgkmcnt(0)
	s_barrier
	s_and_saveexec_b64 s[0:1], vcc
	s_cbranch_execz .LBB98_675
; %bb.674:
	ds_read2_b64 v[114:117], v108 offset0:40 offset1:41
	ds_read2_b64 v[118:121], v108 offset0:42 offset1:43
	v_mul_f64 v[22:23], v[104:105], v[22:23]
	ds_read2_b64 v[122:125], v108 offset0:46 offset1:47
	s_waitcnt lgkmcnt(0)
	v_fma_f64 v[20:21], -v[22:23], v[114:115], v[20:21]
	v_fma_f64 v[18:19], -v[22:23], v[116:117], v[18:19]
	ds_read2_b64 v[114:117], v108 offset0:44 offset1:45
	v_fma_f64 v[16:17], -v[22:23], v[118:119], v[16:17]
	v_fma_f64 v[14:15], -v[22:23], v[120:121], v[14:15]
	ds_read2_b64 v[118:121], v108 offset0:48 offset1:49
	v_fma_f64 v[8:9], -v[22:23], v[122:123], v[8:9]
	s_waitcnt lgkmcnt(0)
	v_fma_f64 v[12:13], -v[22:23], v[114:115], v[12:13]
	v_fma_f64 v[10:11], -v[22:23], v[116:117], v[10:11]
	;; [unrolled: 1-line block ×5, first 2 shown]
.LBB98_675:
	s_or_b64 exec, exec, s[0:1]
	v_lshl_add_u32 v104, v109, 3, v108
	s_barrier
	ds_write_b64 v104, v[20:21]
	s_waitcnt lgkmcnt(0)
	s_barrier
	ds_read_b64 v[104:105], v108 offset:320
	s_cmp_lt_i32 s18, 42
	v_mov_b32_e32 v106, 40
	s_cbranch_scc1 .LBB98_678
; %bb.676:
	v_add_u32_e32 v113, 0x148, v108
	s_mov_b32 s0, 41
	v_mov_b32_e32 v106, 40
.LBB98_677:                             ; =>This Inner Loop Header: Depth=1
	ds_read_b64 v[114:115], v113
	v_mov_b32_e32 v116, s0
	s_add_i32 s0, s0, 1
	v_add_u32_e32 v113, 8, v113
	s_cmp_lg_u32 s18, s0
	s_waitcnt lgkmcnt(0)
	v_cmp_lt_f64_e64 vcc, |v[104:105]|, |v[114:115]|
	v_cndmask_b32_e32 v105, v105, v115, vcc
	v_cndmask_b32_e32 v104, v104, v114, vcc
	;; [unrolled: 1-line block ×3, first 2 shown]
	s_cbranch_scc1 .LBB98_677
.LBB98_678:
	s_waitcnt lgkmcnt(0)
	v_cmp_eq_f64_e32 vcc, 0, v[104:105]
	s_and_saveexec_b64 s[0:1], vcc
	s_xor_b64 s[0:1], exec, s[0:1]
; %bb.679:
	v_cmp_ne_u32_e32 vcc, 0, v112
	v_cndmask_b32_e32 v112, 41, v112, vcc
; %bb.680:
	s_andn2_saveexec_b64 s[0:1], s[0:1]
; %bb.681:
	v_div_scale_f64 v[114:115], s[2:3], v[104:105], v[104:105], 1.0
	v_rcp_f64_e32 v[116:117], v[114:115]
	v_div_scale_f64 v[118:119], vcc, 1.0, v[104:105], 1.0
	v_fma_f64 v[120:121], -v[114:115], v[116:117], 1.0
	v_fmac_f64_e32 v[116:117], v[116:117], v[120:121]
	v_fma_f64 v[120:121], -v[114:115], v[116:117], 1.0
	v_fmac_f64_e32 v[116:117], v[116:117], v[120:121]
	v_mul_f64 v[120:121], v[118:119], v[116:117]
	v_fma_f64 v[114:115], -v[114:115], v[120:121], v[118:119]
	v_div_fmas_f64 v[114:115], v[114:115], v[116:117], v[120:121]
	v_div_fixup_f64 v[104:105], v[114:115], v[104:105], 1.0
; %bb.682:
	s_or_b64 exec, exec, s[0:1]
	v_cmp_ne_u32_e32 vcc, v109, v106
	s_and_saveexec_b64 s[0:1], vcc
	s_xor_b64 s[0:1], exec, s[0:1]
	s_cbranch_execz .LBB98_688
; %bb.683:
	v_cmp_eq_u32_e32 vcc, 40, v109
	s_and_saveexec_b64 s[2:3], vcc
	s_cbranch_execz .LBB98_687
; %bb.684:
	v_cmp_ne_u32_e32 vcc, 40, v106
	s_xor_b64 s[14:15], s[6:7], -1
	s_and_b64 s[16:17], s[14:15], vcc
	s_and_saveexec_b64 s[14:15], s[16:17]
	s_cbranch_execz .LBB98_686
; %bb.685:
	v_ashrrev_i32_e32 v107, 31, v106
	v_lshlrev_b64 v[114:115], 2, v[106:107]
	v_add_co_u32_e32 v114, vcc, v4, v114
	v_addc_co_u32_e32 v115, vcc, v5, v115, vcc
	flat_load_dword v107, v[114:115]
	flat_load_dword v109, v[4:5] offset:160
	s_waitcnt vmcnt(0) lgkmcnt(0)
	flat_store_dword v[4:5], v107 offset:160
	flat_store_dword v[114:115], v109
.LBB98_686:
	s_or_b64 exec, exec, s[14:15]
	v_mov_b32_e32 v107, v106
	v_mov_b32_e32 v109, v106
.LBB98_687:
	s_or_b64 exec, exec, s[2:3]
.LBB98_688:
	s_andn2_saveexec_b64 s[0:1], s[0:1]
	s_cbranch_execz .LBB98_690
; %bb.689:
	v_mov_b32_e32 v109, 40
	ds_write2_b64 v108, v[18:19], v[16:17] offset0:41 offset1:42
	ds_write2_b64 v108, v[14:15], v[12:13] offset0:43 offset1:44
	;; [unrolled: 1-line block ×4, first 2 shown]
	ds_write_b64 v108, v[102:103] offset:392
.LBB98_690:
	s_or_b64 exec, exec, s[0:1]
	v_cmp_lt_i32_e32 vcc, 40, v109
	s_waitcnt lgkmcnt(0)
	s_barrier
	s_and_saveexec_b64 s[0:1], vcc
	s_cbranch_execz .LBB98_692
; %bb.691:
	ds_read2_b64 v[114:117], v108 offset0:41 offset1:42
	ds_read2_b64 v[118:121], v108 offset0:43 offset1:44
	v_mul_f64 v[20:21], v[104:105], v[20:21]
	ds_read_b64 v[104:105], v108 offset:392
	ds_read2_b64 v[122:125], v108 offset0:47 offset1:48
	s_waitcnt lgkmcnt(0)
	v_fma_f64 v[18:19], -v[20:21], v[114:115], v[18:19]
	v_fma_f64 v[16:17], -v[20:21], v[116:117], v[16:17]
	ds_read2_b64 v[114:117], v108 offset0:45 offset1:46
	v_fma_f64 v[14:15], -v[20:21], v[118:119], v[14:15]
	v_fma_f64 v[12:13], -v[20:21], v[120:121], v[12:13]
	;; [unrolled: 1-line block ×4, first 2 shown]
	s_waitcnt lgkmcnt(0)
	v_fma_f64 v[10:11], -v[20:21], v[114:115], v[10:11]
	v_fma_f64 v[8:9], -v[20:21], v[116:117], v[8:9]
	;; [unrolled: 1-line block ×3, first 2 shown]
.LBB98_692:
	s_or_b64 exec, exec, s[0:1]
	v_lshl_add_u32 v104, v109, 3, v108
	s_barrier
	ds_write_b64 v104, v[18:19]
	s_waitcnt lgkmcnt(0)
	s_barrier
	ds_read_b64 v[104:105], v108 offset:328
	s_cmp_lt_i32 s18, 43
	v_mov_b32_e32 v106, 41
	s_cbranch_scc1 .LBB98_695
; %bb.693:
	v_add_u32_e32 v113, 0x150, v108
	s_mov_b32 s0, 42
	v_mov_b32_e32 v106, 41
.LBB98_694:                             ; =>This Inner Loop Header: Depth=1
	ds_read_b64 v[114:115], v113
	v_mov_b32_e32 v116, s0
	s_add_i32 s0, s0, 1
	v_add_u32_e32 v113, 8, v113
	s_cmp_lg_u32 s18, s0
	s_waitcnt lgkmcnt(0)
	v_cmp_lt_f64_e64 vcc, |v[104:105]|, |v[114:115]|
	v_cndmask_b32_e32 v105, v105, v115, vcc
	v_cndmask_b32_e32 v104, v104, v114, vcc
	;; [unrolled: 1-line block ×3, first 2 shown]
	s_cbranch_scc1 .LBB98_694
.LBB98_695:
	s_waitcnt lgkmcnt(0)
	v_cmp_eq_f64_e32 vcc, 0, v[104:105]
	s_and_saveexec_b64 s[0:1], vcc
	s_xor_b64 s[0:1], exec, s[0:1]
; %bb.696:
	v_cmp_ne_u32_e32 vcc, 0, v112
	v_cndmask_b32_e32 v112, 42, v112, vcc
; %bb.697:
	s_andn2_saveexec_b64 s[0:1], s[0:1]
; %bb.698:
	v_div_scale_f64 v[114:115], s[2:3], v[104:105], v[104:105], 1.0
	v_rcp_f64_e32 v[116:117], v[114:115]
	v_div_scale_f64 v[118:119], vcc, 1.0, v[104:105], 1.0
	v_fma_f64 v[120:121], -v[114:115], v[116:117], 1.0
	v_fmac_f64_e32 v[116:117], v[116:117], v[120:121]
	v_fma_f64 v[120:121], -v[114:115], v[116:117], 1.0
	v_fmac_f64_e32 v[116:117], v[116:117], v[120:121]
	v_mul_f64 v[120:121], v[118:119], v[116:117]
	v_fma_f64 v[114:115], -v[114:115], v[120:121], v[118:119]
	v_div_fmas_f64 v[114:115], v[114:115], v[116:117], v[120:121]
	v_div_fixup_f64 v[104:105], v[114:115], v[104:105], 1.0
; %bb.699:
	s_or_b64 exec, exec, s[0:1]
	v_cmp_ne_u32_e32 vcc, v109, v106
	s_and_saveexec_b64 s[0:1], vcc
	s_xor_b64 s[0:1], exec, s[0:1]
	s_cbranch_execz .LBB98_705
; %bb.700:
	v_cmp_eq_u32_e32 vcc, 41, v109
	s_and_saveexec_b64 s[2:3], vcc
	s_cbranch_execz .LBB98_704
; %bb.701:
	v_cmp_ne_u32_e32 vcc, 41, v106
	s_xor_b64 s[14:15], s[6:7], -1
	s_and_b64 s[16:17], s[14:15], vcc
	s_and_saveexec_b64 s[14:15], s[16:17]
	s_cbranch_execz .LBB98_703
; %bb.702:
	v_ashrrev_i32_e32 v107, 31, v106
	v_lshlrev_b64 v[114:115], 2, v[106:107]
	v_add_co_u32_e32 v114, vcc, v4, v114
	v_addc_co_u32_e32 v115, vcc, v5, v115, vcc
	flat_load_dword v107, v[114:115]
	flat_load_dword v109, v[4:5] offset:164
	s_waitcnt vmcnt(0) lgkmcnt(0)
	flat_store_dword v[4:5], v107 offset:164
	flat_store_dword v[114:115], v109
.LBB98_703:
	s_or_b64 exec, exec, s[14:15]
	v_mov_b32_e32 v107, v106
	v_mov_b32_e32 v109, v106
.LBB98_704:
	s_or_b64 exec, exec, s[2:3]
.LBB98_705:
	s_andn2_saveexec_b64 s[0:1], s[0:1]
	s_cbranch_execz .LBB98_707
; %bb.706:
	v_mov_b32_e32 v114, v16
	v_mov_b32_e32 v115, v17
	v_mov_b32_e32 v116, v14
	v_mov_b32_e32 v117, v15
	ds_write2_b64 v108, v[114:115], v[116:117] offset0:42 offset1:43
	v_mov_b32_e32 v114, v12
	v_mov_b32_e32 v115, v13
	v_mov_b32_e32 v116, v10
	v_mov_b32_e32 v117, v11
	ds_write2_b64 v108, v[114:115], v[116:117] offset0:44 offset1:45
	;; [unrolled: 5-line block ×3, first 2 shown]
	v_mov_b32_e32 v114, v0
	v_mov_b32_e32 v115, v1
	;; [unrolled: 1-line block ×3, first 2 shown]
	ds_write2_b64 v108, v[114:115], v[102:103] offset0:48 offset1:49
.LBB98_707:
	s_or_b64 exec, exec, s[0:1]
	v_cmp_lt_i32_e32 vcc, 41, v109
	s_waitcnt lgkmcnt(0)
	s_barrier
	s_and_saveexec_b64 s[0:1], vcc
	s_cbranch_execz .LBB98_709
; %bb.708:
	ds_read2_b64 v[114:117], v108 offset0:42 offset1:43
	ds_read2_b64 v[118:121], v108 offset0:44 offset1:45
	v_mul_f64 v[18:19], v[104:105], v[18:19]
	ds_read2_b64 v[122:125], v108 offset0:46 offset1:47
	s_waitcnt lgkmcnt(0)
	v_fma_f64 v[16:17], -v[18:19], v[114:115], v[16:17]
	v_fma_f64 v[14:15], -v[18:19], v[116:117], v[14:15]
	ds_read2_b64 v[114:117], v108 offset0:48 offset1:49
	v_fma_f64 v[12:13], -v[18:19], v[118:119], v[12:13]
	v_fma_f64 v[10:11], -v[18:19], v[120:121], v[10:11]
	;; [unrolled: 1-line block ×4, first 2 shown]
	s_waitcnt lgkmcnt(0)
	v_fma_f64 v[0:1], -v[18:19], v[114:115], v[0:1]
	v_fma_f64 v[102:103], -v[18:19], v[116:117], v[102:103]
.LBB98_709:
	s_or_b64 exec, exec, s[0:1]
	v_lshl_add_u32 v104, v109, 3, v108
	s_barrier
	ds_write_b64 v104, v[16:17]
	s_waitcnt lgkmcnt(0)
	s_barrier
	ds_read_b64 v[104:105], v108 offset:336
	s_cmp_lt_i32 s18, 44
	v_mov_b32_e32 v106, 42
	s_cbranch_scc1 .LBB98_712
; %bb.710:
	v_add_u32_e32 v113, 0x158, v108
	s_mov_b32 s0, 43
	v_mov_b32_e32 v106, 42
.LBB98_711:                             ; =>This Inner Loop Header: Depth=1
	ds_read_b64 v[114:115], v113
	v_mov_b32_e32 v116, s0
	s_add_i32 s0, s0, 1
	v_add_u32_e32 v113, 8, v113
	s_cmp_lg_u32 s18, s0
	s_waitcnt lgkmcnt(0)
	v_cmp_lt_f64_e64 vcc, |v[104:105]|, |v[114:115]|
	v_cndmask_b32_e32 v105, v105, v115, vcc
	v_cndmask_b32_e32 v104, v104, v114, vcc
	;; [unrolled: 1-line block ×3, first 2 shown]
	s_cbranch_scc1 .LBB98_711
.LBB98_712:
	s_waitcnt lgkmcnt(0)
	v_cmp_eq_f64_e32 vcc, 0, v[104:105]
	s_and_saveexec_b64 s[0:1], vcc
	s_xor_b64 s[0:1], exec, s[0:1]
; %bb.713:
	v_cmp_ne_u32_e32 vcc, 0, v112
	v_cndmask_b32_e32 v112, 43, v112, vcc
; %bb.714:
	s_andn2_saveexec_b64 s[0:1], s[0:1]
; %bb.715:
	v_div_scale_f64 v[114:115], s[2:3], v[104:105], v[104:105], 1.0
	v_rcp_f64_e32 v[116:117], v[114:115]
	v_div_scale_f64 v[118:119], vcc, 1.0, v[104:105], 1.0
	v_fma_f64 v[120:121], -v[114:115], v[116:117], 1.0
	v_fmac_f64_e32 v[116:117], v[116:117], v[120:121]
	v_fma_f64 v[120:121], -v[114:115], v[116:117], 1.0
	v_fmac_f64_e32 v[116:117], v[116:117], v[120:121]
	v_mul_f64 v[120:121], v[118:119], v[116:117]
	v_fma_f64 v[114:115], -v[114:115], v[120:121], v[118:119]
	v_div_fmas_f64 v[114:115], v[114:115], v[116:117], v[120:121]
	v_div_fixup_f64 v[104:105], v[114:115], v[104:105], 1.0
; %bb.716:
	s_or_b64 exec, exec, s[0:1]
	v_cmp_ne_u32_e32 vcc, v109, v106
	s_and_saveexec_b64 s[0:1], vcc
	s_xor_b64 s[0:1], exec, s[0:1]
	s_cbranch_execz .LBB98_722
; %bb.717:
	v_cmp_eq_u32_e32 vcc, 42, v109
	s_and_saveexec_b64 s[2:3], vcc
	s_cbranch_execz .LBB98_721
; %bb.718:
	v_cmp_ne_u32_e32 vcc, 42, v106
	s_xor_b64 s[14:15], s[6:7], -1
	s_and_b64 s[16:17], s[14:15], vcc
	s_and_saveexec_b64 s[14:15], s[16:17]
	s_cbranch_execz .LBB98_720
; %bb.719:
	v_ashrrev_i32_e32 v107, 31, v106
	v_lshlrev_b64 v[114:115], 2, v[106:107]
	v_add_co_u32_e32 v114, vcc, v4, v114
	v_addc_co_u32_e32 v115, vcc, v5, v115, vcc
	flat_load_dword v107, v[114:115]
	flat_load_dword v109, v[4:5] offset:168
	s_waitcnt vmcnt(0) lgkmcnt(0)
	flat_store_dword v[4:5], v107 offset:168
	flat_store_dword v[114:115], v109
.LBB98_720:
	s_or_b64 exec, exec, s[14:15]
	v_mov_b32_e32 v107, v106
	v_mov_b32_e32 v109, v106
.LBB98_721:
	s_or_b64 exec, exec, s[2:3]
.LBB98_722:
	s_andn2_saveexec_b64 s[0:1], s[0:1]
	s_cbranch_execz .LBB98_724
; %bb.723:
	v_mov_b32_e32 v109, 42
	ds_write2_b64 v108, v[14:15], v[12:13] offset0:43 offset1:44
	ds_write2_b64 v108, v[10:11], v[8:9] offset0:45 offset1:46
	;; [unrolled: 1-line block ×3, first 2 shown]
	ds_write_b64 v108, v[102:103] offset:392
.LBB98_724:
	s_or_b64 exec, exec, s[0:1]
	v_cmp_lt_i32_e32 vcc, 42, v109
	s_waitcnt lgkmcnt(0)
	s_barrier
	s_and_saveexec_b64 s[0:1], vcc
	s_cbranch_execz .LBB98_726
; %bb.725:
	ds_read2_b64 v[114:117], v108 offset0:43 offset1:44
	ds_read2_b64 v[118:121], v108 offset0:45 offset1:46
	v_mul_f64 v[16:17], v[104:105], v[16:17]
	ds_read2_b64 v[122:125], v108 offset0:47 offset1:48
	ds_read_b64 v[104:105], v108 offset:392
	s_waitcnt lgkmcnt(0)
	v_fma_f64 v[14:15], -v[16:17], v[114:115], v[14:15]
	v_fma_f64 v[12:13], -v[16:17], v[116:117], v[12:13]
	;; [unrolled: 1-line block ×7, first 2 shown]
.LBB98_726:
	s_or_b64 exec, exec, s[0:1]
	v_lshl_add_u32 v104, v109, 3, v108
	s_barrier
	ds_write_b64 v104, v[14:15]
	s_waitcnt lgkmcnt(0)
	s_barrier
	ds_read_b64 v[104:105], v108 offset:344
	s_cmp_lt_i32 s18, 45
	v_mov_b32_e32 v106, 43
	s_cbranch_scc1 .LBB98_729
; %bb.727:
	v_add_u32_e32 v113, 0x160, v108
	s_mov_b32 s0, 44
	v_mov_b32_e32 v106, 43
.LBB98_728:                             ; =>This Inner Loop Header: Depth=1
	ds_read_b64 v[114:115], v113
	v_mov_b32_e32 v116, s0
	s_add_i32 s0, s0, 1
	v_add_u32_e32 v113, 8, v113
	s_cmp_lg_u32 s18, s0
	s_waitcnt lgkmcnt(0)
	v_cmp_lt_f64_e64 vcc, |v[104:105]|, |v[114:115]|
	v_cndmask_b32_e32 v105, v105, v115, vcc
	v_cndmask_b32_e32 v104, v104, v114, vcc
	;; [unrolled: 1-line block ×3, first 2 shown]
	s_cbranch_scc1 .LBB98_728
.LBB98_729:
	s_waitcnt lgkmcnt(0)
	v_cmp_eq_f64_e32 vcc, 0, v[104:105]
	s_and_saveexec_b64 s[0:1], vcc
	s_xor_b64 s[0:1], exec, s[0:1]
; %bb.730:
	v_cmp_ne_u32_e32 vcc, 0, v112
	v_cndmask_b32_e32 v112, 44, v112, vcc
; %bb.731:
	s_andn2_saveexec_b64 s[0:1], s[0:1]
; %bb.732:
	v_div_scale_f64 v[114:115], s[2:3], v[104:105], v[104:105], 1.0
	v_rcp_f64_e32 v[116:117], v[114:115]
	v_div_scale_f64 v[118:119], vcc, 1.0, v[104:105], 1.0
	v_fma_f64 v[120:121], -v[114:115], v[116:117], 1.0
	v_fmac_f64_e32 v[116:117], v[116:117], v[120:121]
	v_fma_f64 v[120:121], -v[114:115], v[116:117], 1.0
	v_fmac_f64_e32 v[116:117], v[116:117], v[120:121]
	v_mul_f64 v[120:121], v[118:119], v[116:117]
	v_fma_f64 v[114:115], -v[114:115], v[120:121], v[118:119]
	v_div_fmas_f64 v[114:115], v[114:115], v[116:117], v[120:121]
	v_div_fixup_f64 v[104:105], v[114:115], v[104:105], 1.0
; %bb.733:
	s_or_b64 exec, exec, s[0:1]
	v_cmp_ne_u32_e32 vcc, v109, v106
	s_and_saveexec_b64 s[0:1], vcc
	s_xor_b64 s[0:1], exec, s[0:1]
	s_cbranch_execz .LBB98_739
; %bb.734:
	v_cmp_eq_u32_e32 vcc, 43, v109
	s_and_saveexec_b64 s[2:3], vcc
	s_cbranch_execz .LBB98_738
; %bb.735:
	v_cmp_ne_u32_e32 vcc, 43, v106
	s_xor_b64 s[14:15], s[6:7], -1
	s_and_b64 s[16:17], s[14:15], vcc
	s_and_saveexec_b64 s[14:15], s[16:17]
	s_cbranch_execz .LBB98_737
; %bb.736:
	v_ashrrev_i32_e32 v107, 31, v106
	v_lshlrev_b64 v[114:115], 2, v[106:107]
	v_add_co_u32_e32 v114, vcc, v4, v114
	v_addc_co_u32_e32 v115, vcc, v5, v115, vcc
	flat_load_dword v107, v[114:115]
	flat_load_dword v109, v[4:5] offset:172
	s_waitcnt vmcnt(0) lgkmcnt(0)
	flat_store_dword v[4:5], v107 offset:172
	flat_store_dword v[114:115], v109
.LBB98_737:
	s_or_b64 exec, exec, s[14:15]
	v_mov_b32_e32 v107, v106
	v_mov_b32_e32 v109, v106
.LBB98_738:
	s_or_b64 exec, exec, s[2:3]
.LBB98_739:
	s_andn2_saveexec_b64 s[0:1], s[0:1]
	s_cbranch_execz .LBB98_741
; %bb.740:
	v_mov_b32_e32 v114, v12
	v_mov_b32_e32 v115, v13
	;; [unrolled: 1-line block ×4, first 2 shown]
	ds_write2_b64 v108, v[114:115], v[116:117] offset0:44 offset1:45
	v_mov_b32_e32 v114, v8
	v_mov_b32_e32 v115, v9
	;; [unrolled: 1-line block ×4, first 2 shown]
	ds_write2_b64 v108, v[114:115], v[116:117] offset0:46 offset1:47
	v_mov_b32_e32 v114, v0
	v_mov_b32_e32 v115, v1
	;; [unrolled: 1-line block ×3, first 2 shown]
	ds_write2_b64 v108, v[114:115], v[102:103] offset0:48 offset1:49
.LBB98_741:
	s_or_b64 exec, exec, s[0:1]
	v_cmp_lt_i32_e32 vcc, 43, v109
	s_waitcnt lgkmcnt(0)
	s_barrier
	s_and_saveexec_b64 s[0:1], vcc
	s_cbranch_execz .LBB98_743
; %bb.742:
	ds_read2_b64 v[114:117], v108 offset0:44 offset1:45
	ds_read2_b64 v[118:121], v108 offset0:46 offset1:47
	;; [unrolled: 1-line block ×3, first 2 shown]
	v_mul_f64 v[14:15], v[104:105], v[14:15]
	s_waitcnt lgkmcnt(0)
	v_fma_f64 v[12:13], -v[14:15], v[114:115], v[12:13]
	v_fma_f64 v[10:11], -v[14:15], v[116:117], v[10:11]
	v_fma_f64 v[8:9], -v[14:15], v[118:119], v[8:9]
	v_fma_f64 v[6:7], -v[14:15], v[120:121], v[6:7]
	v_fma_f64 v[0:1], -v[14:15], v[122:123], v[0:1]
	v_fma_f64 v[102:103], -v[14:15], v[124:125], v[102:103]
.LBB98_743:
	s_or_b64 exec, exec, s[0:1]
	v_lshl_add_u32 v104, v109, 3, v108
	s_barrier
	ds_write_b64 v104, v[12:13]
	s_waitcnt lgkmcnt(0)
	s_barrier
	ds_read_b64 v[104:105], v108 offset:352
	s_cmp_lt_i32 s18, 46
	v_mov_b32_e32 v106, 44
	s_cbranch_scc1 .LBB98_746
; %bb.744:
	v_add_u32_e32 v113, 0x168, v108
	s_mov_b32 s0, 45
	v_mov_b32_e32 v106, 44
.LBB98_745:                             ; =>This Inner Loop Header: Depth=1
	ds_read_b64 v[114:115], v113
	v_mov_b32_e32 v116, s0
	s_add_i32 s0, s0, 1
	v_add_u32_e32 v113, 8, v113
	s_cmp_lg_u32 s18, s0
	s_waitcnt lgkmcnt(0)
	v_cmp_lt_f64_e64 vcc, |v[104:105]|, |v[114:115]|
	v_cndmask_b32_e32 v105, v105, v115, vcc
	v_cndmask_b32_e32 v104, v104, v114, vcc
	;; [unrolled: 1-line block ×3, first 2 shown]
	s_cbranch_scc1 .LBB98_745
.LBB98_746:
	s_waitcnt lgkmcnt(0)
	v_cmp_eq_f64_e32 vcc, 0, v[104:105]
	s_and_saveexec_b64 s[0:1], vcc
	s_xor_b64 s[0:1], exec, s[0:1]
; %bb.747:
	v_cmp_ne_u32_e32 vcc, 0, v112
	v_cndmask_b32_e32 v112, 45, v112, vcc
; %bb.748:
	s_andn2_saveexec_b64 s[0:1], s[0:1]
; %bb.749:
	v_div_scale_f64 v[114:115], s[2:3], v[104:105], v[104:105], 1.0
	v_rcp_f64_e32 v[116:117], v[114:115]
	v_div_scale_f64 v[118:119], vcc, 1.0, v[104:105], 1.0
	v_fma_f64 v[120:121], -v[114:115], v[116:117], 1.0
	v_fmac_f64_e32 v[116:117], v[116:117], v[120:121]
	v_fma_f64 v[120:121], -v[114:115], v[116:117], 1.0
	v_fmac_f64_e32 v[116:117], v[116:117], v[120:121]
	v_mul_f64 v[120:121], v[118:119], v[116:117]
	v_fma_f64 v[114:115], -v[114:115], v[120:121], v[118:119]
	v_div_fmas_f64 v[114:115], v[114:115], v[116:117], v[120:121]
	v_div_fixup_f64 v[104:105], v[114:115], v[104:105], 1.0
; %bb.750:
	s_or_b64 exec, exec, s[0:1]
	v_cmp_ne_u32_e32 vcc, v109, v106
	s_and_saveexec_b64 s[0:1], vcc
	s_xor_b64 s[0:1], exec, s[0:1]
	s_cbranch_execz .LBB98_756
; %bb.751:
	v_cmp_eq_u32_e32 vcc, 44, v109
	s_and_saveexec_b64 s[2:3], vcc
	s_cbranch_execz .LBB98_755
; %bb.752:
	v_cmp_ne_u32_e32 vcc, 44, v106
	s_xor_b64 s[14:15], s[6:7], -1
	s_and_b64 s[16:17], s[14:15], vcc
	s_and_saveexec_b64 s[14:15], s[16:17]
	s_cbranch_execz .LBB98_754
; %bb.753:
	v_ashrrev_i32_e32 v107, 31, v106
	v_lshlrev_b64 v[114:115], 2, v[106:107]
	v_add_co_u32_e32 v114, vcc, v4, v114
	v_addc_co_u32_e32 v115, vcc, v5, v115, vcc
	flat_load_dword v107, v[114:115]
	flat_load_dword v109, v[4:5] offset:176
	s_waitcnt vmcnt(0) lgkmcnt(0)
	flat_store_dword v[4:5], v107 offset:176
	flat_store_dword v[114:115], v109
.LBB98_754:
	s_or_b64 exec, exec, s[14:15]
	v_mov_b32_e32 v107, v106
	v_mov_b32_e32 v109, v106
.LBB98_755:
	s_or_b64 exec, exec, s[2:3]
.LBB98_756:
	s_andn2_saveexec_b64 s[0:1], s[0:1]
	s_cbranch_execz .LBB98_758
; %bb.757:
	v_mov_b32_e32 v109, 44
	ds_write2_b64 v108, v[10:11], v[8:9] offset0:45 offset1:46
	ds_write2_b64 v108, v[6:7], v[0:1] offset0:47 offset1:48
	ds_write_b64 v108, v[102:103] offset:392
.LBB98_758:
	s_or_b64 exec, exec, s[0:1]
	v_cmp_lt_i32_e32 vcc, 44, v109
	s_waitcnt lgkmcnt(0)
	s_barrier
	s_and_saveexec_b64 s[0:1], vcc
	s_cbranch_execz .LBB98_760
; %bb.759:
	ds_read2_b64 v[114:117], v108 offset0:45 offset1:46
	ds_read2_b64 v[118:121], v108 offset0:47 offset1:48
	v_mul_f64 v[12:13], v[104:105], v[12:13]
	ds_read_b64 v[104:105], v108 offset:392
	s_waitcnt lgkmcnt(0)
	v_fma_f64 v[10:11], -v[12:13], v[114:115], v[10:11]
	v_fma_f64 v[8:9], -v[12:13], v[116:117], v[8:9]
	;; [unrolled: 1-line block ×5, first 2 shown]
.LBB98_760:
	s_or_b64 exec, exec, s[0:1]
	v_lshl_add_u32 v104, v109, 3, v108
	s_barrier
	ds_write_b64 v104, v[10:11]
	s_waitcnt lgkmcnt(0)
	s_barrier
	ds_read_b64 v[104:105], v108 offset:360
	s_cmp_lt_i32 s18, 47
	v_mov_b32_e32 v106, 45
	s_cbranch_scc1 .LBB98_763
; %bb.761:
	v_add_u32_e32 v113, 0x170, v108
	s_mov_b32 s0, 46
	v_mov_b32_e32 v106, 45
.LBB98_762:                             ; =>This Inner Loop Header: Depth=1
	ds_read_b64 v[114:115], v113
	v_mov_b32_e32 v116, s0
	s_add_i32 s0, s0, 1
	v_add_u32_e32 v113, 8, v113
	s_cmp_lg_u32 s18, s0
	s_waitcnt lgkmcnt(0)
	v_cmp_lt_f64_e64 vcc, |v[104:105]|, |v[114:115]|
	v_cndmask_b32_e32 v105, v105, v115, vcc
	v_cndmask_b32_e32 v104, v104, v114, vcc
	;; [unrolled: 1-line block ×3, first 2 shown]
	s_cbranch_scc1 .LBB98_762
.LBB98_763:
	s_waitcnt lgkmcnt(0)
	v_cmp_eq_f64_e32 vcc, 0, v[104:105]
	s_and_saveexec_b64 s[0:1], vcc
	s_xor_b64 s[0:1], exec, s[0:1]
; %bb.764:
	v_cmp_ne_u32_e32 vcc, 0, v112
	v_cndmask_b32_e32 v112, 46, v112, vcc
; %bb.765:
	s_andn2_saveexec_b64 s[0:1], s[0:1]
; %bb.766:
	v_div_scale_f64 v[114:115], s[2:3], v[104:105], v[104:105], 1.0
	v_rcp_f64_e32 v[116:117], v[114:115]
	v_div_scale_f64 v[118:119], vcc, 1.0, v[104:105], 1.0
	v_fma_f64 v[120:121], -v[114:115], v[116:117], 1.0
	v_fmac_f64_e32 v[116:117], v[116:117], v[120:121]
	v_fma_f64 v[120:121], -v[114:115], v[116:117], 1.0
	v_fmac_f64_e32 v[116:117], v[116:117], v[120:121]
	v_mul_f64 v[120:121], v[118:119], v[116:117]
	v_fma_f64 v[114:115], -v[114:115], v[120:121], v[118:119]
	v_div_fmas_f64 v[114:115], v[114:115], v[116:117], v[120:121]
	v_div_fixup_f64 v[104:105], v[114:115], v[104:105], 1.0
; %bb.767:
	s_or_b64 exec, exec, s[0:1]
	v_cmp_ne_u32_e32 vcc, v109, v106
	s_and_saveexec_b64 s[0:1], vcc
	s_xor_b64 s[0:1], exec, s[0:1]
	s_cbranch_execz .LBB98_773
; %bb.768:
	v_cmp_eq_u32_e32 vcc, 45, v109
	s_and_saveexec_b64 s[2:3], vcc
	s_cbranch_execz .LBB98_772
; %bb.769:
	v_cmp_ne_u32_e32 vcc, 45, v106
	s_xor_b64 s[14:15], s[6:7], -1
	s_and_b64 s[16:17], s[14:15], vcc
	s_and_saveexec_b64 s[14:15], s[16:17]
	s_cbranch_execz .LBB98_771
; %bb.770:
	v_ashrrev_i32_e32 v107, 31, v106
	v_lshlrev_b64 v[114:115], 2, v[106:107]
	v_add_co_u32_e32 v114, vcc, v4, v114
	v_addc_co_u32_e32 v115, vcc, v5, v115, vcc
	flat_load_dword v107, v[114:115]
	flat_load_dword v109, v[4:5] offset:180
	s_waitcnt vmcnt(0) lgkmcnt(0)
	flat_store_dword v[4:5], v107 offset:180
	flat_store_dword v[114:115], v109
.LBB98_771:
	s_or_b64 exec, exec, s[14:15]
	v_mov_b32_e32 v107, v106
	v_mov_b32_e32 v109, v106
.LBB98_772:
	s_or_b64 exec, exec, s[2:3]
.LBB98_773:
	s_andn2_saveexec_b64 s[0:1], s[0:1]
	s_cbranch_execz .LBB98_775
; %bb.774:
	v_mov_b32_e32 v114, v8
	v_mov_b32_e32 v115, v9
	;; [unrolled: 1-line block ×4, first 2 shown]
	ds_write2_b64 v108, v[114:115], v[116:117] offset0:46 offset1:47
	v_mov_b32_e32 v114, v0
	v_mov_b32_e32 v115, v1
	;; [unrolled: 1-line block ×3, first 2 shown]
	ds_write2_b64 v108, v[114:115], v[102:103] offset0:48 offset1:49
.LBB98_775:
	s_or_b64 exec, exec, s[0:1]
	v_cmp_lt_i32_e32 vcc, 45, v109
	s_waitcnt lgkmcnt(0)
	s_barrier
	s_and_saveexec_b64 s[0:1], vcc
	s_cbranch_execz .LBB98_777
; %bb.776:
	ds_read2_b64 v[114:117], v108 offset0:46 offset1:47
	ds_read2_b64 v[118:121], v108 offset0:48 offset1:49
	v_mul_f64 v[10:11], v[104:105], v[10:11]
	s_waitcnt lgkmcnt(0)
	v_fma_f64 v[8:9], -v[10:11], v[114:115], v[8:9]
	v_fma_f64 v[6:7], -v[10:11], v[116:117], v[6:7]
	v_fma_f64 v[0:1], -v[10:11], v[118:119], v[0:1]
	v_fma_f64 v[102:103], -v[10:11], v[120:121], v[102:103]
.LBB98_777:
	s_or_b64 exec, exec, s[0:1]
	v_lshl_add_u32 v104, v109, 3, v108
	s_barrier
	ds_write_b64 v104, v[8:9]
	s_waitcnt lgkmcnt(0)
	s_barrier
	ds_read_b64 v[104:105], v108 offset:368
	s_cmp_lt_i32 s18, 48
	v_mov_b32_e32 v106, 46
	s_cbranch_scc1 .LBB98_780
; %bb.778:
	v_add_u32_e32 v113, 0x178, v108
	s_mov_b32 s0, 47
	v_mov_b32_e32 v106, 46
.LBB98_779:                             ; =>This Inner Loop Header: Depth=1
	ds_read_b64 v[114:115], v113
	v_mov_b32_e32 v116, s0
	s_add_i32 s0, s0, 1
	v_add_u32_e32 v113, 8, v113
	s_cmp_lg_u32 s18, s0
	s_waitcnt lgkmcnt(0)
	v_cmp_lt_f64_e64 vcc, |v[104:105]|, |v[114:115]|
	v_cndmask_b32_e32 v105, v105, v115, vcc
	v_cndmask_b32_e32 v104, v104, v114, vcc
	;; [unrolled: 1-line block ×3, first 2 shown]
	s_cbranch_scc1 .LBB98_779
.LBB98_780:
	s_waitcnt lgkmcnt(0)
	v_cmp_eq_f64_e32 vcc, 0, v[104:105]
	s_and_saveexec_b64 s[0:1], vcc
	s_xor_b64 s[0:1], exec, s[0:1]
; %bb.781:
	v_cmp_ne_u32_e32 vcc, 0, v112
	v_cndmask_b32_e32 v112, 47, v112, vcc
; %bb.782:
	s_andn2_saveexec_b64 s[0:1], s[0:1]
; %bb.783:
	v_div_scale_f64 v[114:115], s[2:3], v[104:105], v[104:105], 1.0
	v_rcp_f64_e32 v[116:117], v[114:115]
	v_div_scale_f64 v[118:119], vcc, 1.0, v[104:105], 1.0
	v_fma_f64 v[120:121], -v[114:115], v[116:117], 1.0
	v_fmac_f64_e32 v[116:117], v[116:117], v[120:121]
	v_fma_f64 v[120:121], -v[114:115], v[116:117], 1.0
	v_fmac_f64_e32 v[116:117], v[116:117], v[120:121]
	v_mul_f64 v[120:121], v[118:119], v[116:117]
	v_fma_f64 v[114:115], -v[114:115], v[120:121], v[118:119]
	v_div_fmas_f64 v[114:115], v[114:115], v[116:117], v[120:121]
	v_div_fixup_f64 v[104:105], v[114:115], v[104:105], 1.0
; %bb.784:
	s_or_b64 exec, exec, s[0:1]
	v_cmp_ne_u32_e32 vcc, v109, v106
	s_and_saveexec_b64 s[0:1], vcc
	s_xor_b64 s[0:1], exec, s[0:1]
	s_cbranch_execz .LBB98_790
; %bb.785:
	v_cmp_eq_u32_e32 vcc, 46, v109
	s_and_saveexec_b64 s[2:3], vcc
	s_cbranch_execz .LBB98_789
; %bb.786:
	v_cmp_ne_u32_e32 vcc, 46, v106
	s_xor_b64 s[14:15], s[6:7], -1
	s_and_b64 s[16:17], s[14:15], vcc
	s_and_saveexec_b64 s[14:15], s[16:17]
	s_cbranch_execz .LBB98_788
; %bb.787:
	v_ashrrev_i32_e32 v107, 31, v106
	v_lshlrev_b64 v[114:115], 2, v[106:107]
	v_add_co_u32_e32 v114, vcc, v4, v114
	v_addc_co_u32_e32 v115, vcc, v5, v115, vcc
	flat_load_dword v107, v[114:115]
	flat_load_dword v109, v[4:5] offset:184
	s_waitcnt vmcnt(0) lgkmcnt(0)
	flat_store_dword v[4:5], v107 offset:184
	flat_store_dword v[114:115], v109
.LBB98_788:
	s_or_b64 exec, exec, s[14:15]
	v_mov_b32_e32 v107, v106
	v_mov_b32_e32 v109, v106
.LBB98_789:
	s_or_b64 exec, exec, s[2:3]
.LBB98_790:
	s_andn2_saveexec_b64 s[0:1], s[0:1]
	s_cbranch_execz .LBB98_792
; %bb.791:
	v_mov_b32_e32 v109, 46
	ds_write2_b64 v108, v[6:7], v[0:1] offset0:47 offset1:48
	ds_write_b64 v108, v[102:103] offset:392
.LBB98_792:
	s_or_b64 exec, exec, s[0:1]
	v_cmp_lt_i32_e32 vcc, 46, v109
	s_waitcnt lgkmcnt(0)
	s_barrier
	s_and_saveexec_b64 s[0:1], vcc
	s_cbranch_execz .LBB98_794
; %bb.793:
	ds_read2_b64 v[114:117], v108 offset0:47 offset1:48
	ds_read_b64 v[118:119], v108 offset:392
	v_mul_f64 v[8:9], v[104:105], v[8:9]
	s_waitcnt lgkmcnt(0)
	v_fma_f64 v[6:7], -v[8:9], v[114:115], v[6:7]
	v_fma_f64 v[0:1], -v[8:9], v[116:117], v[0:1]
	;; [unrolled: 1-line block ×3, first 2 shown]
.LBB98_794:
	s_or_b64 exec, exec, s[0:1]
	v_lshl_add_u32 v104, v109, 3, v108
	s_barrier
	ds_write_b64 v104, v[6:7]
	s_waitcnt lgkmcnt(0)
	s_barrier
	ds_read_b64 v[104:105], v108 offset:376
	s_cmp_lt_i32 s18, 49
	v_mov_b32_e32 v106, 47
	s_cbranch_scc1 .LBB98_797
; %bb.795:
	v_add_u32_e32 v113, 0x180, v108
	s_mov_b32 s0, 48
	v_mov_b32_e32 v106, 47
.LBB98_796:                             ; =>This Inner Loop Header: Depth=1
	ds_read_b64 v[114:115], v113
	v_mov_b32_e32 v116, s0
	s_add_i32 s0, s0, 1
	v_add_u32_e32 v113, 8, v113
	s_cmp_lg_u32 s18, s0
	s_waitcnt lgkmcnt(0)
	v_cmp_lt_f64_e64 vcc, |v[104:105]|, |v[114:115]|
	v_cndmask_b32_e32 v105, v105, v115, vcc
	v_cndmask_b32_e32 v104, v104, v114, vcc
	v_cndmask_b32_e32 v106, v106, v116, vcc
	s_cbranch_scc1 .LBB98_796
.LBB98_797:
	s_waitcnt lgkmcnt(0)
	v_cmp_eq_f64_e32 vcc, 0, v[104:105]
	s_and_saveexec_b64 s[0:1], vcc
	s_xor_b64 s[0:1], exec, s[0:1]
; %bb.798:
	v_cmp_ne_u32_e32 vcc, 0, v112
	v_cndmask_b32_e32 v112, 48, v112, vcc
; %bb.799:
	s_andn2_saveexec_b64 s[0:1], s[0:1]
; %bb.800:
	v_div_scale_f64 v[114:115], s[2:3], v[104:105], v[104:105], 1.0
	v_rcp_f64_e32 v[116:117], v[114:115]
	v_div_scale_f64 v[118:119], vcc, 1.0, v[104:105], 1.0
	v_fma_f64 v[120:121], -v[114:115], v[116:117], 1.0
	v_fmac_f64_e32 v[116:117], v[116:117], v[120:121]
	v_fma_f64 v[120:121], -v[114:115], v[116:117], 1.0
	v_fmac_f64_e32 v[116:117], v[116:117], v[120:121]
	v_mul_f64 v[120:121], v[118:119], v[116:117]
	v_fma_f64 v[114:115], -v[114:115], v[120:121], v[118:119]
	v_div_fmas_f64 v[114:115], v[114:115], v[116:117], v[120:121]
	v_div_fixup_f64 v[104:105], v[114:115], v[104:105], 1.0
; %bb.801:
	s_or_b64 exec, exec, s[0:1]
	v_cmp_ne_u32_e32 vcc, v109, v106
	s_and_saveexec_b64 s[0:1], vcc
	s_xor_b64 s[0:1], exec, s[0:1]
	s_cbranch_execz .LBB98_807
; %bb.802:
	v_cmp_eq_u32_e32 vcc, 47, v109
	s_and_saveexec_b64 s[2:3], vcc
	s_cbranch_execz .LBB98_806
; %bb.803:
	v_cmp_ne_u32_e32 vcc, 47, v106
	s_xor_b64 s[14:15], s[6:7], -1
	s_and_b64 s[16:17], s[14:15], vcc
	s_and_saveexec_b64 s[14:15], s[16:17]
	s_cbranch_execz .LBB98_805
; %bb.804:
	v_ashrrev_i32_e32 v107, 31, v106
	v_lshlrev_b64 v[114:115], 2, v[106:107]
	v_add_co_u32_e32 v114, vcc, v4, v114
	v_addc_co_u32_e32 v115, vcc, v5, v115, vcc
	flat_load_dword v107, v[114:115]
	flat_load_dword v109, v[4:5] offset:188
	s_waitcnt vmcnt(0) lgkmcnt(0)
	flat_store_dword v[4:5], v107 offset:188
	flat_store_dword v[114:115], v109
.LBB98_805:
	s_or_b64 exec, exec, s[14:15]
	v_mov_b32_e32 v107, v106
	v_mov_b32_e32 v109, v106
.LBB98_806:
	s_or_b64 exec, exec, s[2:3]
.LBB98_807:
	s_andn2_saveexec_b64 s[0:1], s[0:1]
	s_cbranch_execz .LBB98_809
; %bb.808:
	v_mov_b32_e32 v114, v0
	v_mov_b32_e32 v115, v1
	;; [unrolled: 1-line block ×3, first 2 shown]
	ds_write2_b64 v108, v[114:115], v[102:103] offset0:48 offset1:49
.LBB98_809:
	s_or_b64 exec, exec, s[0:1]
	v_cmp_lt_i32_e32 vcc, 47, v109
	s_waitcnt lgkmcnt(0)
	s_barrier
	s_and_saveexec_b64 s[0:1], vcc
	s_cbranch_execz .LBB98_811
; %bb.810:
	ds_read2_b64 v[114:117], v108 offset0:48 offset1:49
	v_mul_f64 v[6:7], v[104:105], v[6:7]
	s_waitcnt lgkmcnt(0)
	v_fma_f64 v[0:1], -v[6:7], v[114:115], v[0:1]
	v_fma_f64 v[102:103], -v[6:7], v[116:117], v[102:103]
.LBB98_811:
	s_or_b64 exec, exec, s[0:1]
	v_lshl_add_u32 v104, v109, 3, v108
	s_barrier
	ds_write_b64 v104, v[0:1]
	s_waitcnt lgkmcnt(0)
	s_barrier
	ds_read_b64 v[104:105], v108 offset:384
	s_cmp_lt_i32 s18, 50
	v_mov_b32_e32 v106, 48
	s_cbranch_scc1 .LBB98_814
; %bb.812:
	v_add_u32_e32 v113, 0x188, v108
	s_mov_b32 s0, 49
	v_mov_b32_e32 v106, 48
.LBB98_813:                             ; =>This Inner Loop Header: Depth=1
	ds_read_b64 v[114:115], v113
	v_mov_b32_e32 v116, s0
	s_add_i32 s0, s0, 1
	v_add_u32_e32 v113, 8, v113
	s_cmp_lg_u32 s18, s0
	s_waitcnt lgkmcnt(0)
	v_cmp_lt_f64_e64 vcc, |v[104:105]|, |v[114:115]|
	v_cndmask_b32_e32 v105, v105, v115, vcc
	v_cndmask_b32_e32 v104, v104, v114, vcc
	v_cndmask_b32_e32 v106, v106, v116, vcc
	s_cbranch_scc1 .LBB98_813
.LBB98_814:
	s_waitcnt lgkmcnt(0)
	v_cmp_eq_f64_e32 vcc, 0, v[104:105]
	s_and_saveexec_b64 s[0:1], vcc
	s_xor_b64 s[0:1], exec, s[0:1]
; %bb.815:
	v_cmp_ne_u32_e32 vcc, 0, v112
	v_cndmask_b32_e32 v112, 49, v112, vcc
; %bb.816:
	s_andn2_saveexec_b64 s[0:1], s[0:1]
; %bb.817:
	v_div_scale_f64 v[114:115], s[2:3], v[104:105], v[104:105], 1.0
	v_rcp_f64_e32 v[116:117], v[114:115]
	v_div_scale_f64 v[118:119], vcc, 1.0, v[104:105], 1.0
	v_fma_f64 v[120:121], -v[114:115], v[116:117], 1.0
	v_fmac_f64_e32 v[116:117], v[116:117], v[120:121]
	v_fma_f64 v[120:121], -v[114:115], v[116:117], 1.0
	v_fmac_f64_e32 v[116:117], v[116:117], v[120:121]
	v_mul_f64 v[120:121], v[118:119], v[116:117]
	v_fma_f64 v[114:115], -v[114:115], v[120:121], v[118:119]
	v_div_fmas_f64 v[114:115], v[114:115], v[116:117], v[120:121]
	v_div_fixup_f64 v[104:105], v[114:115], v[104:105], 1.0
; %bb.818:
	s_or_b64 exec, exec, s[0:1]
	v_cmp_ne_u32_e32 vcc, v109, v106
	s_and_saveexec_b64 s[0:1], vcc
	s_xor_b64 s[0:1], exec, s[0:1]
	s_cbranch_execz .LBB98_824
; %bb.819:
	v_cmp_eq_u32_e32 vcc, 48, v109
	s_and_saveexec_b64 s[2:3], vcc
	s_cbranch_execz .LBB98_823
; %bb.820:
	v_cmp_ne_u32_e32 vcc, 48, v106
	s_xor_b64 s[14:15], s[6:7], -1
	s_and_b64 s[16:17], s[14:15], vcc
	s_and_saveexec_b64 s[14:15], s[16:17]
	s_cbranch_execz .LBB98_822
; %bb.821:
	v_ashrrev_i32_e32 v107, 31, v106
	v_lshlrev_b64 v[114:115], 2, v[106:107]
	v_add_co_u32_e32 v114, vcc, v4, v114
	v_addc_co_u32_e32 v115, vcc, v5, v115, vcc
	flat_load_dword v107, v[114:115]
	flat_load_dword v109, v[4:5] offset:192
	s_waitcnt vmcnt(0) lgkmcnt(0)
	flat_store_dword v[4:5], v107 offset:192
	flat_store_dword v[114:115], v109
.LBB98_822:
	s_or_b64 exec, exec, s[14:15]
	v_mov_b32_e32 v107, v106
	v_mov_b32_e32 v109, v106
.LBB98_823:
	s_or_b64 exec, exec, s[2:3]
.LBB98_824:
	s_andn2_saveexec_b64 s[0:1], s[0:1]
	s_cbranch_execz .LBB98_826
; %bb.825:
	v_mov_b32_e32 v109, 48
	ds_write_b64 v108, v[102:103] offset:392
.LBB98_826:
	s_or_b64 exec, exec, s[0:1]
	v_cmp_lt_i32_e32 vcc, 48, v109
	s_waitcnt lgkmcnt(0)
	s_barrier
	s_and_saveexec_b64 s[0:1], vcc
	s_cbranch_execz .LBB98_828
; %bb.827:
	ds_read_b64 v[114:115], v108 offset:392
	v_mul_f64 v[0:1], v[104:105], v[0:1]
	s_waitcnt lgkmcnt(0)
	v_fma_f64 v[102:103], -v[0:1], v[114:115], v[102:103]
.LBB98_828:
	s_or_b64 exec, exec, s[0:1]
	v_lshl_add_u32 v104, v109, 3, v108
	s_barrier
	ds_write_b64 v104, v[102:103]
	s_waitcnt lgkmcnt(0)
	s_barrier
	ds_read_b64 v[104:105], v108 offset:392
	s_cmp_lt_i32 s18, 51
	v_mov_b32_e32 v106, 49
	s_cbranch_scc1 .LBB98_831
; %bb.829:
	v_add_u32_e32 v108, 0x190, v108
	s_mov_b32 s0, 50
	v_mov_b32_e32 v106, 49
.LBB98_830:                             ; =>This Inner Loop Header: Depth=1
	ds_read_b64 v[114:115], v108
	v_mov_b32_e32 v113, s0
	s_add_i32 s0, s0, 1
	v_add_u32_e32 v108, 8, v108
	s_cmp_lg_u32 s18, s0
	s_waitcnt lgkmcnt(0)
	v_cmp_lt_f64_e64 vcc, |v[104:105]|, |v[114:115]|
	v_cndmask_b32_e32 v105, v105, v115, vcc
	v_cndmask_b32_e32 v104, v104, v114, vcc
	;; [unrolled: 1-line block ×3, first 2 shown]
	s_cbranch_scc1 .LBB98_830
.LBB98_831:
	s_waitcnt lgkmcnt(0)
	v_cmp_eq_f64_e32 vcc, 0, v[104:105]
	s_and_saveexec_b64 s[0:1], vcc
	s_xor_b64 s[0:1], exec, s[0:1]
; %bb.832:
	v_cmp_ne_u32_e32 vcc, 0, v112
	v_cndmask_b32_e32 v112, 50, v112, vcc
; %bb.833:
	s_andn2_saveexec_b64 s[0:1], s[0:1]
; %bb.834:
	v_div_scale_f64 v[114:115], s[2:3], v[104:105], v[104:105], 1.0
	v_rcp_f64_e32 v[116:117], v[114:115]
	v_div_scale_f64 v[118:119], vcc, 1.0, v[104:105], 1.0
	v_fma_f64 v[120:121], -v[114:115], v[116:117], 1.0
	v_fmac_f64_e32 v[116:117], v[116:117], v[120:121]
	v_fma_f64 v[120:121], -v[114:115], v[116:117], 1.0
	v_fmac_f64_e32 v[116:117], v[116:117], v[120:121]
	v_mul_f64 v[120:121], v[118:119], v[116:117]
	v_fma_f64 v[114:115], -v[114:115], v[120:121], v[118:119]
	v_div_fmas_f64 v[114:115], v[114:115], v[116:117], v[120:121]
	v_div_fixup_f64 v[104:105], v[114:115], v[104:105], 1.0
; %bb.835:
	s_or_b64 exec, exec, s[0:1]
	v_cmp_ne_u32_e32 vcc, v109, v106
	v_mov_b32_e32 v108, 49
	s_and_saveexec_b64 s[0:1], vcc
	s_cbranch_execz .LBB98_841
; %bb.836:
	v_cmp_eq_u32_e32 vcc, 49, v109
	s_and_saveexec_b64 s[2:3], vcc
	s_cbranch_execz .LBB98_840
; %bb.837:
	v_cmp_ne_u32_e32 vcc, 49, v106
	s_xor_b64 s[6:7], s[6:7], -1
	s_and_b64 s[14:15], s[6:7], vcc
	s_and_saveexec_b64 s[6:7], s[14:15]
	s_cbranch_execz .LBB98_839
; %bb.838:
	v_ashrrev_i32_e32 v107, 31, v106
	v_lshlrev_b64 v[108:109], 2, v[106:107]
	v_add_co_u32_e32 v108, vcc, v4, v108
	v_addc_co_u32_e32 v109, vcc, v5, v109, vcc
	flat_load_dword v107, v[108:109]
	flat_load_dword v113, v[4:5] offset:196
	s_waitcnt vmcnt(0) lgkmcnt(0)
	flat_store_dword v[4:5], v107 offset:196
	flat_store_dword v[108:109], v113
.LBB98_839:
	s_or_b64 exec, exec, s[6:7]
	v_mov_b32_e32 v107, v106
	v_mov_b32_e32 v109, v106
.LBB98_840:
	s_or_b64 exec, exec, s[2:3]
	v_mov_b32_e32 v108, v109
.LBB98_841:
	s_or_b64 exec, exec, s[0:1]
	s_load_dwordx8 s[0:7], s[4:5], 0x28
	v_cmp_gt_i32_e32 vcc, 50, v108
	v_ashrrev_i32_e32 v109, 31, v108
	s_waitcnt lgkmcnt(0)
	s_barrier
	s_barrier
	s_and_saveexec_b64 s[14:15], vcc
	s_cbranch_execz .LBB98_843
; %bb.842:
	v_mul_lo_u32 v106, v3, s4
	v_mul_lo_u32 v113, v2, s5
	v_mad_u64_u32 v[4:5], s[4:5], v2, s4, 0
	s_lshl_b64 s[2:3], s[2:3], 2
	v_add3_u32 v5, v5, v113, v106
	s_add_u32 s0, s2, s0
	v_lshlrev_b64 v[4:5], 2, v[4:5]
	s_addc_u32 s1, s3, s1
	v_mov_b32_e32 v106, s1
	v_add_co_u32_e32 v113, vcc, s0, v4
	v_addc_co_u32_e32 v106, vcc, v106, v5, vcc
	v_lshlrev_b64 v[4:5], 2, v[108:109]
	v_add_co_u32_e32 v4, vcc, v113, v4
	v_addc_co_u32_e32 v5, vcc, v106, v5, vcc
	v_add3_u32 v106, v107, s13, 1
	global_store_dword v[4:5], v106, off
.LBB98_843:
	s_or_b64 exec, exec, s[14:15]
	v_cmp_eq_u32_e32 vcc, 0, v108
	s_and_saveexec_b64 s[2:3], vcc
	s_cbranch_execz .LBB98_846
; %bb.844:
	v_lshlrev_b64 v[2:3], 2, v[2:3]
	v_mov_b32_e32 v4, s7
	v_add_co_u32_e32 v2, vcc, s6, v2
	v_addc_co_u32_e32 v3, vcc, v4, v3, vcc
	global_load_dword v4, v[2:3], off
	v_cmp_lt_i32_e64 s[0:1], 0, v112
	s_waitcnt vmcnt(0)
	v_cmp_eq_u32_e32 vcc, 0, v4
	s_and_b64 s[0:1], vcc, s[0:1]
	s_and_b64 exec, exec, s[0:1]
	s_cbranch_execz .LBB98_846
; %bb.845:
	v_add_u32_e32 v4, s13, v112
	global_store_dword v[2:3], v4, off
.LBB98_846:
	s_or_b64 exec, exec, s[2:3]
	v_mul_f64 v[2:3], v[104:105], v[102:103]
	v_cmp_lt_i32_e32 vcc, 49, v108
	v_lshlrev_b64 v[4:5], 3, v[108:109]
	v_cndmask_b32_e32 v3, v103, v3, vcc
	v_cndmask_b32_e32 v2, v102, v2, vcc
	v_add_co_u32_e32 v4, vcc, v110, v4
	v_addc_co_u32_e32 v5, vcc, v111, v5, vcc
	global_store_dwordx2 v[4:5], v[98:99], off
	v_mov_b32_e32 v98, s11
	v_add_co_u32_e32 v4, vcc, s10, v4
	v_addc_co_u32_e32 v5, vcc, v5, v98, vcc
	global_store_dwordx2 v[4:5], v[100:101], off
	v_add_u32_e32 v4, s12, v108
	v_ashrrev_i32_e32 v5, 31, v4
	v_lshlrev_b64 v[98:99], 3, v[4:5]
	v_add_co_u32_e32 v98, vcc, v110, v98
	v_add_u32_e32 v4, s8, v4
	v_addc_co_u32_e32 v99, vcc, v111, v99, vcc
	v_ashrrev_i32_e32 v5, 31, v4
	global_store_dwordx2 v[98:99], v[96:97], off
	v_lshlrev_b64 v[96:97], 3, v[4:5]
	v_add_co_u32_e32 v96, vcc, v110, v96
	v_add_u32_e32 v4, s8, v4
	v_addc_co_u32_e32 v97, vcc, v111, v97, vcc
	v_ashrrev_i32_e32 v5, 31, v4
	global_store_dwordx2 v[96:97], v[94:95], off
	;; [unrolled: 6-line block ×46, first 2 shown]
	v_lshlrev_b64 v[6:7], 3, v[4:5]
	v_add_co_u32_e32 v6, vcc, v110, v6
	v_addc_co_u32_e32 v7, vcc, v111, v7, vcc
	global_store_dwordx2 v[6:7], v[0:1], off
	v_add_u32_e32 v0, s8, v4
	v_ashrrev_i32_e32 v1, 31, v0
	v_lshlrev_b64 v[0:1], 3, v[0:1]
	v_add_co_u32_e32 v0, vcc, v110, v0
	v_addc_co_u32_e32 v1, vcc, v111, v1, vcc
	global_store_dwordx2 v[0:1], v[2:3], off
.LBB98_847:
	s_endpgm
	.section	.rodata,"a",@progbits
	.p2align	6, 0x0
	.amdhsa_kernel _ZN9rocsolver6v33100L18getf2_small_kernelILi50EdiiPKPdEEvT1_T3_lS5_lPS5_llPT2_S5_S5_S7_l
		.amdhsa_group_segment_fixed_size 0
		.amdhsa_private_segment_fixed_size 0
		.amdhsa_kernarg_size 352
		.amdhsa_user_sgpr_count 6
		.amdhsa_user_sgpr_private_segment_buffer 1
		.amdhsa_user_sgpr_dispatch_ptr 0
		.amdhsa_user_sgpr_queue_ptr 0
		.amdhsa_user_sgpr_kernarg_segment_ptr 1
		.amdhsa_user_sgpr_dispatch_id 0
		.amdhsa_user_sgpr_flat_scratch_init 0
		.amdhsa_user_sgpr_kernarg_preload_length 0
		.amdhsa_user_sgpr_kernarg_preload_offset 0
		.amdhsa_user_sgpr_private_segment_size 0
		.amdhsa_uses_dynamic_stack 0
		.amdhsa_system_sgpr_private_segment_wavefront_offset 0
		.amdhsa_system_sgpr_workgroup_id_x 1
		.amdhsa_system_sgpr_workgroup_id_y 1
		.amdhsa_system_sgpr_workgroup_id_z 0
		.amdhsa_system_sgpr_workgroup_info 0
		.amdhsa_system_vgpr_workitem_id 1
		.amdhsa_next_free_vgpr 162
		.amdhsa_next_free_sgpr 22
		.amdhsa_accum_offset 164
		.amdhsa_reserve_vcc 1
		.amdhsa_reserve_flat_scratch 0
		.amdhsa_float_round_mode_32 0
		.amdhsa_float_round_mode_16_64 0
		.amdhsa_float_denorm_mode_32 3
		.amdhsa_float_denorm_mode_16_64 3
		.amdhsa_dx10_clamp 1
		.amdhsa_ieee_mode 1
		.amdhsa_fp16_overflow 0
		.amdhsa_tg_split 0
		.amdhsa_exception_fp_ieee_invalid_op 0
		.amdhsa_exception_fp_denorm_src 0
		.amdhsa_exception_fp_ieee_div_zero 0
		.amdhsa_exception_fp_ieee_overflow 0
		.amdhsa_exception_fp_ieee_underflow 0
		.amdhsa_exception_fp_ieee_inexact 0
		.amdhsa_exception_int_div_zero 0
	.end_amdhsa_kernel
	.section	.text._ZN9rocsolver6v33100L18getf2_small_kernelILi50EdiiPKPdEEvT1_T3_lS5_lPS5_llPT2_S5_S5_S7_l,"axG",@progbits,_ZN9rocsolver6v33100L18getf2_small_kernelILi50EdiiPKPdEEvT1_T3_lS5_lPS5_llPT2_S5_S5_S7_l,comdat
.Lfunc_end98:
	.size	_ZN9rocsolver6v33100L18getf2_small_kernelILi50EdiiPKPdEEvT1_T3_lS5_lPS5_llPT2_S5_S5_S7_l, .Lfunc_end98-_ZN9rocsolver6v33100L18getf2_small_kernelILi50EdiiPKPdEEvT1_T3_lS5_lPS5_llPT2_S5_S5_S7_l
                                        ; -- End function
	.section	.AMDGPU.csdata,"",@progbits
; Kernel info:
; codeLenInByte = 48588
; NumSgprs: 26
; NumVgprs: 162
; NumAgprs: 0
; TotalNumVgprs: 162
; ScratchSize: 0
; MemoryBound: 0
; FloatMode: 240
; IeeeMode: 1
; LDSByteSize: 0 bytes/workgroup (compile time only)
; SGPRBlocks: 3
; VGPRBlocks: 20
; NumSGPRsForWavesPerEU: 26
; NumVGPRsForWavesPerEU: 162
; AccumOffset: 164
; Occupancy: 3
; WaveLimiterHint : 1
; COMPUTE_PGM_RSRC2:SCRATCH_EN: 0
; COMPUTE_PGM_RSRC2:USER_SGPR: 6
; COMPUTE_PGM_RSRC2:TRAP_HANDLER: 0
; COMPUTE_PGM_RSRC2:TGID_X_EN: 1
; COMPUTE_PGM_RSRC2:TGID_Y_EN: 1
; COMPUTE_PGM_RSRC2:TGID_Z_EN: 0
; COMPUTE_PGM_RSRC2:TIDIG_COMP_CNT: 1
; COMPUTE_PGM_RSRC3_GFX90A:ACCUM_OFFSET: 40
; COMPUTE_PGM_RSRC3_GFX90A:TG_SPLIT: 0
	.section	.text._ZN9rocsolver6v33100L23getf2_npvt_small_kernelILi50EdiiPKPdEEvT1_T3_lS5_lPT2_S5_S5_,"axG",@progbits,_ZN9rocsolver6v33100L23getf2_npvt_small_kernelILi50EdiiPKPdEEvT1_T3_lS5_lPT2_S5_S5_,comdat
	.globl	_ZN9rocsolver6v33100L23getf2_npvt_small_kernelILi50EdiiPKPdEEvT1_T3_lS5_lPT2_S5_S5_ ; -- Begin function _ZN9rocsolver6v33100L23getf2_npvt_small_kernelILi50EdiiPKPdEEvT1_T3_lS5_lPT2_S5_S5_
	.p2align	8
	.type	_ZN9rocsolver6v33100L23getf2_npvt_small_kernelILi50EdiiPKPdEEvT1_T3_lS5_lPT2_S5_S5_,@function
_ZN9rocsolver6v33100L23getf2_npvt_small_kernelILi50EdiiPKPdEEvT1_T3_lS5_lPT2_S5_S5_: ; @_ZN9rocsolver6v33100L23getf2_npvt_small_kernelILi50EdiiPKPdEEvT1_T3_lS5_lPT2_S5_S5_
; %bb.0:
	s_mov_b64 s[18:19], s[2:3]
	s_mov_b64 s[16:17], s[0:1]
	s_add_u32 s16, s16, s8
	s_load_dword s0, s[4:5], 0x44
	s_load_dwordx2 s[8:9], s[4:5], 0x30
	s_addc_u32 s17, s17, 0
	v_bfe_u32 v1, v0, 10, 10
	s_waitcnt lgkmcnt(0)
	s_lshr_b32 s6, s0, 16
	s_mul_i32 s7, s7, s6
	v_add_u32_e32 v2, s7, v1
	v_cmp_gt_i32_e32 vcc, s8, v2
	s_and_saveexec_b64 s[0:1], vcc
	s_cbranch_execz .LBB99_253
; %bb.1:
	v_ashrrev_i32_e32 v3, 31, v2
	s_load_dwordx4 s[12:15], s[4:5], 0x8
	s_load_dword s0, s[4:5], 0x18
	buffer_store_dword v2, off, s[16:19], 0 offset:208 ; 4-byte Folded Spill
	s_nop 0
	buffer_store_dword v3, off, s[16:19], 0 offset:212 ; 4-byte Folded Spill
	s_mulk_i32 s6, 0x190
	s_waitcnt lgkmcnt(0)
	v_mov_b32_e32 v4, s13
	s_add_i32 s1, s0, s0
	s_lshl_b64 s[2:3], s[14:15], 3
	v_lshlrev_b64 v[2:3], 3, v[2:3]
	v_add_co_u32_e32 v2, vcc, s12, v2
	v_addc_co_u32_e32 v3, vcc, v4, v3, vcc
	global_load_dwordx2 v[2:3], v[2:3], off
	v_and_b32_e32 v4, 0x3ff, v0
	v_add_u32_e32 v6, s1, v4
	v_mov_b32_e32 v0, s3
	v_ashrrev_i32_e32 v7, 31, v6
	v_add_u32_e32 v8, s0, v6
	v_lshlrev_b64 v[6:7], 3, v[6:7]
	v_ashrrev_i32_e32 v9, 31, v8
	v_add_u32_e32 v10, s0, v8
	v_lshlrev_b64 v[8:9], 3, v[8:9]
	;; [unrolled: 3-line block ×10, first 2 shown]
	v_ashrrev_i32_e32 v27, 31, v26
	s_ashr_i32 s1, s0, 31
	s_waitcnt vmcnt(0)
	v_add_co_u32_e32 v5, vcc, s2, v2
	v_addc_co_u32_e32 v0, vcc, v3, v0, vcc
	v_add_co_u32_e32 v2, vcc, v5, v6
	v_addc_co_u32_e32 v3, vcc, v0, v7, vcc
	;; [unrolled: 2-line block ×5, first 2 shown]
	v_pk_mov_b32 v[12:13], v[2:3], v[2:3] op_sel:[0,1]
	v_add_co_u32_e32 v2, vcc, v5, v14
	v_addc_co_u32_e32 v3, vcc, v0, v15, vcc
	v_pk_mov_b32 v[14:15], v[6:7], v[6:7] op_sel:[0,1]
	v_add_co_u32_e32 v6, vcc, v5, v16
	v_addc_co_u32_e32 v7, vcc, v0, v17, vcc
	;; [unrolled: 3-line block ×4, first 2 shown]
	v_add_co_u32_e32 v28, vcc, v5, v22
	v_addc_co_u32_e32 v29, vcc, v0, v23, vcc
	v_add_co_u32_e32 v30, vcc, v5, v24
	v_pk_mov_b32 v[20:21], v[2:3], v[2:3] op_sel:[0,1]
	v_addc_co_u32_e32 v31, vcc, v0, v25, vcc
	v_lshlrev_b64 v[2:3], 3, v[26:27]
	v_add_co_u32_e32 v32, vcc, v5, v2
	v_add_u32_e32 v2, s0, v26
	v_addc_co_u32_e32 v33, vcc, v0, v3, vcc
	v_ashrrev_i32_e32 v3, 31, v2
	v_pk_mov_b32 v[22:23], v[6:7], v[6:7] op_sel:[0,1]
	v_lshlrev_b64 v[6:7], 3, v[2:3]
	v_add_u32_e32 v2, s0, v2
	v_add_co_u32_e32 v34, vcc, v5, v6
	v_ashrrev_i32_e32 v3, 31, v2
	v_addc_co_u32_e32 v35, vcc, v0, v7, vcc
	v_lshlrev_b64 v[6:7], 3, v[2:3]
	v_add_u32_e32 v2, s0, v2
	v_add_co_u32_e32 v244, vcc, v5, v6
	v_ashrrev_i32_e32 v3, 31, v2
	v_addc_co_u32_e32 v245, vcc, v0, v7, vcc
	;; [unrolled: 5-line block ×36, first 2 shown]
	v_lshlrev_b64 v[2:3], 3, v[2:3]
	v_add_co_u32_e32 v250, vcc, v5, v2
	v_addc_co_u32_e32 v251, vcc, v0, v3, vcc
	v_lshlrev_b32_e32 v2, 3, v4
	v_add_co_u32_e32 v98, vcc, v5, v2
	v_addc_co_u32_e32 v99, vcc, 0, v0, vcc
	s_lshl_b64 s[0:1], s[0:1], 3
	v_mov_b32_e32 v0, s1
	v_add_co_u32_e32 v252, vcc, s0, v98
	v_addc_co_u32_e32 v253, vcc, v99, v0, vcc
	global_load_dwordx2 v[102:103], v[98:99], off
	global_load_dwordx2 v[150:151], v[252:253], off
	;; [unrolled: 1-line block ×50, first 2 shown]
	s_movk_i32 s0, 0x190
	s_add_i32 s1, s6, 0
	v_pk_mov_b32 v[24:25], v[8:9], v[8:9] op_sel:[0,1]
	v_pk_mov_b32 v[26:27], v[10:11], v[10:11] op_sel:[0,1]
	v_mad_u32_u24 v6, v1, s0, 0
	v_lshl_add_u32 v5, v1, 3, s1
	v_cmp_ne_u32_e64 s[2:3], 0, v4
	v_cmp_eq_u32_e64 s[0:1], 0, v4
	s_and_saveexec_b64 s[6:7], s[0:1]
	s_cbranch_execz .LBB99_4
; %bb.2:
	s_waitcnt vmcnt(49)
	ds_write_b64 v5, v[102:103]
	s_waitcnt vmcnt(47)
	ds_write2_b64 v6, v[150:151], v[198:199] offset0:1 offset1:2
	s_waitcnt vmcnt(45)
	ds_write2_b64 v6, v[148:149], v[196:197] offset0:3 offset1:4
	;; [unrolled: 2-line block ×24, first 2 shown]
	s_waitcnt vmcnt(0)
	ds_write_b64 v6, v[200:201] offset:392
	ds_read_b64 v[0:1], v5
	s_waitcnt lgkmcnt(0)
	v_cmp_neq_f64_e32 vcc, 0, v[0:1]
	s_and_b64 exec, exec, vcc
	s_cbranch_execz .LBB99_4
; %bb.3:
	v_div_scale_f64 v[2:3], s[10:11], v[0:1], v[0:1], 1.0
	v_rcp_f64_e32 v[8:9], v[2:3]
	v_div_scale_f64 v[10:11], vcc, 1.0, v[0:1], 1.0
	v_fma_f64 v[202:203], -v[2:3], v[8:9], 1.0
	v_fmac_f64_e32 v[8:9], v[8:9], v[202:203]
	v_fma_f64 v[202:203], -v[2:3], v[8:9], 1.0
	v_fmac_f64_e32 v[8:9], v[8:9], v[202:203]
	v_mul_f64 v[202:203], v[10:11], v[8:9]
	v_fma_f64 v[2:3], -v[2:3], v[202:203], v[10:11]
	v_div_fmas_f64 v[2:3], v[2:3], v[8:9], v[202:203]
	v_div_fixup_f64 v[0:1], v[2:3], v[0:1], 1.0
	ds_write_b64 v5, v[0:1]
.LBB99_4:
	s_or_b64 exec, exec, s[6:7]
	s_waitcnt lgkmcnt(0)
	s_barrier
	ds_read_b64 v[254:255], v5
	s_and_saveexec_b64 s[6:7], s[2:3]
	s_cbranch_execz .LBB99_6
; %bb.5:
	ds_read2_b64 v[0:3], v6 offset0:1 offset1:2
	ds_read2_b64 v[202:205], v6 offset0:3 offset1:4
	s_waitcnt vmcnt(49) lgkmcnt(2)
	v_mul_f64 v[102:103], v[254:255], v[102:103]
	ds_read2_b64 v[206:209], v6 offset0:5 offset1:6
	s_waitcnt vmcnt(48) lgkmcnt(2)
	v_fma_f64 v[150:151], -v[102:103], v[0:1], v[150:151]
	s_waitcnt vmcnt(47)
	v_fma_f64 v[198:199], -v[102:103], v[2:3], v[198:199]
	ds_read2_b64 v[0:3], v6 offset0:7 offset1:8
	s_waitcnt vmcnt(46) lgkmcnt(2)
	v_fma_f64 v[148:149], -v[102:103], v[202:203], v[148:149]
	s_waitcnt vmcnt(45)
	v_fma_f64 v[196:197], -v[102:103], v[204:205], v[196:197]
	s_waitcnt vmcnt(44) lgkmcnt(1)
	v_fma_f64 v[146:147], -v[102:103], v[206:207], v[146:147]
	ds_read2_b64 v[202:205], v6 offset0:9 offset1:10
	s_waitcnt vmcnt(43)
	v_fma_f64 v[194:195], -v[102:103], v[208:209], v[194:195]
	ds_read2_b64 v[206:209], v6 offset0:11 offset1:12
	s_waitcnt vmcnt(42) lgkmcnt(2)
	v_fma_f64 v[144:145], -v[102:103], v[0:1], v[144:145]
	s_waitcnt vmcnt(41)
	v_fma_f64 v[192:193], -v[102:103], v[2:3], v[192:193]
	ds_read2_b64 v[0:3], v6 offset0:13 offset1:14
	s_waitcnt vmcnt(40) lgkmcnt(2)
	v_fma_f64 v[142:143], -v[102:103], v[202:203], v[142:143]
	s_waitcnt vmcnt(39)
	v_fma_f64 v[190:191], -v[102:103], v[204:205], v[190:191]
	ds_read2_b64 v[202:205], v6 offset0:15 offset1:16
	s_waitcnt vmcnt(38) lgkmcnt(2)
	v_fma_f64 v[140:141], -v[102:103], v[206:207], v[140:141]
	s_waitcnt vmcnt(37)
	v_fma_f64 v[188:189], -v[102:103], v[208:209], v[188:189]
	s_waitcnt vmcnt(36) lgkmcnt(1)
	v_fma_f64 v[138:139], -v[102:103], v[0:1], v[138:139]
	ds_read2_b64 v[206:209], v6 offset0:17 offset1:18
	s_waitcnt vmcnt(35)
	v_fma_f64 v[186:187], -v[102:103], v[2:3], v[186:187]
	ds_read2_b64 v[0:3], v6 offset0:19 offset1:20
	s_waitcnt vmcnt(34) lgkmcnt(2)
	v_fma_f64 v[136:137], -v[102:103], v[202:203], v[136:137]
	s_waitcnt vmcnt(33)
	v_fma_f64 v[184:185], -v[102:103], v[204:205], v[184:185]
	s_waitcnt vmcnt(32) lgkmcnt(1)
	v_fma_f64 v[134:135], -v[102:103], v[206:207], v[134:135]
	ds_read2_b64 v[202:205], v6 offset0:21 offset1:22
	s_waitcnt vmcnt(31)
	v_fma_f64 v[182:183], -v[102:103], v[208:209], v[182:183]
	ds_read2_b64 v[206:209], v6 offset0:23 offset1:24
	s_waitcnt vmcnt(30) lgkmcnt(2)
	v_fma_f64 v[132:133], -v[102:103], v[0:1], v[132:133]
	s_waitcnt vmcnt(29)
	v_fma_f64 v[180:181], -v[102:103], v[2:3], v[180:181]
	ds_read2_b64 v[0:3], v6 offset0:25 offset1:26
	s_waitcnt vmcnt(28) lgkmcnt(2)
	v_fma_f64 v[130:131], -v[102:103], v[202:203], v[130:131]
	s_waitcnt vmcnt(27)
	v_fma_f64 v[178:179], -v[102:103], v[204:205], v[178:179]
	ds_read2_b64 v[202:205], v6 offset0:27 offset1:28
	s_waitcnt vmcnt(26) lgkmcnt(2)
	v_fma_f64 v[128:129], -v[102:103], v[206:207], v[128:129]
	s_waitcnt vmcnt(25)
	v_fma_f64 v[176:177], -v[102:103], v[208:209], v[176:177]
	s_waitcnt vmcnt(24) lgkmcnt(1)
	v_fma_f64 v[126:127], -v[102:103], v[0:1], v[126:127]
	ds_read2_b64 v[206:209], v6 offset0:29 offset1:30
	;; [unrolled: 30-line block ×3, first 2 shown]
	s_waitcnt vmcnt(11)
	v_fma_f64 v[162:163], -v[102:103], v[2:3], v[162:163]
	ds_read2_b64 v[0:3], v6 offset0:43 offset1:44
	s_waitcnt vmcnt(10) lgkmcnt(2)
	v_fma_f64 v[112:113], -v[102:103], v[202:203], v[112:113]
	s_waitcnt vmcnt(9)
	v_fma_f64 v[160:161], -v[102:103], v[204:205], v[160:161]
	s_waitcnt vmcnt(8) lgkmcnt(1)
	v_fma_f64 v[110:111], -v[102:103], v[206:207], v[110:111]
	s_waitcnt vmcnt(7)
	v_fma_f64 v[158:159], -v[102:103], v[208:209], v[158:159]
	ds_read2_b64 v[202:205], v6 offset0:45 offset1:46
	ds_read2_b64 v[206:209], v6 offset0:47 offset1:48
	s_waitcnt vmcnt(6) lgkmcnt(2)
	v_fma_f64 v[108:109], -v[102:103], v[0:1], v[108:109]
	ds_read_b64 v[0:1], v6 offset:392
	s_waitcnt vmcnt(5)
	v_fma_f64 v[156:157], -v[102:103], v[2:3], v[156:157]
	s_waitcnt vmcnt(4) lgkmcnt(2)
	v_fma_f64 v[106:107], -v[102:103], v[202:203], v[106:107]
	s_waitcnt vmcnt(3)
	v_fma_f64 v[154:155], -v[102:103], v[204:205], v[154:155]
	s_waitcnt vmcnt(2) lgkmcnt(1)
	v_fma_f64 v[104:105], -v[102:103], v[206:207], v[104:105]
	;; [unrolled: 4-line block ×3, first 2 shown]
.LBB99_6:
	s_or_b64 exec, exec, s[6:7]
	v_cmp_eq_u32_e32 vcc, 1, v4
	s_waitcnt lgkmcnt(0)
	s_barrier
	s_and_saveexec_b64 s[2:3], vcc
	s_cbranch_execz .LBB99_9
; %bb.7:
	s_waitcnt vmcnt(47)
	v_mov_b32_e32 v0, v198
	v_mov_b32_e32 v1, v199
	s_waitcnt vmcnt(46)
	v_mov_b32_e32 v2, v148
	v_mov_b32_e32 v3, v149
	ds_write_b64 v5, v[150:151]
	ds_write2_b64 v6, v[0:1], v[2:3] offset0:2 offset1:3
	s_waitcnt vmcnt(45)
	v_mov_b32_e32 v0, v196
	v_mov_b32_e32 v1, v197
	s_waitcnt vmcnt(44)
	v_mov_b32_e32 v2, v146
	v_mov_b32_e32 v3, v147
	ds_write2_b64 v6, v[0:1], v[2:3] offset0:4 offset1:5
	s_waitcnt vmcnt(43)
	v_mov_b32_e32 v0, v194
	v_mov_b32_e32 v1, v195
	s_waitcnt vmcnt(42)
	v_mov_b32_e32 v2, v144
	v_mov_b32_e32 v3, v145
	;; [unrolled: 7-line block ×22, first 2 shown]
	ds_write2_b64 v6, v[0:1], v[2:3] offset0:46 offset1:47
	s_waitcnt vmcnt(1)
	v_mov_b32_e32 v0, v152
	v_mov_b32_e32 v1, v153
	s_waitcnt vmcnt(0)
	ds_write2_b64 v6, v[0:1], v[200:201] offset0:48 offset1:49
	ds_read_b64 v[0:1], v5
	s_waitcnt lgkmcnt(0)
	v_cmp_neq_f64_e32 vcc, 0, v[0:1]
	s_and_b64 exec, exec, vcc
	s_cbranch_execz .LBB99_9
; %bb.8:
	v_div_scale_f64 v[2:3], s[6:7], v[0:1], v[0:1], 1.0
	v_rcp_f64_e32 v[8:9], v[2:3]
	v_div_scale_f64 v[10:11], vcc, 1.0, v[0:1], 1.0
	v_fma_f64 v[202:203], -v[2:3], v[8:9], 1.0
	v_fmac_f64_e32 v[8:9], v[8:9], v[202:203]
	v_fma_f64 v[202:203], -v[2:3], v[8:9], 1.0
	v_fmac_f64_e32 v[8:9], v[8:9], v[202:203]
	v_mul_f64 v[202:203], v[10:11], v[8:9]
	v_fma_f64 v[2:3], -v[2:3], v[202:203], v[10:11]
	v_div_fmas_f64 v[2:3], v[2:3], v[8:9], v[202:203]
	v_div_fixup_f64 v[0:1], v[2:3], v[0:1], 1.0
	ds_write_b64 v5, v[0:1]
.LBB99_9:
	s_or_b64 exec, exec, s[2:3]
	s_waitcnt lgkmcnt(0)
	s_barrier
	ds_read_b64 v[0:1], v5
	v_cmp_lt_u32_e32 vcc, 1, v4
	s_waitcnt lgkmcnt(0)
	buffer_store_dword v0, off, s[16:19], 0 ; 4-byte Folded Spill
	s_nop 0
	buffer_store_dword v1, off, s[16:19], 0 offset:4 ; 4-byte Folded Spill
	s_and_saveexec_b64 s[2:3], vcc
	s_cbranch_execz .LBB99_11
; %bb.10:
	ds_read2_b64 v[0:3], v6 offset0:2 offset1:3
	ds_read2_b64 v[202:205], v6 offset0:4 offset1:5
	buffer_load_dword v8, off, s[16:19], 0  ; 4-byte Folded Reload
	buffer_load_dword v9, off, s[16:19], 0 offset:4 ; 4-byte Folded Reload
	ds_read2_b64 v[206:209], v6 offset0:6 offset1:7
	s_waitcnt vmcnt(0)
	v_mul_f64 v[150:151], v[8:9], v[150:151]
	s_waitcnt lgkmcnt(2)
	v_fma_f64 v[198:199], -v[150:151], v[0:1], v[198:199]
	v_fma_f64 v[148:149], -v[150:151], v[2:3], v[148:149]
	ds_read2_b64 v[0:3], v6 offset0:8 offset1:9
	s_waitcnt lgkmcnt(2)
	v_fma_f64 v[196:197], -v[150:151], v[202:203], v[196:197]
	v_fma_f64 v[146:147], -v[150:151], v[204:205], v[146:147]
	s_waitcnt lgkmcnt(1)
	v_fma_f64 v[194:195], -v[150:151], v[206:207], v[194:195]
	ds_read2_b64 v[202:205], v6 offset0:10 offset1:11
	v_fma_f64 v[144:145], -v[150:151], v[208:209], v[144:145]
	ds_read2_b64 v[206:209], v6 offset0:12 offset1:13
	s_waitcnt lgkmcnt(2)
	v_fma_f64 v[192:193], -v[150:151], v[0:1], v[192:193]
	v_fma_f64 v[142:143], -v[150:151], v[2:3], v[142:143]
	s_waitcnt lgkmcnt(1)
	v_fma_f64 v[190:191], -v[150:151], v[202:203], v[190:191]
	ds_read2_b64 v[0:3], v6 offset0:14 offset1:15
	v_fma_f64 v[140:141], -v[150:151], v[204:205], v[140:141]
	ds_read2_b64 v[202:205], v6 offset0:16 offset1:17
	s_waitcnt lgkmcnt(2)
	v_fma_f64 v[188:189], -v[150:151], v[206:207], v[188:189]
	v_fma_f64 v[138:139], -v[150:151], v[208:209], v[138:139]
	ds_read2_b64 v[206:209], v6 offset0:18 offset1:19
	s_waitcnt lgkmcnt(2)
	v_fma_f64 v[186:187], -v[150:151], v[0:1], v[186:187]
	v_fma_f64 v[136:137], -v[150:151], v[2:3], v[136:137]
	ds_read2_b64 v[0:3], v6 offset0:20 offset1:21
	s_waitcnt lgkmcnt(2)
	v_fma_f64 v[184:185], -v[150:151], v[202:203], v[184:185]
	v_fma_f64 v[134:135], -v[150:151], v[204:205], v[134:135]
	s_waitcnt lgkmcnt(1)
	v_fma_f64 v[182:183], -v[150:151], v[206:207], v[182:183]
	ds_read2_b64 v[202:205], v6 offset0:22 offset1:23
	v_fma_f64 v[132:133], -v[150:151], v[208:209], v[132:133]
	ds_read2_b64 v[206:209], v6 offset0:24 offset1:25
	s_waitcnt lgkmcnt(2)
	v_fma_f64 v[180:181], -v[150:151], v[0:1], v[180:181]
	v_fma_f64 v[130:131], -v[150:151], v[2:3], v[130:131]
	s_waitcnt lgkmcnt(1)
	v_fma_f64 v[178:179], -v[150:151], v[202:203], v[178:179]
	ds_read2_b64 v[0:3], v6 offset0:26 offset1:27
	v_fma_f64 v[128:129], -v[150:151], v[204:205], v[128:129]
	ds_read2_b64 v[202:205], v6 offset0:28 offset1:29
	s_waitcnt lgkmcnt(2)
	v_fma_f64 v[176:177], -v[150:151], v[206:207], v[176:177]
	v_fma_f64 v[126:127], -v[150:151], v[208:209], v[126:127]
	ds_read2_b64 v[206:209], v6 offset0:30 offset1:31
	;; [unrolled: 24-line block ×3, first 2 shown]
	s_waitcnt lgkmcnt(2)
	v_fma_f64 v[162:163], -v[150:151], v[0:1], v[162:163]
	v_fma_f64 v[112:113], -v[150:151], v[2:3], v[112:113]
	ds_read2_b64 v[0:3], v6 offset0:44 offset1:45
	s_waitcnt lgkmcnt(2)
	v_fma_f64 v[160:161], -v[150:151], v[202:203], v[160:161]
	v_fma_f64 v[110:111], -v[150:151], v[204:205], v[110:111]
	s_waitcnt lgkmcnt(1)
	v_fma_f64 v[158:159], -v[150:151], v[206:207], v[158:159]
	ds_read2_b64 v[202:205], v6 offset0:46 offset1:47
	v_fma_f64 v[108:109], -v[150:151], v[208:209], v[108:109]
	ds_read2_b64 v[206:209], v6 offset0:48 offset1:49
	s_waitcnt lgkmcnt(2)
	v_fma_f64 v[156:157], -v[150:151], v[0:1], v[156:157]
	v_fma_f64 v[106:107], -v[150:151], v[2:3], v[106:107]
	s_waitcnt lgkmcnt(1)
	v_fma_f64 v[154:155], -v[150:151], v[202:203], v[154:155]
	v_fma_f64 v[104:105], -v[150:151], v[204:205], v[104:105]
	;; [unrolled: 3-line block ×3, first 2 shown]
.LBB99_11:
	s_or_b64 exec, exec, s[2:3]
	v_cmp_eq_u32_e32 vcc, 2, v4
	s_barrier
	s_and_saveexec_b64 s[2:3], vcc
	s_cbranch_execz .LBB99_14
; %bb.12:
	s_waitcnt vmcnt(49)
	ds_write_b64 v5, v[198:199]
	s_waitcnt vmcnt(47)
	ds_write2_b64 v6, v[148:149], v[196:197] offset0:3 offset1:4
	s_waitcnt vmcnt(45)
	ds_write2_b64 v6, v[146:147], v[194:195] offset0:5 offset1:6
	;; [unrolled: 2-line block ×23, first 2 shown]
	s_waitcnt vmcnt(2)
	ds_write_b64 v6, v[200:201] offset:392
	ds_read_b64 v[0:1], v5
	s_waitcnt lgkmcnt(0)
	v_cmp_neq_f64_e32 vcc, 0, v[0:1]
	s_and_b64 exec, exec, vcc
	s_cbranch_execz .LBB99_14
; %bb.13:
	v_div_scale_f64 v[2:3], s[6:7], v[0:1], v[0:1], 1.0
	v_rcp_f64_e32 v[8:9], v[2:3]
	v_div_scale_f64 v[10:11], vcc, 1.0, v[0:1], 1.0
	v_fma_f64 v[202:203], -v[2:3], v[8:9], 1.0
	v_fmac_f64_e32 v[8:9], v[8:9], v[202:203]
	v_fma_f64 v[202:203], -v[2:3], v[8:9], 1.0
	v_fmac_f64_e32 v[8:9], v[8:9], v[202:203]
	v_mul_f64 v[202:203], v[10:11], v[8:9]
	v_fma_f64 v[2:3], -v[2:3], v[202:203], v[10:11]
	v_div_fmas_f64 v[2:3], v[2:3], v[8:9], v[202:203]
	v_div_fixup_f64 v[0:1], v[2:3], v[0:1], 1.0
	ds_write_b64 v5, v[0:1]
.LBB99_14:
	s_or_b64 exec, exec, s[2:3]
	s_waitcnt lgkmcnt(0)
	s_barrier
	ds_read_b64 v[0:1], v5
	v_cmp_lt_u32_e32 vcc, 2, v4
	s_waitcnt lgkmcnt(0)
	buffer_store_dword v0, off, s[16:19], 0 offset:8 ; 4-byte Folded Spill
	s_nop 0
	buffer_store_dword v1, off, s[16:19], 0 offset:12 ; 4-byte Folded Spill
	s_and_saveexec_b64 s[2:3], vcc
	s_cbranch_execz .LBB99_16
; %bb.15:
	ds_read2_b64 v[0:3], v6 offset0:3 offset1:4
	ds_read2_b64 v[202:205], v6 offset0:5 offset1:6
	buffer_load_dword v8, off, s[16:19], 0 offset:8 ; 4-byte Folded Reload
	buffer_load_dword v9, off, s[16:19], 0 offset:12 ; 4-byte Folded Reload
	ds_read2_b64 v[206:209], v6 offset0:7 offset1:8
	s_waitcnt vmcnt(0)
	v_mul_f64 v[198:199], v[8:9], v[198:199]
	s_waitcnt lgkmcnt(2)
	v_fma_f64 v[148:149], -v[198:199], v[0:1], v[148:149]
	v_fma_f64 v[196:197], -v[198:199], v[2:3], v[196:197]
	ds_read2_b64 v[0:3], v6 offset0:9 offset1:10
	s_waitcnt lgkmcnt(2)
	v_fma_f64 v[146:147], -v[198:199], v[202:203], v[146:147]
	v_fma_f64 v[194:195], -v[198:199], v[204:205], v[194:195]
	ds_read2_b64 v[202:205], v6 offset0:11 offset1:12
	;; [unrolled: 4-line block ×3, first 2 shown]
	s_waitcnt lgkmcnt(2)
	v_fma_f64 v[142:143], -v[198:199], v[0:1], v[142:143]
	v_fma_f64 v[190:191], -v[198:199], v[2:3], v[190:191]
	s_waitcnt lgkmcnt(1)
	v_fma_f64 v[140:141], -v[198:199], v[202:203], v[140:141]
	ds_read2_b64 v[0:3], v6 offset0:15 offset1:16
	v_fma_f64 v[188:189], -v[198:199], v[204:205], v[188:189]
	ds_read2_b64 v[202:205], v6 offset0:17 offset1:18
	s_waitcnt lgkmcnt(2)
	v_fma_f64 v[138:139], -v[198:199], v[206:207], v[138:139]
	v_fma_f64 v[186:187], -v[198:199], v[208:209], v[186:187]
	s_waitcnt lgkmcnt(1)
	v_fma_f64 v[136:137], -v[198:199], v[0:1], v[136:137]
	ds_read2_b64 v[206:209], v6 offset0:19 offset1:20
	v_fma_f64 v[184:185], -v[198:199], v[2:3], v[184:185]
	ds_read2_b64 v[0:3], v6 offset0:21 offset1:22
	s_waitcnt lgkmcnt(2)
	v_fma_f64 v[134:135], -v[198:199], v[202:203], v[134:135]
	v_fma_f64 v[182:183], -v[198:199], v[204:205], v[182:183]
	ds_read2_b64 v[202:205], v6 offset0:23 offset1:24
	s_waitcnt lgkmcnt(2)
	v_fma_f64 v[132:133], -v[198:199], v[206:207], v[132:133]
	;; [unrolled: 4-line block ×3, first 2 shown]
	v_fma_f64 v[178:179], -v[198:199], v[2:3], v[178:179]
	s_waitcnt lgkmcnt(1)
	v_fma_f64 v[128:129], -v[198:199], v[202:203], v[128:129]
	ds_read2_b64 v[0:3], v6 offset0:27 offset1:28
	v_fma_f64 v[176:177], -v[198:199], v[204:205], v[176:177]
	ds_read2_b64 v[202:205], v6 offset0:29 offset1:30
	s_waitcnt lgkmcnt(2)
	v_fma_f64 v[126:127], -v[198:199], v[206:207], v[126:127]
	v_fma_f64 v[174:175], -v[198:199], v[208:209], v[174:175]
	s_waitcnt lgkmcnt(1)
	v_fma_f64 v[124:125], -v[198:199], v[0:1], v[124:125]
	ds_read2_b64 v[206:209], v6 offset0:31 offset1:32
	v_fma_f64 v[172:173], -v[198:199], v[2:3], v[172:173]
	ds_read2_b64 v[0:3], v6 offset0:33 offset1:34
	s_waitcnt lgkmcnt(2)
	v_fma_f64 v[122:123], -v[198:199], v[202:203], v[122:123]
	v_fma_f64 v[170:171], -v[198:199], v[204:205], v[170:171]
	ds_read2_b64 v[202:205], v6 offset0:35 offset1:36
	s_waitcnt lgkmcnt(2)
	v_fma_f64 v[120:121], -v[198:199], v[206:207], v[120:121]
	;; [unrolled: 4-line block ×3, first 2 shown]
	v_fma_f64 v[166:167], -v[198:199], v[2:3], v[166:167]
	s_waitcnt lgkmcnt(1)
	v_fma_f64 v[116:117], -v[198:199], v[202:203], v[116:117]
	ds_read2_b64 v[0:3], v6 offset0:39 offset1:40
	v_fma_f64 v[164:165], -v[198:199], v[204:205], v[164:165]
	ds_read2_b64 v[202:205], v6 offset0:41 offset1:42
	s_waitcnt lgkmcnt(2)
	v_fma_f64 v[114:115], -v[198:199], v[206:207], v[114:115]
	v_fma_f64 v[162:163], -v[198:199], v[208:209], v[162:163]
	s_waitcnt lgkmcnt(1)
	v_fma_f64 v[112:113], -v[198:199], v[0:1], v[112:113]
	ds_read2_b64 v[206:209], v6 offset0:43 offset1:44
	v_fma_f64 v[160:161], -v[198:199], v[2:3], v[160:161]
	ds_read2_b64 v[0:3], v6 offset0:45 offset1:46
	s_waitcnt lgkmcnt(2)
	v_fma_f64 v[110:111], -v[198:199], v[202:203], v[110:111]
	v_fma_f64 v[158:159], -v[198:199], v[204:205], v[158:159]
	ds_read2_b64 v[202:205], v6 offset0:47 offset1:48
	ds_read_b64 v[8:9], v6 offset:392
	s_waitcnt lgkmcnt(3)
	v_fma_f64 v[108:109], -v[198:199], v[206:207], v[108:109]
	v_fma_f64 v[156:157], -v[198:199], v[208:209], v[156:157]
	s_waitcnt lgkmcnt(2)
	v_fma_f64 v[106:107], -v[198:199], v[0:1], v[106:107]
	v_fma_f64 v[154:155], -v[198:199], v[2:3], v[154:155]
	;; [unrolled: 3-line block ×3, first 2 shown]
	s_waitcnt lgkmcnt(0)
	v_fma_f64 v[200:201], -v[198:199], v[8:9], v[200:201]
.LBB99_16:
	s_or_b64 exec, exec, s[2:3]
	v_cmp_eq_u32_e32 vcc, 3, v4
	s_barrier
	s_and_saveexec_b64 s[2:3], vcc
	s_cbranch_execz .LBB99_19
; %bb.17:
	s_waitcnt vmcnt(49)
	v_mov_b32_e32 v0, v196
	v_mov_b32_e32 v1, v197
	s_waitcnt vmcnt(48)
	v_mov_b32_e32 v2, v146
	v_mov_b32_e32 v3, v147
	ds_write_b64 v5, v[148:149]
	ds_write2_b64 v6, v[0:1], v[2:3] offset0:4 offset1:5
	s_waitcnt vmcnt(47)
	v_mov_b32_e32 v0, v194
	v_mov_b32_e32 v1, v195
	s_waitcnt vmcnt(46)
	v_mov_b32_e32 v2, v144
	v_mov_b32_e32 v3, v145
	ds_write2_b64 v6, v[0:1], v[2:3] offset0:6 offset1:7
	s_waitcnt vmcnt(45)
	v_mov_b32_e32 v0, v192
	v_mov_b32_e32 v1, v193
	s_waitcnt vmcnt(44)
	v_mov_b32_e32 v2, v142
	v_mov_b32_e32 v3, v143
	;; [unrolled: 7-line block ×21, first 2 shown]
	ds_write2_b64 v6, v[0:1], v[2:3] offset0:46 offset1:47
	s_waitcnt vmcnt(5)
	v_mov_b32_e32 v0, v152
	v_mov_b32_e32 v1, v153
	s_waitcnt vmcnt(4)
	ds_write2_b64 v6, v[0:1], v[200:201] offset0:48 offset1:49
	ds_read_b64 v[0:1], v5
	s_waitcnt lgkmcnt(0)
	v_cmp_neq_f64_e32 vcc, 0, v[0:1]
	s_and_b64 exec, exec, vcc
	s_cbranch_execz .LBB99_19
; %bb.18:
	v_div_scale_f64 v[2:3], s[6:7], v[0:1], v[0:1], 1.0
	v_rcp_f64_e32 v[8:9], v[2:3]
	v_div_scale_f64 v[10:11], vcc, 1.0, v[0:1], 1.0
	v_fma_f64 v[202:203], -v[2:3], v[8:9], 1.0
	v_fmac_f64_e32 v[8:9], v[8:9], v[202:203]
	v_fma_f64 v[202:203], -v[2:3], v[8:9], 1.0
	v_fmac_f64_e32 v[8:9], v[8:9], v[202:203]
	v_mul_f64 v[202:203], v[10:11], v[8:9]
	v_fma_f64 v[2:3], -v[2:3], v[202:203], v[10:11]
	v_div_fmas_f64 v[2:3], v[2:3], v[8:9], v[202:203]
	v_div_fixup_f64 v[0:1], v[2:3], v[0:1], 1.0
	ds_write_b64 v5, v[0:1]
.LBB99_19:
	s_or_b64 exec, exec, s[2:3]
	s_waitcnt lgkmcnt(0)
	s_barrier
	ds_read_b64 v[0:1], v5
	v_cmp_lt_u32_e32 vcc, 3, v4
	s_waitcnt lgkmcnt(0)
	buffer_store_dword v0, off, s[16:19], 0 offset:16 ; 4-byte Folded Spill
	s_nop 0
	buffer_store_dword v1, off, s[16:19], 0 offset:20 ; 4-byte Folded Spill
	s_and_saveexec_b64 s[2:3], vcc
	s_cbranch_execz .LBB99_21
; %bb.20:
	ds_read2_b64 v[0:3], v6 offset0:4 offset1:5
	ds_read2_b64 v[202:205], v6 offset0:6 offset1:7
	buffer_load_dword v8, off, s[16:19], 0 offset:16 ; 4-byte Folded Reload
	buffer_load_dword v9, off, s[16:19], 0 offset:20 ; 4-byte Folded Reload
	ds_read2_b64 v[206:209], v6 offset0:8 offset1:9
	s_waitcnt vmcnt(0)
	v_mul_f64 v[148:149], v[8:9], v[148:149]
	s_waitcnt lgkmcnt(2)
	v_fma_f64 v[196:197], -v[148:149], v[0:1], v[196:197]
	v_fma_f64 v[146:147], -v[148:149], v[2:3], v[146:147]
	ds_read2_b64 v[0:3], v6 offset0:10 offset1:11
	s_waitcnt lgkmcnt(2)
	v_fma_f64 v[194:195], -v[148:149], v[202:203], v[194:195]
	v_fma_f64 v[144:145], -v[148:149], v[204:205], v[144:145]
	ds_read2_b64 v[202:205], v6 offset0:12 offset1:13
	;; [unrolled: 4-line block ×3, first 2 shown]
	s_waitcnt lgkmcnt(2)
	v_fma_f64 v[190:191], -v[148:149], v[0:1], v[190:191]
	v_fma_f64 v[140:141], -v[148:149], v[2:3], v[140:141]
	s_waitcnt lgkmcnt(1)
	v_fma_f64 v[188:189], -v[148:149], v[202:203], v[188:189]
	ds_read2_b64 v[0:3], v6 offset0:16 offset1:17
	v_fma_f64 v[138:139], -v[148:149], v[204:205], v[138:139]
	ds_read2_b64 v[202:205], v6 offset0:18 offset1:19
	s_waitcnt lgkmcnt(2)
	v_fma_f64 v[186:187], -v[148:149], v[206:207], v[186:187]
	v_fma_f64 v[136:137], -v[148:149], v[208:209], v[136:137]
	s_waitcnt lgkmcnt(1)
	v_fma_f64 v[184:185], -v[148:149], v[0:1], v[184:185]
	ds_read2_b64 v[206:209], v6 offset0:20 offset1:21
	v_fma_f64 v[134:135], -v[148:149], v[2:3], v[134:135]
	ds_read2_b64 v[0:3], v6 offset0:22 offset1:23
	s_waitcnt lgkmcnt(2)
	v_fma_f64 v[182:183], -v[148:149], v[202:203], v[182:183]
	v_fma_f64 v[132:133], -v[148:149], v[204:205], v[132:133]
	ds_read2_b64 v[202:205], v6 offset0:24 offset1:25
	s_waitcnt lgkmcnt(2)
	v_fma_f64 v[180:181], -v[148:149], v[206:207], v[180:181]
	;; [unrolled: 4-line block ×3, first 2 shown]
	v_fma_f64 v[128:129], -v[148:149], v[2:3], v[128:129]
	s_waitcnt lgkmcnt(1)
	v_fma_f64 v[176:177], -v[148:149], v[202:203], v[176:177]
	ds_read2_b64 v[0:3], v6 offset0:28 offset1:29
	v_fma_f64 v[126:127], -v[148:149], v[204:205], v[126:127]
	ds_read2_b64 v[202:205], v6 offset0:30 offset1:31
	s_waitcnt lgkmcnt(2)
	v_fma_f64 v[174:175], -v[148:149], v[206:207], v[174:175]
	v_fma_f64 v[124:125], -v[148:149], v[208:209], v[124:125]
	s_waitcnt lgkmcnt(1)
	v_fma_f64 v[172:173], -v[148:149], v[0:1], v[172:173]
	ds_read2_b64 v[206:209], v6 offset0:32 offset1:33
	v_fma_f64 v[122:123], -v[148:149], v[2:3], v[122:123]
	ds_read2_b64 v[0:3], v6 offset0:34 offset1:35
	s_waitcnt lgkmcnt(2)
	v_fma_f64 v[170:171], -v[148:149], v[202:203], v[170:171]
	v_fma_f64 v[120:121], -v[148:149], v[204:205], v[120:121]
	ds_read2_b64 v[202:205], v6 offset0:36 offset1:37
	s_waitcnt lgkmcnt(2)
	v_fma_f64 v[168:169], -v[148:149], v[206:207], v[168:169]
	;; [unrolled: 4-line block ×3, first 2 shown]
	v_fma_f64 v[116:117], -v[148:149], v[2:3], v[116:117]
	s_waitcnt lgkmcnt(1)
	v_fma_f64 v[164:165], -v[148:149], v[202:203], v[164:165]
	ds_read2_b64 v[0:3], v6 offset0:40 offset1:41
	v_fma_f64 v[114:115], -v[148:149], v[204:205], v[114:115]
	ds_read2_b64 v[202:205], v6 offset0:42 offset1:43
	s_waitcnt lgkmcnt(2)
	v_fma_f64 v[162:163], -v[148:149], v[206:207], v[162:163]
	v_fma_f64 v[112:113], -v[148:149], v[208:209], v[112:113]
	s_waitcnt lgkmcnt(1)
	v_fma_f64 v[160:161], -v[148:149], v[0:1], v[160:161]
	v_fma_f64 v[110:111], -v[148:149], v[2:3], v[110:111]
	ds_read2_b64 v[0:3], v6 offset0:44 offset1:45
	ds_read2_b64 v[206:209], v6 offset0:46 offset1:47
	s_waitcnt lgkmcnt(2)
	v_fma_f64 v[158:159], -v[148:149], v[202:203], v[158:159]
	v_fma_f64 v[108:109], -v[148:149], v[204:205], v[108:109]
	ds_read2_b64 v[202:205], v6 offset0:48 offset1:49
	s_waitcnt lgkmcnt(2)
	v_fma_f64 v[156:157], -v[148:149], v[0:1], v[156:157]
	v_fma_f64 v[106:107], -v[148:149], v[2:3], v[106:107]
	s_waitcnt lgkmcnt(1)
	v_fma_f64 v[154:155], -v[148:149], v[206:207], v[154:155]
	v_fma_f64 v[104:105], -v[148:149], v[208:209], v[104:105]
	;; [unrolled: 3-line block ×3, first 2 shown]
.LBB99_21:
	s_or_b64 exec, exec, s[2:3]
	v_cmp_eq_u32_e32 vcc, 4, v4
	s_barrier
	s_and_saveexec_b64 s[2:3], vcc
	s_cbranch_execz .LBB99_24
; %bb.22:
	s_waitcnt vmcnt(51)
	ds_write_b64 v5, v[196:197]
	s_waitcnt vmcnt(49)
	ds_write2_b64 v6, v[146:147], v[194:195] offset0:5 offset1:6
	s_waitcnt vmcnt(47)
	ds_write2_b64 v6, v[144:145], v[192:193] offset0:7 offset1:8
	;; [unrolled: 2-line block ×22, first 2 shown]
	s_waitcnt vmcnt(6)
	ds_write_b64 v6, v[200:201] offset:392
	ds_read_b64 v[0:1], v5
	s_waitcnt lgkmcnt(0)
	v_cmp_neq_f64_e32 vcc, 0, v[0:1]
	s_and_b64 exec, exec, vcc
	s_cbranch_execz .LBB99_24
; %bb.23:
	v_div_scale_f64 v[2:3], s[6:7], v[0:1], v[0:1], 1.0
	v_rcp_f64_e32 v[8:9], v[2:3]
	v_div_scale_f64 v[10:11], vcc, 1.0, v[0:1], 1.0
	v_fma_f64 v[202:203], -v[2:3], v[8:9], 1.0
	v_fmac_f64_e32 v[8:9], v[8:9], v[202:203]
	v_fma_f64 v[202:203], -v[2:3], v[8:9], 1.0
	v_fmac_f64_e32 v[8:9], v[8:9], v[202:203]
	v_mul_f64 v[202:203], v[10:11], v[8:9]
	v_fma_f64 v[2:3], -v[2:3], v[202:203], v[10:11]
	v_div_fmas_f64 v[2:3], v[2:3], v[8:9], v[202:203]
	v_div_fixup_f64 v[0:1], v[2:3], v[0:1], 1.0
	ds_write_b64 v5, v[0:1]
.LBB99_24:
	s_or_b64 exec, exec, s[2:3]
	s_waitcnt lgkmcnt(0)
	s_barrier
	ds_read_b64 v[0:1], v5
	v_cmp_lt_u32_e32 vcc, 4, v4
	s_waitcnt lgkmcnt(0)
	buffer_store_dword v0, off, s[16:19], 0 offset:24 ; 4-byte Folded Spill
	s_nop 0
	buffer_store_dword v1, off, s[16:19], 0 offset:28 ; 4-byte Folded Spill
	s_and_saveexec_b64 s[2:3], vcc
	s_cbranch_execz .LBB99_26
; %bb.25:
	ds_read2_b64 v[0:3], v6 offset0:5 offset1:6
	ds_read2_b64 v[202:205], v6 offset0:7 offset1:8
	buffer_load_dword v8, off, s[16:19], 0 offset:24 ; 4-byte Folded Reload
	buffer_load_dword v9, off, s[16:19], 0 offset:28 ; 4-byte Folded Reload
	ds_read2_b64 v[206:209], v6 offset0:9 offset1:10
	s_waitcnt vmcnt(0)
	v_mul_f64 v[196:197], v[8:9], v[196:197]
	s_waitcnt lgkmcnt(2)
	v_fma_f64 v[146:147], -v[196:197], v[0:1], v[146:147]
	v_fma_f64 v[194:195], -v[196:197], v[2:3], v[194:195]
	ds_read2_b64 v[0:3], v6 offset0:11 offset1:12
	s_waitcnt lgkmcnt(2)
	v_fma_f64 v[144:145], -v[196:197], v[202:203], v[144:145]
	v_fma_f64 v[192:193], -v[196:197], v[204:205], v[192:193]
	s_waitcnt lgkmcnt(1)
	v_fma_f64 v[142:143], -v[196:197], v[206:207], v[142:143]
	ds_read2_b64 v[202:205], v6 offset0:13 offset1:14
	v_fma_f64 v[190:191], -v[196:197], v[208:209], v[190:191]
	ds_read2_b64 v[206:209], v6 offset0:15 offset1:16
	s_waitcnt lgkmcnt(2)
	v_fma_f64 v[140:141], -v[196:197], v[0:1], v[140:141]
	v_fma_f64 v[188:189], -v[196:197], v[2:3], v[188:189]
	ds_read2_b64 v[0:3], v6 offset0:17 offset1:18
	s_waitcnt lgkmcnt(2)
	v_fma_f64 v[138:139], -v[196:197], v[202:203], v[138:139]
	;; [unrolled: 4-line block ×3, first 2 shown]
	v_fma_f64 v[184:185], -v[196:197], v[208:209], v[184:185]
	s_waitcnt lgkmcnt(1)
	v_fma_f64 v[134:135], -v[196:197], v[0:1], v[134:135]
	ds_read2_b64 v[206:209], v6 offset0:21 offset1:22
	v_fma_f64 v[182:183], -v[196:197], v[2:3], v[182:183]
	ds_read2_b64 v[0:3], v6 offset0:23 offset1:24
	s_waitcnt lgkmcnt(2)
	v_fma_f64 v[132:133], -v[196:197], v[202:203], v[132:133]
	v_fma_f64 v[180:181], -v[196:197], v[204:205], v[180:181]
	s_waitcnt lgkmcnt(1)
	v_fma_f64 v[130:131], -v[196:197], v[206:207], v[130:131]
	ds_read2_b64 v[202:205], v6 offset0:25 offset1:26
	v_fma_f64 v[178:179], -v[196:197], v[208:209], v[178:179]
	ds_read2_b64 v[206:209], v6 offset0:27 offset1:28
	s_waitcnt lgkmcnt(2)
	v_fma_f64 v[128:129], -v[196:197], v[0:1], v[128:129]
	v_fma_f64 v[176:177], -v[196:197], v[2:3], v[176:177]
	ds_read2_b64 v[0:3], v6 offset0:29 offset1:30
	s_waitcnt lgkmcnt(2)
	v_fma_f64 v[126:127], -v[196:197], v[202:203], v[126:127]
	;; [unrolled: 4-line block ×3, first 2 shown]
	v_fma_f64 v[172:173], -v[196:197], v[208:209], v[172:173]
	s_waitcnt lgkmcnt(1)
	v_fma_f64 v[122:123], -v[196:197], v[0:1], v[122:123]
	ds_read2_b64 v[206:209], v6 offset0:33 offset1:34
	v_fma_f64 v[170:171], -v[196:197], v[2:3], v[170:171]
	ds_read2_b64 v[0:3], v6 offset0:35 offset1:36
	s_waitcnt lgkmcnt(2)
	v_fma_f64 v[120:121], -v[196:197], v[202:203], v[120:121]
	v_fma_f64 v[168:169], -v[196:197], v[204:205], v[168:169]
	s_waitcnt lgkmcnt(1)
	v_fma_f64 v[118:119], -v[196:197], v[206:207], v[118:119]
	ds_read2_b64 v[202:205], v6 offset0:37 offset1:38
	v_fma_f64 v[166:167], -v[196:197], v[208:209], v[166:167]
	ds_read2_b64 v[206:209], v6 offset0:39 offset1:40
	s_waitcnt lgkmcnt(2)
	v_fma_f64 v[116:117], -v[196:197], v[0:1], v[116:117]
	v_fma_f64 v[164:165], -v[196:197], v[2:3], v[164:165]
	ds_read2_b64 v[0:3], v6 offset0:41 offset1:42
	s_waitcnt lgkmcnt(2)
	v_fma_f64 v[114:115], -v[196:197], v[202:203], v[114:115]
	v_fma_f64 v[162:163], -v[196:197], v[204:205], v[162:163]
	ds_read2_b64 v[202:205], v6 offset0:43 offset1:44
	s_waitcnt lgkmcnt(2)
	v_fma_f64 v[112:113], -v[196:197], v[206:207], v[112:113]
	v_fma_f64 v[160:161], -v[196:197], v[208:209], v[160:161]
	s_waitcnt lgkmcnt(1)
	v_fma_f64 v[110:111], -v[196:197], v[0:1], v[110:111]
	v_fma_f64 v[158:159], -v[196:197], v[2:3], v[158:159]
	ds_read2_b64 v[0:3], v6 offset0:45 offset1:46
	ds_read2_b64 v[206:209], v6 offset0:47 offset1:48
	ds_read_b64 v[8:9], v6 offset:392
	s_waitcnt lgkmcnt(3)
	v_fma_f64 v[108:109], -v[196:197], v[202:203], v[108:109]
	v_fma_f64 v[156:157], -v[196:197], v[204:205], v[156:157]
	s_waitcnt lgkmcnt(2)
	v_fma_f64 v[106:107], -v[196:197], v[0:1], v[106:107]
	v_fma_f64 v[154:155], -v[196:197], v[2:3], v[154:155]
	;; [unrolled: 3-line block ×3, first 2 shown]
	s_waitcnt lgkmcnt(0)
	v_fma_f64 v[200:201], -v[196:197], v[8:9], v[200:201]
.LBB99_26:
	s_or_b64 exec, exec, s[2:3]
	v_cmp_eq_u32_e32 vcc, 5, v4
	s_barrier
	s_and_saveexec_b64 s[2:3], vcc
	s_cbranch_execz .LBB99_29
; %bb.27:
	s_waitcnt vmcnt(51)
	v_mov_b32_e32 v0, v194
	v_mov_b32_e32 v1, v195
	s_waitcnt vmcnt(50)
	v_mov_b32_e32 v2, v144
	v_mov_b32_e32 v3, v145
	ds_write_b64 v5, v[146:147]
	ds_write2_b64 v6, v[0:1], v[2:3] offset0:6 offset1:7
	s_waitcnt vmcnt(49)
	v_mov_b32_e32 v0, v192
	v_mov_b32_e32 v1, v193
	s_waitcnt vmcnt(48)
	v_mov_b32_e32 v2, v142
	v_mov_b32_e32 v3, v143
	ds_write2_b64 v6, v[0:1], v[2:3] offset0:8 offset1:9
	s_waitcnt vmcnt(47)
	v_mov_b32_e32 v0, v190
	v_mov_b32_e32 v1, v191
	s_waitcnt vmcnt(46)
	v_mov_b32_e32 v2, v140
	v_mov_b32_e32 v3, v141
	;; [unrolled: 7-line block ×20, first 2 shown]
	ds_write2_b64 v6, v[0:1], v[2:3] offset0:46 offset1:47
	s_waitcnt vmcnt(9)
	v_mov_b32_e32 v0, v152
	v_mov_b32_e32 v1, v153
	s_waitcnt vmcnt(8)
	ds_write2_b64 v6, v[0:1], v[200:201] offset0:48 offset1:49
	ds_read_b64 v[0:1], v5
	s_waitcnt lgkmcnt(0)
	v_cmp_neq_f64_e32 vcc, 0, v[0:1]
	s_and_b64 exec, exec, vcc
	s_cbranch_execz .LBB99_29
; %bb.28:
	v_div_scale_f64 v[2:3], s[6:7], v[0:1], v[0:1], 1.0
	v_rcp_f64_e32 v[8:9], v[2:3]
	v_div_scale_f64 v[10:11], vcc, 1.0, v[0:1], 1.0
	v_fma_f64 v[202:203], -v[2:3], v[8:9], 1.0
	v_fmac_f64_e32 v[8:9], v[8:9], v[202:203]
	v_fma_f64 v[202:203], -v[2:3], v[8:9], 1.0
	v_fmac_f64_e32 v[8:9], v[8:9], v[202:203]
	v_mul_f64 v[202:203], v[10:11], v[8:9]
	v_fma_f64 v[2:3], -v[2:3], v[202:203], v[10:11]
	v_div_fmas_f64 v[2:3], v[2:3], v[8:9], v[202:203]
	v_div_fixup_f64 v[0:1], v[2:3], v[0:1], 1.0
	ds_write_b64 v5, v[0:1]
.LBB99_29:
	s_or_b64 exec, exec, s[2:3]
	s_waitcnt lgkmcnt(0)
	s_barrier
	ds_read_b64 v[0:1], v5
	v_cmp_lt_u32_e32 vcc, 5, v4
	s_waitcnt lgkmcnt(0)
	buffer_store_dword v0, off, s[16:19], 0 offset:32 ; 4-byte Folded Spill
	s_nop 0
	buffer_store_dword v1, off, s[16:19], 0 offset:36 ; 4-byte Folded Spill
	s_and_saveexec_b64 s[2:3], vcc
	s_cbranch_execz .LBB99_31
; %bb.30:
	ds_read2_b64 v[0:3], v6 offset0:6 offset1:7
	ds_read2_b64 v[202:205], v6 offset0:8 offset1:9
	buffer_load_dword v8, off, s[16:19], 0 offset:32 ; 4-byte Folded Reload
	buffer_load_dword v9, off, s[16:19], 0 offset:36 ; 4-byte Folded Reload
	ds_read2_b64 v[206:209], v6 offset0:10 offset1:11
	s_waitcnt vmcnt(0)
	v_mul_f64 v[146:147], v[8:9], v[146:147]
	s_waitcnt lgkmcnt(2)
	v_fma_f64 v[194:195], -v[146:147], v[0:1], v[194:195]
	v_fma_f64 v[144:145], -v[146:147], v[2:3], v[144:145]
	ds_read2_b64 v[0:3], v6 offset0:12 offset1:13
	s_waitcnt lgkmcnt(2)
	v_fma_f64 v[192:193], -v[146:147], v[202:203], v[192:193]
	v_fma_f64 v[142:143], -v[146:147], v[204:205], v[142:143]
	s_waitcnt lgkmcnt(1)
	v_fma_f64 v[190:191], -v[146:147], v[206:207], v[190:191]
	ds_read2_b64 v[202:205], v6 offset0:14 offset1:15
	v_fma_f64 v[140:141], -v[146:147], v[208:209], v[140:141]
	ds_read2_b64 v[206:209], v6 offset0:16 offset1:17
	s_waitcnt lgkmcnt(2)
	v_fma_f64 v[188:189], -v[146:147], v[0:1], v[188:189]
	v_fma_f64 v[138:139], -v[146:147], v[2:3], v[138:139]
	ds_read2_b64 v[0:3], v6 offset0:18 offset1:19
	s_waitcnt lgkmcnt(2)
	v_fma_f64 v[186:187], -v[146:147], v[202:203], v[186:187]
	v_fma_f64 v[136:137], -v[146:147], v[204:205], v[136:137]
	ds_read2_b64 v[202:205], v6 offset0:20 offset1:21
	s_waitcnt lgkmcnt(2)
	v_fma_f64 v[184:185], -v[146:147], v[206:207], v[184:185]
	v_fma_f64 v[134:135], -v[146:147], v[208:209], v[134:135]
	s_waitcnt lgkmcnt(1)
	v_fma_f64 v[182:183], -v[146:147], v[0:1], v[182:183]
	ds_read2_b64 v[206:209], v6 offset0:22 offset1:23
	v_fma_f64 v[132:133], -v[146:147], v[2:3], v[132:133]
	ds_read2_b64 v[0:3], v6 offset0:24 offset1:25
	s_waitcnt lgkmcnt(2)
	v_fma_f64 v[180:181], -v[146:147], v[202:203], v[180:181]
	v_fma_f64 v[130:131], -v[146:147], v[204:205], v[130:131]
	s_waitcnt lgkmcnt(1)
	v_fma_f64 v[178:179], -v[146:147], v[206:207], v[178:179]
	ds_read2_b64 v[202:205], v6 offset0:26 offset1:27
	v_fma_f64 v[128:129], -v[146:147], v[208:209], v[128:129]
	ds_read2_b64 v[206:209], v6 offset0:28 offset1:29
	s_waitcnt lgkmcnt(2)
	v_fma_f64 v[176:177], -v[146:147], v[0:1], v[176:177]
	v_fma_f64 v[126:127], -v[146:147], v[2:3], v[126:127]
	ds_read2_b64 v[0:3], v6 offset0:30 offset1:31
	s_waitcnt lgkmcnt(2)
	v_fma_f64 v[174:175], -v[146:147], v[202:203], v[174:175]
	v_fma_f64 v[124:125], -v[146:147], v[204:205], v[124:125]
	ds_read2_b64 v[202:205], v6 offset0:32 offset1:33
	s_waitcnt lgkmcnt(2)
	v_fma_f64 v[172:173], -v[146:147], v[206:207], v[172:173]
	v_fma_f64 v[122:123], -v[146:147], v[208:209], v[122:123]
	s_waitcnt lgkmcnt(1)
	v_fma_f64 v[170:171], -v[146:147], v[0:1], v[170:171]
	ds_read2_b64 v[206:209], v6 offset0:34 offset1:35
	;; [unrolled: 24-line block ×3, first 2 shown]
	v_fma_f64 v[108:109], -v[146:147], v[2:3], v[108:109]
	ds_read2_b64 v[0:3], v6 offset0:48 offset1:49
	s_waitcnt lgkmcnt(2)
	v_fma_f64 v[156:157], -v[146:147], v[202:203], v[156:157]
	v_fma_f64 v[106:107], -v[146:147], v[204:205], v[106:107]
	s_waitcnt lgkmcnt(1)
	v_fma_f64 v[154:155], -v[146:147], v[206:207], v[154:155]
	v_fma_f64 v[104:105], -v[146:147], v[208:209], v[104:105]
	s_waitcnt lgkmcnt(0)
	v_fma_f64 v[152:153], -v[146:147], v[0:1], v[152:153]
	v_fma_f64 v[200:201], -v[146:147], v[2:3], v[200:201]
.LBB99_31:
	s_or_b64 exec, exec, s[2:3]
	v_cmp_eq_u32_e32 vcc, 6, v4
	s_barrier
	s_and_saveexec_b64 s[2:3], vcc
	s_cbranch_execz .LBB99_34
; %bb.32:
	s_waitcnt vmcnt(53)
	ds_write_b64 v5, v[194:195]
	s_waitcnt vmcnt(51)
	ds_write2_b64 v6, v[144:145], v[192:193] offset0:7 offset1:8
	s_waitcnt vmcnt(49)
	ds_write2_b64 v6, v[142:143], v[190:191] offset0:9 offset1:10
	;; [unrolled: 2-line block ×21, first 2 shown]
	s_waitcnt vmcnt(10)
	ds_write_b64 v6, v[200:201] offset:392
	ds_read_b64 v[0:1], v5
	s_waitcnt lgkmcnt(0)
	v_cmp_neq_f64_e32 vcc, 0, v[0:1]
	s_and_b64 exec, exec, vcc
	s_cbranch_execz .LBB99_34
; %bb.33:
	v_div_scale_f64 v[2:3], s[6:7], v[0:1], v[0:1], 1.0
	v_rcp_f64_e32 v[8:9], v[2:3]
	v_div_scale_f64 v[10:11], vcc, 1.0, v[0:1], 1.0
	v_fma_f64 v[202:203], -v[2:3], v[8:9], 1.0
	v_fmac_f64_e32 v[8:9], v[8:9], v[202:203]
	v_fma_f64 v[202:203], -v[2:3], v[8:9], 1.0
	v_fmac_f64_e32 v[8:9], v[8:9], v[202:203]
	v_mul_f64 v[202:203], v[10:11], v[8:9]
	v_fma_f64 v[2:3], -v[2:3], v[202:203], v[10:11]
	v_div_fmas_f64 v[2:3], v[2:3], v[8:9], v[202:203]
	v_div_fixup_f64 v[0:1], v[2:3], v[0:1], 1.0
	ds_write_b64 v5, v[0:1]
.LBB99_34:
	s_or_b64 exec, exec, s[2:3]
	s_waitcnt lgkmcnt(0)
	s_barrier
	ds_read_b64 v[0:1], v5
	v_cmp_lt_u32_e32 vcc, 6, v4
	s_waitcnt lgkmcnt(0)
	buffer_store_dword v0, off, s[16:19], 0 offset:40 ; 4-byte Folded Spill
	s_nop 0
	buffer_store_dword v1, off, s[16:19], 0 offset:44 ; 4-byte Folded Spill
	s_and_saveexec_b64 s[2:3], vcc
	s_cbranch_execz .LBB99_36
; %bb.35:
	ds_read2_b64 v[0:3], v6 offset0:7 offset1:8
	ds_read2_b64 v[202:205], v6 offset0:9 offset1:10
	buffer_load_dword v8, off, s[16:19], 0 offset:40 ; 4-byte Folded Reload
	buffer_load_dword v9, off, s[16:19], 0 offset:44 ; 4-byte Folded Reload
	ds_read2_b64 v[206:209], v6 offset0:11 offset1:12
	s_waitcnt vmcnt(0)
	v_mul_f64 v[194:195], v[8:9], v[194:195]
	s_waitcnt lgkmcnt(2)
	v_fma_f64 v[144:145], -v[194:195], v[0:1], v[144:145]
	v_fma_f64 v[192:193], -v[194:195], v[2:3], v[192:193]
	ds_read2_b64 v[0:3], v6 offset0:13 offset1:14
	s_waitcnt lgkmcnt(2)
	v_fma_f64 v[142:143], -v[194:195], v[202:203], v[142:143]
	v_fma_f64 v[190:191], -v[194:195], v[204:205], v[190:191]
	s_waitcnt lgkmcnt(1)
	v_fma_f64 v[140:141], -v[194:195], v[206:207], v[140:141]
	ds_read2_b64 v[202:205], v6 offset0:15 offset1:16
	v_fma_f64 v[188:189], -v[194:195], v[208:209], v[188:189]
	ds_read2_b64 v[206:209], v6 offset0:17 offset1:18
	s_waitcnt lgkmcnt(2)
	v_fma_f64 v[138:139], -v[194:195], v[0:1], v[138:139]
	v_fma_f64 v[186:187], -v[194:195], v[2:3], v[186:187]
	ds_read2_b64 v[0:3], v6 offset0:19 offset1:20
	s_waitcnt lgkmcnt(2)
	v_fma_f64 v[136:137], -v[194:195], v[202:203], v[136:137]
	v_fma_f64 v[184:185], -v[194:195], v[204:205], v[184:185]
	ds_read2_b64 v[202:205], v6 offset0:21 offset1:22
	s_waitcnt lgkmcnt(2)
	v_fma_f64 v[134:135], -v[194:195], v[206:207], v[134:135]
	v_fma_f64 v[182:183], -v[194:195], v[208:209], v[182:183]
	s_waitcnt lgkmcnt(1)
	v_fma_f64 v[132:133], -v[194:195], v[0:1], v[132:133]
	ds_read2_b64 v[206:209], v6 offset0:23 offset1:24
	v_fma_f64 v[180:181], -v[194:195], v[2:3], v[180:181]
	ds_read2_b64 v[0:3], v6 offset0:25 offset1:26
	s_waitcnt lgkmcnt(2)
	v_fma_f64 v[130:131], -v[194:195], v[202:203], v[130:131]
	v_fma_f64 v[178:179], -v[194:195], v[204:205], v[178:179]
	s_waitcnt lgkmcnt(1)
	v_fma_f64 v[128:129], -v[194:195], v[206:207], v[128:129]
	ds_read2_b64 v[202:205], v6 offset0:27 offset1:28
	v_fma_f64 v[176:177], -v[194:195], v[208:209], v[176:177]
	ds_read2_b64 v[206:209], v6 offset0:29 offset1:30
	s_waitcnt lgkmcnt(2)
	v_fma_f64 v[126:127], -v[194:195], v[0:1], v[126:127]
	v_fma_f64 v[174:175], -v[194:195], v[2:3], v[174:175]
	ds_read2_b64 v[0:3], v6 offset0:31 offset1:32
	s_waitcnt lgkmcnt(2)
	v_fma_f64 v[124:125], -v[194:195], v[202:203], v[124:125]
	v_fma_f64 v[172:173], -v[194:195], v[204:205], v[172:173]
	ds_read2_b64 v[202:205], v6 offset0:33 offset1:34
	s_waitcnt lgkmcnt(2)
	v_fma_f64 v[122:123], -v[194:195], v[206:207], v[122:123]
	v_fma_f64 v[170:171], -v[194:195], v[208:209], v[170:171]
	s_waitcnt lgkmcnt(1)
	v_fma_f64 v[120:121], -v[194:195], v[0:1], v[120:121]
	ds_read2_b64 v[206:209], v6 offset0:35 offset1:36
	;; [unrolled: 24-line block ×3, first 2 shown]
	ds_read_b64 v[0:1], v6 offset:392
	v_fma_f64 v[156:157], -v[194:195], v[2:3], v[156:157]
	s_waitcnt lgkmcnt(2)
	v_fma_f64 v[106:107], -v[194:195], v[202:203], v[106:107]
	v_fma_f64 v[154:155], -v[194:195], v[204:205], v[154:155]
	s_waitcnt lgkmcnt(1)
	v_fma_f64 v[104:105], -v[194:195], v[206:207], v[104:105]
	;; [unrolled: 3-line block ×3, first 2 shown]
.LBB99_36:
	s_or_b64 exec, exec, s[2:3]
	v_cmp_eq_u32_e32 vcc, 7, v4
	s_barrier
	s_and_saveexec_b64 s[2:3], vcc
	s_cbranch_execz .LBB99_39
; %bb.37:
	s_waitcnt vmcnt(53)
	v_mov_b32_e32 v0, v192
	v_mov_b32_e32 v1, v193
	s_waitcnt vmcnt(52)
	v_mov_b32_e32 v2, v142
	v_mov_b32_e32 v3, v143
	ds_write_b64 v5, v[144:145]
	ds_write2_b64 v6, v[0:1], v[2:3] offset0:8 offset1:9
	s_waitcnt vmcnt(51)
	v_mov_b32_e32 v0, v190
	v_mov_b32_e32 v1, v191
	s_waitcnt vmcnt(50)
	v_mov_b32_e32 v2, v140
	v_mov_b32_e32 v3, v141
	ds_write2_b64 v6, v[0:1], v[2:3] offset0:10 offset1:11
	s_waitcnt vmcnt(49)
	v_mov_b32_e32 v0, v188
	v_mov_b32_e32 v1, v189
	s_waitcnt vmcnt(48)
	v_mov_b32_e32 v2, v138
	v_mov_b32_e32 v3, v139
	;; [unrolled: 7-line block ×19, first 2 shown]
	ds_write2_b64 v6, v[0:1], v[2:3] offset0:46 offset1:47
	s_waitcnt vmcnt(13)
	v_mov_b32_e32 v0, v152
	v_mov_b32_e32 v1, v153
	s_waitcnt vmcnt(12)
	ds_write2_b64 v6, v[0:1], v[200:201] offset0:48 offset1:49
	ds_read_b64 v[0:1], v5
	s_waitcnt lgkmcnt(0)
	v_cmp_neq_f64_e32 vcc, 0, v[0:1]
	s_and_b64 exec, exec, vcc
	s_cbranch_execz .LBB99_39
; %bb.38:
	v_div_scale_f64 v[2:3], s[6:7], v[0:1], v[0:1], 1.0
	v_rcp_f64_e32 v[8:9], v[2:3]
	v_div_scale_f64 v[10:11], vcc, 1.0, v[0:1], 1.0
	v_fma_f64 v[202:203], -v[2:3], v[8:9], 1.0
	v_fmac_f64_e32 v[8:9], v[8:9], v[202:203]
	v_fma_f64 v[202:203], -v[2:3], v[8:9], 1.0
	v_fmac_f64_e32 v[8:9], v[8:9], v[202:203]
	v_mul_f64 v[202:203], v[10:11], v[8:9]
	v_fma_f64 v[2:3], -v[2:3], v[202:203], v[10:11]
	v_div_fmas_f64 v[2:3], v[2:3], v[8:9], v[202:203]
	v_div_fixup_f64 v[0:1], v[2:3], v[0:1], 1.0
	ds_write_b64 v5, v[0:1]
.LBB99_39:
	s_or_b64 exec, exec, s[2:3]
	s_waitcnt lgkmcnt(0)
	s_barrier
	ds_read_b64 v[0:1], v5
	v_cmp_lt_u32_e32 vcc, 7, v4
	s_waitcnt lgkmcnt(0)
	buffer_store_dword v0, off, s[16:19], 0 offset:48 ; 4-byte Folded Spill
	s_nop 0
	buffer_store_dword v1, off, s[16:19], 0 offset:52 ; 4-byte Folded Spill
	s_and_saveexec_b64 s[2:3], vcc
	s_cbranch_execz .LBB99_41
; %bb.40:
	ds_read2_b64 v[0:3], v6 offset0:8 offset1:9
	ds_read2_b64 v[202:205], v6 offset0:10 offset1:11
	buffer_load_dword v8, off, s[16:19], 0 offset:48 ; 4-byte Folded Reload
	buffer_load_dword v9, off, s[16:19], 0 offset:52 ; 4-byte Folded Reload
	ds_read2_b64 v[206:209], v6 offset0:12 offset1:13
	s_waitcnt vmcnt(0)
	v_mul_f64 v[144:145], v[8:9], v[144:145]
	s_waitcnt lgkmcnt(2)
	v_fma_f64 v[192:193], -v[144:145], v[0:1], v[192:193]
	v_fma_f64 v[142:143], -v[144:145], v[2:3], v[142:143]
	ds_read2_b64 v[0:3], v6 offset0:14 offset1:15
	s_waitcnt lgkmcnt(2)
	v_fma_f64 v[190:191], -v[144:145], v[202:203], v[190:191]
	v_fma_f64 v[140:141], -v[144:145], v[204:205], v[140:141]
	s_waitcnt lgkmcnt(1)
	v_fma_f64 v[188:189], -v[144:145], v[206:207], v[188:189]
	ds_read2_b64 v[202:205], v6 offset0:16 offset1:17
	v_fma_f64 v[138:139], -v[144:145], v[208:209], v[138:139]
	ds_read2_b64 v[206:209], v6 offset0:18 offset1:19
	s_waitcnt lgkmcnt(2)
	v_fma_f64 v[186:187], -v[144:145], v[0:1], v[186:187]
	v_fma_f64 v[136:137], -v[144:145], v[2:3], v[136:137]
	s_waitcnt lgkmcnt(1)
	v_fma_f64 v[184:185], -v[144:145], v[202:203], v[184:185]
	ds_read2_b64 v[0:3], v6 offset0:20 offset1:21
	v_fma_f64 v[134:135], -v[144:145], v[204:205], v[134:135]
	ds_read2_b64 v[202:205], v6 offset0:22 offset1:23
	s_waitcnt lgkmcnt(2)
	v_fma_f64 v[182:183], -v[144:145], v[206:207], v[182:183]
	v_fma_f64 v[132:133], -v[144:145], v[208:209], v[132:133]
	ds_read2_b64 v[206:209], v6 offset0:24 offset1:25
	s_waitcnt lgkmcnt(2)
	v_fma_f64 v[180:181], -v[144:145], v[0:1], v[180:181]
	;; [unrolled: 4-line block ×3, first 2 shown]
	v_fma_f64 v[128:129], -v[144:145], v[204:205], v[128:129]
	s_waitcnt lgkmcnt(1)
	v_fma_f64 v[176:177], -v[144:145], v[206:207], v[176:177]
	ds_read2_b64 v[202:205], v6 offset0:28 offset1:29
	v_fma_f64 v[126:127], -v[144:145], v[208:209], v[126:127]
	ds_read2_b64 v[206:209], v6 offset0:30 offset1:31
	s_waitcnt lgkmcnt(2)
	v_fma_f64 v[174:175], -v[144:145], v[0:1], v[174:175]
	v_fma_f64 v[124:125], -v[144:145], v[2:3], v[124:125]
	s_waitcnt lgkmcnt(1)
	v_fma_f64 v[172:173], -v[144:145], v[202:203], v[172:173]
	ds_read2_b64 v[0:3], v6 offset0:32 offset1:33
	v_fma_f64 v[122:123], -v[144:145], v[204:205], v[122:123]
	ds_read2_b64 v[202:205], v6 offset0:34 offset1:35
	s_waitcnt lgkmcnt(2)
	v_fma_f64 v[170:171], -v[144:145], v[206:207], v[170:171]
	v_fma_f64 v[120:121], -v[144:145], v[208:209], v[120:121]
	ds_read2_b64 v[206:209], v6 offset0:36 offset1:37
	s_waitcnt lgkmcnt(2)
	v_fma_f64 v[168:169], -v[144:145], v[0:1], v[168:169]
	;; [unrolled: 4-line block ×3, first 2 shown]
	v_fma_f64 v[116:117], -v[144:145], v[204:205], v[116:117]
	s_waitcnt lgkmcnt(1)
	v_fma_f64 v[164:165], -v[144:145], v[206:207], v[164:165]
	ds_read2_b64 v[202:205], v6 offset0:40 offset1:41
	v_fma_f64 v[114:115], -v[144:145], v[208:209], v[114:115]
	ds_read2_b64 v[206:209], v6 offset0:42 offset1:43
	s_waitcnt lgkmcnt(2)
	v_fma_f64 v[162:163], -v[144:145], v[0:1], v[162:163]
	v_fma_f64 v[112:113], -v[144:145], v[2:3], v[112:113]
	s_waitcnt lgkmcnt(1)
	v_fma_f64 v[160:161], -v[144:145], v[202:203], v[160:161]
	v_fma_f64 v[110:111], -v[144:145], v[204:205], v[110:111]
	ds_read2_b64 v[0:3], v6 offset0:44 offset1:45
	ds_read2_b64 v[202:205], v6 offset0:46 offset1:47
	s_waitcnt lgkmcnt(2)
	v_fma_f64 v[158:159], -v[144:145], v[206:207], v[158:159]
	v_fma_f64 v[108:109], -v[144:145], v[208:209], v[108:109]
	ds_read2_b64 v[206:209], v6 offset0:48 offset1:49
	s_waitcnt lgkmcnt(2)
	v_fma_f64 v[156:157], -v[144:145], v[0:1], v[156:157]
	v_fma_f64 v[106:107], -v[144:145], v[2:3], v[106:107]
	s_waitcnt lgkmcnt(1)
	v_fma_f64 v[154:155], -v[144:145], v[202:203], v[154:155]
	v_fma_f64 v[104:105], -v[144:145], v[204:205], v[104:105]
	;; [unrolled: 3-line block ×3, first 2 shown]
.LBB99_41:
	s_or_b64 exec, exec, s[2:3]
	v_cmp_eq_u32_e32 vcc, 8, v4
	s_waitcnt vmcnt(63) expcnt(7) lgkmcnt(15)
	s_barrier
	s_and_saveexec_b64 s[2:3], vcc
	s_cbranch_execz .LBB99_44
; %bb.42:
	s_waitcnt vmcnt(55)
	ds_write_b64 v5, v[192:193]
	s_waitcnt vmcnt(53)
	ds_write2_b64 v6, v[142:143], v[190:191] offset0:9 offset1:10
	s_waitcnt vmcnt(51)
	ds_write2_b64 v6, v[140:141], v[188:189] offset0:11 offset1:12
	;; [unrolled: 2-line block ×20, first 2 shown]
	s_waitcnt vmcnt(14)
	ds_write_b64 v6, v[200:201] offset:392
	ds_read_b64 v[0:1], v5
	s_waitcnt lgkmcnt(0)
	v_cmp_neq_f64_e32 vcc, 0, v[0:1]
	s_and_b64 exec, exec, vcc
	s_cbranch_execz .LBB99_44
; %bb.43:
	v_div_scale_f64 v[2:3], s[6:7], v[0:1], v[0:1], 1.0
	v_rcp_f64_e32 v[8:9], v[2:3]
	v_div_scale_f64 v[10:11], vcc, 1.0, v[0:1], 1.0
	v_fma_f64 v[202:203], -v[2:3], v[8:9], 1.0
	v_fmac_f64_e32 v[8:9], v[8:9], v[202:203]
	v_fma_f64 v[202:203], -v[2:3], v[8:9], 1.0
	v_fmac_f64_e32 v[8:9], v[8:9], v[202:203]
	v_mul_f64 v[202:203], v[10:11], v[8:9]
	v_fma_f64 v[2:3], -v[2:3], v[202:203], v[10:11]
	v_div_fmas_f64 v[2:3], v[2:3], v[8:9], v[202:203]
	v_div_fixup_f64 v[0:1], v[2:3], v[0:1], 1.0
	ds_write_b64 v5, v[0:1]
.LBB99_44:
	s_or_b64 exec, exec, s[2:3]
	s_waitcnt lgkmcnt(0)
	s_barrier
	ds_read_b64 v[0:1], v5
	v_cmp_lt_u32_e32 vcc, 8, v4
	s_waitcnt lgkmcnt(0)
	buffer_store_dword v0, off, s[16:19], 0 offset:56 ; 4-byte Folded Spill
	s_nop 0
	buffer_store_dword v1, off, s[16:19], 0 offset:60 ; 4-byte Folded Spill
	s_and_saveexec_b64 s[2:3], vcc
	s_cbranch_execz .LBB99_46
; %bb.45:
	ds_read2_b64 v[0:3], v6 offset0:9 offset1:10
	ds_read2_b64 v[202:205], v6 offset0:11 offset1:12
	buffer_load_dword v8, off, s[16:19], 0 offset:56 ; 4-byte Folded Reload
	buffer_load_dword v9, off, s[16:19], 0 offset:60 ; 4-byte Folded Reload
	ds_read2_b64 v[206:209], v6 offset0:13 offset1:14
	s_waitcnt vmcnt(0)
	v_mul_f64 v[192:193], v[8:9], v[192:193]
	s_waitcnt lgkmcnt(2)
	v_fma_f64 v[142:143], -v[192:193], v[0:1], v[142:143]
	v_fma_f64 v[190:191], -v[192:193], v[2:3], v[190:191]
	ds_read2_b64 v[0:3], v6 offset0:15 offset1:16
	s_waitcnt lgkmcnt(2)
	v_fma_f64 v[140:141], -v[192:193], v[202:203], v[140:141]
	v_fma_f64 v[188:189], -v[192:193], v[204:205], v[188:189]
	ds_read2_b64 v[202:205], v6 offset0:17 offset1:18
	;; [unrolled: 4-line block ×3, first 2 shown]
	s_waitcnt lgkmcnt(2)
	v_fma_f64 v[136:137], -v[192:193], v[0:1], v[136:137]
	v_fma_f64 v[184:185], -v[192:193], v[2:3], v[184:185]
	s_waitcnt lgkmcnt(1)
	v_fma_f64 v[134:135], -v[192:193], v[202:203], v[134:135]
	ds_read2_b64 v[0:3], v6 offset0:21 offset1:22
	v_fma_f64 v[182:183], -v[192:193], v[204:205], v[182:183]
	ds_read2_b64 v[202:205], v6 offset0:23 offset1:24
	s_waitcnt lgkmcnt(2)
	v_fma_f64 v[132:133], -v[192:193], v[206:207], v[132:133]
	v_fma_f64 v[180:181], -v[192:193], v[208:209], v[180:181]
	s_waitcnt lgkmcnt(1)
	v_fma_f64 v[130:131], -v[192:193], v[0:1], v[130:131]
	ds_read2_b64 v[206:209], v6 offset0:25 offset1:26
	v_fma_f64 v[178:179], -v[192:193], v[2:3], v[178:179]
	ds_read2_b64 v[0:3], v6 offset0:27 offset1:28
	s_waitcnt lgkmcnt(2)
	v_fma_f64 v[128:129], -v[192:193], v[202:203], v[128:129]
	v_fma_f64 v[176:177], -v[192:193], v[204:205], v[176:177]
	ds_read2_b64 v[202:205], v6 offset0:29 offset1:30
	s_waitcnt lgkmcnt(2)
	v_fma_f64 v[126:127], -v[192:193], v[206:207], v[126:127]
	v_fma_f64 v[174:175], -v[192:193], v[208:209], v[174:175]
	ds_read2_b64 v[206:209], v6 offset0:31 offset1:32
	s_waitcnt lgkmcnt(2)
	v_fma_f64 v[124:125], -v[192:193], v[0:1], v[124:125]
	v_fma_f64 v[172:173], -v[192:193], v[2:3], v[172:173]
	s_waitcnt lgkmcnt(1)
	v_fma_f64 v[122:123], -v[192:193], v[202:203], v[122:123]
	ds_read2_b64 v[0:3], v6 offset0:33 offset1:34
	v_fma_f64 v[170:171], -v[192:193], v[204:205], v[170:171]
	ds_read2_b64 v[202:205], v6 offset0:35 offset1:36
	s_waitcnt lgkmcnt(2)
	v_fma_f64 v[120:121], -v[192:193], v[206:207], v[120:121]
	v_fma_f64 v[168:169], -v[192:193], v[208:209], v[168:169]
	s_waitcnt lgkmcnt(1)
	v_fma_f64 v[118:119], -v[192:193], v[0:1], v[118:119]
	ds_read2_b64 v[206:209], v6 offset0:37 offset1:38
	v_fma_f64 v[166:167], -v[192:193], v[2:3], v[166:167]
	ds_read2_b64 v[0:3], v6 offset0:39 offset1:40
	s_waitcnt lgkmcnt(2)
	v_fma_f64 v[116:117], -v[192:193], v[202:203], v[116:117]
	v_fma_f64 v[164:165], -v[192:193], v[204:205], v[164:165]
	ds_read2_b64 v[202:205], v6 offset0:41 offset1:42
	s_waitcnt lgkmcnt(2)
	v_fma_f64 v[114:115], -v[192:193], v[206:207], v[114:115]
	;; [unrolled: 4-line block ×3, first 2 shown]
	v_fma_f64 v[160:161], -v[192:193], v[2:3], v[160:161]
	s_waitcnt lgkmcnt(1)
	v_fma_f64 v[110:111], -v[192:193], v[202:203], v[110:111]
	v_fma_f64 v[158:159], -v[192:193], v[204:205], v[158:159]
	ds_read2_b64 v[0:3], v6 offset0:45 offset1:46
	ds_read2_b64 v[202:205], v6 offset0:47 offset1:48
	ds_read_b64 v[8:9], v6 offset:392
	s_waitcnt lgkmcnt(3)
	v_fma_f64 v[108:109], -v[192:193], v[206:207], v[108:109]
	v_fma_f64 v[156:157], -v[192:193], v[208:209], v[156:157]
	s_waitcnt lgkmcnt(2)
	v_fma_f64 v[106:107], -v[192:193], v[0:1], v[106:107]
	v_fma_f64 v[154:155], -v[192:193], v[2:3], v[154:155]
	;; [unrolled: 3-line block ×3, first 2 shown]
	s_waitcnt lgkmcnt(0)
	v_fma_f64 v[200:201], -v[192:193], v[8:9], v[200:201]
.LBB99_46:
	s_or_b64 exec, exec, s[2:3]
	v_cmp_eq_u32_e32 vcc, 9, v4
	s_waitcnt vmcnt(63) expcnt(7) lgkmcnt(15)
	s_barrier
	s_and_saveexec_b64 s[2:3], vcc
	s_cbranch_execz .LBB99_49
; %bb.47:
	s_waitcnt vmcnt(55)
	v_mov_b32_e32 v0, v190
	v_mov_b32_e32 v1, v191
	s_waitcnt vmcnt(54)
	v_mov_b32_e32 v2, v140
	v_mov_b32_e32 v3, v141
	ds_write_b64 v5, v[142:143]
	ds_write2_b64 v6, v[0:1], v[2:3] offset0:10 offset1:11
	s_waitcnt vmcnt(53)
	v_mov_b32_e32 v0, v188
	v_mov_b32_e32 v1, v189
	s_waitcnt vmcnt(52)
	v_mov_b32_e32 v2, v138
	v_mov_b32_e32 v3, v139
	ds_write2_b64 v6, v[0:1], v[2:3] offset0:12 offset1:13
	s_waitcnt vmcnt(51)
	v_mov_b32_e32 v0, v186
	v_mov_b32_e32 v1, v187
	s_waitcnt vmcnt(50)
	v_mov_b32_e32 v2, v136
	v_mov_b32_e32 v3, v137
	;; [unrolled: 7-line block ×18, first 2 shown]
	ds_write2_b64 v6, v[0:1], v[2:3] offset0:46 offset1:47
	s_waitcnt vmcnt(17)
	v_mov_b32_e32 v0, v152
	v_mov_b32_e32 v1, v153
	s_waitcnt vmcnt(16)
	ds_write2_b64 v6, v[0:1], v[200:201] offset0:48 offset1:49
	ds_read_b64 v[0:1], v5
	s_waitcnt lgkmcnt(0)
	v_cmp_neq_f64_e32 vcc, 0, v[0:1]
	s_and_b64 exec, exec, vcc
	s_cbranch_execz .LBB99_49
; %bb.48:
	v_div_scale_f64 v[2:3], s[6:7], v[0:1], v[0:1], 1.0
	v_rcp_f64_e32 v[8:9], v[2:3]
	v_div_scale_f64 v[10:11], vcc, 1.0, v[0:1], 1.0
	v_fma_f64 v[202:203], -v[2:3], v[8:9], 1.0
	v_fmac_f64_e32 v[8:9], v[8:9], v[202:203]
	v_fma_f64 v[202:203], -v[2:3], v[8:9], 1.0
	v_fmac_f64_e32 v[8:9], v[8:9], v[202:203]
	v_mul_f64 v[202:203], v[10:11], v[8:9]
	v_fma_f64 v[2:3], -v[2:3], v[202:203], v[10:11]
	v_div_fmas_f64 v[2:3], v[2:3], v[8:9], v[202:203]
	v_div_fixup_f64 v[0:1], v[2:3], v[0:1], 1.0
	ds_write_b64 v5, v[0:1]
.LBB99_49:
	s_or_b64 exec, exec, s[2:3]
	s_waitcnt lgkmcnt(0)
	s_barrier
	ds_read_b64 v[0:1], v5
	v_cmp_lt_u32_e32 vcc, 9, v4
	s_waitcnt lgkmcnt(0)
	buffer_store_dword v0, off, s[16:19], 0 offset:64 ; 4-byte Folded Spill
	s_nop 0
	buffer_store_dword v1, off, s[16:19], 0 offset:68 ; 4-byte Folded Spill
	s_and_saveexec_b64 s[2:3], vcc
	s_cbranch_execz .LBB99_51
; %bb.50:
	ds_read2_b64 v[0:3], v6 offset0:10 offset1:11
	ds_read2_b64 v[202:205], v6 offset0:12 offset1:13
	buffer_load_dword v8, off, s[16:19], 0 offset:64 ; 4-byte Folded Reload
	buffer_load_dword v9, off, s[16:19], 0 offset:68 ; 4-byte Folded Reload
	ds_read2_b64 v[206:209], v6 offset0:14 offset1:15
	s_waitcnt vmcnt(0)
	v_mul_f64 v[142:143], v[8:9], v[142:143]
	s_waitcnt lgkmcnt(2)
	v_fma_f64 v[190:191], -v[142:143], v[0:1], v[190:191]
	v_fma_f64 v[140:141], -v[142:143], v[2:3], v[140:141]
	ds_read2_b64 v[0:3], v6 offset0:16 offset1:17
	s_waitcnt lgkmcnt(2)
	v_fma_f64 v[188:189], -v[142:143], v[202:203], v[188:189]
	v_fma_f64 v[138:139], -v[142:143], v[204:205], v[138:139]
	ds_read2_b64 v[202:205], v6 offset0:18 offset1:19
	;; [unrolled: 4-line block ×3, first 2 shown]
	s_waitcnt lgkmcnt(2)
	v_fma_f64 v[184:185], -v[142:143], v[0:1], v[184:185]
	v_fma_f64 v[134:135], -v[142:143], v[2:3], v[134:135]
	s_waitcnt lgkmcnt(1)
	v_fma_f64 v[182:183], -v[142:143], v[202:203], v[182:183]
	ds_read2_b64 v[0:3], v6 offset0:22 offset1:23
	v_fma_f64 v[132:133], -v[142:143], v[204:205], v[132:133]
	ds_read2_b64 v[202:205], v6 offset0:24 offset1:25
	s_waitcnt lgkmcnt(2)
	v_fma_f64 v[180:181], -v[142:143], v[206:207], v[180:181]
	v_fma_f64 v[130:131], -v[142:143], v[208:209], v[130:131]
	s_waitcnt lgkmcnt(1)
	v_fma_f64 v[178:179], -v[142:143], v[0:1], v[178:179]
	ds_read2_b64 v[206:209], v6 offset0:26 offset1:27
	v_fma_f64 v[128:129], -v[142:143], v[2:3], v[128:129]
	ds_read2_b64 v[0:3], v6 offset0:28 offset1:29
	s_waitcnt lgkmcnt(2)
	v_fma_f64 v[176:177], -v[142:143], v[202:203], v[176:177]
	v_fma_f64 v[126:127], -v[142:143], v[204:205], v[126:127]
	ds_read2_b64 v[202:205], v6 offset0:30 offset1:31
	s_waitcnt lgkmcnt(2)
	v_fma_f64 v[174:175], -v[142:143], v[206:207], v[174:175]
	;; [unrolled: 4-line block ×3, first 2 shown]
	v_fma_f64 v[122:123], -v[142:143], v[2:3], v[122:123]
	s_waitcnt lgkmcnt(1)
	v_fma_f64 v[170:171], -v[142:143], v[202:203], v[170:171]
	ds_read2_b64 v[0:3], v6 offset0:34 offset1:35
	v_fma_f64 v[120:121], -v[142:143], v[204:205], v[120:121]
	ds_read2_b64 v[202:205], v6 offset0:36 offset1:37
	s_waitcnt lgkmcnt(2)
	v_fma_f64 v[168:169], -v[142:143], v[206:207], v[168:169]
	v_fma_f64 v[118:119], -v[142:143], v[208:209], v[118:119]
	s_waitcnt lgkmcnt(1)
	v_fma_f64 v[166:167], -v[142:143], v[0:1], v[166:167]
	ds_read2_b64 v[206:209], v6 offset0:38 offset1:39
	v_fma_f64 v[116:117], -v[142:143], v[2:3], v[116:117]
	ds_read2_b64 v[0:3], v6 offset0:40 offset1:41
	s_waitcnt lgkmcnt(2)
	v_fma_f64 v[164:165], -v[142:143], v[202:203], v[164:165]
	v_fma_f64 v[114:115], -v[142:143], v[204:205], v[114:115]
	ds_read2_b64 v[202:205], v6 offset0:42 offset1:43
	s_waitcnt lgkmcnt(2)
	v_fma_f64 v[162:163], -v[142:143], v[206:207], v[162:163]
	v_fma_f64 v[112:113], -v[142:143], v[208:209], v[112:113]
	s_waitcnt lgkmcnt(1)
	v_fma_f64 v[160:161], -v[142:143], v[0:1], v[160:161]
	v_fma_f64 v[110:111], -v[142:143], v[2:3], v[110:111]
	ds_read2_b64 v[0:3], v6 offset0:44 offset1:45
	s_waitcnt lgkmcnt(1)
	v_fma_f64 v[158:159], -v[142:143], v[202:203], v[158:159]
	ds_read2_b64 v[206:209], v6 offset0:46 offset1:47
	v_fma_f64 v[108:109], -v[142:143], v[204:205], v[108:109]
	ds_read2_b64 v[202:205], v6 offset0:48 offset1:49
	s_waitcnt lgkmcnt(2)
	v_fma_f64 v[156:157], -v[142:143], v[0:1], v[156:157]
	v_fma_f64 v[106:107], -v[142:143], v[2:3], v[106:107]
	s_waitcnt lgkmcnt(1)
	v_fma_f64 v[154:155], -v[142:143], v[206:207], v[154:155]
	v_fma_f64 v[104:105], -v[142:143], v[208:209], v[104:105]
	;; [unrolled: 3-line block ×3, first 2 shown]
.LBB99_51:
	s_or_b64 exec, exec, s[2:3]
	v_cmp_eq_u32_e32 vcc, 10, v4
	s_waitcnt vmcnt(63) expcnt(7) lgkmcnt(15)
	s_barrier
	s_and_saveexec_b64 s[2:3], vcc
	s_cbranch_execz .LBB99_54
; %bb.52:
	s_waitcnt vmcnt(57)
	ds_write_b64 v5, v[190:191]
	s_waitcnt vmcnt(55)
	ds_write2_b64 v6, v[140:141], v[188:189] offset0:11 offset1:12
	s_waitcnt vmcnt(53)
	ds_write2_b64 v6, v[138:139], v[186:187] offset0:13 offset1:14
	;; [unrolled: 2-line block ×19, first 2 shown]
	s_waitcnt vmcnt(18)
	ds_write_b64 v6, v[200:201] offset:392
	ds_read_b64 v[0:1], v5
	s_waitcnt lgkmcnt(0)
	v_cmp_neq_f64_e32 vcc, 0, v[0:1]
	s_and_b64 exec, exec, vcc
	s_cbranch_execz .LBB99_54
; %bb.53:
	v_div_scale_f64 v[2:3], s[6:7], v[0:1], v[0:1], 1.0
	v_rcp_f64_e32 v[8:9], v[2:3]
	v_div_scale_f64 v[10:11], vcc, 1.0, v[0:1], 1.0
	v_fma_f64 v[202:203], -v[2:3], v[8:9], 1.0
	v_fmac_f64_e32 v[8:9], v[8:9], v[202:203]
	v_fma_f64 v[202:203], -v[2:3], v[8:9], 1.0
	v_fmac_f64_e32 v[8:9], v[8:9], v[202:203]
	v_mul_f64 v[202:203], v[10:11], v[8:9]
	v_fma_f64 v[2:3], -v[2:3], v[202:203], v[10:11]
	v_div_fmas_f64 v[2:3], v[2:3], v[8:9], v[202:203]
	v_div_fixup_f64 v[0:1], v[2:3], v[0:1], 1.0
	ds_write_b64 v5, v[0:1]
.LBB99_54:
	s_or_b64 exec, exec, s[2:3]
	s_waitcnt lgkmcnt(0)
	s_barrier
	ds_read_b64 v[0:1], v5
	v_cmp_lt_u32_e32 vcc, 10, v4
	s_waitcnt lgkmcnt(0)
	buffer_store_dword v0, off, s[16:19], 0 offset:72 ; 4-byte Folded Spill
	s_nop 0
	buffer_store_dword v1, off, s[16:19], 0 offset:76 ; 4-byte Folded Spill
	s_and_saveexec_b64 s[2:3], vcc
	s_cbranch_execz .LBB99_56
; %bb.55:
	ds_read2_b64 v[0:3], v6 offset0:11 offset1:12
	ds_read2_b64 v[202:205], v6 offset0:13 offset1:14
	buffer_load_dword v8, off, s[16:19], 0 offset:72 ; 4-byte Folded Reload
	buffer_load_dword v9, off, s[16:19], 0 offset:76 ; 4-byte Folded Reload
	ds_read2_b64 v[206:209], v6 offset0:15 offset1:16
	s_waitcnt vmcnt(0)
	v_mul_f64 v[190:191], v[8:9], v[190:191]
	s_waitcnt lgkmcnt(2)
	v_fma_f64 v[140:141], -v[190:191], v[0:1], v[140:141]
	v_fma_f64 v[188:189], -v[190:191], v[2:3], v[188:189]
	ds_read2_b64 v[0:3], v6 offset0:17 offset1:18
	s_waitcnt lgkmcnt(2)
	v_fma_f64 v[138:139], -v[190:191], v[202:203], v[138:139]
	v_fma_f64 v[186:187], -v[190:191], v[204:205], v[186:187]
	s_waitcnt lgkmcnt(1)
	v_fma_f64 v[136:137], -v[190:191], v[206:207], v[136:137]
	ds_read2_b64 v[202:205], v6 offset0:19 offset1:20
	v_fma_f64 v[184:185], -v[190:191], v[208:209], v[184:185]
	ds_read2_b64 v[206:209], v6 offset0:21 offset1:22
	s_waitcnt lgkmcnt(2)
	v_fma_f64 v[134:135], -v[190:191], v[0:1], v[134:135]
	v_fma_f64 v[182:183], -v[190:191], v[2:3], v[182:183]
	ds_read2_b64 v[0:3], v6 offset0:23 offset1:24
	s_waitcnt lgkmcnt(2)
	v_fma_f64 v[132:133], -v[190:191], v[202:203], v[132:133]
	;; [unrolled: 4-line block ×3, first 2 shown]
	v_fma_f64 v[178:179], -v[190:191], v[208:209], v[178:179]
	s_waitcnt lgkmcnt(1)
	v_fma_f64 v[128:129], -v[190:191], v[0:1], v[128:129]
	ds_read2_b64 v[206:209], v6 offset0:27 offset1:28
	v_fma_f64 v[176:177], -v[190:191], v[2:3], v[176:177]
	ds_read2_b64 v[0:3], v6 offset0:29 offset1:30
	s_waitcnt lgkmcnt(2)
	v_fma_f64 v[126:127], -v[190:191], v[202:203], v[126:127]
	v_fma_f64 v[174:175], -v[190:191], v[204:205], v[174:175]
	s_waitcnt lgkmcnt(1)
	v_fma_f64 v[124:125], -v[190:191], v[206:207], v[124:125]
	ds_read2_b64 v[202:205], v6 offset0:31 offset1:32
	v_fma_f64 v[172:173], -v[190:191], v[208:209], v[172:173]
	ds_read2_b64 v[206:209], v6 offset0:33 offset1:34
	s_waitcnt lgkmcnt(2)
	v_fma_f64 v[122:123], -v[190:191], v[0:1], v[122:123]
	v_fma_f64 v[170:171], -v[190:191], v[2:3], v[170:171]
	ds_read2_b64 v[0:3], v6 offset0:35 offset1:36
	s_waitcnt lgkmcnt(2)
	v_fma_f64 v[120:121], -v[190:191], v[202:203], v[120:121]
	;; [unrolled: 4-line block ×3, first 2 shown]
	v_fma_f64 v[166:167], -v[190:191], v[208:209], v[166:167]
	s_waitcnt lgkmcnt(1)
	v_fma_f64 v[116:117], -v[190:191], v[0:1], v[116:117]
	ds_read2_b64 v[206:209], v6 offset0:39 offset1:40
	v_fma_f64 v[164:165], -v[190:191], v[2:3], v[164:165]
	ds_read2_b64 v[0:3], v6 offset0:41 offset1:42
	s_waitcnt lgkmcnt(2)
	v_fma_f64 v[114:115], -v[190:191], v[202:203], v[114:115]
	v_fma_f64 v[162:163], -v[190:191], v[204:205], v[162:163]
	s_waitcnt lgkmcnt(1)
	v_fma_f64 v[112:113], -v[190:191], v[206:207], v[112:113]
	ds_read2_b64 v[202:205], v6 offset0:43 offset1:44
	v_fma_f64 v[160:161], -v[190:191], v[208:209], v[160:161]
	s_waitcnt lgkmcnt(1)
	v_fma_f64 v[110:111], -v[190:191], v[0:1], v[110:111]
	v_fma_f64 v[158:159], -v[190:191], v[2:3], v[158:159]
	ds_read2_b64 v[0:3], v6 offset0:45 offset1:46
	ds_read2_b64 v[206:209], v6 offset0:47 offset1:48
	ds_read_b64 v[8:9], v6 offset:392
	s_waitcnt lgkmcnt(3)
	v_fma_f64 v[108:109], -v[190:191], v[202:203], v[108:109]
	v_fma_f64 v[156:157], -v[190:191], v[204:205], v[156:157]
	s_waitcnt lgkmcnt(2)
	v_fma_f64 v[106:107], -v[190:191], v[0:1], v[106:107]
	v_fma_f64 v[154:155], -v[190:191], v[2:3], v[154:155]
	;; [unrolled: 3-line block ×3, first 2 shown]
	s_waitcnt lgkmcnt(0)
	v_fma_f64 v[200:201], -v[190:191], v[8:9], v[200:201]
.LBB99_56:
	s_or_b64 exec, exec, s[2:3]
	v_cmp_eq_u32_e32 vcc, 11, v4
	s_waitcnt vmcnt(63) expcnt(7) lgkmcnt(15)
	s_barrier
	s_and_saveexec_b64 s[2:3], vcc
	s_cbranch_execz .LBB99_59
; %bb.57:
	s_waitcnt vmcnt(57)
	v_mov_b32_e32 v0, v188
	v_mov_b32_e32 v1, v189
	s_waitcnt vmcnt(56)
	v_mov_b32_e32 v2, v138
	v_mov_b32_e32 v3, v139
	ds_write_b64 v5, v[140:141]
	ds_write2_b64 v6, v[0:1], v[2:3] offset0:12 offset1:13
	s_waitcnt vmcnt(55)
	v_mov_b32_e32 v0, v186
	v_mov_b32_e32 v1, v187
	s_waitcnt vmcnt(54)
	v_mov_b32_e32 v2, v136
	v_mov_b32_e32 v3, v137
	ds_write2_b64 v6, v[0:1], v[2:3] offset0:14 offset1:15
	s_waitcnt vmcnt(53)
	v_mov_b32_e32 v0, v184
	v_mov_b32_e32 v1, v185
	s_waitcnt vmcnt(52)
	v_mov_b32_e32 v2, v134
	v_mov_b32_e32 v3, v135
	;; [unrolled: 7-line block ×17, first 2 shown]
	ds_write2_b64 v6, v[0:1], v[2:3] offset0:46 offset1:47
	s_waitcnt vmcnt(21)
	v_mov_b32_e32 v0, v152
	v_mov_b32_e32 v1, v153
	s_waitcnt vmcnt(20)
	ds_write2_b64 v6, v[0:1], v[200:201] offset0:48 offset1:49
	ds_read_b64 v[0:1], v5
	s_waitcnt lgkmcnt(0)
	v_cmp_neq_f64_e32 vcc, 0, v[0:1]
	s_and_b64 exec, exec, vcc
	s_cbranch_execz .LBB99_59
; %bb.58:
	v_div_scale_f64 v[2:3], s[6:7], v[0:1], v[0:1], 1.0
	v_rcp_f64_e32 v[8:9], v[2:3]
	v_div_scale_f64 v[10:11], vcc, 1.0, v[0:1], 1.0
	v_fma_f64 v[202:203], -v[2:3], v[8:9], 1.0
	v_fmac_f64_e32 v[8:9], v[8:9], v[202:203]
	v_fma_f64 v[202:203], -v[2:3], v[8:9], 1.0
	v_fmac_f64_e32 v[8:9], v[8:9], v[202:203]
	v_mul_f64 v[202:203], v[10:11], v[8:9]
	v_fma_f64 v[2:3], -v[2:3], v[202:203], v[10:11]
	v_div_fmas_f64 v[2:3], v[2:3], v[8:9], v[202:203]
	v_div_fixup_f64 v[0:1], v[2:3], v[0:1], 1.0
	ds_write_b64 v5, v[0:1]
.LBB99_59:
	s_or_b64 exec, exec, s[2:3]
	s_waitcnt lgkmcnt(0)
	s_barrier
	ds_read_b64 v[0:1], v5
	v_cmp_lt_u32_e32 vcc, 11, v4
	s_waitcnt lgkmcnt(0)
	buffer_store_dword v0, off, s[16:19], 0 offset:80 ; 4-byte Folded Spill
	s_nop 0
	buffer_store_dword v1, off, s[16:19], 0 offset:84 ; 4-byte Folded Spill
	s_and_saveexec_b64 s[2:3], vcc
	s_cbranch_execz .LBB99_61
; %bb.60:
	ds_read2_b64 v[0:3], v6 offset0:12 offset1:13
	ds_read2_b64 v[202:205], v6 offset0:14 offset1:15
	buffer_load_dword v8, off, s[16:19], 0 offset:80 ; 4-byte Folded Reload
	buffer_load_dword v9, off, s[16:19], 0 offset:84 ; 4-byte Folded Reload
	ds_read2_b64 v[206:209], v6 offset0:16 offset1:17
	s_waitcnt vmcnt(0)
	v_mul_f64 v[140:141], v[8:9], v[140:141]
	s_waitcnt lgkmcnt(2)
	v_fma_f64 v[188:189], -v[140:141], v[0:1], v[188:189]
	v_fma_f64 v[138:139], -v[140:141], v[2:3], v[138:139]
	ds_read2_b64 v[0:3], v6 offset0:18 offset1:19
	s_waitcnt lgkmcnt(2)
	v_fma_f64 v[186:187], -v[140:141], v[202:203], v[186:187]
	v_fma_f64 v[136:137], -v[140:141], v[204:205], v[136:137]
	s_waitcnt lgkmcnt(1)
	v_fma_f64 v[184:185], -v[140:141], v[206:207], v[184:185]
	ds_read2_b64 v[202:205], v6 offset0:20 offset1:21
	v_fma_f64 v[134:135], -v[140:141], v[208:209], v[134:135]
	ds_read2_b64 v[206:209], v6 offset0:22 offset1:23
	s_waitcnt lgkmcnt(2)
	v_fma_f64 v[182:183], -v[140:141], v[0:1], v[182:183]
	v_fma_f64 v[132:133], -v[140:141], v[2:3], v[132:133]
	ds_read2_b64 v[0:3], v6 offset0:24 offset1:25
	s_waitcnt lgkmcnt(2)
	v_fma_f64 v[180:181], -v[140:141], v[202:203], v[180:181]
	;; [unrolled: 4-line block ×3, first 2 shown]
	v_fma_f64 v[128:129], -v[140:141], v[208:209], v[128:129]
	s_waitcnt lgkmcnt(1)
	v_fma_f64 v[176:177], -v[140:141], v[0:1], v[176:177]
	ds_read2_b64 v[206:209], v6 offset0:28 offset1:29
	v_fma_f64 v[126:127], -v[140:141], v[2:3], v[126:127]
	ds_read2_b64 v[0:3], v6 offset0:30 offset1:31
	s_waitcnt lgkmcnt(2)
	v_fma_f64 v[174:175], -v[140:141], v[202:203], v[174:175]
	v_fma_f64 v[124:125], -v[140:141], v[204:205], v[124:125]
	s_waitcnt lgkmcnt(1)
	v_fma_f64 v[172:173], -v[140:141], v[206:207], v[172:173]
	ds_read2_b64 v[202:205], v6 offset0:32 offset1:33
	v_fma_f64 v[122:123], -v[140:141], v[208:209], v[122:123]
	ds_read2_b64 v[206:209], v6 offset0:34 offset1:35
	s_waitcnt lgkmcnt(2)
	v_fma_f64 v[170:171], -v[140:141], v[0:1], v[170:171]
	v_fma_f64 v[120:121], -v[140:141], v[2:3], v[120:121]
	ds_read2_b64 v[0:3], v6 offset0:36 offset1:37
	s_waitcnt lgkmcnt(2)
	v_fma_f64 v[168:169], -v[140:141], v[202:203], v[168:169]
	;; [unrolled: 4-line block ×3, first 2 shown]
	v_fma_f64 v[116:117], -v[140:141], v[208:209], v[116:117]
	s_waitcnt lgkmcnt(1)
	v_fma_f64 v[164:165], -v[140:141], v[0:1], v[164:165]
	ds_read2_b64 v[206:209], v6 offset0:40 offset1:41
	v_fma_f64 v[114:115], -v[140:141], v[2:3], v[114:115]
	ds_read2_b64 v[0:3], v6 offset0:42 offset1:43
	s_waitcnt lgkmcnt(2)
	v_fma_f64 v[162:163], -v[140:141], v[202:203], v[162:163]
	v_fma_f64 v[112:113], -v[140:141], v[204:205], v[112:113]
	s_waitcnt lgkmcnt(1)
	v_fma_f64 v[160:161], -v[140:141], v[206:207], v[160:161]
	v_fma_f64 v[110:111], -v[140:141], v[208:209], v[110:111]
	ds_read2_b64 v[202:205], v6 offset0:44 offset1:45
	ds_read2_b64 v[206:209], v6 offset0:46 offset1:47
	s_waitcnt lgkmcnt(2)
	v_fma_f64 v[158:159], -v[140:141], v[0:1], v[158:159]
	v_fma_f64 v[108:109], -v[140:141], v[2:3], v[108:109]
	ds_read2_b64 v[0:3], v6 offset0:48 offset1:49
	s_waitcnt lgkmcnt(2)
	v_fma_f64 v[156:157], -v[140:141], v[202:203], v[156:157]
	v_fma_f64 v[106:107], -v[140:141], v[204:205], v[106:107]
	s_waitcnt lgkmcnt(1)
	v_fma_f64 v[154:155], -v[140:141], v[206:207], v[154:155]
	v_fma_f64 v[104:105], -v[140:141], v[208:209], v[104:105]
	;; [unrolled: 3-line block ×3, first 2 shown]
.LBB99_61:
	s_or_b64 exec, exec, s[2:3]
	v_cmp_eq_u32_e32 vcc, 12, v4
	s_waitcnt vmcnt(63) expcnt(7) lgkmcnt(15)
	s_barrier
	s_and_saveexec_b64 s[2:3], vcc
	s_cbranch_execz .LBB99_64
; %bb.62:
	s_waitcnt vmcnt(59)
	ds_write_b64 v5, v[188:189]
	s_waitcnt vmcnt(57)
	ds_write2_b64 v6, v[138:139], v[186:187] offset0:13 offset1:14
	s_waitcnt vmcnt(55)
	ds_write2_b64 v6, v[136:137], v[184:185] offset0:15 offset1:16
	;; [unrolled: 2-line block ×18, first 2 shown]
	s_waitcnt vmcnt(22)
	ds_write_b64 v6, v[200:201] offset:392
	ds_read_b64 v[0:1], v5
	s_waitcnt lgkmcnt(0)
	v_cmp_neq_f64_e32 vcc, 0, v[0:1]
	s_and_b64 exec, exec, vcc
	s_cbranch_execz .LBB99_64
; %bb.63:
	v_div_scale_f64 v[2:3], s[6:7], v[0:1], v[0:1], 1.0
	v_rcp_f64_e32 v[8:9], v[2:3]
	v_div_scale_f64 v[10:11], vcc, 1.0, v[0:1], 1.0
	v_fma_f64 v[202:203], -v[2:3], v[8:9], 1.0
	v_fmac_f64_e32 v[8:9], v[8:9], v[202:203]
	v_fma_f64 v[202:203], -v[2:3], v[8:9], 1.0
	v_fmac_f64_e32 v[8:9], v[8:9], v[202:203]
	v_mul_f64 v[202:203], v[10:11], v[8:9]
	v_fma_f64 v[2:3], -v[2:3], v[202:203], v[10:11]
	v_div_fmas_f64 v[2:3], v[2:3], v[8:9], v[202:203]
	v_div_fixup_f64 v[0:1], v[2:3], v[0:1], 1.0
	ds_write_b64 v5, v[0:1]
.LBB99_64:
	s_or_b64 exec, exec, s[2:3]
	s_waitcnt lgkmcnt(0)
	s_barrier
	ds_read_b64 v[0:1], v5
	v_cmp_lt_u32_e32 vcc, 12, v4
	s_waitcnt lgkmcnt(0)
	buffer_store_dword v0, off, s[16:19], 0 offset:88 ; 4-byte Folded Spill
	s_nop 0
	buffer_store_dword v1, off, s[16:19], 0 offset:92 ; 4-byte Folded Spill
	s_and_saveexec_b64 s[2:3], vcc
	s_cbranch_execz .LBB99_66
; %bb.65:
	ds_read2_b64 v[0:3], v6 offset0:13 offset1:14
	ds_read2_b64 v[202:205], v6 offset0:15 offset1:16
	buffer_load_dword v8, off, s[16:19], 0 offset:88 ; 4-byte Folded Reload
	buffer_load_dword v9, off, s[16:19], 0 offset:92 ; 4-byte Folded Reload
	ds_read2_b64 v[206:209], v6 offset0:17 offset1:18
	s_waitcnt vmcnt(0)
	v_mul_f64 v[188:189], v[8:9], v[188:189]
	s_waitcnt lgkmcnt(2)
	v_fma_f64 v[138:139], -v[188:189], v[0:1], v[138:139]
	v_fma_f64 v[186:187], -v[188:189], v[2:3], v[186:187]
	ds_read2_b64 v[0:3], v6 offset0:19 offset1:20
	s_waitcnt lgkmcnt(2)
	v_fma_f64 v[136:137], -v[188:189], v[202:203], v[136:137]
	v_fma_f64 v[184:185], -v[188:189], v[204:205], v[184:185]
	s_waitcnt lgkmcnt(1)
	v_fma_f64 v[134:135], -v[188:189], v[206:207], v[134:135]
	ds_read2_b64 v[202:205], v6 offset0:21 offset1:22
	v_fma_f64 v[182:183], -v[188:189], v[208:209], v[182:183]
	ds_read2_b64 v[206:209], v6 offset0:23 offset1:24
	s_waitcnt lgkmcnt(2)
	v_fma_f64 v[132:133], -v[188:189], v[0:1], v[132:133]
	v_fma_f64 v[180:181], -v[188:189], v[2:3], v[180:181]
	ds_read2_b64 v[0:3], v6 offset0:25 offset1:26
	s_waitcnt lgkmcnt(2)
	v_fma_f64 v[130:131], -v[188:189], v[202:203], v[130:131]
	v_fma_f64 v[178:179], -v[188:189], v[204:205], v[178:179]
	ds_read2_b64 v[202:205], v6 offset0:27 offset1:28
	s_waitcnt lgkmcnt(2)
	v_fma_f64 v[128:129], -v[188:189], v[206:207], v[128:129]
	v_fma_f64 v[176:177], -v[188:189], v[208:209], v[176:177]
	s_waitcnt lgkmcnt(1)
	v_fma_f64 v[126:127], -v[188:189], v[0:1], v[126:127]
	ds_read2_b64 v[206:209], v6 offset0:29 offset1:30
	v_fma_f64 v[174:175], -v[188:189], v[2:3], v[174:175]
	ds_read2_b64 v[0:3], v6 offset0:31 offset1:32
	s_waitcnt lgkmcnt(2)
	v_fma_f64 v[124:125], -v[188:189], v[202:203], v[124:125]
	v_fma_f64 v[172:173], -v[188:189], v[204:205], v[172:173]
	s_waitcnt lgkmcnt(1)
	v_fma_f64 v[122:123], -v[188:189], v[206:207], v[122:123]
	ds_read2_b64 v[202:205], v6 offset0:33 offset1:34
	v_fma_f64 v[170:171], -v[188:189], v[208:209], v[170:171]
	ds_read2_b64 v[206:209], v6 offset0:35 offset1:36
	s_waitcnt lgkmcnt(2)
	v_fma_f64 v[120:121], -v[188:189], v[0:1], v[120:121]
	v_fma_f64 v[168:169], -v[188:189], v[2:3], v[168:169]
	ds_read2_b64 v[0:3], v6 offset0:37 offset1:38
	s_waitcnt lgkmcnt(2)
	v_fma_f64 v[118:119], -v[188:189], v[202:203], v[118:119]
	;; [unrolled: 4-line block ×3, first 2 shown]
	v_fma_f64 v[164:165], -v[188:189], v[208:209], v[164:165]
	s_waitcnt lgkmcnt(1)
	v_fma_f64 v[114:115], -v[188:189], v[0:1], v[114:115]
	ds_read2_b64 v[206:209], v6 offset0:41 offset1:42
	v_fma_f64 v[162:163], -v[188:189], v[2:3], v[162:163]
	ds_read2_b64 v[0:3], v6 offset0:43 offset1:44
	s_waitcnt lgkmcnt(2)
	v_fma_f64 v[112:113], -v[188:189], v[202:203], v[112:113]
	v_fma_f64 v[160:161], -v[188:189], v[204:205], v[160:161]
	s_waitcnt lgkmcnt(1)
	v_fma_f64 v[110:111], -v[188:189], v[206:207], v[110:111]
	v_fma_f64 v[158:159], -v[188:189], v[208:209], v[158:159]
	ds_read2_b64 v[202:205], v6 offset0:45 offset1:46
	ds_read2_b64 v[206:209], v6 offset0:47 offset1:48
	s_waitcnt lgkmcnt(2)
	v_fma_f64 v[108:109], -v[188:189], v[0:1], v[108:109]
	ds_read_b64 v[0:1], v6 offset:392
	v_fma_f64 v[156:157], -v[188:189], v[2:3], v[156:157]
	s_waitcnt lgkmcnt(2)
	v_fma_f64 v[106:107], -v[188:189], v[202:203], v[106:107]
	v_fma_f64 v[154:155], -v[188:189], v[204:205], v[154:155]
	s_waitcnt lgkmcnt(1)
	v_fma_f64 v[104:105], -v[188:189], v[206:207], v[104:105]
	;; [unrolled: 3-line block ×3, first 2 shown]
.LBB99_66:
	s_or_b64 exec, exec, s[2:3]
	v_cmp_eq_u32_e32 vcc, 13, v4
	s_waitcnt vmcnt(63) expcnt(7) lgkmcnt(15)
	s_barrier
	s_and_saveexec_b64 s[2:3], vcc
	s_cbranch_execz .LBB99_69
; %bb.67:
	s_waitcnt vmcnt(59)
	v_mov_b32_e32 v0, v186
	v_mov_b32_e32 v1, v187
	s_waitcnt vmcnt(58)
	v_mov_b32_e32 v2, v136
	v_mov_b32_e32 v3, v137
	ds_write_b64 v5, v[138:139]
	ds_write2_b64 v6, v[0:1], v[2:3] offset0:14 offset1:15
	s_waitcnt vmcnt(57)
	v_mov_b32_e32 v0, v184
	v_mov_b32_e32 v1, v185
	s_waitcnt vmcnt(56)
	v_mov_b32_e32 v2, v134
	v_mov_b32_e32 v3, v135
	ds_write2_b64 v6, v[0:1], v[2:3] offset0:16 offset1:17
	s_waitcnt vmcnt(55)
	v_mov_b32_e32 v0, v182
	v_mov_b32_e32 v1, v183
	s_waitcnt vmcnt(54)
	v_mov_b32_e32 v2, v132
	v_mov_b32_e32 v3, v133
	;; [unrolled: 7-line block ×16, first 2 shown]
	ds_write2_b64 v6, v[0:1], v[2:3] offset0:46 offset1:47
	s_waitcnt vmcnt(25)
	v_mov_b32_e32 v0, v152
	v_mov_b32_e32 v1, v153
	s_waitcnt vmcnt(24)
	ds_write2_b64 v6, v[0:1], v[200:201] offset0:48 offset1:49
	ds_read_b64 v[0:1], v5
	s_waitcnt lgkmcnt(0)
	v_cmp_neq_f64_e32 vcc, 0, v[0:1]
	s_and_b64 exec, exec, vcc
	s_cbranch_execz .LBB99_69
; %bb.68:
	v_div_scale_f64 v[2:3], s[6:7], v[0:1], v[0:1], 1.0
	v_rcp_f64_e32 v[8:9], v[2:3]
	v_div_scale_f64 v[10:11], vcc, 1.0, v[0:1], 1.0
	v_fma_f64 v[202:203], -v[2:3], v[8:9], 1.0
	v_fmac_f64_e32 v[8:9], v[8:9], v[202:203]
	v_fma_f64 v[202:203], -v[2:3], v[8:9], 1.0
	v_fmac_f64_e32 v[8:9], v[8:9], v[202:203]
	v_mul_f64 v[202:203], v[10:11], v[8:9]
	v_fma_f64 v[2:3], -v[2:3], v[202:203], v[10:11]
	v_div_fmas_f64 v[2:3], v[2:3], v[8:9], v[202:203]
	v_div_fixup_f64 v[0:1], v[2:3], v[0:1], 1.0
	ds_write_b64 v5, v[0:1]
.LBB99_69:
	s_or_b64 exec, exec, s[2:3]
	s_waitcnt lgkmcnt(0)
	s_barrier
	ds_read_b64 v[0:1], v5
	v_cmp_lt_u32_e32 vcc, 13, v4
	s_waitcnt lgkmcnt(0)
	buffer_store_dword v0, off, s[16:19], 0 offset:96 ; 4-byte Folded Spill
	s_nop 0
	buffer_store_dword v1, off, s[16:19], 0 offset:100 ; 4-byte Folded Spill
	s_and_saveexec_b64 s[2:3], vcc
	s_cbranch_execz .LBB99_71
; %bb.70:
	ds_read2_b64 v[0:3], v6 offset0:14 offset1:15
	ds_read2_b64 v[202:205], v6 offset0:16 offset1:17
	buffer_load_dword v8, off, s[16:19], 0 offset:96 ; 4-byte Folded Reload
	buffer_load_dword v9, off, s[16:19], 0 offset:100 ; 4-byte Folded Reload
	ds_read2_b64 v[206:209], v6 offset0:18 offset1:19
	s_waitcnt vmcnt(0)
	v_mul_f64 v[138:139], v[8:9], v[138:139]
	s_waitcnt lgkmcnt(2)
	v_fma_f64 v[186:187], -v[138:139], v[0:1], v[186:187]
	v_fma_f64 v[136:137], -v[138:139], v[2:3], v[136:137]
	ds_read2_b64 v[0:3], v6 offset0:20 offset1:21
	s_waitcnt lgkmcnt(2)
	v_fma_f64 v[184:185], -v[138:139], v[202:203], v[184:185]
	v_fma_f64 v[134:135], -v[138:139], v[204:205], v[134:135]
	s_waitcnt lgkmcnt(1)
	v_fma_f64 v[182:183], -v[138:139], v[206:207], v[182:183]
	ds_read2_b64 v[202:205], v6 offset0:22 offset1:23
	v_fma_f64 v[132:133], -v[138:139], v[208:209], v[132:133]
	ds_read2_b64 v[206:209], v6 offset0:24 offset1:25
	s_waitcnt lgkmcnt(2)
	v_fma_f64 v[180:181], -v[138:139], v[0:1], v[180:181]
	v_fma_f64 v[130:131], -v[138:139], v[2:3], v[130:131]
	s_waitcnt lgkmcnt(1)
	v_fma_f64 v[178:179], -v[138:139], v[202:203], v[178:179]
	ds_read2_b64 v[0:3], v6 offset0:26 offset1:27
	v_fma_f64 v[128:129], -v[138:139], v[204:205], v[128:129]
	ds_read2_b64 v[202:205], v6 offset0:28 offset1:29
	s_waitcnt lgkmcnt(2)
	v_fma_f64 v[176:177], -v[138:139], v[206:207], v[176:177]
	v_fma_f64 v[126:127], -v[138:139], v[208:209], v[126:127]
	ds_read2_b64 v[206:209], v6 offset0:30 offset1:31
	s_waitcnt lgkmcnt(2)
	v_fma_f64 v[174:175], -v[138:139], v[0:1], v[174:175]
	;; [unrolled: 4-line block ×3, first 2 shown]
	v_fma_f64 v[122:123], -v[138:139], v[204:205], v[122:123]
	s_waitcnt lgkmcnt(1)
	v_fma_f64 v[170:171], -v[138:139], v[206:207], v[170:171]
	ds_read2_b64 v[202:205], v6 offset0:34 offset1:35
	v_fma_f64 v[120:121], -v[138:139], v[208:209], v[120:121]
	ds_read2_b64 v[206:209], v6 offset0:36 offset1:37
	s_waitcnt lgkmcnt(2)
	v_fma_f64 v[168:169], -v[138:139], v[0:1], v[168:169]
	v_fma_f64 v[118:119], -v[138:139], v[2:3], v[118:119]
	s_waitcnt lgkmcnt(1)
	v_fma_f64 v[166:167], -v[138:139], v[202:203], v[166:167]
	ds_read2_b64 v[0:3], v6 offset0:38 offset1:39
	v_fma_f64 v[116:117], -v[138:139], v[204:205], v[116:117]
	ds_read2_b64 v[202:205], v6 offset0:40 offset1:41
	s_waitcnt lgkmcnt(2)
	v_fma_f64 v[164:165], -v[138:139], v[206:207], v[164:165]
	v_fma_f64 v[114:115], -v[138:139], v[208:209], v[114:115]
	ds_read2_b64 v[206:209], v6 offset0:42 offset1:43
	s_waitcnt lgkmcnt(2)
	v_fma_f64 v[162:163], -v[138:139], v[0:1], v[162:163]
	;; [unrolled: 4-line block ×3, first 2 shown]
	v_fma_f64 v[110:111], -v[138:139], v[204:205], v[110:111]
	s_waitcnt lgkmcnt(1)
	v_fma_f64 v[158:159], -v[138:139], v[206:207], v[158:159]
	ds_read2_b64 v[202:205], v6 offset0:46 offset1:47
	v_fma_f64 v[108:109], -v[138:139], v[208:209], v[108:109]
	ds_read2_b64 v[206:209], v6 offset0:48 offset1:49
	s_waitcnt lgkmcnt(2)
	v_fma_f64 v[156:157], -v[138:139], v[0:1], v[156:157]
	v_fma_f64 v[106:107], -v[138:139], v[2:3], v[106:107]
	s_waitcnt lgkmcnt(1)
	v_fma_f64 v[154:155], -v[138:139], v[202:203], v[154:155]
	v_fma_f64 v[104:105], -v[138:139], v[204:205], v[104:105]
	;; [unrolled: 3-line block ×3, first 2 shown]
.LBB99_71:
	s_or_b64 exec, exec, s[2:3]
	v_cmp_eq_u32_e32 vcc, 14, v4
	s_waitcnt vmcnt(63) expcnt(7) lgkmcnt(15)
	s_barrier
	s_and_saveexec_b64 s[2:3], vcc
	s_cbranch_execz .LBB99_74
; %bb.72:
	s_waitcnt vmcnt(61)
	ds_write_b64 v5, v[186:187]
	s_waitcnt vmcnt(59)
	ds_write2_b64 v6, v[136:137], v[184:185] offset0:15 offset1:16
	s_waitcnt vmcnt(57)
	ds_write2_b64 v6, v[134:135], v[182:183] offset0:17 offset1:18
	;; [unrolled: 2-line block ×17, first 2 shown]
	s_waitcnt vmcnt(26)
	ds_write_b64 v6, v[200:201] offset:392
	ds_read_b64 v[0:1], v5
	s_waitcnt lgkmcnt(0)
	v_cmp_neq_f64_e32 vcc, 0, v[0:1]
	s_and_b64 exec, exec, vcc
	s_cbranch_execz .LBB99_74
; %bb.73:
	v_div_scale_f64 v[2:3], s[6:7], v[0:1], v[0:1], 1.0
	v_rcp_f64_e32 v[8:9], v[2:3]
	v_div_scale_f64 v[10:11], vcc, 1.0, v[0:1], 1.0
	v_fma_f64 v[202:203], -v[2:3], v[8:9], 1.0
	v_fmac_f64_e32 v[8:9], v[8:9], v[202:203]
	v_fma_f64 v[202:203], -v[2:3], v[8:9], 1.0
	v_fmac_f64_e32 v[8:9], v[8:9], v[202:203]
	v_mul_f64 v[202:203], v[10:11], v[8:9]
	v_fma_f64 v[2:3], -v[2:3], v[202:203], v[10:11]
	v_div_fmas_f64 v[2:3], v[2:3], v[8:9], v[202:203]
	v_div_fixup_f64 v[0:1], v[2:3], v[0:1], 1.0
	ds_write_b64 v5, v[0:1]
.LBB99_74:
	s_or_b64 exec, exec, s[2:3]
	s_waitcnt lgkmcnt(0)
	s_barrier
	ds_read_b64 v[0:1], v5
	v_cmp_lt_u32_e32 vcc, 14, v4
	s_waitcnt lgkmcnt(0)
	buffer_store_dword v0, off, s[16:19], 0 offset:104 ; 4-byte Folded Spill
	s_nop 0
	buffer_store_dword v1, off, s[16:19], 0 offset:108 ; 4-byte Folded Spill
	s_and_saveexec_b64 s[2:3], vcc
	s_cbranch_execz .LBB99_76
; %bb.75:
	ds_read2_b64 v[0:3], v6 offset0:15 offset1:16
	ds_read2_b64 v[202:205], v6 offset0:17 offset1:18
	buffer_load_dword v8, off, s[16:19], 0 offset:104 ; 4-byte Folded Reload
	buffer_load_dword v9, off, s[16:19], 0 offset:108 ; 4-byte Folded Reload
	ds_read2_b64 v[206:209], v6 offset0:19 offset1:20
	s_waitcnt vmcnt(0)
	v_mul_f64 v[186:187], v[8:9], v[186:187]
	s_waitcnt lgkmcnt(2)
	v_fma_f64 v[136:137], -v[186:187], v[0:1], v[136:137]
	v_fma_f64 v[184:185], -v[186:187], v[2:3], v[184:185]
	ds_read2_b64 v[0:3], v6 offset0:21 offset1:22
	s_waitcnt lgkmcnt(2)
	v_fma_f64 v[134:135], -v[186:187], v[202:203], v[134:135]
	v_fma_f64 v[182:183], -v[186:187], v[204:205], v[182:183]
	ds_read2_b64 v[202:205], v6 offset0:23 offset1:24
	;; [unrolled: 4-line block ×3, first 2 shown]
	s_waitcnt lgkmcnt(2)
	v_fma_f64 v[130:131], -v[186:187], v[0:1], v[130:131]
	v_fma_f64 v[178:179], -v[186:187], v[2:3], v[178:179]
	s_waitcnt lgkmcnt(1)
	v_fma_f64 v[128:129], -v[186:187], v[202:203], v[128:129]
	ds_read2_b64 v[0:3], v6 offset0:27 offset1:28
	v_fma_f64 v[176:177], -v[186:187], v[204:205], v[176:177]
	ds_read2_b64 v[202:205], v6 offset0:29 offset1:30
	s_waitcnt lgkmcnt(2)
	v_fma_f64 v[126:127], -v[186:187], v[206:207], v[126:127]
	v_fma_f64 v[174:175], -v[186:187], v[208:209], v[174:175]
	s_waitcnt lgkmcnt(1)
	v_fma_f64 v[124:125], -v[186:187], v[0:1], v[124:125]
	ds_read2_b64 v[206:209], v6 offset0:31 offset1:32
	v_fma_f64 v[172:173], -v[186:187], v[2:3], v[172:173]
	ds_read2_b64 v[0:3], v6 offset0:33 offset1:34
	s_waitcnt lgkmcnt(2)
	v_fma_f64 v[122:123], -v[186:187], v[202:203], v[122:123]
	v_fma_f64 v[170:171], -v[186:187], v[204:205], v[170:171]
	ds_read2_b64 v[202:205], v6 offset0:35 offset1:36
	s_waitcnt lgkmcnt(2)
	v_fma_f64 v[120:121], -v[186:187], v[206:207], v[120:121]
	;; [unrolled: 4-line block ×3, first 2 shown]
	v_fma_f64 v[166:167], -v[186:187], v[2:3], v[166:167]
	s_waitcnt lgkmcnt(1)
	v_fma_f64 v[116:117], -v[186:187], v[202:203], v[116:117]
	ds_read2_b64 v[0:3], v6 offset0:39 offset1:40
	v_fma_f64 v[164:165], -v[186:187], v[204:205], v[164:165]
	ds_read2_b64 v[202:205], v6 offset0:41 offset1:42
	s_waitcnt lgkmcnt(2)
	v_fma_f64 v[114:115], -v[186:187], v[206:207], v[114:115]
	v_fma_f64 v[162:163], -v[186:187], v[208:209], v[162:163]
	s_waitcnt lgkmcnt(1)
	v_fma_f64 v[112:113], -v[186:187], v[0:1], v[112:113]
	ds_read2_b64 v[206:209], v6 offset0:43 offset1:44
	v_fma_f64 v[160:161], -v[186:187], v[2:3], v[160:161]
	ds_read2_b64 v[0:3], v6 offset0:45 offset1:46
	s_waitcnt lgkmcnt(2)
	v_fma_f64 v[110:111], -v[186:187], v[202:203], v[110:111]
	v_fma_f64 v[158:159], -v[186:187], v[204:205], v[158:159]
	ds_read2_b64 v[202:205], v6 offset0:47 offset1:48
	ds_read_b64 v[8:9], v6 offset:392
	s_waitcnt lgkmcnt(3)
	v_fma_f64 v[108:109], -v[186:187], v[206:207], v[108:109]
	v_fma_f64 v[156:157], -v[186:187], v[208:209], v[156:157]
	s_waitcnt lgkmcnt(2)
	v_fma_f64 v[106:107], -v[186:187], v[0:1], v[106:107]
	v_fma_f64 v[154:155], -v[186:187], v[2:3], v[154:155]
	;; [unrolled: 3-line block ×3, first 2 shown]
	s_waitcnt lgkmcnt(0)
	v_fma_f64 v[200:201], -v[186:187], v[8:9], v[200:201]
.LBB99_76:
	s_or_b64 exec, exec, s[2:3]
	v_cmp_eq_u32_e32 vcc, 15, v4
	s_waitcnt vmcnt(63) expcnt(7) lgkmcnt(15)
	s_barrier
	s_and_saveexec_b64 s[2:3], vcc
	s_cbranch_execz .LBB99_79
; %bb.77:
	s_waitcnt vmcnt(61)
	v_mov_b32_e32 v0, v184
	v_mov_b32_e32 v1, v185
	s_waitcnt vmcnt(60)
	v_mov_b32_e32 v2, v134
	v_mov_b32_e32 v3, v135
	ds_write_b64 v5, v[136:137]
	ds_write2_b64 v6, v[0:1], v[2:3] offset0:16 offset1:17
	s_waitcnt vmcnt(59)
	v_mov_b32_e32 v0, v182
	v_mov_b32_e32 v1, v183
	s_waitcnt vmcnt(58)
	v_mov_b32_e32 v2, v132
	v_mov_b32_e32 v3, v133
	ds_write2_b64 v6, v[0:1], v[2:3] offset0:18 offset1:19
	s_waitcnt vmcnt(57)
	v_mov_b32_e32 v0, v180
	v_mov_b32_e32 v1, v181
	s_waitcnt vmcnt(56)
	v_mov_b32_e32 v2, v130
	v_mov_b32_e32 v3, v131
	;; [unrolled: 7-line block ×15, first 2 shown]
	ds_write2_b64 v6, v[0:1], v[2:3] offset0:46 offset1:47
	s_waitcnt vmcnt(29)
	v_mov_b32_e32 v0, v152
	v_mov_b32_e32 v1, v153
	s_waitcnt vmcnt(28)
	ds_write2_b64 v6, v[0:1], v[200:201] offset0:48 offset1:49
	ds_read_b64 v[0:1], v5
	s_waitcnt lgkmcnt(0)
	v_cmp_neq_f64_e32 vcc, 0, v[0:1]
	s_and_b64 exec, exec, vcc
	s_cbranch_execz .LBB99_79
; %bb.78:
	v_div_scale_f64 v[2:3], s[6:7], v[0:1], v[0:1], 1.0
	v_rcp_f64_e32 v[8:9], v[2:3]
	v_div_scale_f64 v[10:11], vcc, 1.0, v[0:1], 1.0
	v_fma_f64 v[202:203], -v[2:3], v[8:9], 1.0
	v_fmac_f64_e32 v[8:9], v[8:9], v[202:203]
	v_fma_f64 v[202:203], -v[2:3], v[8:9], 1.0
	v_fmac_f64_e32 v[8:9], v[8:9], v[202:203]
	v_mul_f64 v[202:203], v[10:11], v[8:9]
	v_fma_f64 v[2:3], -v[2:3], v[202:203], v[10:11]
	v_div_fmas_f64 v[2:3], v[2:3], v[8:9], v[202:203]
	v_div_fixup_f64 v[0:1], v[2:3], v[0:1], 1.0
	ds_write_b64 v5, v[0:1]
.LBB99_79:
	s_or_b64 exec, exec, s[2:3]
	s_waitcnt lgkmcnt(0)
	s_barrier
	ds_read_b64 v[0:1], v5
	v_cmp_lt_u32_e32 vcc, 15, v4
	s_waitcnt lgkmcnt(0)
	buffer_store_dword v0, off, s[16:19], 0 offset:112 ; 4-byte Folded Spill
	s_nop 0
	buffer_store_dword v1, off, s[16:19], 0 offset:116 ; 4-byte Folded Spill
	s_and_saveexec_b64 s[2:3], vcc
	s_cbranch_execz .LBB99_81
; %bb.80:
	ds_read2_b64 v[0:3], v6 offset0:16 offset1:17
	ds_read2_b64 v[202:205], v6 offset0:18 offset1:19
	buffer_load_dword v8, off, s[16:19], 0 offset:112 ; 4-byte Folded Reload
	buffer_load_dword v9, off, s[16:19], 0 offset:116 ; 4-byte Folded Reload
	ds_read2_b64 v[206:209], v6 offset0:20 offset1:21
	s_waitcnt vmcnt(0)
	v_mul_f64 v[136:137], v[8:9], v[136:137]
	s_waitcnt lgkmcnt(2)
	v_fma_f64 v[184:185], -v[136:137], v[0:1], v[184:185]
	v_fma_f64 v[134:135], -v[136:137], v[2:3], v[134:135]
	ds_read2_b64 v[0:3], v6 offset0:22 offset1:23
	s_waitcnt lgkmcnt(2)
	v_fma_f64 v[182:183], -v[136:137], v[202:203], v[182:183]
	v_fma_f64 v[132:133], -v[136:137], v[204:205], v[132:133]
	ds_read2_b64 v[202:205], v6 offset0:24 offset1:25
	;; [unrolled: 4-line block ×3, first 2 shown]
	s_waitcnt lgkmcnt(2)
	v_fma_f64 v[178:179], -v[136:137], v[0:1], v[178:179]
	v_fma_f64 v[128:129], -v[136:137], v[2:3], v[128:129]
	s_waitcnt lgkmcnt(1)
	v_fma_f64 v[176:177], -v[136:137], v[202:203], v[176:177]
	ds_read2_b64 v[0:3], v6 offset0:28 offset1:29
	v_fma_f64 v[126:127], -v[136:137], v[204:205], v[126:127]
	ds_read2_b64 v[202:205], v6 offset0:30 offset1:31
	s_waitcnt lgkmcnt(2)
	v_fma_f64 v[174:175], -v[136:137], v[206:207], v[174:175]
	v_fma_f64 v[124:125], -v[136:137], v[208:209], v[124:125]
	s_waitcnt lgkmcnt(1)
	v_fma_f64 v[172:173], -v[136:137], v[0:1], v[172:173]
	ds_read2_b64 v[206:209], v6 offset0:32 offset1:33
	v_fma_f64 v[122:123], -v[136:137], v[2:3], v[122:123]
	ds_read2_b64 v[0:3], v6 offset0:34 offset1:35
	s_waitcnt lgkmcnt(2)
	v_fma_f64 v[170:171], -v[136:137], v[202:203], v[170:171]
	v_fma_f64 v[120:121], -v[136:137], v[204:205], v[120:121]
	ds_read2_b64 v[202:205], v6 offset0:36 offset1:37
	s_waitcnt lgkmcnt(2)
	v_fma_f64 v[168:169], -v[136:137], v[206:207], v[168:169]
	;; [unrolled: 4-line block ×3, first 2 shown]
	v_fma_f64 v[116:117], -v[136:137], v[2:3], v[116:117]
	s_waitcnt lgkmcnt(1)
	v_fma_f64 v[164:165], -v[136:137], v[202:203], v[164:165]
	ds_read2_b64 v[0:3], v6 offset0:40 offset1:41
	v_fma_f64 v[114:115], -v[136:137], v[204:205], v[114:115]
	ds_read2_b64 v[202:205], v6 offset0:42 offset1:43
	s_waitcnt lgkmcnt(2)
	v_fma_f64 v[162:163], -v[136:137], v[206:207], v[162:163]
	v_fma_f64 v[112:113], -v[136:137], v[208:209], v[112:113]
	s_waitcnt lgkmcnt(1)
	v_fma_f64 v[160:161], -v[136:137], v[0:1], v[160:161]
	v_fma_f64 v[110:111], -v[136:137], v[2:3], v[110:111]
	ds_read2_b64 v[0:3], v6 offset0:44 offset1:45
	ds_read2_b64 v[206:209], v6 offset0:46 offset1:47
	s_waitcnt lgkmcnt(2)
	v_fma_f64 v[158:159], -v[136:137], v[202:203], v[158:159]
	v_fma_f64 v[108:109], -v[136:137], v[204:205], v[108:109]
	ds_read2_b64 v[202:205], v6 offset0:48 offset1:49
	s_waitcnt lgkmcnt(2)
	v_fma_f64 v[156:157], -v[136:137], v[0:1], v[156:157]
	v_fma_f64 v[106:107], -v[136:137], v[2:3], v[106:107]
	s_waitcnt lgkmcnt(1)
	v_fma_f64 v[154:155], -v[136:137], v[206:207], v[154:155]
	v_fma_f64 v[104:105], -v[136:137], v[208:209], v[104:105]
	;; [unrolled: 3-line block ×3, first 2 shown]
.LBB99_81:
	s_or_b64 exec, exec, s[2:3]
	v_cmp_eq_u32_e32 vcc, 16, v4
	s_waitcnt vmcnt(63) expcnt(7) lgkmcnt(15)
	s_barrier
	s_and_saveexec_b64 s[2:3], vcc
	s_cbranch_execz .LBB99_84
; %bb.82:
	ds_write_b64 v5, v[184:185]
	s_waitcnt vmcnt(61)
	ds_write2_b64 v6, v[134:135], v[182:183] offset0:17 offset1:18
	s_waitcnt vmcnt(59)
	ds_write2_b64 v6, v[132:133], v[180:181] offset0:19 offset1:20
	s_waitcnt vmcnt(57)
	ds_write2_b64 v6, v[130:131], v[178:179] offset0:21 offset1:22
	s_waitcnt vmcnt(55)
	ds_write2_b64 v6, v[128:129], v[176:177] offset0:23 offset1:24
	s_waitcnt vmcnt(53)
	ds_write2_b64 v6, v[126:127], v[174:175] offset0:25 offset1:26
	s_waitcnt vmcnt(51)
	ds_write2_b64 v6, v[124:125], v[172:173] offset0:27 offset1:28
	s_waitcnt vmcnt(49)
	ds_write2_b64 v6, v[122:123], v[170:171] offset0:29 offset1:30
	s_waitcnt vmcnt(47)
	ds_write2_b64 v6, v[120:121], v[168:169] offset0:31 offset1:32
	s_waitcnt vmcnt(45)
	ds_write2_b64 v6, v[118:119], v[166:167] offset0:33 offset1:34
	s_waitcnt vmcnt(43)
	ds_write2_b64 v6, v[116:117], v[164:165] offset0:35 offset1:36
	s_waitcnt vmcnt(41)
	ds_write2_b64 v6, v[114:115], v[162:163] offset0:37 offset1:38
	s_waitcnt vmcnt(39)
	ds_write2_b64 v6, v[112:113], v[160:161] offset0:39 offset1:40
	s_waitcnt vmcnt(37)
	ds_write2_b64 v6, v[110:111], v[158:159] offset0:41 offset1:42
	s_waitcnt vmcnt(35)
	ds_write2_b64 v6, v[108:109], v[156:157] offset0:43 offset1:44
	s_waitcnt vmcnt(33)
	ds_write2_b64 v6, v[106:107], v[154:155] offset0:45 offset1:46
	s_waitcnt vmcnt(31)
	ds_write2_b64 v6, v[104:105], v[152:153] offset0:47 offset1:48
	s_waitcnt vmcnt(30)
	ds_write_b64 v6, v[200:201] offset:392
	ds_read_b64 v[0:1], v5
	s_waitcnt lgkmcnt(0)
	v_cmp_neq_f64_e32 vcc, 0, v[0:1]
	s_and_b64 exec, exec, vcc
	s_cbranch_execz .LBB99_84
; %bb.83:
	v_div_scale_f64 v[2:3], s[6:7], v[0:1], v[0:1], 1.0
	v_rcp_f64_e32 v[8:9], v[2:3]
	v_div_scale_f64 v[10:11], vcc, 1.0, v[0:1], 1.0
	v_fma_f64 v[202:203], -v[2:3], v[8:9], 1.0
	v_fmac_f64_e32 v[8:9], v[8:9], v[202:203]
	v_fma_f64 v[202:203], -v[2:3], v[8:9], 1.0
	v_fmac_f64_e32 v[8:9], v[8:9], v[202:203]
	v_mul_f64 v[202:203], v[10:11], v[8:9]
	v_fma_f64 v[2:3], -v[2:3], v[202:203], v[10:11]
	v_div_fmas_f64 v[2:3], v[2:3], v[8:9], v[202:203]
	v_div_fixup_f64 v[0:1], v[2:3], v[0:1], 1.0
	ds_write_b64 v5, v[0:1]
.LBB99_84:
	s_or_b64 exec, exec, s[2:3]
	s_waitcnt lgkmcnt(0)
	s_barrier
	ds_read_b64 v[0:1], v5
	v_cmp_lt_u32_e32 vcc, 16, v4
	s_waitcnt lgkmcnt(0)
	buffer_store_dword v0, off, s[16:19], 0 offset:120 ; 4-byte Folded Spill
	s_nop 0
	buffer_store_dword v1, off, s[16:19], 0 offset:124 ; 4-byte Folded Spill
	s_and_saveexec_b64 s[2:3], vcc
	s_cbranch_execz .LBB99_86
; %bb.85:
	ds_read2_b64 v[0:3], v6 offset0:17 offset1:18
	ds_read2_b64 v[202:205], v6 offset0:19 offset1:20
	buffer_load_dword v8, off, s[16:19], 0 offset:120 ; 4-byte Folded Reload
	buffer_load_dword v9, off, s[16:19], 0 offset:124 ; 4-byte Folded Reload
	ds_read2_b64 v[206:209], v6 offset0:21 offset1:22
	s_waitcnt vmcnt(0)
	v_mul_f64 v[184:185], v[8:9], v[184:185]
	s_waitcnt lgkmcnt(2)
	v_fma_f64 v[134:135], -v[184:185], v[0:1], v[134:135]
	v_fma_f64 v[182:183], -v[184:185], v[2:3], v[182:183]
	ds_read2_b64 v[0:3], v6 offset0:23 offset1:24
	s_waitcnt lgkmcnt(2)
	v_fma_f64 v[132:133], -v[184:185], v[202:203], v[132:133]
	v_fma_f64 v[180:181], -v[184:185], v[204:205], v[180:181]
	s_waitcnt lgkmcnt(1)
	v_fma_f64 v[130:131], -v[184:185], v[206:207], v[130:131]
	ds_read2_b64 v[202:205], v6 offset0:25 offset1:26
	v_fma_f64 v[178:179], -v[184:185], v[208:209], v[178:179]
	ds_read2_b64 v[206:209], v6 offset0:27 offset1:28
	s_waitcnt lgkmcnt(2)
	v_fma_f64 v[128:129], -v[184:185], v[0:1], v[128:129]
	v_fma_f64 v[176:177], -v[184:185], v[2:3], v[176:177]
	ds_read2_b64 v[0:3], v6 offset0:29 offset1:30
	s_waitcnt lgkmcnt(2)
	v_fma_f64 v[126:127], -v[184:185], v[202:203], v[126:127]
	;; [unrolled: 4-line block ×3, first 2 shown]
	v_fma_f64 v[172:173], -v[184:185], v[208:209], v[172:173]
	s_waitcnt lgkmcnt(1)
	v_fma_f64 v[122:123], -v[184:185], v[0:1], v[122:123]
	ds_read2_b64 v[206:209], v6 offset0:33 offset1:34
	v_fma_f64 v[170:171], -v[184:185], v[2:3], v[170:171]
	ds_read2_b64 v[0:3], v6 offset0:35 offset1:36
	s_waitcnt lgkmcnt(2)
	v_fma_f64 v[120:121], -v[184:185], v[202:203], v[120:121]
	v_fma_f64 v[168:169], -v[184:185], v[204:205], v[168:169]
	s_waitcnt lgkmcnt(1)
	v_fma_f64 v[118:119], -v[184:185], v[206:207], v[118:119]
	ds_read2_b64 v[202:205], v6 offset0:37 offset1:38
	v_fma_f64 v[166:167], -v[184:185], v[208:209], v[166:167]
	ds_read2_b64 v[206:209], v6 offset0:39 offset1:40
	s_waitcnt lgkmcnt(2)
	v_fma_f64 v[116:117], -v[184:185], v[0:1], v[116:117]
	v_fma_f64 v[164:165], -v[184:185], v[2:3], v[164:165]
	ds_read2_b64 v[0:3], v6 offset0:41 offset1:42
	s_waitcnt lgkmcnt(2)
	v_fma_f64 v[114:115], -v[184:185], v[202:203], v[114:115]
	;; [unrolled: 4-line block ×3, first 2 shown]
	v_fma_f64 v[160:161], -v[184:185], v[208:209], v[160:161]
	s_waitcnt lgkmcnt(1)
	v_fma_f64 v[110:111], -v[184:185], v[0:1], v[110:111]
	v_fma_f64 v[158:159], -v[184:185], v[2:3], v[158:159]
	ds_read2_b64 v[0:3], v6 offset0:45 offset1:46
	ds_read2_b64 v[206:209], v6 offset0:47 offset1:48
	ds_read_b64 v[8:9], v6 offset:392
	s_waitcnt lgkmcnt(3)
	v_fma_f64 v[108:109], -v[184:185], v[202:203], v[108:109]
	v_fma_f64 v[156:157], -v[184:185], v[204:205], v[156:157]
	s_waitcnt lgkmcnt(2)
	v_fma_f64 v[106:107], -v[184:185], v[0:1], v[106:107]
	v_fma_f64 v[154:155], -v[184:185], v[2:3], v[154:155]
	;; [unrolled: 3-line block ×3, first 2 shown]
	s_waitcnt lgkmcnt(0)
	v_fma_f64 v[200:201], -v[184:185], v[8:9], v[200:201]
.LBB99_86:
	s_or_b64 exec, exec, s[2:3]
	v_cmp_eq_u32_e32 vcc, 17, v4
	s_waitcnt vmcnt(63) expcnt(7) lgkmcnt(15)
	s_barrier
	s_and_saveexec_b64 s[2:3], vcc
	s_cbranch_execz .LBB99_89
; %bb.87:
	v_mov_b32_e32 v0, v182
	v_mov_b32_e32 v1, v183
	s_waitcnt vmcnt(62)
	v_mov_b32_e32 v2, v132
	v_mov_b32_e32 v3, v133
	ds_write_b64 v5, v[134:135]
	ds_write2_b64 v6, v[0:1], v[2:3] offset0:18 offset1:19
	s_waitcnt vmcnt(61)
	v_mov_b32_e32 v0, v180
	v_mov_b32_e32 v1, v181
	s_waitcnt vmcnt(60)
	v_mov_b32_e32 v2, v130
	v_mov_b32_e32 v3, v131
	ds_write2_b64 v6, v[0:1], v[2:3] offset0:20 offset1:21
	s_waitcnt vmcnt(59)
	v_mov_b32_e32 v0, v178
	v_mov_b32_e32 v1, v179
	s_waitcnt vmcnt(58)
	v_mov_b32_e32 v2, v128
	v_mov_b32_e32 v3, v129
	;; [unrolled: 7-line block ×14, first 2 shown]
	ds_write2_b64 v6, v[0:1], v[2:3] offset0:46 offset1:47
	s_waitcnt vmcnt(33)
	v_mov_b32_e32 v0, v152
	v_mov_b32_e32 v1, v153
	s_waitcnt vmcnt(32)
	ds_write2_b64 v6, v[0:1], v[200:201] offset0:48 offset1:49
	ds_read_b64 v[0:1], v5
	s_waitcnt lgkmcnt(0)
	v_cmp_neq_f64_e32 vcc, 0, v[0:1]
	s_and_b64 exec, exec, vcc
	s_cbranch_execz .LBB99_89
; %bb.88:
	v_div_scale_f64 v[2:3], s[6:7], v[0:1], v[0:1], 1.0
	v_rcp_f64_e32 v[8:9], v[2:3]
	v_div_scale_f64 v[10:11], vcc, 1.0, v[0:1], 1.0
	v_fma_f64 v[202:203], -v[2:3], v[8:9], 1.0
	v_fmac_f64_e32 v[8:9], v[8:9], v[202:203]
	v_fma_f64 v[202:203], -v[2:3], v[8:9], 1.0
	v_fmac_f64_e32 v[8:9], v[8:9], v[202:203]
	v_mul_f64 v[202:203], v[10:11], v[8:9]
	v_fma_f64 v[2:3], -v[2:3], v[202:203], v[10:11]
	v_div_fmas_f64 v[2:3], v[2:3], v[8:9], v[202:203]
	v_div_fixup_f64 v[0:1], v[2:3], v[0:1], 1.0
	ds_write_b64 v5, v[0:1]
.LBB99_89:
	s_or_b64 exec, exec, s[2:3]
	s_waitcnt lgkmcnt(0)
	s_barrier
	ds_read_b64 v[0:1], v5
	v_cmp_lt_u32_e32 vcc, 17, v4
	s_waitcnt lgkmcnt(0)
	buffer_store_dword v0, off, s[16:19], 0 offset:128 ; 4-byte Folded Spill
	s_nop 0
	buffer_store_dword v1, off, s[16:19], 0 offset:132 ; 4-byte Folded Spill
	s_and_saveexec_b64 s[2:3], vcc
	s_cbranch_execz .LBB99_91
; %bb.90:
	ds_read2_b64 v[0:3], v6 offset0:18 offset1:19
	ds_read2_b64 v[202:205], v6 offset0:20 offset1:21
	buffer_load_dword v8, off, s[16:19], 0 offset:128 ; 4-byte Folded Reload
	buffer_load_dword v9, off, s[16:19], 0 offset:132 ; 4-byte Folded Reload
	ds_read2_b64 v[206:209], v6 offset0:22 offset1:23
	s_waitcnt vmcnt(0)
	v_mul_f64 v[134:135], v[8:9], v[134:135]
	s_waitcnt lgkmcnt(2)
	v_fma_f64 v[182:183], -v[134:135], v[0:1], v[182:183]
	v_fma_f64 v[132:133], -v[134:135], v[2:3], v[132:133]
	ds_read2_b64 v[0:3], v6 offset0:24 offset1:25
	s_waitcnt lgkmcnt(2)
	v_fma_f64 v[180:181], -v[134:135], v[202:203], v[180:181]
	v_fma_f64 v[130:131], -v[134:135], v[204:205], v[130:131]
	s_waitcnt lgkmcnt(1)
	v_fma_f64 v[178:179], -v[134:135], v[206:207], v[178:179]
	ds_read2_b64 v[202:205], v6 offset0:26 offset1:27
	v_fma_f64 v[128:129], -v[134:135], v[208:209], v[128:129]
	ds_read2_b64 v[206:209], v6 offset0:28 offset1:29
	s_waitcnt lgkmcnt(2)
	v_fma_f64 v[176:177], -v[134:135], v[0:1], v[176:177]
	v_fma_f64 v[126:127], -v[134:135], v[2:3], v[126:127]
	ds_read2_b64 v[0:3], v6 offset0:30 offset1:31
	s_waitcnt lgkmcnt(2)
	v_fma_f64 v[174:175], -v[134:135], v[202:203], v[174:175]
	;; [unrolled: 4-line block ×3, first 2 shown]
	v_fma_f64 v[122:123], -v[134:135], v[208:209], v[122:123]
	s_waitcnt lgkmcnt(1)
	v_fma_f64 v[170:171], -v[134:135], v[0:1], v[170:171]
	ds_read2_b64 v[206:209], v6 offset0:34 offset1:35
	v_fma_f64 v[120:121], -v[134:135], v[2:3], v[120:121]
	ds_read2_b64 v[0:3], v6 offset0:36 offset1:37
	s_waitcnt lgkmcnt(2)
	v_fma_f64 v[168:169], -v[134:135], v[202:203], v[168:169]
	v_fma_f64 v[118:119], -v[134:135], v[204:205], v[118:119]
	s_waitcnt lgkmcnt(1)
	v_fma_f64 v[166:167], -v[134:135], v[206:207], v[166:167]
	ds_read2_b64 v[202:205], v6 offset0:38 offset1:39
	v_fma_f64 v[116:117], -v[134:135], v[208:209], v[116:117]
	ds_read2_b64 v[206:209], v6 offset0:40 offset1:41
	s_waitcnt lgkmcnt(2)
	v_fma_f64 v[164:165], -v[134:135], v[0:1], v[164:165]
	v_fma_f64 v[114:115], -v[134:135], v[2:3], v[114:115]
	ds_read2_b64 v[0:3], v6 offset0:42 offset1:43
	s_waitcnt lgkmcnt(2)
	v_fma_f64 v[162:163], -v[134:135], v[202:203], v[162:163]
	;; [unrolled: 4-line block ×3, first 2 shown]
	v_fma_f64 v[110:111], -v[134:135], v[208:209], v[110:111]
	s_waitcnt lgkmcnt(1)
	v_fma_f64 v[158:159], -v[134:135], v[0:1], v[158:159]
	ds_read2_b64 v[206:209], v6 offset0:46 offset1:47
	v_fma_f64 v[108:109], -v[134:135], v[2:3], v[108:109]
	ds_read2_b64 v[0:3], v6 offset0:48 offset1:49
	s_waitcnt lgkmcnt(2)
	v_fma_f64 v[156:157], -v[134:135], v[202:203], v[156:157]
	v_fma_f64 v[106:107], -v[134:135], v[204:205], v[106:107]
	s_waitcnt lgkmcnt(1)
	v_fma_f64 v[154:155], -v[134:135], v[206:207], v[154:155]
	v_fma_f64 v[104:105], -v[134:135], v[208:209], v[104:105]
	;; [unrolled: 3-line block ×3, first 2 shown]
.LBB99_91:
	s_or_b64 exec, exec, s[2:3]
	v_cmp_eq_u32_e32 vcc, 18, v4
	s_waitcnt vmcnt(63) expcnt(7) lgkmcnt(15)
	s_barrier
	s_and_saveexec_b64 s[2:3], vcc
	s_cbranch_execz .LBB99_94
; %bb.92:
	ds_write_b64 v5, v[182:183]
	ds_write2_b64 v6, v[132:133], v[180:181] offset0:19 offset1:20
	s_waitcnt vmcnt(61)
	ds_write2_b64 v6, v[130:131], v[178:179] offset0:21 offset1:22
	s_waitcnt vmcnt(59)
	;; [unrolled: 2-line block ×15, first 2 shown]
	ds_write_b64 v6, v[200:201] offset:392
	ds_read_b64 v[0:1], v5
	s_waitcnt lgkmcnt(0)
	v_cmp_neq_f64_e32 vcc, 0, v[0:1]
	s_and_b64 exec, exec, vcc
	s_cbranch_execz .LBB99_94
; %bb.93:
	v_div_scale_f64 v[2:3], s[6:7], v[0:1], v[0:1], 1.0
	v_rcp_f64_e32 v[8:9], v[2:3]
	v_div_scale_f64 v[10:11], vcc, 1.0, v[0:1], 1.0
	v_fma_f64 v[202:203], -v[2:3], v[8:9], 1.0
	v_fmac_f64_e32 v[8:9], v[8:9], v[202:203]
	v_fma_f64 v[202:203], -v[2:3], v[8:9], 1.0
	v_fmac_f64_e32 v[8:9], v[8:9], v[202:203]
	v_mul_f64 v[202:203], v[10:11], v[8:9]
	v_fma_f64 v[2:3], -v[2:3], v[202:203], v[10:11]
	v_div_fmas_f64 v[2:3], v[2:3], v[8:9], v[202:203]
	v_div_fixup_f64 v[0:1], v[2:3], v[0:1], 1.0
	ds_write_b64 v5, v[0:1]
.LBB99_94:
	s_or_b64 exec, exec, s[2:3]
	s_waitcnt lgkmcnt(0)
	s_barrier
	ds_read_b64 v[0:1], v5
	v_cmp_lt_u32_e32 vcc, 18, v4
	s_waitcnt lgkmcnt(0)
	buffer_store_dword v0, off, s[16:19], 0 offset:136 ; 4-byte Folded Spill
	s_nop 0
	buffer_store_dword v1, off, s[16:19], 0 offset:140 ; 4-byte Folded Spill
	s_and_saveexec_b64 s[2:3], vcc
	s_cbranch_execz .LBB99_96
; %bb.95:
	ds_read2_b64 v[0:3], v6 offset0:19 offset1:20
	ds_read2_b64 v[202:205], v6 offset0:21 offset1:22
	buffer_load_dword v8, off, s[16:19], 0 offset:136 ; 4-byte Folded Reload
	buffer_load_dword v9, off, s[16:19], 0 offset:140 ; 4-byte Folded Reload
	ds_read2_b64 v[206:209], v6 offset0:23 offset1:24
	s_waitcnt vmcnt(0)
	v_mul_f64 v[182:183], v[8:9], v[182:183]
	s_waitcnt lgkmcnt(2)
	v_fma_f64 v[132:133], -v[182:183], v[0:1], v[132:133]
	v_fma_f64 v[180:181], -v[182:183], v[2:3], v[180:181]
	ds_read2_b64 v[0:3], v6 offset0:25 offset1:26
	s_waitcnt lgkmcnt(2)
	v_fma_f64 v[130:131], -v[182:183], v[202:203], v[130:131]
	v_fma_f64 v[178:179], -v[182:183], v[204:205], v[178:179]
	s_waitcnt lgkmcnt(1)
	v_fma_f64 v[128:129], -v[182:183], v[206:207], v[128:129]
	ds_read2_b64 v[202:205], v6 offset0:27 offset1:28
	v_fma_f64 v[176:177], -v[182:183], v[208:209], v[176:177]
	ds_read2_b64 v[206:209], v6 offset0:29 offset1:30
	s_waitcnt lgkmcnt(2)
	v_fma_f64 v[126:127], -v[182:183], v[0:1], v[126:127]
	v_fma_f64 v[174:175], -v[182:183], v[2:3], v[174:175]
	ds_read2_b64 v[0:3], v6 offset0:31 offset1:32
	s_waitcnt lgkmcnt(2)
	v_fma_f64 v[124:125], -v[182:183], v[202:203], v[124:125]
	;; [unrolled: 4-line block ×3, first 2 shown]
	v_fma_f64 v[170:171], -v[182:183], v[208:209], v[170:171]
	s_waitcnt lgkmcnt(1)
	v_fma_f64 v[120:121], -v[182:183], v[0:1], v[120:121]
	ds_read2_b64 v[206:209], v6 offset0:35 offset1:36
	v_fma_f64 v[168:169], -v[182:183], v[2:3], v[168:169]
	ds_read2_b64 v[0:3], v6 offset0:37 offset1:38
	s_waitcnt lgkmcnt(2)
	v_fma_f64 v[118:119], -v[182:183], v[202:203], v[118:119]
	v_fma_f64 v[166:167], -v[182:183], v[204:205], v[166:167]
	s_waitcnt lgkmcnt(1)
	v_fma_f64 v[116:117], -v[182:183], v[206:207], v[116:117]
	ds_read2_b64 v[202:205], v6 offset0:39 offset1:40
	v_fma_f64 v[164:165], -v[182:183], v[208:209], v[164:165]
	ds_read2_b64 v[206:209], v6 offset0:41 offset1:42
	s_waitcnt lgkmcnt(2)
	v_fma_f64 v[114:115], -v[182:183], v[0:1], v[114:115]
	v_fma_f64 v[162:163], -v[182:183], v[2:3], v[162:163]
	ds_read2_b64 v[0:3], v6 offset0:43 offset1:44
	s_waitcnt lgkmcnt(2)
	v_fma_f64 v[112:113], -v[182:183], v[202:203], v[112:113]
	;; [unrolled: 4-line block ×3, first 2 shown]
	v_fma_f64 v[158:159], -v[182:183], v[208:209], v[158:159]
	s_waitcnt lgkmcnt(1)
	v_fma_f64 v[108:109], -v[182:183], v[0:1], v[108:109]
	ds_read2_b64 v[206:209], v6 offset0:47 offset1:48
	ds_read_b64 v[0:1], v6 offset:392
	v_fma_f64 v[156:157], -v[182:183], v[2:3], v[156:157]
	s_waitcnt lgkmcnt(2)
	v_fma_f64 v[106:107], -v[182:183], v[202:203], v[106:107]
	v_fma_f64 v[154:155], -v[182:183], v[204:205], v[154:155]
	s_waitcnt lgkmcnt(1)
	v_fma_f64 v[104:105], -v[182:183], v[206:207], v[104:105]
	;; [unrolled: 3-line block ×3, first 2 shown]
.LBB99_96:
	s_or_b64 exec, exec, s[2:3]
	v_cmp_eq_u32_e32 vcc, 19, v4
	s_waitcnt vmcnt(63) expcnt(7) lgkmcnt(15)
	s_barrier
	s_and_saveexec_b64 s[2:3], vcc
	s_cbranch_execz .LBB99_99
; %bb.97:
	v_mov_b32_e32 v0, v180
	v_mov_b32_e32 v1, v181
	;; [unrolled: 1-line block ×4, first 2 shown]
	ds_write_b64 v5, v[132:133]
	ds_write2_b64 v6, v[0:1], v[2:3] offset0:20 offset1:21
	v_mov_b32_e32 v0, v178
	v_mov_b32_e32 v1, v179
	s_waitcnt vmcnt(62)
	v_mov_b32_e32 v2, v128
	v_mov_b32_e32 v3, v129
	ds_write2_b64 v6, v[0:1], v[2:3] offset0:22 offset1:23
	s_waitcnt vmcnt(61)
	v_mov_b32_e32 v0, v176
	v_mov_b32_e32 v1, v177
	s_waitcnt vmcnt(60)
	v_mov_b32_e32 v2, v126
	v_mov_b32_e32 v3, v127
	ds_write2_b64 v6, v[0:1], v[2:3] offset0:24 offset1:25
	s_waitcnt vmcnt(59)
	;; [unrolled: 7-line block ×13, first 2 shown]
	v_mov_b32_e32 v0, v152
	v_mov_b32_e32 v1, v153
	s_waitcnt vmcnt(36)
	ds_write2_b64 v6, v[0:1], v[200:201] offset0:48 offset1:49
	ds_read_b64 v[0:1], v5
	s_waitcnt lgkmcnt(0)
	v_cmp_neq_f64_e32 vcc, 0, v[0:1]
	s_and_b64 exec, exec, vcc
	s_cbranch_execz .LBB99_99
; %bb.98:
	v_div_scale_f64 v[2:3], s[6:7], v[0:1], v[0:1], 1.0
	v_rcp_f64_e32 v[8:9], v[2:3]
	v_div_scale_f64 v[10:11], vcc, 1.0, v[0:1], 1.0
	v_fma_f64 v[202:203], -v[2:3], v[8:9], 1.0
	v_fmac_f64_e32 v[8:9], v[8:9], v[202:203]
	v_fma_f64 v[202:203], -v[2:3], v[8:9], 1.0
	v_fmac_f64_e32 v[8:9], v[8:9], v[202:203]
	v_mul_f64 v[202:203], v[10:11], v[8:9]
	v_fma_f64 v[2:3], -v[2:3], v[202:203], v[10:11]
	v_div_fmas_f64 v[2:3], v[2:3], v[8:9], v[202:203]
	v_div_fixup_f64 v[0:1], v[2:3], v[0:1], 1.0
	ds_write_b64 v5, v[0:1]
.LBB99_99:
	s_or_b64 exec, exec, s[2:3]
	s_waitcnt lgkmcnt(0)
	s_barrier
	ds_read_b64 v[0:1], v5
	v_cmp_lt_u32_e32 vcc, 19, v4
	s_waitcnt lgkmcnt(0)
	buffer_store_dword v0, off, s[16:19], 0 offset:144 ; 4-byte Folded Spill
	s_nop 0
	buffer_store_dword v1, off, s[16:19], 0 offset:148 ; 4-byte Folded Spill
	s_and_saveexec_b64 s[2:3], vcc
	s_cbranch_execz .LBB99_101
; %bb.100:
	buffer_load_dword v0, off, s[16:19], 0 offset:144 ; 4-byte Folded Reload
	buffer_load_dword v1, off, s[16:19], 0 offset:148 ; 4-byte Folded Reload
	s_waitcnt vmcnt(0)
	v_mul_f64 v[132:133], v[0:1], v[132:133]
	ds_read2_b64 v[0:3], v6 offset0:20 offset1:21
	s_waitcnt lgkmcnt(0)
	v_fma_f64 v[180:181], -v[132:133], v[0:1], v[180:181]
	v_fma_f64 v[130:131], -v[132:133], v[2:3], v[130:131]
	ds_read2_b64 v[0:3], v6 offset0:22 offset1:23
	s_waitcnt lgkmcnt(0)
	v_fma_f64 v[178:179], -v[132:133], v[0:1], v[178:179]
	v_fma_f64 v[128:129], -v[132:133], v[2:3], v[128:129]
	;; [unrolled: 4-line block ×15, first 2 shown]
.LBB99_101:
	s_or_b64 exec, exec, s[2:3]
	v_cmp_eq_u32_e32 vcc, 20, v4
	s_waitcnt vmcnt(63) expcnt(7) lgkmcnt(15)
	s_barrier
	s_and_saveexec_b64 s[2:3], vcc
	s_cbranch_execz .LBB99_104
; %bb.102:
	ds_write_b64 v5, v[180:181]
	ds_write2_b64 v6, v[130:131], v[178:179] offset0:21 offset1:22
	ds_write2_b64 v6, v[128:129], v[176:177] offset0:23 offset1:24
	s_waitcnt vmcnt(61)
	ds_write2_b64 v6, v[126:127], v[174:175] offset0:25 offset1:26
	s_waitcnt vmcnt(59)
	;; [unrolled: 2-line block ×13, first 2 shown]
	ds_write_b64 v6, v[200:201] offset:392
	ds_read_b64 v[0:1], v5
	s_waitcnt lgkmcnt(0)
	v_cmp_neq_f64_e32 vcc, 0, v[0:1]
	s_and_b64 exec, exec, vcc
	s_cbranch_execz .LBB99_104
; %bb.103:
	v_div_scale_f64 v[2:3], s[6:7], v[0:1], v[0:1], 1.0
	v_rcp_f64_e32 v[8:9], v[2:3]
	v_div_scale_f64 v[10:11], vcc, 1.0, v[0:1], 1.0
	v_fma_f64 v[202:203], -v[2:3], v[8:9], 1.0
	v_fmac_f64_e32 v[8:9], v[8:9], v[202:203]
	v_fma_f64 v[202:203], -v[2:3], v[8:9], 1.0
	v_fmac_f64_e32 v[8:9], v[8:9], v[202:203]
	v_mul_f64 v[202:203], v[10:11], v[8:9]
	v_fma_f64 v[2:3], -v[2:3], v[202:203], v[10:11]
	v_div_fmas_f64 v[2:3], v[2:3], v[8:9], v[202:203]
	v_div_fixup_f64 v[0:1], v[2:3], v[0:1], 1.0
	ds_write_b64 v5, v[0:1]
.LBB99_104:
	s_or_b64 exec, exec, s[2:3]
	s_waitcnt lgkmcnt(0)
	s_barrier
	ds_read_b64 v[0:1], v5
	v_cmp_lt_u32_e32 vcc, 20, v4
	s_waitcnt lgkmcnt(0)
	buffer_store_dword v0, off, s[16:19], 0 offset:152 ; 4-byte Folded Spill
	s_nop 0
	buffer_store_dword v1, off, s[16:19], 0 offset:156 ; 4-byte Folded Spill
	s_and_saveexec_b64 s[2:3], vcc
	s_cbranch_execz .LBB99_106
; %bb.105:
	buffer_load_dword v0, off, s[16:19], 0 offset:152 ; 4-byte Folded Reload
	buffer_load_dword v1, off, s[16:19], 0 offset:156 ; 4-byte Folded Reload
	s_waitcnt vmcnt(0)
	v_mul_f64 v[180:181], v[0:1], v[180:181]
	ds_read2_b64 v[0:3], v6 offset0:21 offset1:22
	s_waitcnt lgkmcnt(0)
	v_fma_f64 v[130:131], -v[180:181], v[0:1], v[130:131]
	v_fma_f64 v[178:179], -v[180:181], v[2:3], v[178:179]
	ds_read2_b64 v[0:3], v6 offset0:23 offset1:24
	s_waitcnt lgkmcnt(0)
	v_fma_f64 v[128:129], -v[180:181], v[0:1], v[128:129]
	v_fma_f64 v[176:177], -v[180:181], v[2:3], v[176:177]
	;; [unrolled: 4-line block ×13, first 2 shown]
	ds_read2_b64 v[0:3], v6 offset0:47 offset1:48
	s_waitcnt lgkmcnt(0)
	v_fma_f64 v[104:105], -v[180:181], v[0:1], v[104:105]
	ds_read_b64 v[0:1], v6 offset:392
	v_fma_f64 v[152:153], -v[180:181], v[2:3], v[152:153]
	s_waitcnt lgkmcnt(0)
	v_fma_f64 v[200:201], -v[180:181], v[0:1], v[200:201]
.LBB99_106:
	s_or_b64 exec, exec, s[2:3]
	v_cmp_eq_u32_e32 vcc, 21, v4
	s_waitcnt vmcnt(63) expcnt(7) lgkmcnt(15)
	s_barrier
	s_and_saveexec_b64 s[2:3], vcc
	s_cbranch_execz .LBB99_109
; %bb.107:
	v_mov_b32_e32 v0, v178
	v_mov_b32_e32 v1, v179
	;; [unrolled: 1-line block ×4, first 2 shown]
	ds_write_b64 v5, v[130:131]
	ds_write2_b64 v6, v[0:1], v[2:3] offset0:22 offset1:23
	v_mov_b32_e32 v0, v176
	v_mov_b32_e32 v1, v177
	;; [unrolled: 1-line block ×4, first 2 shown]
	ds_write2_b64 v6, v[0:1], v[2:3] offset0:24 offset1:25
	v_mov_b32_e32 v0, v174
	v_mov_b32_e32 v1, v175
	s_waitcnt vmcnt(62)
	v_mov_b32_e32 v2, v124
	v_mov_b32_e32 v3, v125
	ds_write2_b64 v6, v[0:1], v[2:3] offset0:26 offset1:27
	s_waitcnt vmcnt(61)
	v_mov_b32_e32 v0, v172
	v_mov_b32_e32 v1, v173
	s_waitcnt vmcnt(60)
	v_mov_b32_e32 v2, v122
	v_mov_b32_e32 v3, v123
	ds_write2_b64 v6, v[0:1], v[2:3] offset0:28 offset1:29
	s_waitcnt vmcnt(59)
	;; [unrolled: 7-line block ×11, first 2 shown]
	v_mov_b32_e32 v0, v152
	v_mov_b32_e32 v1, v153
	s_waitcnt vmcnt(40)
	ds_write2_b64 v6, v[0:1], v[200:201] offset0:48 offset1:49
	ds_read_b64 v[0:1], v5
	s_waitcnt lgkmcnt(0)
	v_cmp_neq_f64_e32 vcc, 0, v[0:1]
	s_and_b64 exec, exec, vcc
	s_cbranch_execz .LBB99_109
; %bb.108:
	v_div_scale_f64 v[2:3], s[6:7], v[0:1], v[0:1], 1.0
	v_rcp_f64_e32 v[8:9], v[2:3]
	v_div_scale_f64 v[10:11], vcc, 1.0, v[0:1], 1.0
	v_fma_f64 v[202:203], -v[2:3], v[8:9], 1.0
	v_fmac_f64_e32 v[8:9], v[8:9], v[202:203]
	v_fma_f64 v[202:203], -v[2:3], v[8:9], 1.0
	v_fmac_f64_e32 v[8:9], v[8:9], v[202:203]
	v_mul_f64 v[202:203], v[10:11], v[8:9]
	v_fma_f64 v[2:3], -v[2:3], v[202:203], v[10:11]
	v_div_fmas_f64 v[2:3], v[2:3], v[8:9], v[202:203]
	v_div_fixup_f64 v[0:1], v[2:3], v[0:1], 1.0
	ds_write_b64 v5, v[0:1]
.LBB99_109:
	s_or_b64 exec, exec, s[2:3]
	s_waitcnt lgkmcnt(0)
	s_barrier
	ds_read_b64 v[0:1], v5
	v_cmp_lt_u32_e32 vcc, 21, v4
	s_waitcnt lgkmcnt(0)
	buffer_store_dword v0, off, s[16:19], 0 offset:160 ; 4-byte Folded Spill
	s_nop 0
	buffer_store_dword v1, off, s[16:19], 0 offset:164 ; 4-byte Folded Spill
	s_and_saveexec_b64 s[2:3], vcc
	s_cbranch_execz .LBB99_111
; %bb.110:
	buffer_load_dword v0, off, s[16:19], 0 offset:160 ; 4-byte Folded Reload
	buffer_load_dword v1, off, s[16:19], 0 offset:164 ; 4-byte Folded Reload
	s_waitcnt vmcnt(0)
	v_mul_f64 v[130:131], v[0:1], v[130:131]
	ds_read2_b64 v[0:3], v6 offset0:22 offset1:23
	s_waitcnt lgkmcnt(0)
	v_fma_f64 v[178:179], -v[130:131], v[0:1], v[178:179]
	v_fma_f64 v[128:129], -v[130:131], v[2:3], v[128:129]
	ds_read2_b64 v[0:3], v6 offset0:24 offset1:25
	s_waitcnt lgkmcnt(0)
	v_fma_f64 v[176:177], -v[130:131], v[0:1], v[176:177]
	v_fma_f64 v[126:127], -v[130:131], v[2:3], v[126:127]
	;; [unrolled: 4-line block ×14, first 2 shown]
.LBB99_111:
	s_or_b64 exec, exec, s[2:3]
	v_cmp_eq_u32_e32 vcc, 22, v4
	s_waitcnt vmcnt(63) expcnt(7) lgkmcnt(15)
	s_barrier
	s_and_saveexec_b64 s[2:3], vcc
	s_cbranch_execz .LBB99_114
; %bb.112:
	ds_write_b64 v5, v[178:179]
	ds_write2_b64 v6, v[128:129], v[176:177] offset0:23 offset1:24
	ds_write2_b64 v6, v[126:127], v[174:175] offset0:25 offset1:26
	;; [unrolled: 1-line block ×3, first 2 shown]
	s_waitcnt vmcnt(61)
	ds_write2_b64 v6, v[122:123], v[170:171] offset0:29 offset1:30
	s_waitcnt vmcnt(59)
	ds_write2_b64 v6, v[120:121], v[168:169] offset0:31 offset1:32
	;; [unrolled: 2-line block ×10, first 2 shown]
	s_waitcnt vmcnt(42)
	ds_write_b64 v6, v[200:201] offset:392
	ds_read_b64 v[0:1], v5
	s_waitcnt lgkmcnt(0)
	v_cmp_neq_f64_e32 vcc, 0, v[0:1]
	s_and_b64 exec, exec, vcc
	s_cbranch_execz .LBB99_114
; %bb.113:
	v_div_scale_f64 v[2:3], s[6:7], v[0:1], v[0:1], 1.0
	v_rcp_f64_e32 v[8:9], v[2:3]
	v_div_scale_f64 v[10:11], vcc, 1.0, v[0:1], 1.0
	v_fma_f64 v[202:203], -v[2:3], v[8:9], 1.0
	v_fmac_f64_e32 v[8:9], v[8:9], v[202:203]
	v_fma_f64 v[202:203], -v[2:3], v[8:9], 1.0
	v_fmac_f64_e32 v[8:9], v[8:9], v[202:203]
	v_mul_f64 v[202:203], v[10:11], v[8:9]
	v_fma_f64 v[2:3], -v[2:3], v[202:203], v[10:11]
	v_div_fmas_f64 v[2:3], v[2:3], v[8:9], v[202:203]
	v_div_fixup_f64 v[0:1], v[2:3], v[0:1], 1.0
	ds_write_b64 v5, v[0:1]
.LBB99_114:
	s_or_b64 exec, exec, s[2:3]
	s_waitcnt lgkmcnt(0)
	s_barrier
	ds_read_b64 v[0:1], v5
	v_cmp_lt_u32_e32 vcc, 22, v4
	s_waitcnt lgkmcnt(0)
	buffer_store_dword v0, off, s[16:19], 0 offset:168 ; 4-byte Folded Spill
	s_nop 0
	buffer_store_dword v1, off, s[16:19], 0 offset:172 ; 4-byte Folded Spill
	s_and_saveexec_b64 s[2:3], vcc
	s_cbranch_execz .LBB99_116
; %bb.115:
	buffer_load_dword v0, off, s[16:19], 0 offset:168 ; 4-byte Folded Reload
	buffer_load_dword v1, off, s[16:19], 0 offset:172 ; 4-byte Folded Reload
	s_waitcnt vmcnt(0)
	v_mul_f64 v[178:179], v[0:1], v[178:179]
	ds_read2_b64 v[0:3], v6 offset0:23 offset1:24
	s_waitcnt lgkmcnt(0)
	v_fma_f64 v[128:129], -v[178:179], v[0:1], v[128:129]
	v_fma_f64 v[176:177], -v[178:179], v[2:3], v[176:177]
	ds_read2_b64 v[0:3], v6 offset0:25 offset1:26
	s_waitcnt lgkmcnt(0)
	v_fma_f64 v[126:127], -v[178:179], v[0:1], v[126:127]
	v_fma_f64 v[174:175], -v[178:179], v[2:3], v[174:175]
	;; [unrolled: 4-line block ×12, first 2 shown]
	ds_read2_b64 v[0:3], v6 offset0:47 offset1:48
	s_waitcnt lgkmcnt(0)
	v_fma_f64 v[104:105], -v[178:179], v[0:1], v[104:105]
	ds_read_b64 v[0:1], v6 offset:392
	v_fma_f64 v[152:153], -v[178:179], v[2:3], v[152:153]
	s_waitcnt lgkmcnt(0)
	v_fma_f64 v[200:201], -v[178:179], v[0:1], v[200:201]
.LBB99_116:
	s_or_b64 exec, exec, s[2:3]
	v_cmp_eq_u32_e32 vcc, 23, v4
	s_waitcnt vmcnt(63) expcnt(7) lgkmcnt(15)
	s_barrier
	s_and_saveexec_b64 s[2:3], vcc
	s_cbranch_execz .LBB99_119
; %bb.117:
	v_mov_b32_e32 v0, v176
	v_mov_b32_e32 v1, v177
	;; [unrolled: 1-line block ×4, first 2 shown]
	ds_write_b64 v5, v[128:129]
	ds_write2_b64 v6, v[0:1], v[2:3] offset0:24 offset1:25
	v_mov_b32_e32 v0, v174
	v_mov_b32_e32 v1, v175
	;; [unrolled: 1-line block ×4, first 2 shown]
	ds_write2_b64 v6, v[0:1], v[2:3] offset0:26 offset1:27
	v_mov_b32_e32 v0, v172
	v_mov_b32_e32 v1, v173
	;; [unrolled: 1-line block ×4, first 2 shown]
	ds_write2_b64 v6, v[0:1], v[2:3] offset0:28 offset1:29
	v_mov_b32_e32 v0, v170
	v_mov_b32_e32 v1, v171
	s_waitcnt vmcnt(62)
	v_mov_b32_e32 v2, v120
	v_mov_b32_e32 v3, v121
	ds_write2_b64 v6, v[0:1], v[2:3] offset0:30 offset1:31
	s_waitcnt vmcnt(61)
	v_mov_b32_e32 v0, v168
	v_mov_b32_e32 v1, v169
	s_waitcnt vmcnt(60)
	v_mov_b32_e32 v2, v118
	v_mov_b32_e32 v3, v119
	ds_write2_b64 v6, v[0:1], v[2:3] offset0:32 offset1:33
	s_waitcnt vmcnt(59)
	;; [unrolled: 7-line block ×9, first 2 shown]
	v_mov_b32_e32 v0, v152
	v_mov_b32_e32 v1, v153
	s_waitcnt vmcnt(44)
	ds_write2_b64 v6, v[0:1], v[200:201] offset0:48 offset1:49
	ds_read_b64 v[0:1], v5
	s_waitcnt lgkmcnt(0)
	v_cmp_neq_f64_e32 vcc, 0, v[0:1]
	s_and_b64 exec, exec, vcc
	s_cbranch_execz .LBB99_119
; %bb.118:
	v_div_scale_f64 v[2:3], s[6:7], v[0:1], v[0:1], 1.0
	v_rcp_f64_e32 v[8:9], v[2:3]
	v_div_scale_f64 v[10:11], vcc, 1.0, v[0:1], 1.0
	v_fma_f64 v[202:203], -v[2:3], v[8:9], 1.0
	v_fmac_f64_e32 v[8:9], v[8:9], v[202:203]
	v_fma_f64 v[202:203], -v[2:3], v[8:9], 1.0
	v_fmac_f64_e32 v[8:9], v[8:9], v[202:203]
	v_mul_f64 v[202:203], v[10:11], v[8:9]
	v_fma_f64 v[2:3], -v[2:3], v[202:203], v[10:11]
	v_div_fmas_f64 v[2:3], v[2:3], v[8:9], v[202:203]
	v_div_fixup_f64 v[0:1], v[2:3], v[0:1], 1.0
	ds_write_b64 v5, v[0:1]
.LBB99_119:
	s_or_b64 exec, exec, s[2:3]
	s_waitcnt lgkmcnt(0)
	s_barrier
	ds_read_b64 v[0:1], v5
	v_cmp_lt_u32_e32 vcc, 23, v4
	s_waitcnt lgkmcnt(0)
	buffer_store_dword v0, off, s[16:19], 0 offset:176 ; 4-byte Folded Spill
	s_nop 0
	buffer_store_dword v1, off, s[16:19], 0 offset:180 ; 4-byte Folded Spill
	s_and_saveexec_b64 s[2:3], vcc
	s_cbranch_execz .LBB99_121
; %bb.120:
	buffer_load_dword v0, off, s[16:19], 0 offset:176 ; 4-byte Folded Reload
	buffer_load_dword v1, off, s[16:19], 0 offset:180 ; 4-byte Folded Reload
	s_waitcnt vmcnt(0)
	v_mul_f64 v[128:129], v[0:1], v[128:129]
	ds_read2_b64 v[0:3], v6 offset0:24 offset1:25
	s_waitcnt lgkmcnt(0)
	v_fma_f64 v[176:177], -v[128:129], v[0:1], v[176:177]
	v_fma_f64 v[126:127], -v[128:129], v[2:3], v[126:127]
	ds_read2_b64 v[0:3], v6 offset0:26 offset1:27
	s_waitcnt lgkmcnt(0)
	v_fma_f64 v[174:175], -v[128:129], v[0:1], v[174:175]
	v_fma_f64 v[124:125], -v[128:129], v[2:3], v[124:125]
	;; [unrolled: 4-line block ×13, first 2 shown]
.LBB99_121:
	s_or_b64 exec, exec, s[2:3]
	v_cmp_eq_u32_e32 vcc, 24, v4
	s_waitcnt vmcnt(63) expcnt(7) lgkmcnt(15)
	s_barrier
	s_and_saveexec_b64 s[2:3], vcc
	s_cbranch_execz .LBB99_124
; %bb.122:
	ds_write_b64 v5, v[176:177]
	ds_write2_b64 v6, v[126:127], v[174:175] offset0:25 offset1:26
	ds_write2_b64 v6, v[124:125], v[172:173] offset0:27 offset1:28
	;; [unrolled: 1-line block ×4, first 2 shown]
	s_waitcnt vmcnt(61)
	ds_write2_b64 v6, v[118:119], v[166:167] offset0:33 offset1:34
	s_waitcnt vmcnt(59)
	ds_write2_b64 v6, v[116:117], v[164:165] offset0:35 offset1:36
	;; [unrolled: 2-line block ×8, first 2 shown]
	s_waitcnt vmcnt(46)
	ds_write_b64 v6, v[200:201] offset:392
	ds_read_b64 v[0:1], v5
	s_waitcnt lgkmcnt(0)
	v_cmp_neq_f64_e32 vcc, 0, v[0:1]
	s_and_b64 exec, exec, vcc
	s_cbranch_execz .LBB99_124
; %bb.123:
	v_div_scale_f64 v[2:3], s[6:7], v[0:1], v[0:1], 1.0
	v_rcp_f64_e32 v[8:9], v[2:3]
	v_div_scale_f64 v[10:11], vcc, 1.0, v[0:1], 1.0
	v_fma_f64 v[202:203], -v[2:3], v[8:9], 1.0
	v_fmac_f64_e32 v[8:9], v[8:9], v[202:203]
	v_fma_f64 v[202:203], -v[2:3], v[8:9], 1.0
	v_fmac_f64_e32 v[8:9], v[8:9], v[202:203]
	v_mul_f64 v[202:203], v[10:11], v[8:9]
	v_fma_f64 v[2:3], -v[2:3], v[202:203], v[10:11]
	v_div_fmas_f64 v[2:3], v[2:3], v[8:9], v[202:203]
	v_div_fixup_f64 v[0:1], v[2:3], v[0:1], 1.0
	ds_write_b64 v5, v[0:1]
.LBB99_124:
	s_or_b64 exec, exec, s[2:3]
	s_waitcnt lgkmcnt(0)
	s_barrier
	ds_read_b64 v[0:1], v5
	v_cmp_lt_u32_e32 vcc, 24, v4
	s_waitcnt lgkmcnt(0)
	buffer_store_dword v0, off, s[16:19], 0 offset:184 ; 4-byte Folded Spill
	s_nop 0
	buffer_store_dword v1, off, s[16:19], 0 offset:188 ; 4-byte Folded Spill
	s_and_saveexec_b64 s[2:3], vcc
	s_cbranch_execz .LBB99_126
; %bb.125:
	buffer_load_dword v0, off, s[16:19], 0 offset:184 ; 4-byte Folded Reload
	buffer_load_dword v1, off, s[16:19], 0 offset:188 ; 4-byte Folded Reload
	s_waitcnt vmcnt(0)
	v_mul_f64 v[176:177], v[0:1], v[176:177]
	ds_read2_b64 v[0:3], v6 offset0:25 offset1:26
	s_waitcnt lgkmcnt(0)
	v_fma_f64 v[126:127], -v[176:177], v[0:1], v[126:127]
	v_fma_f64 v[174:175], -v[176:177], v[2:3], v[174:175]
	ds_read2_b64 v[0:3], v6 offset0:27 offset1:28
	s_waitcnt lgkmcnt(0)
	v_fma_f64 v[124:125], -v[176:177], v[0:1], v[124:125]
	v_fma_f64 v[172:173], -v[176:177], v[2:3], v[172:173]
	;; [unrolled: 4-line block ×11, first 2 shown]
	ds_read2_b64 v[0:3], v6 offset0:47 offset1:48
	s_waitcnt lgkmcnt(0)
	v_fma_f64 v[104:105], -v[176:177], v[0:1], v[104:105]
	ds_read_b64 v[0:1], v6 offset:392
	v_fma_f64 v[152:153], -v[176:177], v[2:3], v[152:153]
	s_waitcnt lgkmcnt(0)
	v_fma_f64 v[200:201], -v[176:177], v[0:1], v[200:201]
.LBB99_126:
	s_or_b64 exec, exec, s[2:3]
	v_cmp_eq_u32_e32 vcc, 25, v4
	s_waitcnt vmcnt(63) expcnt(7) lgkmcnt(15)
	s_barrier
	s_and_saveexec_b64 s[2:3], vcc
	s_cbranch_execz .LBB99_129
; %bb.127:
	v_mov_b32_e32 v0, v174
	v_mov_b32_e32 v1, v175
	v_mov_b32_e32 v2, v124
	v_mov_b32_e32 v3, v125
	ds_write_b64 v5, v[126:127]
	ds_write2_b64 v6, v[0:1], v[2:3] offset0:26 offset1:27
	v_mov_b32_e32 v0, v172
	v_mov_b32_e32 v1, v173
	v_mov_b32_e32 v2, v122
	v_mov_b32_e32 v3, v123
	ds_write2_b64 v6, v[0:1], v[2:3] offset0:28 offset1:29
	v_mov_b32_e32 v0, v170
	v_mov_b32_e32 v1, v171
	v_mov_b32_e32 v2, v120
	v_mov_b32_e32 v3, v121
	;; [unrolled: 5-line block ×3, first 2 shown]
	ds_write2_b64 v6, v[0:1], v[2:3] offset0:32 offset1:33
	v_mov_b32_e32 v0, v166
	v_mov_b32_e32 v1, v167
	s_waitcnt vmcnt(62)
	v_mov_b32_e32 v2, v116
	v_mov_b32_e32 v3, v117
	ds_write2_b64 v6, v[0:1], v[2:3] offset0:34 offset1:35
	s_waitcnt vmcnt(61)
	v_mov_b32_e32 v0, v164
	v_mov_b32_e32 v1, v165
	s_waitcnt vmcnt(60)
	v_mov_b32_e32 v2, v114
	v_mov_b32_e32 v3, v115
	ds_write2_b64 v6, v[0:1], v[2:3] offset0:36 offset1:37
	s_waitcnt vmcnt(59)
	;; [unrolled: 7-line block ×7, first 2 shown]
	v_mov_b32_e32 v0, v152
	v_mov_b32_e32 v1, v153
	s_waitcnt vmcnt(48)
	ds_write2_b64 v6, v[0:1], v[200:201] offset0:48 offset1:49
	ds_read_b64 v[0:1], v5
	s_waitcnt lgkmcnt(0)
	v_cmp_neq_f64_e32 vcc, 0, v[0:1]
	s_and_b64 exec, exec, vcc
	s_cbranch_execz .LBB99_129
; %bb.128:
	v_div_scale_f64 v[2:3], s[6:7], v[0:1], v[0:1], 1.0
	v_rcp_f64_e32 v[8:9], v[2:3]
	v_div_scale_f64 v[10:11], vcc, 1.0, v[0:1], 1.0
	v_fma_f64 v[202:203], -v[2:3], v[8:9], 1.0
	v_fmac_f64_e32 v[8:9], v[8:9], v[202:203]
	v_fma_f64 v[202:203], -v[2:3], v[8:9], 1.0
	v_fmac_f64_e32 v[8:9], v[8:9], v[202:203]
	v_mul_f64 v[202:203], v[10:11], v[8:9]
	v_fma_f64 v[2:3], -v[2:3], v[202:203], v[10:11]
	v_div_fmas_f64 v[2:3], v[2:3], v[8:9], v[202:203]
	v_div_fixup_f64 v[0:1], v[2:3], v[0:1], 1.0
	ds_write_b64 v5, v[0:1]
.LBB99_129:
	s_or_b64 exec, exec, s[2:3]
	s_waitcnt lgkmcnt(0)
	s_barrier
	ds_read_b64 v[202:203], v5
	v_cmp_lt_u32_e32 vcc, 25, v4
	s_and_saveexec_b64 s[2:3], vcc
	s_cbranch_execz .LBB99_131
; %bb.130:
	ds_read2_b64 v[0:3], v6 offset0:26 offset1:27
	s_waitcnt lgkmcnt(1)
	v_mul_f64 v[126:127], v[202:203], v[126:127]
	s_waitcnt lgkmcnt(0)
	v_fma_f64 v[174:175], -v[126:127], v[0:1], v[174:175]
	v_fma_f64 v[124:125], -v[126:127], v[2:3], v[124:125]
	ds_read2_b64 v[0:3], v6 offset0:28 offset1:29
	s_waitcnt lgkmcnt(0)
	v_fma_f64 v[172:173], -v[126:127], v[0:1], v[172:173]
	v_fma_f64 v[122:123], -v[126:127], v[2:3], v[122:123]
	ds_read2_b64 v[0:3], v6 offset0:30 offset1:31
	s_waitcnt lgkmcnt(0)
	v_fma_f64 v[170:171], -v[126:127], v[0:1], v[170:171]
	v_fma_f64 v[120:121], -v[126:127], v[2:3], v[120:121]
	ds_read2_b64 v[0:3], v6 offset0:32 offset1:33
	s_waitcnt lgkmcnt(0)
	v_fma_f64 v[168:169], -v[126:127], v[0:1], v[168:169]
	v_fma_f64 v[118:119], -v[126:127], v[2:3], v[118:119]
	ds_read2_b64 v[0:3], v6 offset0:34 offset1:35
	s_waitcnt lgkmcnt(0)
	v_fma_f64 v[166:167], -v[126:127], v[0:1], v[166:167]
	s_waitcnt vmcnt(62)
	v_fma_f64 v[116:117], -v[126:127], v[2:3], v[116:117]
	ds_read2_b64 v[0:3], v6 offset0:36 offset1:37
	s_waitcnt vmcnt(61) lgkmcnt(0)
	v_fma_f64 v[164:165], -v[126:127], v[0:1], v[164:165]
	s_waitcnt vmcnt(60)
	v_fma_f64 v[114:115], -v[126:127], v[2:3], v[114:115]
	ds_read2_b64 v[0:3], v6 offset0:38 offset1:39
	s_waitcnt vmcnt(59) lgkmcnt(0)
	;; [unrolled: 5-line block ×7, first 2 shown]
	v_fma_f64 v[152:153], -v[126:127], v[0:1], v[152:153]
	s_waitcnt vmcnt(48)
	v_fma_f64 v[200:201], -v[126:127], v[2:3], v[200:201]
.LBB99_131:
	s_or_b64 exec, exec, s[2:3]
	v_cmp_eq_u32_e32 vcc, 26, v4
	s_waitcnt lgkmcnt(0)
	s_barrier
	s_and_saveexec_b64 s[2:3], vcc
	s_cbranch_execz .LBB99_134
; %bb.132:
	ds_write_b64 v5, v[174:175]
	ds_write2_b64 v6, v[124:125], v[172:173] offset0:27 offset1:28
	ds_write2_b64 v6, v[122:123], v[170:171] offset0:29 offset1:30
	;; [unrolled: 1-line block ×4, first 2 shown]
	s_waitcnt vmcnt(61)
	ds_write2_b64 v6, v[116:117], v[164:165] offset0:35 offset1:36
	s_waitcnt vmcnt(59)
	ds_write2_b64 v6, v[114:115], v[162:163] offset0:37 offset1:38
	;; [unrolled: 2-line block ×7, first 2 shown]
	s_waitcnt vmcnt(48)
	ds_write_b64 v6, v[200:201] offset:392
	ds_read_b64 v[0:1], v5
	s_waitcnt lgkmcnt(0)
	v_cmp_neq_f64_e32 vcc, 0, v[0:1]
	s_and_b64 exec, exec, vcc
	s_cbranch_execz .LBB99_134
; %bb.133:
	v_div_scale_f64 v[2:3], s[6:7], v[0:1], v[0:1], 1.0
	v_rcp_f64_e32 v[8:9], v[2:3]
	v_pk_mov_b32 v[204:205], v[202:203], v[202:203] op_sel:[0,1]
	v_div_scale_f64 v[10:11], vcc, 1.0, v[0:1], 1.0
	v_fma_f64 v[202:203], -v[2:3], v[8:9], 1.0
	v_fmac_f64_e32 v[8:9], v[8:9], v[202:203]
	v_fma_f64 v[202:203], -v[2:3], v[8:9], 1.0
	v_fmac_f64_e32 v[8:9], v[8:9], v[202:203]
	v_mul_f64 v[202:203], v[10:11], v[8:9]
	v_fma_f64 v[2:3], -v[2:3], v[202:203], v[10:11]
	v_div_fmas_f64 v[2:3], v[2:3], v[8:9], v[202:203]
	v_pk_mov_b32 v[202:203], v[204:205], v[204:205] op_sel:[0,1]
	v_div_fixup_f64 v[0:1], v[2:3], v[0:1], 1.0
	ds_write_b64 v5, v[0:1]
.LBB99_134:
	s_or_b64 exec, exec, s[2:3]
	s_waitcnt lgkmcnt(0)
	s_barrier
	ds_read_b64 v[204:205], v5
	v_cmp_lt_u32_e32 vcc, 26, v4
	s_and_saveexec_b64 s[2:3], vcc
	s_cbranch_execz .LBB99_136
; %bb.135:
	ds_read2_b64 v[0:3], v6 offset0:27 offset1:28
	s_waitcnt lgkmcnt(1)
	v_mul_f64 v[174:175], v[204:205], v[174:175]
	s_waitcnt lgkmcnt(0)
	v_fma_f64 v[124:125], -v[174:175], v[0:1], v[124:125]
	v_fma_f64 v[172:173], -v[174:175], v[2:3], v[172:173]
	ds_read2_b64 v[0:3], v6 offset0:29 offset1:30
	s_waitcnt lgkmcnt(0)
	v_fma_f64 v[122:123], -v[174:175], v[0:1], v[122:123]
	v_fma_f64 v[170:171], -v[174:175], v[2:3], v[170:171]
	ds_read2_b64 v[0:3], v6 offset0:31 offset1:32
	;; [unrolled: 4-line block ×4, first 2 shown]
	s_waitcnt vmcnt(62) lgkmcnt(0)
	v_fma_f64 v[116:117], -v[174:175], v[0:1], v[116:117]
	s_waitcnt vmcnt(61)
	v_fma_f64 v[164:165], -v[174:175], v[2:3], v[164:165]
	ds_read2_b64 v[0:3], v6 offset0:37 offset1:38
	s_waitcnt vmcnt(60) lgkmcnt(0)
	v_fma_f64 v[114:115], -v[174:175], v[0:1], v[114:115]
	s_waitcnt vmcnt(59)
	v_fma_f64 v[162:163], -v[174:175], v[2:3], v[162:163]
	ds_read2_b64 v[0:3], v6 offset0:39 offset1:40
	;; [unrolled: 5-line block ×6, first 2 shown]
	s_waitcnt vmcnt(50) lgkmcnt(0)
	v_fma_f64 v[104:105], -v[174:175], v[0:1], v[104:105]
	ds_read_b64 v[0:1], v6 offset:392
	s_waitcnt vmcnt(49)
	v_fma_f64 v[152:153], -v[174:175], v[2:3], v[152:153]
	s_waitcnt vmcnt(48) lgkmcnt(0)
	v_fma_f64 v[200:201], -v[174:175], v[0:1], v[200:201]
.LBB99_136:
	s_or_b64 exec, exec, s[2:3]
	v_cmp_eq_u32_e32 vcc, 27, v4
	s_waitcnt lgkmcnt(0)
	s_barrier
	s_and_saveexec_b64 s[2:3], vcc
	s_cbranch_execz .LBB99_139
; %bb.137:
	v_mov_b32_e32 v0, v172
	v_mov_b32_e32 v1, v173
	;; [unrolled: 1-line block ×4, first 2 shown]
	ds_write_b64 v5, v[124:125]
	ds_write2_b64 v6, v[0:1], v[2:3] offset0:28 offset1:29
	v_mov_b32_e32 v0, v170
	v_mov_b32_e32 v1, v171
	;; [unrolled: 1-line block ×4, first 2 shown]
	ds_write2_b64 v6, v[0:1], v[2:3] offset0:30 offset1:31
	v_mov_b32_e32 v0, v168
	v_mov_b32_e32 v1, v169
	;; [unrolled: 1-line block ×4, first 2 shown]
	ds_write2_b64 v6, v[0:1], v[2:3] offset0:32 offset1:33
	v_mov_b32_e32 v0, v166
	v_mov_b32_e32 v1, v167
	s_waitcnt vmcnt(62)
	v_mov_b32_e32 v2, v116
	v_mov_b32_e32 v3, v117
	ds_write2_b64 v6, v[0:1], v[2:3] offset0:34 offset1:35
	s_waitcnt vmcnt(61)
	v_mov_b32_e32 v0, v164
	v_mov_b32_e32 v1, v165
	s_waitcnt vmcnt(60)
	v_mov_b32_e32 v2, v114
	v_mov_b32_e32 v3, v115
	ds_write2_b64 v6, v[0:1], v[2:3] offset0:36 offset1:37
	s_waitcnt vmcnt(59)
	;; [unrolled: 7-line block ×7, first 2 shown]
	v_mov_b32_e32 v0, v152
	v_mov_b32_e32 v1, v153
	s_waitcnt vmcnt(48)
	ds_write2_b64 v6, v[0:1], v[200:201] offset0:48 offset1:49
	ds_read_b64 v[0:1], v5
	s_waitcnt lgkmcnt(0)
	v_cmp_neq_f64_e32 vcc, 0, v[0:1]
	s_and_b64 exec, exec, vcc
	s_cbranch_execz .LBB99_139
; %bb.138:
	v_div_scale_f64 v[2:3], s[6:7], v[0:1], v[0:1], 1.0
	v_rcp_f64_e32 v[8:9], v[2:3]
	v_pk_mov_b32 v[206:207], v[204:205], v[204:205] op_sel:[0,1]
	v_pk_mov_b32 v[204:205], v[202:203], v[202:203] op_sel:[0,1]
	v_div_scale_f64 v[10:11], vcc, 1.0, v[0:1], 1.0
	v_fma_f64 v[202:203], -v[2:3], v[8:9], 1.0
	v_fmac_f64_e32 v[8:9], v[8:9], v[202:203]
	v_fma_f64 v[202:203], -v[2:3], v[8:9], 1.0
	v_fmac_f64_e32 v[8:9], v[8:9], v[202:203]
	v_mul_f64 v[202:203], v[10:11], v[8:9]
	v_fma_f64 v[2:3], -v[2:3], v[202:203], v[10:11]
	v_div_fmas_f64 v[2:3], v[2:3], v[8:9], v[202:203]
	v_pk_mov_b32 v[202:203], v[204:205], v[204:205] op_sel:[0,1]
	v_pk_mov_b32 v[204:205], v[206:207], v[206:207] op_sel:[0,1]
	v_div_fixup_f64 v[0:1], v[2:3], v[0:1], 1.0
	ds_write_b64 v5, v[0:1]
.LBB99_139:
	s_or_b64 exec, exec, s[2:3]
	s_waitcnt lgkmcnt(0)
	s_barrier
	ds_read_b64 v[206:207], v5
	v_cmp_lt_u32_e32 vcc, 27, v4
	s_and_saveexec_b64 s[2:3], vcc
	s_cbranch_execz .LBB99_141
; %bb.140:
	ds_read2_b64 v[0:3], v6 offset0:28 offset1:29
	s_waitcnt lgkmcnt(1)
	v_mul_f64 v[124:125], v[206:207], v[124:125]
	s_waitcnt lgkmcnt(0)
	v_fma_f64 v[172:173], -v[124:125], v[0:1], v[172:173]
	v_fma_f64 v[122:123], -v[124:125], v[2:3], v[122:123]
	ds_read2_b64 v[0:3], v6 offset0:30 offset1:31
	s_waitcnt lgkmcnt(0)
	v_fma_f64 v[170:171], -v[124:125], v[0:1], v[170:171]
	v_fma_f64 v[120:121], -v[124:125], v[2:3], v[120:121]
	ds_read2_b64 v[0:3], v6 offset0:32 offset1:33
	;; [unrolled: 4-line block ×3, first 2 shown]
	s_waitcnt lgkmcnt(0)
	v_fma_f64 v[166:167], -v[124:125], v[0:1], v[166:167]
	s_waitcnt vmcnt(62)
	v_fma_f64 v[116:117], -v[124:125], v[2:3], v[116:117]
	ds_read2_b64 v[0:3], v6 offset0:36 offset1:37
	s_waitcnt vmcnt(61) lgkmcnt(0)
	v_fma_f64 v[164:165], -v[124:125], v[0:1], v[164:165]
	s_waitcnt vmcnt(60)
	v_fma_f64 v[114:115], -v[124:125], v[2:3], v[114:115]
	ds_read2_b64 v[0:3], v6 offset0:38 offset1:39
	s_waitcnt vmcnt(59) lgkmcnt(0)
	;; [unrolled: 5-line block ×7, first 2 shown]
	v_fma_f64 v[152:153], -v[124:125], v[0:1], v[152:153]
	s_waitcnt vmcnt(48)
	v_fma_f64 v[200:201], -v[124:125], v[2:3], v[200:201]
.LBB99_141:
	s_or_b64 exec, exec, s[2:3]
	v_cmp_eq_u32_e32 vcc, 28, v4
	s_waitcnt lgkmcnt(0)
	s_barrier
	s_and_saveexec_b64 s[2:3], vcc
	s_cbranch_execz .LBB99_144
; %bb.142:
	ds_write_b64 v5, v[172:173]
	ds_write2_b64 v6, v[122:123], v[170:171] offset0:29 offset1:30
	ds_write2_b64 v6, v[120:121], v[168:169] offset0:31 offset1:32
	;; [unrolled: 1-line block ×3, first 2 shown]
	s_waitcnt vmcnt(61)
	ds_write2_b64 v6, v[116:117], v[164:165] offset0:35 offset1:36
	s_waitcnt vmcnt(59)
	ds_write2_b64 v6, v[114:115], v[162:163] offset0:37 offset1:38
	;; [unrolled: 2-line block ×7, first 2 shown]
	s_waitcnt vmcnt(48)
	ds_write_b64 v6, v[200:201] offset:392
	ds_read_b64 v[0:1], v5
	s_waitcnt lgkmcnt(0)
	v_cmp_neq_f64_e32 vcc, 0, v[0:1]
	s_and_b64 exec, exec, vcc
	s_cbranch_execz .LBB99_144
; %bb.143:
	v_div_scale_f64 v[2:3], s[6:7], v[0:1], v[0:1], 1.0
	v_rcp_f64_e32 v[8:9], v[2:3]
	v_pk_mov_b32 v[208:209], v[206:207], v[206:207] op_sel:[0,1]
	v_pk_mov_b32 v[206:207], v[204:205], v[204:205] op_sel:[0,1]
	v_div_scale_f64 v[10:11], vcc, 1.0, v[0:1], 1.0
	v_fma_f64 v[204:205], -v[2:3], v[8:9], 1.0
	v_fmac_f64_e32 v[8:9], v[8:9], v[204:205]
	v_fma_f64 v[204:205], -v[2:3], v[8:9], 1.0
	v_fmac_f64_e32 v[8:9], v[8:9], v[204:205]
	v_mul_f64 v[204:205], v[10:11], v[8:9]
	v_fma_f64 v[2:3], -v[2:3], v[204:205], v[10:11]
	v_div_fmas_f64 v[2:3], v[2:3], v[8:9], v[204:205]
	v_pk_mov_b32 v[204:205], v[206:207], v[206:207] op_sel:[0,1]
	v_pk_mov_b32 v[206:207], v[208:209], v[208:209] op_sel:[0,1]
	v_div_fixup_f64 v[0:1], v[2:3], v[0:1], 1.0
	ds_write_b64 v5, v[0:1]
.LBB99_144:
	s_or_b64 exec, exec, s[2:3]
	s_waitcnt lgkmcnt(0)
	s_barrier
	ds_read_b64 v[208:209], v5
	v_cmp_lt_u32_e32 vcc, 28, v4
	s_and_saveexec_b64 s[2:3], vcc
	s_cbranch_execz .LBB99_146
; %bb.145:
	ds_read2_b64 v[0:3], v6 offset0:29 offset1:30
	s_waitcnt lgkmcnt(1)
	v_mul_f64 v[172:173], v[208:209], v[172:173]
	s_waitcnt lgkmcnt(0)
	v_fma_f64 v[122:123], -v[172:173], v[0:1], v[122:123]
	v_fma_f64 v[170:171], -v[172:173], v[2:3], v[170:171]
	ds_read2_b64 v[0:3], v6 offset0:31 offset1:32
	s_waitcnt lgkmcnt(0)
	v_fma_f64 v[120:121], -v[172:173], v[0:1], v[120:121]
	v_fma_f64 v[168:169], -v[172:173], v[2:3], v[168:169]
	ds_read2_b64 v[0:3], v6 offset0:33 offset1:34
	;; [unrolled: 4-line block ×3, first 2 shown]
	s_waitcnt vmcnt(62) lgkmcnt(0)
	v_fma_f64 v[116:117], -v[172:173], v[0:1], v[116:117]
	s_waitcnt vmcnt(61)
	v_fma_f64 v[164:165], -v[172:173], v[2:3], v[164:165]
	ds_read2_b64 v[0:3], v6 offset0:37 offset1:38
	s_waitcnt vmcnt(60) lgkmcnt(0)
	v_fma_f64 v[114:115], -v[172:173], v[0:1], v[114:115]
	s_waitcnt vmcnt(59)
	v_fma_f64 v[162:163], -v[172:173], v[2:3], v[162:163]
	ds_read2_b64 v[0:3], v6 offset0:39 offset1:40
	;; [unrolled: 5-line block ×6, first 2 shown]
	s_waitcnt vmcnt(50) lgkmcnt(0)
	v_fma_f64 v[104:105], -v[172:173], v[0:1], v[104:105]
	ds_read_b64 v[0:1], v6 offset:392
	s_waitcnt vmcnt(49)
	v_fma_f64 v[152:153], -v[172:173], v[2:3], v[152:153]
	s_waitcnt vmcnt(48) lgkmcnt(0)
	v_fma_f64 v[200:201], -v[172:173], v[0:1], v[200:201]
.LBB99_146:
	s_or_b64 exec, exec, s[2:3]
	v_cmp_eq_u32_e32 vcc, 29, v4
	s_waitcnt lgkmcnt(0)
	s_barrier
	s_and_saveexec_b64 s[2:3], vcc
	s_cbranch_execz .LBB99_149
; %bb.147:
	v_mov_b32_e32 v0, v170
	v_mov_b32_e32 v1, v171
	;; [unrolled: 1-line block ×4, first 2 shown]
	ds_write_b64 v5, v[122:123]
	ds_write2_b64 v6, v[0:1], v[2:3] offset0:30 offset1:31
	v_mov_b32_e32 v0, v168
	v_mov_b32_e32 v1, v169
	;; [unrolled: 1-line block ×4, first 2 shown]
	ds_write2_b64 v6, v[0:1], v[2:3] offset0:32 offset1:33
	v_mov_b32_e32 v0, v166
	v_mov_b32_e32 v1, v167
	s_waitcnt vmcnt(62)
	v_mov_b32_e32 v2, v116
	v_mov_b32_e32 v3, v117
	ds_write2_b64 v6, v[0:1], v[2:3] offset0:34 offset1:35
	s_waitcnt vmcnt(61)
	v_mov_b32_e32 v0, v164
	v_mov_b32_e32 v1, v165
	s_waitcnt vmcnt(60)
	v_mov_b32_e32 v2, v114
	v_mov_b32_e32 v3, v115
	ds_write2_b64 v6, v[0:1], v[2:3] offset0:36 offset1:37
	s_waitcnt vmcnt(59)
	;; [unrolled: 7-line block ×7, first 2 shown]
	v_mov_b32_e32 v0, v152
	v_mov_b32_e32 v1, v153
	s_waitcnt vmcnt(48)
	ds_write2_b64 v6, v[0:1], v[200:201] offset0:48 offset1:49
	ds_read_b64 v[0:1], v5
	s_waitcnt lgkmcnt(0)
	v_cmp_neq_f64_e32 vcc, 0, v[0:1]
	s_and_b64 exec, exec, vcc
	s_cbranch_execz .LBB99_149
; %bb.148:
	v_div_scale_f64 v[2:3], s[6:7], v[0:1], v[0:1], 1.0
	v_rcp_f64_e32 v[8:9], v[2:3]
	v_pk_mov_b32 v[210:211], v[208:209], v[208:209] op_sel:[0,1]
	v_pk_mov_b32 v[208:209], v[206:207], v[206:207] op_sel:[0,1]
	v_div_scale_f64 v[10:11], vcc, 1.0, v[0:1], 1.0
	v_fma_f64 v[206:207], -v[2:3], v[8:9], 1.0
	v_fmac_f64_e32 v[8:9], v[8:9], v[206:207]
	v_fma_f64 v[206:207], -v[2:3], v[8:9], 1.0
	v_fmac_f64_e32 v[8:9], v[8:9], v[206:207]
	v_mul_f64 v[206:207], v[10:11], v[8:9]
	v_fma_f64 v[2:3], -v[2:3], v[206:207], v[10:11]
	v_div_fmas_f64 v[2:3], v[2:3], v[8:9], v[206:207]
	v_pk_mov_b32 v[206:207], v[208:209], v[208:209] op_sel:[0,1]
	v_pk_mov_b32 v[208:209], v[210:211], v[210:211] op_sel:[0,1]
	v_div_fixup_f64 v[0:1], v[2:3], v[0:1], 1.0
	ds_write_b64 v5, v[0:1]
.LBB99_149:
	s_or_b64 exec, exec, s[2:3]
	s_waitcnt lgkmcnt(0)
	s_barrier
	ds_read_b64 v[210:211], v5
	v_cmp_lt_u32_e32 vcc, 29, v4
	s_and_saveexec_b64 s[2:3], vcc
	s_cbranch_execz .LBB99_151
; %bb.150:
	ds_read2_b64 v[0:3], v6 offset0:30 offset1:31
	s_waitcnt lgkmcnt(1)
	v_mul_f64 v[122:123], v[210:211], v[122:123]
	s_waitcnt lgkmcnt(0)
	v_fma_f64 v[170:171], -v[122:123], v[0:1], v[170:171]
	v_fma_f64 v[120:121], -v[122:123], v[2:3], v[120:121]
	ds_read2_b64 v[0:3], v6 offset0:32 offset1:33
	s_waitcnt lgkmcnt(0)
	v_fma_f64 v[168:169], -v[122:123], v[0:1], v[168:169]
	v_fma_f64 v[118:119], -v[122:123], v[2:3], v[118:119]
	ds_read2_b64 v[0:3], v6 offset0:34 offset1:35
	s_waitcnt lgkmcnt(0)
	v_fma_f64 v[166:167], -v[122:123], v[0:1], v[166:167]
	s_waitcnt vmcnt(62)
	v_fma_f64 v[116:117], -v[122:123], v[2:3], v[116:117]
	ds_read2_b64 v[0:3], v6 offset0:36 offset1:37
	s_waitcnt vmcnt(61) lgkmcnt(0)
	v_fma_f64 v[164:165], -v[122:123], v[0:1], v[164:165]
	s_waitcnt vmcnt(60)
	v_fma_f64 v[114:115], -v[122:123], v[2:3], v[114:115]
	ds_read2_b64 v[0:3], v6 offset0:38 offset1:39
	s_waitcnt vmcnt(59) lgkmcnt(0)
	;; [unrolled: 5-line block ×7, first 2 shown]
	v_fma_f64 v[152:153], -v[122:123], v[0:1], v[152:153]
	s_waitcnt vmcnt(48)
	v_fma_f64 v[200:201], -v[122:123], v[2:3], v[200:201]
.LBB99_151:
	s_or_b64 exec, exec, s[2:3]
	v_cmp_eq_u32_e32 vcc, 30, v4
	s_waitcnt lgkmcnt(0)
	s_barrier
	s_and_saveexec_b64 s[2:3], vcc
	s_cbranch_execz .LBB99_154
; %bb.152:
	ds_write_b64 v5, v[170:171]
	ds_write2_b64 v6, v[120:121], v[168:169] offset0:31 offset1:32
	ds_write2_b64 v6, v[118:119], v[166:167] offset0:33 offset1:34
	s_waitcnt vmcnt(61)
	ds_write2_b64 v6, v[116:117], v[164:165] offset0:35 offset1:36
	s_waitcnt vmcnt(59)
	;; [unrolled: 2-line block ×8, first 2 shown]
	ds_write_b64 v6, v[200:201] offset:392
	ds_read_b64 v[0:1], v5
	s_waitcnt lgkmcnt(0)
	v_cmp_neq_f64_e32 vcc, 0, v[0:1]
	s_and_b64 exec, exec, vcc
	s_cbranch_execz .LBB99_154
; %bb.153:
	v_div_scale_f64 v[2:3], s[6:7], v[0:1], v[0:1], 1.0
	v_rcp_f64_e32 v[8:9], v[2:3]
	v_pk_mov_b32 v[212:213], v[210:211], v[210:211] op_sel:[0,1]
	v_pk_mov_b32 v[210:211], v[208:209], v[208:209] op_sel:[0,1]
	v_div_scale_f64 v[10:11], vcc, 1.0, v[0:1], 1.0
	v_fma_f64 v[208:209], -v[2:3], v[8:9], 1.0
	v_fmac_f64_e32 v[8:9], v[8:9], v[208:209]
	v_fma_f64 v[208:209], -v[2:3], v[8:9], 1.0
	v_fmac_f64_e32 v[8:9], v[8:9], v[208:209]
	v_mul_f64 v[208:209], v[10:11], v[8:9]
	v_fma_f64 v[2:3], -v[2:3], v[208:209], v[10:11]
	v_div_fmas_f64 v[2:3], v[2:3], v[8:9], v[208:209]
	v_pk_mov_b32 v[208:209], v[210:211], v[210:211] op_sel:[0,1]
	v_pk_mov_b32 v[210:211], v[212:213], v[212:213] op_sel:[0,1]
	v_div_fixup_f64 v[0:1], v[2:3], v[0:1], 1.0
	ds_write_b64 v5, v[0:1]
.LBB99_154:
	s_or_b64 exec, exec, s[2:3]
	s_waitcnt lgkmcnt(0)
	s_barrier
	ds_read_b64 v[212:213], v5
	v_cmp_lt_u32_e32 vcc, 30, v4
	s_and_saveexec_b64 s[2:3], vcc
	s_cbranch_execz .LBB99_156
; %bb.155:
	ds_read2_b64 v[0:3], v6 offset0:31 offset1:32
	s_waitcnt lgkmcnt(1)
	v_mul_f64 v[170:171], v[212:213], v[170:171]
	s_waitcnt lgkmcnt(0)
	v_fma_f64 v[120:121], -v[170:171], v[0:1], v[120:121]
	v_fma_f64 v[168:169], -v[170:171], v[2:3], v[168:169]
	ds_read2_b64 v[0:3], v6 offset0:33 offset1:34
	s_waitcnt lgkmcnt(0)
	v_fma_f64 v[118:119], -v[170:171], v[0:1], v[118:119]
	v_fma_f64 v[166:167], -v[170:171], v[2:3], v[166:167]
	ds_read2_b64 v[0:3], v6 offset0:35 offset1:36
	s_waitcnt vmcnt(62) lgkmcnt(0)
	v_fma_f64 v[116:117], -v[170:171], v[0:1], v[116:117]
	s_waitcnt vmcnt(61)
	v_fma_f64 v[164:165], -v[170:171], v[2:3], v[164:165]
	ds_read2_b64 v[0:3], v6 offset0:37 offset1:38
	s_waitcnt vmcnt(60) lgkmcnt(0)
	v_fma_f64 v[114:115], -v[170:171], v[0:1], v[114:115]
	s_waitcnt vmcnt(59)
	;; [unrolled: 5-line block ×6, first 2 shown]
	v_fma_f64 v[154:155], -v[170:171], v[2:3], v[154:155]
	ds_read2_b64 v[0:3], v6 offset0:47 offset1:48
	s_waitcnt vmcnt(50) lgkmcnt(0)
	v_fma_f64 v[104:105], -v[170:171], v[0:1], v[104:105]
	ds_read_b64 v[0:1], v6 offset:392
	s_waitcnt vmcnt(49)
	v_fma_f64 v[152:153], -v[170:171], v[2:3], v[152:153]
	s_waitcnt vmcnt(48) lgkmcnt(0)
	v_fma_f64 v[200:201], -v[170:171], v[0:1], v[200:201]
.LBB99_156:
	s_or_b64 exec, exec, s[2:3]
	v_cmp_eq_u32_e32 vcc, 31, v4
	s_waitcnt lgkmcnt(0)
	s_barrier
	s_and_saveexec_b64 s[2:3], vcc
	s_cbranch_execz .LBB99_159
; %bb.157:
	v_mov_b32_e32 v0, v168
	v_mov_b32_e32 v1, v169
	v_mov_b32_e32 v2, v118
	v_mov_b32_e32 v3, v119
	ds_write_b64 v5, v[120:121]
	ds_write2_b64 v6, v[0:1], v[2:3] offset0:32 offset1:33
	v_mov_b32_e32 v0, v166
	v_mov_b32_e32 v1, v167
	s_waitcnt vmcnt(62)
	v_mov_b32_e32 v2, v116
	v_mov_b32_e32 v3, v117
	ds_write2_b64 v6, v[0:1], v[2:3] offset0:34 offset1:35
	s_waitcnt vmcnt(61)
	v_mov_b32_e32 v0, v164
	v_mov_b32_e32 v1, v165
	s_waitcnt vmcnt(60)
	v_mov_b32_e32 v2, v114
	v_mov_b32_e32 v3, v115
	ds_write2_b64 v6, v[0:1], v[2:3] offset0:36 offset1:37
	s_waitcnt vmcnt(59)
	;; [unrolled: 7-line block ×7, first 2 shown]
	v_mov_b32_e32 v0, v152
	v_mov_b32_e32 v1, v153
	s_waitcnt vmcnt(48)
	ds_write2_b64 v6, v[0:1], v[200:201] offset0:48 offset1:49
	ds_read_b64 v[0:1], v5
	s_waitcnt lgkmcnt(0)
	v_cmp_neq_f64_e32 vcc, 0, v[0:1]
	s_and_b64 exec, exec, vcc
	s_cbranch_execz .LBB99_159
; %bb.158:
	v_div_scale_f64 v[2:3], s[6:7], v[0:1], v[0:1], 1.0
	v_rcp_f64_e32 v[8:9], v[2:3]
	v_pk_mov_b32 v[214:215], v[212:213], v[212:213] op_sel:[0,1]
	v_pk_mov_b32 v[212:213], v[210:211], v[210:211] op_sel:[0,1]
	v_div_scale_f64 v[10:11], vcc, 1.0, v[0:1], 1.0
	v_fma_f64 v[210:211], -v[2:3], v[8:9], 1.0
	v_fmac_f64_e32 v[8:9], v[8:9], v[210:211]
	v_fma_f64 v[210:211], -v[2:3], v[8:9], 1.0
	v_fmac_f64_e32 v[8:9], v[8:9], v[210:211]
	v_mul_f64 v[210:211], v[10:11], v[8:9]
	v_fma_f64 v[2:3], -v[2:3], v[210:211], v[10:11]
	v_div_fmas_f64 v[2:3], v[2:3], v[8:9], v[210:211]
	v_pk_mov_b32 v[210:211], v[212:213], v[212:213] op_sel:[0,1]
	v_pk_mov_b32 v[212:213], v[214:215], v[214:215] op_sel:[0,1]
	v_div_fixup_f64 v[0:1], v[2:3], v[0:1], 1.0
	ds_write_b64 v5, v[0:1]
.LBB99_159:
	s_or_b64 exec, exec, s[2:3]
	s_waitcnt lgkmcnt(0)
	s_barrier
	ds_read_b64 v[214:215], v5
	v_cmp_lt_u32_e32 vcc, 31, v4
	s_and_saveexec_b64 s[2:3], vcc
	s_cbranch_execz .LBB99_161
; %bb.160:
	ds_read2_b64 v[0:3], v6 offset0:32 offset1:33
	s_waitcnt lgkmcnt(1)
	v_mul_f64 v[120:121], v[214:215], v[120:121]
	s_waitcnt lgkmcnt(0)
	v_fma_f64 v[168:169], -v[120:121], v[0:1], v[168:169]
	v_fma_f64 v[118:119], -v[120:121], v[2:3], v[118:119]
	ds_read2_b64 v[0:3], v6 offset0:34 offset1:35
	s_waitcnt lgkmcnt(0)
	v_fma_f64 v[166:167], -v[120:121], v[0:1], v[166:167]
	s_waitcnt vmcnt(62)
	v_fma_f64 v[116:117], -v[120:121], v[2:3], v[116:117]
	ds_read2_b64 v[0:3], v6 offset0:36 offset1:37
	s_waitcnt vmcnt(61) lgkmcnt(0)
	v_fma_f64 v[164:165], -v[120:121], v[0:1], v[164:165]
	s_waitcnt vmcnt(60)
	v_fma_f64 v[114:115], -v[120:121], v[2:3], v[114:115]
	ds_read2_b64 v[0:3], v6 offset0:38 offset1:39
	s_waitcnt vmcnt(59) lgkmcnt(0)
	;; [unrolled: 5-line block ×7, first 2 shown]
	v_fma_f64 v[152:153], -v[120:121], v[0:1], v[152:153]
	s_waitcnt vmcnt(48)
	v_fma_f64 v[200:201], -v[120:121], v[2:3], v[200:201]
.LBB99_161:
	s_or_b64 exec, exec, s[2:3]
	v_cmp_eq_u32_e32 vcc, 32, v4
	s_waitcnt lgkmcnt(0)
	s_barrier
	s_and_saveexec_b64 s[2:3], vcc
	s_cbranch_execz .LBB99_164
; %bb.162:
	ds_write_b64 v5, v[168:169]
	ds_write2_b64 v6, v[118:119], v[166:167] offset0:33 offset1:34
	s_waitcnt vmcnt(61)
	ds_write2_b64 v6, v[116:117], v[164:165] offset0:35 offset1:36
	s_waitcnt vmcnt(59)
	;; [unrolled: 2-line block ×8, first 2 shown]
	ds_write_b64 v6, v[200:201] offset:392
	ds_read_b64 v[0:1], v5
	s_waitcnt lgkmcnt(0)
	v_cmp_neq_f64_e32 vcc, 0, v[0:1]
	s_and_b64 exec, exec, vcc
	s_cbranch_execz .LBB99_164
; %bb.163:
	v_div_scale_f64 v[2:3], s[6:7], v[0:1], v[0:1], 1.0
	v_rcp_f64_e32 v[8:9], v[2:3]
	v_pk_mov_b32 v[216:217], v[214:215], v[214:215] op_sel:[0,1]
	v_pk_mov_b32 v[214:215], v[212:213], v[212:213] op_sel:[0,1]
	v_div_scale_f64 v[10:11], vcc, 1.0, v[0:1], 1.0
	v_fma_f64 v[212:213], -v[2:3], v[8:9], 1.0
	v_fmac_f64_e32 v[8:9], v[8:9], v[212:213]
	v_fma_f64 v[212:213], -v[2:3], v[8:9], 1.0
	v_fmac_f64_e32 v[8:9], v[8:9], v[212:213]
	v_mul_f64 v[212:213], v[10:11], v[8:9]
	v_fma_f64 v[2:3], -v[2:3], v[212:213], v[10:11]
	v_div_fmas_f64 v[2:3], v[2:3], v[8:9], v[212:213]
	v_pk_mov_b32 v[212:213], v[214:215], v[214:215] op_sel:[0,1]
	v_pk_mov_b32 v[214:215], v[216:217], v[216:217] op_sel:[0,1]
	v_div_fixup_f64 v[0:1], v[2:3], v[0:1], 1.0
	ds_write_b64 v5, v[0:1]
.LBB99_164:
	s_or_b64 exec, exec, s[2:3]
	s_waitcnt lgkmcnt(0)
	s_barrier
	ds_read_b64 v[216:217], v5
	v_cmp_lt_u32_e32 vcc, 32, v4
	s_and_saveexec_b64 s[2:3], vcc
	s_cbranch_execz .LBB99_166
; %bb.165:
	ds_read2_b64 v[0:3], v6 offset0:33 offset1:34
	s_waitcnt lgkmcnt(1)
	v_mul_f64 v[168:169], v[216:217], v[168:169]
	s_waitcnt lgkmcnt(0)
	v_fma_f64 v[118:119], -v[168:169], v[0:1], v[118:119]
	v_fma_f64 v[166:167], -v[168:169], v[2:3], v[166:167]
	ds_read2_b64 v[0:3], v6 offset0:35 offset1:36
	s_waitcnt vmcnt(62) lgkmcnt(0)
	v_fma_f64 v[116:117], -v[168:169], v[0:1], v[116:117]
	s_waitcnt vmcnt(61)
	v_fma_f64 v[164:165], -v[168:169], v[2:3], v[164:165]
	ds_read2_b64 v[0:3], v6 offset0:37 offset1:38
	s_waitcnt vmcnt(60) lgkmcnt(0)
	v_fma_f64 v[114:115], -v[168:169], v[0:1], v[114:115]
	s_waitcnt vmcnt(59)
	;; [unrolled: 5-line block ×6, first 2 shown]
	v_fma_f64 v[154:155], -v[168:169], v[2:3], v[154:155]
	ds_read2_b64 v[0:3], v6 offset0:47 offset1:48
	s_waitcnt vmcnt(50) lgkmcnt(0)
	v_fma_f64 v[104:105], -v[168:169], v[0:1], v[104:105]
	ds_read_b64 v[0:1], v6 offset:392
	s_waitcnt vmcnt(49)
	v_fma_f64 v[152:153], -v[168:169], v[2:3], v[152:153]
	s_waitcnt vmcnt(48) lgkmcnt(0)
	v_fma_f64 v[200:201], -v[168:169], v[0:1], v[200:201]
.LBB99_166:
	s_or_b64 exec, exec, s[2:3]
	v_cmp_eq_u32_e32 vcc, 33, v4
	s_waitcnt lgkmcnt(0)
	s_barrier
	s_and_saveexec_b64 s[2:3], vcc
	s_cbranch_execz .LBB99_169
; %bb.167:
	v_mov_b32_e32 v0, v166
	v_mov_b32_e32 v1, v167
	s_waitcnt vmcnt(62)
	v_mov_b32_e32 v2, v116
	v_mov_b32_e32 v3, v117
	ds_write_b64 v5, v[118:119]
	ds_write2_b64 v6, v[0:1], v[2:3] offset0:34 offset1:35
	s_waitcnt vmcnt(61)
	v_mov_b32_e32 v0, v164
	v_mov_b32_e32 v1, v165
	s_waitcnt vmcnt(60)
	v_mov_b32_e32 v2, v114
	v_mov_b32_e32 v3, v115
	ds_write2_b64 v6, v[0:1], v[2:3] offset0:36 offset1:37
	s_waitcnt vmcnt(59)
	v_mov_b32_e32 v0, v162
	v_mov_b32_e32 v1, v163
	s_waitcnt vmcnt(58)
	v_mov_b32_e32 v2, v112
	v_mov_b32_e32 v3, v113
	;; [unrolled: 7-line block ×6, first 2 shown]
	ds_write2_b64 v6, v[0:1], v[2:3] offset0:46 offset1:47
	s_waitcnt vmcnt(49)
	v_mov_b32_e32 v0, v152
	v_mov_b32_e32 v1, v153
	s_waitcnt vmcnt(48)
	ds_write2_b64 v6, v[0:1], v[200:201] offset0:48 offset1:49
	ds_read_b64 v[0:1], v5
	s_waitcnt lgkmcnt(0)
	v_cmp_neq_f64_e32 vcc, 0, v[0:1]
	s_and_b64 exec, exec, vcc
	s_cbranch_execz .LBB99_169
; %bb.168:
	v_div_scale_f64 v[2:3], s[6:7], v[0:1], v[0:1], 1.0
	v_rcp_f64_e32 v[8:9], v[2:3]
	v_pk_mov_b32 v[218:219], v[216:217], v[216:217] op_sel:[0,1]
	v_pk_mov_b32 v[216:217], v[214:215], v[214:215] op_sel:[0,1]
	v_div_scale_f64 v[10:11], vcc, 1.0, v[0:1], 1.0
	v_fma_f64 v[214:215], -v[2:3], v[8:9], 1.0
	v_fmac_f64_e32 v[8:9], v[8:9], v[214:215]
	v_fma_f64 v[214:215], -v[2:3], v[8:9], 1.0
	v_fmac_f64_e32 v[8:9], v[8:9], v[214:215]
	v_mul_f64 v[214:215], v[10:11], v[8:9]
	v_fma_f64 v[2:3], -v[2:3], v[214:215], v[10:11]
	v_div_fmas_f64 v[2:3], v[2:3], v[8:9], v[214:215]
	v_pk_mov_b32 v[214:215], v[216:217], v[216:217] op_sel:[0,1]
	v_pk_mov_b32 v[216:217], v[218:219], v[218:219] op_sel:[0,1]
	v_div_fixup_f64 v[0:1], v[2:3], v[0:1], 1.0
	ds_write_b64 v5, v[0:1]
.LBB99_169:
	s_or_b64 exec, exec, s[2:3]
	s_waitcnt lgkmcnt(0)
	s_barrier
	ds_read_b64 v[218:219], v5
	v_cmp_lt_u32_e32 vcc, 33, v4
	s_and_saveexec_b64 s[2:3], vcc
	s_cbranch_execz .LBB99_171
; %bb.170:
	ds_read2_b64 v[0:3], v6 offset0:34 offset1:35
	s_waitcnt lgkmcnt(1)
	v_mul_f64 v[118:119], v[218:219], v[118:119]
	s_waitcnt lgkmcnt(0)
	v_fma_f64 v[166:167], -v[118:119], v[0:1], v[166:167]
	s_waitcnt vmcnt(62)
	v_fma_f64 v[116:117], -v[118:119], v[2:3], v[116:117]
	ds_read2_b64 v[0:3], v6 offset0:36 offset1:37
	s_waitcnt vmcnt(61) lgkmcnt(0)
	v_fma_f64 v[164:165], -v[118:119], v[0:1], v[164:165]
	s_waitcnt vmcnt(60)
	v_fma_f64 v[114:115], -v[118:119], v[2:3], v[114:115]
	ds_read2_b64 v[0:3], v6 offset0:38 offset1:39
	s_waitcnt vmcnt(59) lgkmcnt(0)
	;; [unrolled: 5-line block ×7, first 2 shown]
	v_fma_f64 v[152:153], -v[118:119], v[0:1], v[152:153]
	s_waitcnt vmcnt(48)
	v_fma_f64 v[200:201], -v[118:119], v[2:3], v[200:201]
.LBB99_171:
	s_or_b64 exec, exec, s[2:3]
	v_cmp_eq_u32_e32 vcc, 34, v4
	s_waitcnt lgkmcnt(0)
	s_barrier
	s_and_saveexec_b64 s[2:3], vcc
	s_cbranch_execz .LBB99_174
; %bb.172:
	ds_write_b64 v5, v[166:167]
	s_waitcnt vmcnt(61)
	ds_write2_b64 v6, v[116:117], v[164:165] offset0:35 offset1:36
	s_waitcnt vmcnt(59)
	ds_write2_b64 v6, v[114:115], v[162:163] offset0:37 offset1:38
	;; [unrolled: 2-line block ×7, first 2 shown]
	s_waitcnt vmcnt(48)
	ds_write_b64 v6, v[200:201] offset:392
	ds_read_b64 v[0:1], v5
	s_waitcnt lgkmcnt(0)
	v_cmp_neq_f64_e32 vcc, 0, v[0:1]
	s_and_b64 exec, exec, vcc
	s_cbranch_execz .LBB99_174
; %bb.173:
	v_div_scale_f64 v[2:3], s[6:7], v[0:1], v[0:1], 1.0
	v_rcp_f64_e32 v[8:9], v[2:3]
	v_pk_mov_b32 v[220:221], v[218:219], v[218:219] op_sel:[0,1]
	v_pk_mov_b32 v[218:219], v[216:217], v[216:217] op_sel:[0,1]
	v_div_scale_f64 v[10:11], vcc, 1.0, v[0:1], 1.0
	v_fma_f64 v[216:217], -v[2:3], v[8:9], 1.0
	v_fmac_f64_e32 v[8:9], v[8:9], v[216:217]
	v_fma_f64 v[216:217], -v[2:3], v[8:9], 1.0
	v_fmac_f64_e32 v[8:9], v[8:9], v[216:217]
	v_mul_f64 v[216:217], v[10:11], v[8:9]
	v_fma_f64 v[2:3], -v[2:3], v[216:217], v[10:11]
	v_div_fmas_f64 v[2:3], v[2:3], v[8:9], v[216:217]
	v_pk_mov_b32 v[216:217], v[218:219], v[218:219] op_sel:[0,1]
	v_pk_mov_b32 v[218:219], v[220:221], v[220:221] op_sel:[0,1]
	v_div_fixup_f64 v[0:1], v[2:3], v[0:1], 1.0
	ds_write_b64 v5, v[0:1]
.LBB99_174:
	s_or_b64 exec, exec, s[2:3]
	s_waitcnt lgkmcnt(0)
	s_barrier
	ds_read_b64 v[220:221], v5
	v_cmp_lt_u32_e32 vcc, 34, v4
	s_and_saveexec_b64 s[2:3], vcc
	s_cbranch_execz .LBB99_176
; %bb.175:
	ds_read2_b64 v[0:3], v6 offset0:35 offset1:36
	s_waitcnt lgkmcnt(1)
	v_mul_f64 v[166:167], v[220:221], v[166:167]
	s_waitcnt vmcnt(62) lgkmcnt(0)
	v_fma_f64 v[116:117], -v[166:167], v[0:1], v[116:117]
	s_waitcnt vmcnt(61)
	v_fma_f64 v[164:165], -v[166:167], v[2:3], v[164:165]
	ds_read2_b64 v[0:3], v6 offset0:37 offset1:38
	s_waitcnt vmcnt(60) lgkmcnt(0)
	v_fma_f64 v[114:115], -v[166:167], v[0:1], v[114:115]
	s_waitcnt vmcnt(59)
	v_fma_f64 v[162:163], -v[166:167], v[2:3], v[162:163]
	ds_read2_b64 v[0:3], v6 offset0:39 offset1:40
	;; [unrolled: 5-line block ×6, first 2 shown]
	s_waitcnt vmcnt(50) lgkmcnt(0)
	v_fma_f64 v[104:105], -v[166:167], v[0:1], v[104:105]
	ds_read_b64 v[0:1], v6 offset:392
	s_waitcnt vmcnt(49)
	v_fma_f64 v[152:153], -v[166:167], v[2:3], v[152:153]
	s_waitcnt vmcnt(48) lgkmcnt(0)
	v_fma_f64 v[200:201], -v[166:167], v[0:1], v[200:201]
.LBB99_176:
	s_or_b64 exec, exec, s[2:3]
	v_cmp_eq_u32_e32 vcc, 35, v4
	s_waitcnt lgkmcnt(0)
	s_barrier
	s_and_saveexec_b64 s[2:3], vcc
	s_cbranch_execz .LBB99_179
; %bb.177:
	s_waitcnt vmcnt(61)
	v_mov_b32_e32 v0, v164
	v_mov_b32_e32 v1, v165
	s_waitcnt vmcnt(60)
	v_mov_b32_e32 v2, v114
	v_mov_b32_e32 v3, v115
	ds_write_b64 v5, v[116:117]
	ds_write2_b64 v6, v[0:1], v[2:3] offset0:36 offset1:37
	s_waitcnt vmcnt(59)
	v_mov_b32_e32 v0, v162
	v_mov_b32_e32 v1, v163
	s_waitcnt vmcnt(58)
	v_mov_b32_e32 v2, v112
	v_mov_b32_e32 v3, v113
	ds_write2_b64 v6, v[0:1], v[2:3] offset0:38 offset1:39
	s_waitcnt vmcnt(57)
	v_mov_b32_e32 v0, v160
	v_mov_b32_e32 v1, v161
	s_waitcnt vmcnt(56)
	v_mov_b32_e32 v2, v110
	v_mov_b32_e32 v3, v111
	;; [unrolled: 7-line block ×5, first 2 shown]
	ds_write2_b64 v6, v[0:1], v[2:3] offset0:46 offset1:47
	s_waitcnt vmcnt(49)
	v_mov_b32_e32 v0, v152
	v_mov_b32_e32 v1, v153
	s_waitcnt vmcnt(48)
	ds_write2_b64 v6, v[0:1], v[200:201] offset0:48 offset1:49
	ds_read_b64 v[0:1], v5
	s_waitcnt lgkmcnt(0)
	v_cmp_neq_f64_e32 vcc, 0, v[0:1]
	s_and_b64 exec, exec, vcc
	s_cbranch_execz .LBB99_179
; %bb.178:
	v_div_scale_f64 v[2:3], s[6:7], v[0:1], v[0:1], 1.0
	v_rcp_f64_e32 v[8:9], v[2:3]
	v_pk_mov_b32 v[222:223], v[220:221], v[220:221] op_sel:[0,1]
	v_pk_mov_b32 v[220:221], v[218:219], v[218:219] op_sel:[0,1]
	v_div_scale_f64 v[10:11], vcc, 1.0, v[0:1], 1.0
	v_fma_f64 v[218:219], -v[2:3], v[8:9], 1.0
	v_fmac_f64_e32 v[8:9], v[8:9], v[218:219]
	v_fma_f64 v[218:219], -v[2:3], v[8:9], 1.0
	v_fmac_f64_e32 v[8:9], v[8:9], v[218:219]
	v_mul_f64 v[218:219], v[10:11], v[8:9]
	v_fma_f64 v[2:3], -v[2:3], v[218:219], v[10:11]
	v_div_fmas_f64 v[2:3], v[2:3], v[8:9], v[218:219]
	v_pk_mov_b32 v[218:219], v[220:221], v[220:221] op_sel:[0,1]
	v_pk_mov_b32 v[220:221], v[222:223], v[222:223] op_sel:[0,1]
	v_div_fixup_f64 v[0:1], v[2:3], v[0:1], 1.0
	ds_write_b64 v5, v[0:1]
.LBB99_179:
	s_or_b64 exec, exec, s[2:3]
	s_waitcnt lgkmcnt(0)
	s_barrier
	ds_read_b64 v[222:223], v5
	v_cmp_lt_u32_e32 vcc, 35, v4
	s_and_saveexec_b64 s[2:3], vcc
	s_cbranch_execz .LBB99_181
; %bb.180:
	ds_read2_b64 v[0:3], v6 offset0:36 offset1:37
	s_waitcnt vmcnt(62) lgkmcnt(1)
	v_mul_f64 v[116:117], v[222:223], v[116:117]
	s_waitcnt vmcnt(61) lgkmcnt(0)
	v_fma_f64 v[164:165], -v[116:117], v[0:1], v[164:165]
	s_waitcnt vmcnt(60)
	v_fma_f64 v[114:115], -v[116:117], v[2:3], v[114:115]
	ds_read2_b64 v[0:3], v6 offset0:38 offset1:39
	s_waitcnt vmcnt(59) lgkmcnt(0)
	v_fma_f64 v[162:163], -v[116:117], v[0:1], v[162:163]
	s_waitcnt vmcnt(58)
	v_fma_f64 v[112:113], -v[116:117], v[2:3], v[112:113]
	ds_read2_b64 v[0:3], v6 offset0:40 offset1:41
	;; [unrolled: 5-line block ×6, first 2 shown]
	s_waitcnt vmcnt(49) lgkmcnt(0)
	v_fma_f64 v[152:153], -v[116:117], v[0:1], v[152:153]
	s_waitcnt vmcnt(48)
	v_fma_f64 v[200:201], -v[116:117], v[2:3], v[200:201]
.LBB99_181:
	s_or_b64 exec, exec, s[2:3]
	v_cmp_eq_u32_e32 vcc, 36, v4
	s_waitcnt lgkmcnt(0)
	s_barrier
	s_and_saveexec_b64 s[2:3], vcc
	s_cbranch_execz .LBB99_184
; %bb.182:
	s_waitcnt vmcnt(61)
	ds_write_b64 v5, v[164:165]
	s_waitcnt vmcnt(59)
	ds_write2_b64 v6, v[114:115], v[162:163] offset0:37 offset1:38
	s_waitcnt vmcnt(57)
	ds_write2_b64 v6, v[112:113], v[160:161] offset0:39 offset1:40
	;; [unrolled: 2-line block ×6, first 2 shown]
	s_waitcnt vmcnt(48)
	ds_write_b64 v6, v[200:201] offset:392
	ds_read_b64 v[0:1], v5
	s_waitcnt lgkmcnt(0)
	v_cmp_neq_f64_e32 vcc, 0, v[0:1]
	s_and_b64 exec, exec, vcc
	s_cbranch_execz .LBB99_184
; %bb.183:
	v_div_scale_f64 v[2:3], s[6:7], v[0:1], v[0:1], 1.0
	v_rcp_f64_e32 v[8:9], v[2:3]
	v_pk_mov_b32 v[224:225], v[222:223], v[222:223] op_sel:[0,1]
	v_pk_mov_b32 v[222:223], v[220:221], v[220:221] op_sel:[0,1]
	v_div_scale_f64 v[10:11], vcc, 1.0, v[0:1], 1.0
	v_fma_f64 v[220:221], -v[2:3], v[8:9], 1.0
	v_fmac_f64_e32 v[8:9], v[8:9], v[220:221]
	v_fma_f64 v[220:221], -v[2:3], v[8:9], 1.0
	v_fmac_f64_e32 v[8:9], v[8:9], v[220:221]
	v_mul_f64 v[220:221], v[10:11], v[8:9]
	v_fma_f64 v[2:3], -v[2:3], v[220:221], v[10:11]
	v_div_fmas_f64 v[2:3], v[2:3], v[8:9], v[220:221]
	v_pk_mov_b32 v[220:221], v[222:223], v[222:223] op_sel:[0,1]
	v_pk_mov_b32 v[222:223], v[224:225], v[224:225] op_sel:[0,1]
	v_div_fixup_f64 v[0:1], v[2:3], v[0:1], 1.0
	ds_write_b64 v5, v[0:1]
.LBB99_184:
	s_or_b64 exec, exec, s[2:3]
	s_waitcnt lgkmcnt(0)
	s_barrier
	ds_read_b64 v[224:225], v5
	v_cmp_lt_u32_e32 vcc, 36, v4
	s_and_saveexec_b64 s[2:3], vcc
	s_cbranch_execz .LBB99_186
; %bb.185:
	ds_read2_b64 v[0:3], v6 offset0:37 offset1:38
	s_waitcnt vmcnt(61) lgkmcnt(1)
	v_mul_f64 v[164:165], v[224:225], v[164:165]
	s_waitcnt vmcnt(60) lgkmcnt(0)
	v_fma_f64 v[114:115], -v[164:165], v[0:1], v[114:115]
	s_waitcnt vmcnt(59)
	v_fma_f64 v[162:163], -v[164:165], v[2:3], v[162:163]
	ds_read2_b64 v[0:3], v6 offset0:39 offset1:40
	s_waitcnt vmcnt(58) lgkmcnt(0)
	v_fma_f64 v[112:113], -v[164:165], v[0:1], v[112:113]
	s_waitcnt vmcnt(57)
	v_fma_f64 v[160:161], -v[164:165], v[2:3], v[160:161]
	ds_read2_b64 v[0:3], v6 offset0:41 offset1:42
	s_waitcnt vmcnt(56) lgkmcnt(0)
	v_fma_f64 v[110:111], -v[164:165], v[0:1], v[110:111]
	s_waitcnt vmcnt(55)
	v_fma_f64 v[158:159], -v[164:165], v[2:3], v[158:159]
	ds_read2_b64 v[0:3], v6 offset0:43 offset1:44
	s_waitcnt vmcnt(54) lgkmcnt(0)
	v_fma_f64 v[108:109], -v[164:165], v[0:1], v[108:109]
	s_waitcnt vmcnt(53)
	v_fma_f64 v[156:157], -v[164:165], v[2:3], v[156:157]
	ds_read2_b64 v[0:3], v6 offset0:45 offset1:46
	s_waitcnt vmcnt(52) lgkmcnt(0)
	v_fma_f64 v[106:107], -v[164:165], v[0:1], v[106:107]
	s_waitcnt vmcnt(51)
	v_fma_f64 v[154:155], -v[164:165], v[2:3], v[154:155]
	ds_read2_b64 v[0:3], v6 offset0:47 offset1:48
	s_waitcnt vmcnt(50) lgkmcnt(0)
	v_fma_f64 v[104:105], -v[164:165], v[0:1], v[104:105]
	ds_read_b64 v[0:1], v6 offset:392
	s_waitcnt vmcnt(49)
	v_fma_f64 v[152:153], -v[164:165], v[2:3], v[152:153]
	s_waitcnt vmcnt(48) lgkmcnt(0)
	v_fma_f64 v[200:201], -v[164:165], v[0:1], v[200:201]
.LBB99_186:
	s_or_b64 exec, exec, s[2:3]
	v_cmp_eq_u32_e32 vcc, 37, v4
	s_waitcnt lgkmcnt(0)
	s_barrier
	s_and_saveexec_b64 s[2:3], vcc
	s_cbranch_execz .LBB99_189
; %bb.187:
	s_waitcnt vmcnt(59)
	v_mov_b32_e32 v0, v162
	v_mov_b32_e32 v1, v163
	s_waitcnt vmcnt(58)
	v_mov_b32_e32 v2, v112
	v_mov_b32_e32 v3, v113
	ds_write_b64 v5, v[114:115]
	ds_write2_b64 v6, v[0:1], v[2:3] offset0:38 offset1:39
	s_waitcnt vmcnt(57)
	v_mov_b32_e32 v0, v160
	v_mov_b32_e32 v1, v161
	s_waitcnt vmcnt(56)
	v_mov_b32_e32 v2, v110
	v_mov_b32_e32 v3, v111
	ds_write2_b64 v6, v[0:1], v[2:3] offset0:40 offset1:41
	s_waitcnt vmcnt(55)
	v_mov_b32_e32 v0, v158
	v_mov_b32_e32 v1, v159
	s_waitcnt vmcnt(54)
	v_mov_b32_e32 v2, v108
	v_mov_b32_e32 v3, v109
	;; [unrolled: 7-line block ×4, first 2 shown]
	ds_write2_b64 v6, v[0:1], v[2:3] offset0:46 offset1:47
	s_waitcnt vmcnt(49)
	v_mov_b32_e32 v0, v152
	v_mov_b32_e32 v1, v153
	s_waitcnt vmcnt(48)
	ds_write2_b64 v6, v[0:1], v[200:201] offset0:48 offset1:49
	ds_read_b64 v[0:1], v5
	s_waitcnt lgkmcnt(0)
	v_cmp_neq_f64_e32 vcc, 0, v[0:1]
	s_and_b64 exec, exec, vcc
	s_cbranch_execz .LBB99_189
; %bb.188:
	v_div_scale_f64 v[2:3], s[6:7], v[0:1], v[0:1], 1.0
	v_rcp_f64_e32 v[8:9], v[2:3]
	v_pk_mov_b32 v[226:227], v[224:225], v[224:225] op_sel:[0,1]
	v_pk_mov_b32 v[224:225], v[222:223], v[222:223] op_sel:[0,1]
	v_div_scale_f64 v[10:11], vcc, 1.0, v[0:1], 1.0
	v_fma_f64 v[222:223], -v[2:3], v[8:9], 1.0
	v_fmac_f64_e32 v[8:9], v[8:9], v[222:223]
	v_fma_f64 v[222:223], -v[2:3], v[8:9], 1.0
	v_fmac_f64_e32 v[8:9], v[8:9], v[222:223]
	v_mul_f64 v[222:223], v[10:11], v[8:9]
	v_fma_f64 v[2:3], -v[2:3], v[222:223], v[10:11]
	v_div_fmas_f64 v[2:3], v[2:3], v[8:9], v[222:223]
	v_pk_mov_b32 v[222:223], v[224:225], v[224:225] op_sel:[0,1]
	v_pk_mov_b32 v[224:225], v[226:227], v[226:227] op_sel:[0,1]
	v_div_fixup_f64 v[0:1], v[2:3], v[0:1], 1.0
	ds_write_b64 v5, v[0:1]
.LBB99_189:
	s_or_b64 exec, exec, s[2:3]
	s_waitcnt lgkmcnt(0)
	s_barrier
	ds_read_b64 v[226:227], v5
	v_cmp_lt_u32_e32 vcc, 37, v4
	s_and_saveexec_b64 s[2:3], vcc
	s_cbranch_execz .LBB99_191
; %bb.190:
	ds_read2_b64 v[0:3], v6 offset0:38 offset1:39
	s_waitcnt vmcnt(60) lgkmcnt(1)
	v_mul_f64 v[114:115], v[226:227], v[114:115]
	s_waitcnt vmcnt(59) lgkmcnt(0)
	v_fma_f64 v[162:163], -v[114:115], v[0:1], v[162:163]
	s_waitcnt vmcnt(58)
	v_fma_f64 v[112:113], -v[114:115], v[2:3], v[112:113]
	ds_read2_b64 v[0:3], v6 offset0:40 offset1:41
	s_waitcnt vmcnt(57) lgkmcnt(0)
	v_fma_f64 v[160:161], -v[114:115], v[0:1], v[160:161]
	s_waitcnt vmcnt(56)
	v_fma_f64 v[110:111], -v[114:115], v[2:3], v[110:111]
	ds_read2_b64 v[0:3], v6 offset0:42 offset1:43
	;; [unrolled: 5-line block ×5, first 2 shown]
	s_waitcnt vmcnt(49) lgkmcnt(0)
	v_fma_f64 v[152:153], -v[114:115], v[0:1], v[152:153]
	s_waitcnt vmcnt(48)
	v_fma_f64 v[200:201], -v[114:115], v[2:3], v[200:201]
.LBB99_191:
	s_or_b64 exec, exec, s[2:3]
	v_cmp_eq_u32_e32 vcc, 38, v4
	s_waitcnt lgkmcnt(0)
	s_barrier
	s_and_saveexec_b64 s[2:3], vcc
	s_cbranch_execz .LBB99_194
; %bb.192:
	s_waitcnt vmcnt(59)
	ds_write_b64 v5, v[162:163]
	s_waitcnt vmcnt(57)
	ds_write2_b64 v6, v[112:113], v[160:161] offset0:39 offset1:40
	s_waitcnt vmcnt(55)
	ds_write2_b64 v6, v[110:111], v[158:159] offset0:41 offset1:42
	;; [unrolled: 2-line block ×5, first 2 shown]
	s_waitcnt vmcnt(48)
	ds_write_b64 v6, v[200:201] offset:392
	ds_read_b64 v[0:1], v5
	s_waitcnt lgkmcnt(0)
	v_cmp_neq_f64_e32 vcc, 0, v[0:1]
	s_and_b64 exec, exec, vcc
	s_cbranch_execz .LBB99_194
; %bb.193:
	v_div_scale_f64 v[2:3], s[6:7], v[0:1], v[0:1], 1.0
	v_rcp_f64_e32 v[8:9], v[2:3]
	v_pk_mov_b32 v[228:229], v[150:151], v[150:151] op_sel:[0,1]
	v_pk_mov_b32 v[150:151], v[102:103], v[102:103] op_sel:[0,1]
	;; [unrolled: 1-line block ×4, first 2 shown]
	v_fma_f64 v[224:225], -v[2:3], v[8:9], 1.0
	v_fmac_f64_e32 v[8:9], v[8:9], v[224:225]
	v_fma_f64 v[224:225], -v[2:3], v[8:9], 1.0
	v_div_scale_f64 v[10:11], vcc, 1.0, v[0:1], 1.0
	v_fmac_f64_e32 v[8:9], v[8:9], v[224:225]
	v_mul_f64 v[224:225], v[10:11], v[8:9]
	v_fma_f64 v[2:3], -v[2:3], v[224:225], v[10:11]
	s_nop 0
	v_div_fmas_f64 v[2:3], v[2:3], v[8:9], v[224:225]
	v_pk_mov_b32 v[224:225], v[226:227], v[226:227] op_sel:[0,1]
	v_pk_mov_b32 v[226:227], v[102:103], v[102:103] op_sel:[0,1]
	;; [unrolled: 1-line block ×4, first 2 shown]
	v_div_fixup_f64 v[0:1], v[2:3], v[0:1], 1.0
	ds_write_b64 v5, v[0:1]
.LBB99_194:
	s_or_b64 exec, exec, s[2:3]
	s_waitcnt lgkmcnt(0)
	s_barrier
	ds_read_b64 v[228:229], v5
	v_cmp_lt_u32_e32 vcc, 38, v4
	s_and_saveexec_b64 s[2:3], vcc
	s_cbranch_execz .LBB99_196
; %bb.195:
	ds_read2_b64 v[0:3], v6 offset0:39 offset1:40
	s_waitcnt vmcnt(59) lgkmcnt(1)
	v_mul_f64 v[162:163], v[228:229], v[162:163]
	s_waitcnt vmcnt(58) lgkmcnt(0)
	v_fma_f64 v[112:113], -v[162:163], v[0:1], v[112:113]
	s_waitcnt vmcnt(57)
	v_fma_f64 v[160:161], -v[162:163], v[2:3], v[160:161]
	ds_read2_b64 v[0:3], v6 offset0:41 offset1:42
	s_waitcnt vmcnt(56) lgkmcnt(0)
	v_fma_f64 v[110:111], -v[162:163], v[0:1], v[110:111]
	s_waitcnt vmcnt(55)
	v_fma_f64 v[158:159], -v[162:163], v[2:3], v[158:159]
	ds_read2_b64 v[0:3], v6 offset0:43 offset1:44
	;; [unrolled: 5-line block ×4, first 2 shown]
	s_waitcnt vmcnt(50) lgkmcnt(0)
	v_fma_f64 v[104:105], -v[162:163], v[0:1], v[104:105]
	ds_read_b64 v[0:1], v6 offset:392
	s_waitcnt vmcnt(49)
	v_fma_f64 v[152:153], -v[162:163], v[2:3], v[152:153]
	s_waitcnt vmcnt(48) lgkmcnt(0)
	v_fma_f64 v[200:201], -v[162:163], v[0:1], v[200:201]
.LBB99_196:
	s_or_b64 exec, exec, s[2:3]
	v_cmp_eq_u32_e32 vcc, 39, v4
	s_waitcnt lgkmcnt(0)
	s_barrier
	s_and_saveexec_b64 s[2:3], vcc
	s_cbranch_execz .LBB99_199
; %bb.197:
	s_waitcnt vmcnt(57)
	v_mov_b32_e32 v0, v160
	v_mov_b32_e32 v1, v161
	s_waitcnt vmcnt(56)
	v_mov_b32_e32 v2, v110
	v_mov_b32_e32 v3, v111
	ds_write_b64 v5, v[112:113]
	ds_write2_b64 v6, v[0:1], v[2:3] offset0:40 offset1:41
	s_waitcnt vmcnt(55)
	v_mov_b32_e32 v0, v158
	v_mov_b32_e32 v1, v159
	s_waitcnt vmcnt(54)
	v_mov_b32_e32 v2, v108
	v_mov_b32_e32 v3, v109
	ds_write2_b64 v6, v[0:1], v[2:3] offset0:42 offset1:43
	s_waitcnt vmcnt(53)
	v_mov_b32_e32 v0, v156
	v_mov_b32_e32 v1, v157
	s_waitcnt vmcnt(52)
	v_mov_b32_e32 v2, v106
	v_mov_b32_e32 v3, v107
	;; [unrolled: 7-line block ×3, first 2 shown]
	ds_write2_b64 v6, v[0:1], v[2:3] offset0:46 offset1:47
	s_waitcnt vmcnt(49)
	v_mov_b32_e32 v0, v152
	v_mov_b32_e32 v1, v153
	s_waitcnt vmcnt(48)
	ds_write2_b64 v6, v[0:1], v[200:201] offset0:48 offset1:49
	ds_read_b64 v[0:1], v5
	s_waitcnt lgkmcnt(0)
	v_cmp_neq_f64_e32 vcc, 0, v[0:1]
	s_and_b64 exec, exec, vcc
	s_cbranch_execz .LBB99_199
; %bb.198:
	v_div_scale_f64 v[2:3], s[6:7], v[0:1], v[0:1], 1.0
	v_rcp_f64_e32 v[8:9], v[2:3]
	v_pk_mov_b32 v[230:231], v[196:197], v[196:197] op_sel:[0,1]
	v_pk_mov_b32 v[196:197], v[148:149], v[148:149] op_sel:[0,1]
	;; [unrolled: 1-line block ×7, first 2 shown]
	v_fma_f64 v[226:227], -v[2:3], v[8:9], 1.0
	v_fmac_f64_e32 v[8:9], v[8:9], v[226:227]
	v_fma_f64 v[226:227], -v[2:3], v[8:9], 1.0
	v_div_scale_f64 v[10:11], vcc, 1.0, v[0:1], 1.0
	v_fmac_f64_e32 v[8:9], v[8:9], v[226:227]
	v_mul_f64 v[226:227], v[10:11], v[8:9]
	v_fma_f64 v[2:3], -v[2:3], v[226:227], v[10:11]
	s_nop 0
	v_div_fmas_f64 v[2:3], v[2:3], v[8:9], v[226:227]
	v_pk_mov_b32 v[226:227], v[102:103], v[102:103] op_sel:[0,1]
	v_pk_mov_b32 v[102:103], v[150:151], v[150:151] op_sel:[0,1]
	;; [unrolled: 1-line block ×7, first 2 shown]
	v_div_fixup_f64 v[0:1], v[2:3], v[0:1], 1.0
	ds_write_b64 v5, v[0:1]
.LBB99_199:
	s_or_b64 exec, exec, s[2:3]
	s_waitcnt lgkmcnt(0)
	s_barrier
	ds_read_b64 v[230:231], v5
	v_cmp_lt_u32_e32 vcc, 39, v4
	s_and_saveexec_b64 s[2:3], vcc
	s_cbranch_execz .LBB99_201
; %bb.200:
	ds_read2_b64 v[0:3], v6 offset0:40 offset1:41
	s_waitcnt vmcnt(58) lgkmcnt(1)
	v_mul_f64 v[112:113], v[230:231], v[112:113]
	s_waitcnt vmcnt(57) lgkmcnt(0)
	v_fma_f64 v[160:161], -v[112:113], v[0:1], v[160:161]
	s_waitcnt vmcnt(56)
	v_fma_f64 v[110:111], -v[112:113], v[2:3], v[110:111]
	ds_read2_b64 v[0:3], v6 offset0:42 offset1:43
	s_waitcnt vmcnt(55) lgkmcnt(0)
	v_fma_f64 v[158:159], -v[112:113], v[0:1], v[158:159]
	s_waitcnt vmcnt(54)
	v_fma_f64 v[108:109], -v[112:113], v[2:3], v[108:109]
	ds_read2_b64 v[0:3], v6 offset0:44 offset1:45
	;; [unrolled: 5-line block ×4, first 2 shown]
	s_waitcnt vmcnt(49) lgkmcnt(0)
	v_fma_f64 v[152:153], -v[112:113], v[0:1], v[152:153]
	s_waitcnt vmcnt(48)
	v_fma_f64 v[200:201], -v[112:113], v[2:3], v[200:201]
.LBB99_201:
	s_or_b64 exec, exec, s[2:3]
	v_cmp_eq_u32_e32 vcc, 40, v4
	s_waitcnt lgkmcnt(0)
	s_barrier
	s_and_saveexec_b64 s[2:3], vcc
	s_cbranch_execz .LBB99_204
; %bb.202:
	s_waitcnt vmcnt(57)
	ds_write_b64 v5, v[160:161]
	s_waitcnt vmcnt(55)
	ds_write2_b64 v6, v[110:111], v[158:159] offset0:41 offset1:42
	s_waitcnt vmcnt(53)
	ds_write2_b64 v6, v[108:109], v[156:157] offset0:43 offset1:44
	;; [unrolled: 2-line block ×4, first 2 shown]
	s_waitcnt vmcnt(48)
	ds_write_b64 v6, v[200:201] offset:392
	ds_read_b64 v[0:1], v5
	s_waitcnt lgkmcnt(0)
	v_cmp_neq_f64_e32 vcc, 0, v[0:1]
	s_and_b64 exec, exec, vcc
	s_cbranch_execz .LBB99_204
; %bb.203:
	v_div_scale_f64 v[2:3], s[6:7], v[0:1], v[0:1], 1.0
	v_rcp_f64_e32 v[8:9], v[2:3]
	v_pk_mov_b32 v[232:233], v[142:143], v[142:143] op_sel:[0,1]
	v_pk_mov_b32 v[142:143], v[192:193], v[192:193] op_sel:[0,1]
	;; [unrolled: 1-line block ×10, first 2 shown]
	v_fma_f64 v[228:229], -v[2:3], v[8:9], 1.0
	v_fmac_f64_e32 v[8:9], v[8:9], v[228:229]
	v_fma_f64 v[228:229], -v[2:3], v[8:9], 1.0
	v_div_scale_f64 v[10:11], vcc, 1.0, v[0:1], 1.0
	v_fmac_f64_e32 v[8:9], v[8:9], v[228:229]
	v_mul_f64 v[228:229], v[10:11], v[8:9]
	v_fma_f64 v[2:3], -v[2:3], v[228:229], v[10:11]
	s_nop 0
	v_div_fmas_f64 v[2:3], v[2:3], v[8:9], v[228:229]
	v_pk_mov_b32 v[228:229], v[198:199], v[198:199] op_sel:[0,1]
	v_pk_mov_b32 v[198:199], v[148:149], v[148:149] op_sel:[0,1]
	;; [unrolled: 1-line block ×10, first 2 shown]
	v_div_fixup_f64 v[0:1], v[2:3], v[0:1], 1.0
	ds_write_b64 v5, v[0:1]
.LBB99_204:
	s_or_b64 exec, exec, s[2:3]
	s_waitcnt lgkmcnt(0)
	s_barrier
	ds_read_b64 v[232:233], v5
	v_cmp_lt_u32_e32 vcc, 40, v4
	s_and_saveexec_b64 s[2:3], vcc
	s_cbranch_execz .LBB99_206
; %bb.205:
	ds_read2_b64 v[0:3], v6 offset0:41 offset1:42
	s_waitcnt vmcnt(57) lgkmcnt(1)
	v_mul_f64 v[160:161], v[232:233], v[160:161]
	s_waitcnt vmcnt(56) lgkmcnt(0)
	v_fma_f64 v[110:111], -v[160:161], v[0:1], v[110:111]
	s_waitcnt vmcnt(55)
	v_fma_f64 v[158:159], -v[160:161], v[2:3], v[158:159]
	ds_read2_b64 v[0:3], v6 offset0:43 offset1:44
	s_waitcnt vmcnt(54) lgkmcnt(0)
	v_fma_f64 v[108:109], -v[160:161], v[0:1], v[108:109]
	s_waitcnt vmcnt(53)
	v_fma_f64 v[156:157], -v[160:161], v[2:3], v[156:157]
	ds_read2_b64 v[0:3], v6 offset0:45 offset1:46
	;; [unrolled: 5-line block ×3, first 2 shown]
	s_waitcnt vmcnt(50) lgkmcnt(0)
	v_fma_f64 v[104:105], -v[160:161], v[0:1], v[104:105]
	ds_read_b64 v[0:1], v6 offset:392
	s_waitcnt vmcnt(49)
	v_fma_f64 v[152:153], -v[160:161], v[2:3], v[152:153]
	s_waitcnt vmcnt(48) lgkmcnt(0)
	v_fma_f64 v[200:201], -v[160:161], v[0:1], v[200:201]
.LBB99_206:
	s_or_b64 exec, exec, s[2:3]
	v_cmp_eq_u32_e32 vcc, 41, v4
	s_waitcnt lgkmcnt(0)
	s_barrier
	s_and_saveexec_b64 s[2:3], vcc
	s_cbranch_execz .LBB99_209
; %bb.207:
	s_waitcnt vmcnt(55)
	v_mov_b32_e32 v0, v158
	v_mov_b32_e32 v1, v159
	s_waitcnt vmcnt(54)
	v_mov_b32_e32 v2, v108
	v_mov_b32_e32 v3, v109
	ds_write_b64 v5, v[110:111]
	ds_write2_b64 v6, v[0:1], v[2:3] offset0:42 offset1:43
	s_waitcnt vmcnt(53)
	v_mov_b32_e32 v0, v156
	v_mov_b32_e32 v1, v157
	s_waitcnt vmcnt(52)
	v_mov_b32_e32 v2, v106
	v_mov_b32_e32 v3, v107
	ds_write2_b64 v6, v[0:1], v[2:3] offset0:44 offset1:45
	s_waitcnt vmcnt(51)
	v_mov_b32_e32 v0, v154
	v_mov_b32_e32 v1, v155
	s_waitcnt vmcnt(50)
	v_mov_b32_e32 v2, v104
	v_mov_b32_e32 v3, v105
	ds_write2_b64 v6, v[0:1], v[2:3] offset0:46 offset1:47
	s_waitcnt vmcnt(49)
	v_mov_b32_e32 v0, v152
	v_mov_b32_e32 v1, v153
	s_waitcnt vmcnt(48)
	ds_write2_b64 v6, v[0:1], v[200:201] offset0:48 offset1:49
	ds_read_b64 v[0:1], v5
	s_waitcnt lgkmcnt(0)
	v_cmp_neq_f64_e32 vcc, 0, v[0:1]
	s_and_b64 exec, exec, vcc
	s_cbranch_execz .LBB99_209
; %bb.208:
	v_div_scale_f64 v[2:3], s[6:7], v[0:1], v[0:1], 1.0
	v_rcp_f64_e32 v[8:9], v[2:3]
	v_pk_mov_b32 v[234:235], v[186:187], v[186:187] op_sel:[0,1]
	v_pk_mov_b32 v[186:187], v[138:139], v[138:139] op_sel:[0,1]
	;; [unrolled: 1-line block ×12, first 2 shown]
	v_fma_f64 v[230:231], -v[2:3], v[8:9], 1.0
	v_fmac_f64_e32 v[8:9], v[8:9], v[230:231]
	v_fma_f64 v[230:231], -v[2:3], v[8:9], 1.0
	v_div_scale_f64 v[10:11], vcc, 1.0, v[0:1], 1.0
	v_fmac_f64_e32 v[8:9], v[8:9], v[230:231]
	v_mul_f64 v[230:231], v[10:11], v[8:9]
	v_fma_f64 v[2:3], -v[2:3], v[230:231], v[10:11]
	s_nop 0
	v_div_fmas_f64 v[2:3], v[2:3], v[8:9], v[230:231]
	v_pk_mov_b32 v[230:231], v[146:147], v[146:147] op_sel:[0,1]
	v_pk_mov_b32 v[146:147], v[194:195], v[194:195] op_sel:[0,1]
	v_pk_mov_b32 v[194:195], v[144:145], v[144:145] op_sel:[0,1]
	v_pk_mov_b32 v[144:145], v[192:193], v[192:193] op_sel:[0,1]
	v_pk_mov_b32 v[192:193], v[142:143], v[142:143] op_sel:[0,1]
	v_pk_mov_b32 v[142:143], v[232:233], v[232:233] op_sel:[0,1]
	v_pk_mov_b32 v[232:233], v[190:191], v[190:191] op_sel:[0,1]
	v_pk_mov_b32 v[190:191], v[140:141], v[140:141] op_sel:[0,1]
	v_pk_mov_b32 v[140:141], v[188:189], v[188:189] op_sel:[0,1]
	v_pk_mov_b32 v[188:189], v[138:139], v[138:139] op_sel:[0,1]
	v_pk_mov_b32 v[138:139], v[186:187], v[186:187] op_sel:[0,1]
	v_pk_mov_b32 v[186:187], v[234:235], v[234:235] op_sel:[0,1]
	v_div_fixup_f64 v[0:1], v[2:3], v[0:1], 1.0
	ds_write_b64 v5, v[0:1]
.LBB99_209:
	s_or_b64 exec, exec, s[2:3]
	s_waitcnt lgkmcnt(0)
	s_barrier
	ds_read_b64 v[0:1], v5
	v_cmp_lt_u32_e32 vcc, 41, v4
	s_waitcnt lgkmcnt(0)
	buffer_store_dword v0, off, s[16:19], 0 offset:192 ; 4-byte Folded Spill
	s_nop 0
	buffer_store_dword v1, off, s[16:19], 0 offset:196 ; 4-byte Folded Spill
	s_and_saveexec_b64 s[2:3], vcc
	s_cbranch_execz .LBB99_211
; %bb.210:
	buffer_load_dword v0, off, s[16:19], 0 offset:192 ; 4-byte Folded Reload
	buffer_load_dword v1, off, s[16:19], 0 offset:196 ; 4-byte Folded Reload
	s_waitcnt vmcnt(0)
	v_mul_f64 v[110:111], v[0:1], v[110:111]
	ds_read2_b64 v[0:3], v6 offset0:42 offset1:43
	s_waitcnt lgkmcnt(0)
	v_fma_f64 v[158:159], -v[110:111], v[0:1], v[158:159]
	v_fma_f64 v[108:109], -v[110:111], v[2:3], v[108:109]
	ds_read2_b64 v[0:3], v6 offset0:44 offset1:45
	s_waitcnt lgkmcnt(0)
	v_fma_f64 v[156:157], -v[110:111], v[0:1], v[156:157]
	v_fma_f64 v[106:107], -v[110:111], v[2:3], v[106:107]
	ds_read2_b64 v[0:3], v6 offset0:46 offset1:47
	s_waitcnt lgkmcnt(0)
	v_fma_f64 v[154:155], -v[110:111], v[0:1], v[154:155]
	v_fma_f64 v[104:105], -v[110:111], v[2:3], v[104:105]
	ds_read2_b64 v[0:3], v6 offset0:48 offset1:49
	s_waitcnt lgkmcnt(0)
	v_fma_f64 v[152:153], -v[110:111], v[0:1], v[152:153]
	v_fma_f64 v[200:201], -v[110:111], v[2:3], v[200:201]
.LBB99_211:
	s_or_b64 exec, exec, s[2:3]
	v_cmp_eq_u32_e32 vcc, 42, v4
	s_waitcnt vmcnt(63) expcnt(7) lgkmcnt(15)
	s_barrier
	s_and_saveexec_b64 s[2:3], vcc
	s_cbranch_execz .LBB99_214
; %bb.212:
	s_waitcnt vmcnt(57)
	ds_write_b64 v5, v[158:159]
	s_waitcnt vmcnt(55)
	ds_write2_b64 v6, v[108:109], v[156:157] offset0:43 offset1:44
	s_waitcnt vmcnt(53)
	ds_write2_b64 v6, v[106:107], v[154:155] offset0:45 offset1:46
	;; [unrolled: 2-line block ×3, first 2 shown]
	s_waitcnt vmcnt(50)
	ds_write_b64 v6, v[200:201] offset:392
	ds_read_b64 v[0:1], v5
	s_waitcnt lgkmcnt(0)
	v_cmp_neq_f64_e32 vcc, 0, v[0:1]
	s_and_b64 exec, exec, vcc
	s_cbranch_execz .LBB99_214
; %bb.213:
	v_div_scale_f64 v[2:3], s[6:7], v[0:1], v[0:1], 1.0
	v_rcp_f64_e32 v[8:9], v[2:3]
	v_pk_mov_b32 v[234:235], v[186:187], v[186:187] op_sel:[0,1]
	v_pk_mov_b32 v[186:187], v[138:139], v[138:139] op_sel:[0,1]
	;; [unrolled: 1-line block ×6, first 2 shown]
	v_fma_f64 v[232:233], -v[2:3], v[8:9], 1.0
	v_fmac_f64_e32 v[8:9], v[8:9], v[232:233]
	v_fma_f64 v[232:233], -v[2:3], v[8:9], 1.0
	v_div_scale_f64 v[10:11], vcc, 1.0, v[0:1], 1.0
	v_fmac_f64_e32 v[8:9], v[8:9], v[232:233]
	v_mul_f64 v[232:233], v[10:11], v[8:9]
	v_fma_f64 v[2:3], -v[2:3], v[232:233], v[10:11]
	s_nop 0
	v_div_fmas_f64 v[2:3], v[2:3], v[8:9], v[232:233]
	v_pk_mov_b32 v[232:233], v[190:191], v[190:191] op_sel:[0,1]
	v_pk_mov_b32 v[190:191], v[140:141], v[140:141] op_sel:[0,1]
	;; [unrolled: 1-line block ×6, first 2 shown]
	v_div_fixup_f64 v[0:1], v[2:3], v[0:1], 1.0
	ds_write_b64 v5, v[0:1]
.LBB99_214:
	s_or_b64 exec, exec, s[2:3]
	s_waitcnt lgkmcnt(0)
	s_barrier
	ds_read_b64 v[0:1], v5
	v_cmp_lt_u32_e32 vcc, 42, v4
	s_waitcnt lgkmcnt(0)
	buffer_store_dword v0, off, s[16:19], 0 offset:200 ; 4-byte Folded Spill
	s_nop 0
	buffer_store_dword v1, off, s[16:19], 0 offset:204 ; 4-byte Folded Spill
	s_and_saveexec_b64 s[2:3], vcc
	s_cbranch_execz .LBB99_216
; %bb.215:
	buffer_load_dword v0, off, s[16:19], 0 offset:200 ; 4-byte Folded Reload
	buffer_load_dword v1, off, s[16:19], 0 offset:204 ; 4-byte Folded Reload
	s_waitcnt vmcnt(0)
	v_mul_f64 v[158:159], v[0:1], v[158:159]
	ds_read2_b64 v[0:3], v6 offset0:43 offset1:44
	s_waitcnt lgkmcnt(0)
	v_fma_f64 v[108:109], -v[158:159], v[0:1], v[108:109]
	v_fma_f64 v[156:157], -v[158:159], v[2:3], v[156:157]
	ds_read2_b64 v[0:3], v6 offset0:45 offset1:46
	s_waitcnt lgkmcnt(0)
	v_fma_f64 v[106:107], -v[158:159], v[0:1], v[106:107]
	v_fma_f64 v[154:155], -v[158:159], v[2:3], v[154:155]
	ds_read2_b64 v[0:3], v6 offset0:47 offset1:48
	s_waitcnt lgkmcnt(0)
	v_fma_f64 v[104:105], -v[158:159], v[0:1], v[104:105]
	ds_read_b64 v[0:1], v6 offset:392
	v_fma_f64 v[152:153], -v[158:159], v[2:3], v[152:153]
	s_waitcnt lgkmcnt(0)
	v_fma_f64 v[200:201], -v[158:159], v[0:1], v[200:201]
.LBB99_216:
	s_or_b64 exec, exec, s[2:3]
	v_cmp_eq_u32_e32 vcc, 43, v4
	s_waitcnt vmcnt(63) expcnt(7) lgkmcnt(15)
	s_barrier
	s_and_saveexec_b64 s[2:3], vcc
	s_cbranch_execz .LBB99_219
; %bb.217:
	s_waitcnt vmcnt(57)
	v_mov_b32_e32 v0, v156
	v_mov_b32_e32 v1, v157
	s_waitcnt vmcnt(56)
	v_mov_b32_e32 v2, v106
	v_mov_b32_e32 v3, v107
	ds_write_b64 v5, v[108:109]
	ds_write2_b64 v6, v[0:1], v[2:3] offset0:44 offset1:45
	s_waitcnt vmcnt(55)
	v_mov_b32_e32 v0, v154
	v_mov_b32_e32 v1, v155
	s_waitcnt vmcnt(54)
	v_mov_b32_e32 v2, v104
	v_mov_b32_e32 v3, v105
	ds_write2_b64 v6, v[0:1], v[2:3] offset0:46 offset1:47
	s_waitcnt vmcnt(53)
	v_mov_b32_e32 v0, v152
	v_mov_b32_e32 v1, v153
	s_waitcnt vmcnt(52)
	ds_write2_b64 v6, v[0:1], v[200:201] offset0:48 offset1:49
	ds_read_b64 v[0:1], v5
	s_waitcnt lgkmcnt(0)
	v_cmp_neq_f64_e32 vcc, 0, v[0:1]
	s_and_b64 exec, exec, vcc
	s_cbranch_execz .LBB99_219
; %bb.218:
	v_div_scale_f64 v[2:3], s[6:7], v[0:1], v[0:1], 1.0
	v_rcp_f64_e32 v[8:9], v[2:3]
	v_div_scale_f64 v[10:11], vcc, 1.0, v[0:1], 1.0
	v_fma_f64 v[234:235], -v[2:3], v[8:9], 1.0
	v_fmac_f64_e32 v[8:9], v[8:9], v[234:235]
	v_fma_f64 v[234:235], -v[2:3], v[8:9], 1.0
	v_fmac_f64_e32 v[8:9], v[8:9], v[234:235]
	v_mul_f64 v[234:235], v[10:11], v[8:9]
	v_fma_f64 v[2:3], -v[2:3], v[234:235], v[10:11]
	v_div_fmas_f64 v[2:3], v[2:3], v[8:9], v[234:235]
	v_div_fixup_f64 v[0:1], v[2:3], v[0:1], 1.0
	ds_write_b64 v5, v[0:1]
.LBB99_219:
	s_or_b64 exec, exec, s[2:3]
	s_waitcnt lgkmcnt(0)
	s_barrier
	ds_read_b64 v[0:1], v5
	v_cmp_lt_u32_e32 vcc, 43, v4
	s_and_saveexec_b64 s[2:3], vcc
	s_cbranch_execz .LBB99_221
; %bb.220:
	ds_read2_b64 v[234:237], v6 offset0:44 offset1:45
	s_waitcnt vmcnt(58) lgkmcnt(1)
	v_mul_f64 v[108:109], v[0:1], v[108:109]
	s_waitcnt vmcnt(57) lgkmcnt(0)
	v_fma_f64 v[156:157], -v[108:109], v[234:235], v[156:157]
	s_waitcnt vmcnt(56)
	v_fma_f64 v[106:107], -v[108:109], v[236:237], v[106:107]
	ds_read2_b64 v[234:237], v6 offset0:46 offset1:47
	s_waitcnt vmcnt(55) lgkmcnt(0)
	v_fma_f64 v[154:155], -v[108:109], v[234:235], v[154:155]
	s_waitcnt vmcnt(54)
	v_fma_f64 v[104:105], -v[108:109], v[236:237], v[104:105]
	ds_read2_b64 v[234:237], v6 offset0:48 offset1:49
	s_waitcnt vmcnt(53) lgkmcnt(0)
	v_fma_f64 v[152:153], -v[108:109], v[234:235], v[152:153]
	s_waitcnt vmcnt(52)
	v_fma_f64 v[200:201], -v[108:109], v[236:237], v[200:201]
.LBB99_221:
	s_or_b64 exec, exec, s[2:3]
	v_cmp_eq_u32_e32 vcc, 44, v4
	s_waitcnt lgkmcnt(0)
	buffer_store_dword v0, off, s[16:19], 0 offset:216 ; 4-byte Folded Spill
	s_nop 0
	buffer_store_dword v1, off, s[16:19], 0 offset:220 ; 4-byte Folded Spill
	s_waitcnt vmcnt(63) expcnt(7) lgkmcnt(15)
	s_barrier
	s_and_saveexec_b64 s[2:3], vcc
	s_cbranch_execz .LBB99_224
; %bb.222:
	s_waitcnt vmcnt(59)
	ds_write_b64 v5, v[156:157]
	s_waitcnt vmcnt(57)
	ds_write2_b64 v6, v[106:107], v[154:155] offset0:45 offset1:46
	s_waitcnt vmcnt(55)
	ds_write2_b64 v6, v[104:105], v[152:153] offset0:47 offset1:48
	s_waitcnt vmcnt(54)
	ds_write_b64 v6, v[200:201] offset:392
	ds_read_b64 v[0:1], v5
	s_waitcnt lgkmcnt(0)
	v_cmp_neq_f64_e32 vcc, 0, v[0:1]
	s_and_b64 exec, exec, vcc
	s_cbranch_execz .LBB99_224
; %bb.223:
	v_div_scale_f64 v[8:9], s[6:7], v[0:1], v[0:1], 1.0
	v_rcp_f64_e32 v[10:11], v[8:9]
	v_div_scale_f64 v[234:235], vcc, 1.0, v[0:1], 1.0
	v_fma_f64 v[236:237], -v[8:9], v[10:11], 1.0
	v_fmac_f64_e32 v[10:11], v[10:11], v[236:237]
	v_fma_f64 v[236:237], -v[8:9], v[10:11], 1.0
	v_fmac_f64_e32 v[10:11], v[10:11], v[236:237]
	v_mul_f64 v[236:237], v[234:235], v[10:11]
	v_fma_f64 v[8:9], -v[8:9], v[236:237], v[234:235]
	v_div_fmas_f64 v[8:9], v[8:9], v[10:11], v[236:237]
	v_div_fixup_f64 v[0:1], v[8:9], v[0:1], 1.0
	ds_write_b64 v5, v[0:1]
.LBB99_224:
	s_or_b64 exec, exec, s[2:3]
	s_waitcnt lgkmcnt(0)
	s_barrier
	ds_read_b64 v[234:235], v5
	v_cmp_lt_u32_e32 vcc, 44, v4
	s_and_saveexec_b64 s[2:3], vcc
	s_cbranch_execz .LBB99_226
; %bb.225:
	ds_read2_b64 v[236:239], v6 offset0:45 offset1:46
	ds_read_b64 v[0:1], v6 offset:392
	s_waitcnt vmcnt(59) lgkmcnt(2)
	v_mul_f64 v[156:157], v[234:235], v[156:157]
	s_waitcnt vmcnt(58) lgkmcnt(1)
	v_fma_f64 v[106:107], -v[156:157], v[236:237], v[106:107]
	s_waitcnt vmcnt(57)
	v_fma_f64 v[154:155], -v[156:157], v[238:239], v[154:155]
	ds_read2_b64 v[236:239], v6 offset0:47 offset1:48
	s_waitcnt vmcnt(54) lgkmcnt(1)
	v_fma_f64 v[200:201], -v[156:157], v[0:1], v[200:201]
	s_waitcnt lgkmcnt(0)
	v_fma_f64 v[104:105], -v[156:157], v[236:237], v[104:105]
	v_fma_f64 v[152:153], -v[156:157], v[238:239], v[152:153]
.LBB99_226:
	s_or_b64 exec, exec, s[2:3]
	v_cmp_eq_u32_e32 vcc, 45, v4
	s_waitcnt lgkmcnt(0)
	s_barrier
	s_and_saveexec_b64 s[2:3], vcc
	s_cbranch_execz .LBB99_229
; %bb.227:
	s_waitcnt vmcnt(57)
	v_mov_b32_e32 v0, v154
	v_mov_b32_e32 v1, v155
	s_waitcnt vmcnt(56)
	v_mov_b32_e32 v8, v104
	v_mov_b32_e32 v9, v105
	ds_write_b64 v5, v[106:107]
	ds_write2_b64 v6, v[0:1], v[8:9] offset0:46 offset1:47
	s_waitcnt vmcnt(55)
	v_mov_b32_e32 v0, v152
	v_mov_b32_e32 v1, v153
	s_waitcnt vmcnt(54)
	ds_write2_b64 v6, v[0:1], v[200:201] offset0:48 offset1:49
	ds_read_b64 v[0:1], v5
	s_waitcnt lgkmcnt(0)
	v_cmp_neq_f64_e32 vcc, 0, v[0:1]
	s_and_b64 exec, exec, vcc
	s_cbranch_execz .LBB99_229
; %bb.228:
	v_div_scale_f64 v[8:9], s[6:7], v[0:1], v[0:1], 1.0
	v_rcp_f64_e32 v[10:11], v[8:9]
	v_div_scale_f64 v[236:237], vcc, 1.0, v[0:1], 1.0
	v_fma_f64 v[238:239], -v[8:9], v[10:11], 1.0
	v_fmac_f64_e32 v[10:11], v[10:11], v[238:239]
	v_fma_f64 v[238:239], -v[8:9], v[10:11], 1.0
	v_fmac_f64_e32 v[10:11], v[10:11], v[238:239]
	v_mul_f64 v[238:239], v[236:237], v[10:11]
	v_fma_f64 v[8:9], -v[8:9], v[238:239], v[236:237]
	v_div_fmas_f64 v[8:9], v[8:9], v[10:11], v[238:239]
	v_div_fixup_f64 v[0:1], v[8:9], v[0:1], 1.0
	ds_write_b64 v5, v[0:1]
.LBB99_229:
	s_or_b64 exec, exec, s[2:3]
	s_waitcnt lgkmcnt(0)
	s_barrier
	ds_read_b64 v[236:237], v5
	v_cmp_lt_u32_e32 vcc, 45, v4
	s_and_saveexec_b64 s[2:3], vcc
	s_cbranch_execz .LBB99_231
; %bb.230:
	ds_read2_b64 v[238:241], v6 offset0:46 offset1:47
	s_waitcnt vmcnt(58) lgkmcnt(1)
	v_mul_f64 v[106:107], v[236:237], v[106:107]
	s_waitcnt vmcnt(57) lgkmcnt(0)
	v_fma_f64 v[154:155], -v[106:107], v[238:239], v[154:155]
	s_waitcnt vmcnt(56)
	v_fma_f64 v[104:105], -v[106:107], v[240:241], v[104:105]
	ds_read2_b64 v[238:241], v6 offset0:48 offset1:49
	s_waitcnt vmcnt(55) lgkmcnt(0)
	v_fma_f64 v[152:153], -v[106:107], v[238:239], v[152:153]
	s_waitcnt vmcnt(54)
	v_fma_f64 v[200:201], -v[106:107], v[240:241], v[200:201]
.LBB99_231:
	s_or_b64 exec, exec, s[2:3]
	v_cmp_eq_u32_e32 vcc, 46, v4
	s_waitcnt lgkmcnt(0)
	s_barrier
	s_and_saveexec_b64 s[2:3], vcc
	s_cbranch_execz .LBB99_234
; %bb.232:
	s_waitcnt vmcnt(57)
	ds_write_b64 v5, v[154:155]
	s_waitcnt vmcnt(55)
	ds_write2_b64 v6, v[104:105], v[152:153] offset0:47 offset1:48
	s_waitcnt vmcnt(54)
	ds_write_b64 v6, v[200:201] offset:392
	ds_read_b64 v[0:1], v5
	s_waitcnt lgkmcnt(0)
	v_cmp_neq_f64_e32 vcc, 0, v[0:1]
	s_and_b64 exec, exec, vcc
	s_cbranch_execz .LBB99_234
; %bb.233:
	v_div_scale_f64 v[8:9], s[6:7], v[0:1], v[0:1], 1.0
	v_rcp_f64_e32 v[10:11], v[8:9]
	v_div_scale_f64 v[238:239], vcc, 1.0, v[0:1], 1.0
	v_fma_f64 v[240:241], -v[8:9], v[10:11], 1.0
	v_fmac_f64_e32 v[10:11], v[10:11], v[240:241]
	v_fma_f64 v[240:241], -v[8:9], v[10:11], 1.0
	v_fmac_f64_e32 v[10:11], v[10:11], v[240:241]
	v_mul_f64 v[240:241], v[238:239], v[10:11]
	v_fma_f64 v[8:9], -v[8:9], v[240:241], v[238:239]
	v_div_fmas_f64 v[8:9], v[8:9], v[10:11], v[240:241]
	v_div_fixup_f64 v[0:1], v[8:9], v[0:1], 1.0
	ds_write_b64 v5, v[0:1]
.LBB99_234:
	s_or_b64 exec, exec, s[2:3]
	s_waitcnt lgkmcnt(0)
	s_barrier
	ds_read_b64 v[238:239], v5
	v_cmp_lt_u32_e32 vcc, 46, v4
	s_and_saveexec_b64 s[2:3], vcc
	s_cbranch_execz .LBB99_236
; %bb.235:
	ds_read2_b64 v[240:243], v6 offset0:47 offset1:48
	ds_read_b64 v[0:1], v6 offset:392
	s_waitcnt vmcnt(57) lgkmcnt(2)
	v_mul_f64 v[154:155], v[238:239], v[154:155]
	s_waitcnt vmcnt(56) lgkmcnt(1)
	v_fma_f64 v[104:105], -v[154:155], v[240:241], v[104:105]
	s_waitcnt vmcnt(55)
	v_fma_f64 v[152:153], -v[154:155], v[242:243], v[152:153]
	s_waitcnt vmcnt(54) lgkmcnt(0)
	v_fma_f64 v[200:201], -v[154:155], v[0:1], v[200:201]
.LBB99_236:
	s_or_b64 exec, exec, s[2:3]
	v_cmp_eq_u32_e32 vcc, 47, v4
	s_waitcnt lgkmcnt(0)
	s_barrier
	s_and_saveexec_b64 s[2:3], vcc
	s_cbranch_execz .LBB99_239
; %bb.237:
	s_waitcnt vmcnt(55)
	v_mov_b32_e32 v0, v152
	v_mov_b32_e32 v1, v153
	ds_write_b64 v5, v[104:105]
	s_waitcnt vmcnt(54)
	ds_write2_b64 v6, v[0:1], v[200:201] offset0:48 offset1:49
	ds_read_b64 v[0:1], v5
	s_waitcnt lgkmcnt(0)
	v_cmp_neq_f64_e32 vcc, 0, v[0:1]
	s_and_b64 exec, exec, vcc
	s_cbranch_execz .LBB99_239
; %bb.238:
	v_div_scale_f64 v[8:9], s[6:7], v[0:1], v[0:1], 1.0
	v_rcp_f64_e32 v[10:11], v[8:9]
	v_div_scale_f64 v[240:241], vcc, 1.0, v[0:1], 1.0
	v_fma_f64 v[242:243], -v[8:9], v[10:11], 1.0
	v_fmac_f64_e32 v[10:11], v[10:11], v[242:243]
	v_fma_f64 v[242:243], -v[8:9], v[10:11], 1.0
	v_fmac_f64_e32 v[10:11], v[10:11], v[242:243]
	v_mul_f64 v[242:243], v[240:241], v[10:11]
	v_fma_f64 v[8:9], -v[8:9], v[242:243], v[240:241]
	v_div_fmas_f64 v[8:9], v[8:9], v[10:11], v[242:243]
	v_div_fixup_f64 v[0:1], v[8:9], v[0:1], 1.0
	ds_write_b64 v5, v[0:1]
.LBB99_239:
	s_or_b64 exec, exec, s[2:3]
	s_waitcnt lgkmcnt(0)
	s_barrier
	ds_read_b64 v[240:241], v5
	v_cmp_lt_u32_e32 vcc, 47, v4
	s_and_saveexec_b64 s[2:3], vcc
	s_cbranch_execz .LBB99_241
; %bb.240:
	ds_read2_b64 v[8:11], v6 offset0:48 offset1:49
	s_waitcnt vmcnt(56) lgkmcnt(1)
	v_mul_f64 v[104:105], v[240:241], v[104:105]
	s_waitcnt vmcnt(55) lgkmcnt(0)
	v_fma_f64 v[152:153], -v[104:105], v[8:9], v[152:153]
	s_waitcnt vmcnt(54)
	v_fma_f64 v[200:201], -v[104:105], v[10:11], v[200:201]
.LBB99_241:
	s_or_b64 exec, exec, s[2:3]
	v_cmp_eq_u32_e32 vcc, 48, v4
	s_waitcnt lgkmcnt(0)
	s_barrier
	s_and_saveexec_b64 s[2:3], vcc
	s_cbranch_execz .LBB99_244
; %bb.242:
	s_waitcnt vmcnt(55)
	ds_write_b64 v5, v[152:153]
	s_waitcnt vmcnt(54)
	ds_write_b64 v6, v[200:201] offset:392
	ds_read_b64 v[0:1], v5
	s_waitcnt lgkmcnt(0)
	v_cmp_neq_f64_e32 vcc, 0, v[0:1]
	s_and_b64 exec, exec, vcc
	s_cbranch_execz .LBB99_244
; %bb.243:
	v_div_scale_f64 v[8:9], s[6:7], v[0:1], v[0:1], 1.0
	v_rcp_f64_e32 v[10:11], v[8:9]
	v_pk_mov_b32 v[2:3], v[186:187], v[186:187] op_sel:[0,1]
	v_pk_mov_b32 v[186:187], v[138:139], v[138:139] op_sel:[0,1]
	;; [unrolled: 1-line block ×82, first 2 shown]
	v_fma_f64 v[12:13], -v[8:9], v[10:11], 1.0
	v_fmac_f64_e32 v[10:11], v[10:11], v[12:13]
	v_fma_f64 v[12:13], -v[8:9], v[10:11], 1.0
	v_div_scale_f64 v[242:243], vcc, 1.0, v[0:1], 1.0
	v_fmac_f64_e32 v[10:11], v[10:11], v[12:13]
	v_mul_f64 v[12:13], v[242:243], v[10:11]
	v_fma_f64 v[8:9], -v[8:9], v[12:13], v[242:243]
	s_nop 0
	v_div_fmas_f64 v[8:9], v[8:9], v[10:11], v[12:13]
	v_pk_mov_b32 v[12:13], v[14:15], v[14:15] op_sel:[0,1]
	v_pk_mov_b32 v[14:15], v[16:17], v[16:17] op_sel:[0,1]
	;; [unrolled: 1-line block ×82, first 2 shown]
	v_div_fixup_f64 v[0:1], v[8:9], v[0:1], 1.0
	ds_write_b64 v5, v[0:1]
.LBB99_244:
	s_or_b64 exec, exec, s[2:3]
	s_waitcnt lgkmcnt(0)
	s_barrier
	ds_read_b64 v[242:243], v5
	v_cmp_lt_u32_e32 vcc, 48, v4
	s_and_saveexec_b64 s[2:3], vcc
	s_cbranch_execz .LBB99_246
; %bb.245:
	ds_read_b64 v[0:1], v6 offset:392
	s_waitcnt vmcnt(55) lgkmcnt(1)
	v_mul_f64 v[152:153], v[242:243], v[152:153]
	s_waitcnt vmcnt(54) lgkmcnt(0)
	v_fma_f64 v[200:201], -v[152:153], v[0:1], v[200:201]
.LBB99_246:
	s_or_b64 exec, exec, s[2:3]
	v_cmp_eq_u32_e32 vcc, 49, v4
	s_waitcnt lgkmcnt(0)
	s_barrier
	s_and_saveexec_b64 s[2:3], vcc
	s_cbranch_execz .LBB99_249
; %bb.247:
	s_waitcnt vmcnt(54)
	v_cmp_neq_f64_e32 vcc, 0, v[200:201]
	ds_write_b64 v5, v[200:201]
	s_and_b64 exec, exec, vcc
	s_cbranch_execz .LBB99_249
; %bb.248:
	v_div_scale_f64 v[0:1], s[6:7], v[200:201], v[200:201], 1.0
	v_rcp_f64_e32 v[6:7], v[0:1]
	v_div_scale_f64 v[8:9], vcc, 1.0, v[200:201], 1.0
	v_fma_f64 v[10:11], -v[0:1], v[6:7], 1.0
	v_fmac_f64_e32 v[6:7], v[6:7], v[10:11]
	v_fma_f64 v[10:11], -v[0:1], v[6:7], 1.0
	v_fmac_f64_e32 v[6:7], v[6:7], v[10:11]
	v_mul_f64 v[10:11], v[8:9], v[6:7]
	v_fma_f64 v[0:1], -v[0:1], v[10:11], v[8:9]
	v_div_fmas_f64 v[0:1], v[0:1], v[6:7], v[10:11]
	v_div_fixup_f64 v[0:1], v[0:1], v[200:201], 1.0
	ds_write_b64 v5, v[0:1]
.LBB99_249:
	s_or_b64 exec, exec, s[2:3]
	s_waitcnt lgkmcnt(0)
	s_barrier
	ds_read_b64 v[0:1], v5
	s_waitcnt lgkmcnt(0)
	s_barrier
	s_and_saveexec_b64 s[2:3], s[0:1]
	s_cbranch_execz .LBB99_252
; %bb.250:
	buffer_load_dword v6, off, s[16:19], 0  ; 4-byte Folded Reload
	buffer_load_dword v7, off, s[16:19], 0 offset:4 ; 4-byte Folded Reload
	v_cmp_eq_f64_e32 vcc, 0, v[254:255]
	v_cndmask_b32_e64 v5, 0, 1, vcc
	s_load_dwordx2 s[4:5], s[4:5], 0x28
	s_waitcnt lgkmcnt(0)
	v_mov_b32_e32 v8, s5
	s_waitcnt vmcnt(0)
	v_cmp_neq_f64_e64 s[0:1], 0, v[6:7]
	buffer_load_dword v6, off, s[16:19], 0 offset:8 ; 4-byte Folded Reload
	buffer_load_dword v7, off, s[16:19], 0 offset:12 ; 4-byte Folded Reload
	s_or_b64 vcc, s[0:1], vcc
	v_cndmask_b32_e32 v5, 2, v5, vcc
	v_cmp_eq_u32_e64 s[0:1], 0, v5
	s_waitcnt vmcnt(0)
	v_cmp_eq_f64_e32 vcc, 0, v[6:7]
	buffer_load_dword v6, off, s[16:19], 0 offset:16 ; 4-byte Folded Reload
	buffer_load_dword v7, off, s[16:19], 0 offset:20 ; 4-byte Folded Reload
	s_and_b64 s[0:1], vcc, s[0:1]
	v_cndmask_b32_e64 v5, v5, 3, s[0:1]
	v_cmp_eq_u32_e64 s[0:1], 0, v5
	s_waitcnt vmcnt(0)
	v_cmp_eq_f64_e32 vcc, 0, v[6:7]
	buffer_load_dword v6, off, s[16:19], 0 offset:24 ; 4-byte Folded Reload
	buffer_load_dword v7, off, s[16:19], 0 offset:28 ; 4-byte Folded Reload
	s_and_b64 s[0:1], vcc, s[0:1]
	v_cndmask_b32_e64 v5, v5, 4, s[0:1]
	;; [unrolled: 7-line block ×23, first 2 shown]
	v_cmp_eq_f64_e32 vcc, 0, v[202:203]
	v_cmp_eq_u32_e64 s[0:1], 0, v5
	s_and_b64 s[0:1], vcc, s[0:1]
	v_cndmask_b32_e64 v5, v5, 26, s[0:1]
	v_cmp_eq_f64_e32 vcc, 0, v[204:205]
	v_cmp_eq_u32_e64 s[0:1], 0, v5
	s_and_b64 s[0:1], vcc, s[0:1]
	v_cndmask_b32_e64 v5, v5, 27, s[0:1]
	;; [unrolled: 4-line block ×5, first 2 shown]
	v_cmp_eq_f64_e32 vcc, 0, v[212:213]
	s_waitcnt vmcnt(0)
	v_lshlrev_b64 v[6:7], 2, v[6:7]
	v_add_co_u32_e64 v202, s[0:1], s4, v6
	v_addc_co_u32_e64 v203, s[0:1], v8, v7, s[0:1]
	global_load_dword v6, v[202:203], off
	buffer_load_dword v2, off, s[16:19], 0 offset:192 ; 4-byte Folded Reload
	buffer_load_dword v3, off, s[16:19], 0 offset:196 ; 4-byte Folded Reload
	v_cmp_eq_u32_e64 s[0:1], 0, v5
	s_and_b64 s[0:1], vcc, s[0:1]
	v_cndmask_b32_e64 v5, v5, 31, s[0:1]
	v_cmp_eq_f64_e32 vcc, 0, v[214:215]
	v_cmp_eq_u32_e64 s[0:1], 0, v5
	s_and_b64 s[0:1], vcc, s[0:1]
	v_cndmask_b32_e64 v5, v5, 32, s[0:1]
	v_cmp_eq_f64_e32 vcc, 0, v[216:217]
	;; [unrolled: 4-line block ×10, first 2 shown]
	v_cmp_eq_u32_e64 s[0:1], 0, v5
	s_and_b64 s[0:1], vcc, s[0:1]
	v_cndmask_b32_e64 v5, v5, 41, s[0:1]
	v_cmp_eq_u32_e64 s[0:1], 0, v5
	s_waitcnt vmcnt(0)
	v_cmp_eq_f64_e32 vcc, 0, v[2:3]
	buffer_load_dword v2, off, s[16:19], 0 offset:200 ; 4-byte Folded Reload
	buffer_load_dword v3, off, s[16:19], 0 offset:204 ; 4-byte Folded Reload
	s_and_b64 s[0:1], vcc, s[0:1]
	v_cndmask_b32_e64 v5, v5, 42, s[0:1]
	v_cmp_eq_u32_e64 s[0:1], 0, v5
	s_waitcnt vmcnt(0)
	v_cmp_eq_f64_e32 vcc, 0, v[2:3]
	buffer_load_dword v2, off, s[16:19], 0 offset:216 ; 4-byte Folded Reload
	buffer_load_dword v3, off, s[16:19], 0 offset:220 ; 4-byte Folded Reload
	s_and_b64 s[0:1], vcc, s[0:1]
	v_cndmask_b32_e64 v5, v5, 43, s[0:1]
	v_cmp_eq_u32_e64 s[0:1], 0, v5
	s_waitcnt vmcnt(0)
	v_cmp_eq_f64_e32 vcc, 0, v[2:3]
	s_and_b64 s[0:1], vcc, s[0:1]
	v_cndmask_b32_e64 v2, v5, 44, s[0:1]
	v_cmp_eq_f64_e32 vcc, 0, v[234:235]
	v_cmp_eq_u32_e64 s[0:1], 0, v2
	s_and_b64 s[0:1], vcc, s[0:1]
	v_cndmask_b32_e64 v2, v2, 45, s[0:1]
	v_cmp_eq_f64_e32 vcc, 0, v[236:237]
	v_cmp_eq_u32_e64 s[0:1], 0, v2
	;; [unrolled: 4-line block ×6, first 2 shown]
	s_and_b64 s[0:1], vcc, s[0:1]
	v_cndmask_b32_e64 v2, v2, 50, s[0:1]
	v_cmp_eq_u32_e32 vcc, 0, v6
	v_cmp_ne_u32_e64 s[0:1], 0, v2
	s_and_b64 s[0:1], vcc, s[0:1]
	s_and_b64 exec, exec, s[0:1]
	s_cbranch_execz .LBB99_252
; %bb.251:
	v_add_u32_e32 v2, s9, v2
	global_store_dword v[202:203], v2, off
.LBB99_252:
	s_or_b64 exec, exec, s[2:3]
	s_waitcnt vmcnt(54)
	v_mul_f64 v[0:1], v[0:1], v[200:201]
	v_cmp_lt_u32_e32 vcc, 49, v4
	v_cndmask_b32_e32 v1, v201, v1, vcc
	v_cndmask_b32_e32 v0, v200, v0, vcc
	global_store_dwordx2 v[98:99], v[102:103], off
	global_store_dwordx2 v[252:253], v[150:151], off
	;; [unrolled: 1-line block ×50, first 2 shown]
.LBB99_253:
	s_endpgm
	.section	.rodata,"a",@progbits
	.p2align	6, 0x0
	.amdhsa_kernel _ZN9rocsolver6v33100L23getf2_npvt_small_kernelILi50EdiiPKPdEEvT1_T3_lS5_lPT2_S5_S5_
		.amdhsa_group_segment_fixed_size 0
		.amdhsa_private_segment_fixed_size 228
		.amdhsa_kernarg_size 312
		.amdhsa_user_sgpr_count 6
		.amdhsa_user_sgpr_private_segment_buffer 1
		.amdhsa_user_sgpr_dispatch_ptr 0
		.amdhsa_user_sgpr_queue_ptr 0
		.amdhsa_user_sgpr_kernarg_segment_ptr 1
		.amdhsa_user_sgpr_dispatch_id 0
		.amdhsa_user_sgpr_flat_scratch_init 0
		.amdhsa_user_sgpr_kernarg_preload_length 0
		.amdhsa_user_sgpr_kernarg_preload_offset 0
		.amdhsa_user_sgpr_private_segment_size 0
		.amdhsa_uses_dynamic_stack 0
		.amdhsa_system_sgpr_private_segment_wavefront_offset 1
		.amdhsa_system_sgpr_workgroup_id_x 1
		.amdhsa_system_sgpr_workgroup_id_y 1
		.amdhsa_system_sgpr_workgroup_id_z 0
		.amdhsa_system_sgpr_workgroup_info 0
		.amdhsa_system_vgpr_workitem_id 1
		.amdhsa_next_free_vgpr 256
		.amdhsa_next_free_sgpr 20
		.amdhsa_accum_offset 256
		.amdhsa_reserve_vcc 1
		.amdhsa_reserve_flat_scratch 0
		.amdhsa_float_round_mode_32 0
		.amdhsa_float_round_mode_16_64 0
		.amdhsa_float_denorm_mode_32 3
		.amdhsa_float_denorm_mode_16_64 3
		.amdhsa_dx10_clamp 1
		.amdhsa_ieee_mode 1
		.amdhsa_fp16_overflow 0
		.amdhsa_tg_split 0
		.amdhsa_exception_fp_ieee_invalid_op 0
		.amdhsa_exception_fp_denorm_src 0
		.amdhsa_exception_fp_ieee_div_zero 0
		.amdhsa_exception_fp_ieee_overflow 0
		.amdhsa_exception_fp_ieee_underflow 0
		.amdhsa_exception_fp_ieee_inexact 0
		.amdhsa_exception_int_div_zero 0
	.end_amdhsa_kernel
	.section	.text._ZN9rocsolver6v33100L23getf2_npvt_small_kernelILi50EdiiPKPdEEvT1_T3_lS5_lPT2_S5_S5_,"axG",@progbits,_ZN9rocsolver6v33100L23getf2_npvt_small_kernelILi50EdiiPKPdEEvT1_T3_lS5_lPT2_S5_S5_,comdat
.Lfunc_end99:
	.size	_ZN9rocsolver6v33100L23getf2_npvt_small_kernelILi50EdiiPKPdEEvT1_T3_lS5_lPT2_S5_S5_, .Lfunc_end99-_ZN9rocsolver6v33100L23getf2_npvt_small_kernelILi50EdiiPKPdEEvT1_T3_lS5_lPT2_S5_S5_
                                        ; -- End function
	.section	.AMDGPU.csdata,"",@progbits
; Kernel info:
; codeLenInByte = 47636
; NumSgprs: 24
; NumVgprs: 256
; NumAgprs: 0
; TotalNumVgprs: 256
; ScratchSize: 228
; MemoryBound: 0
; FloatMode: 240
; IeeeMode: 1
; LDSByteSize: 0 bytes/workgroup (compile time only)
; SGPRBlocks: 2
; VGPRBlocks: 31
; NumSGPRsForWavesPerEU: 24
; NumVGPRsForWavesPerEU: 256
; AccumOffset: 256
; Occupancy: 2
; WaveLimiterHint : 1
; COMPUTE_PGM_RSRC2:SCRATCH_EN: 1
; COMPUTE_PGM_RSRC2:USER_SGPR: 6
; COMPUTE_PGM_RSRC2:TRAP_HANDLER: 0
; COMPUTE_PGM_RSRC2:TGID_X_EN: 1
; COMPUTE_PGM_RSRC2:TGID_Y_EN: 1
; COMPUTE_PGM_RSRC2:TGID_Z_EN: 0
; COMPUTE_PGM_RSRC2:TIDIG_COMP_CNT: 1
; COMPUTE_PGM_RSRC3_GFX90A:ACCUM_OFFSET: 63
; COMPUTE_PGM_RSRC3_GFX90A:TG_SPLIT: 0
	.section	.text._ZN9rocsolver6v33100L18getf2_small_kernelILi51EdiiPKPdEEvT1_T3_lS5_lPS5_llPT2_S5_S5_S7_l,"axG",@progbits,_ZN9rocsolver6v33100L18getf2_small_kernelILi51EdiiPKPdEEvT1_T3_lS5_lPS5_llPT2_S5_S5_S7_l,comdat
	.globl	_ZN9rocsolver6v33100L18getf2_small_kernelILi51EdiiPKPdEEvT1_T3_lS5_lPS5_llPT2_S5_S5_S7_l ; -- Begin function _ZN9rocsolver6v33100L18getf2_small_kernelILi51EdiiPKPdEEvT1_T3_lS5_lPS5_llPT2_S5_S5_S7_l
	.p2align	8
	.type	_ZN9rocsolver6v33100L18getf2_small_kernelILi51EdiiPKPdEEvT1_T3_lS5_lPS5_llPT2_S5_S5_S7_l,@function
_ZN9rocsolver6v33100L18getf2_small_kernelILi51EdiiPKPdEEvT1_T3_lS5_lPS5_llPT2_S5_S5_S7_l: ; @_ZN9rocsolver6v33100L18getf2_small_kernelILi51EdiiPKPdEEvT1_T3_lS5_lPS5_llPT2_S5_S5_S7_l
; %bb.0:
	s_load_dword s0, s[4:5], 0x6c
	s_load_dwordx2 s[12:13], s[4:5], 0x48
	v_bfe_u32 v106, v0, 10, 10
	s_waitcnt lgkmcnt(0)
	s_lshr_b32 s0, s0, 16
	s_mul_i32 s7, s7, s0
	v_add_u32_e32 v2, s7, v106
	v_cmp_gt_i32_e32 vcc, s12, v2
	s_and_saveexec_b64 s[0:1], vcc
	s_cbranch_execz .LBB100_864
; %bb.1:
	s_load_dwordx4 s[0:3], s[4:5], 0x8
	s_load_dwordx4 s[8:11], s[4:5], 0x50
	v_ashrrev_i32_e32 v3, 31, v2
	v_lshlrev_b64 v[4:5], 3, v[2:3]
	s_waitcnt lgkmcnt(0)
	v_mov_b32_e32 v1, s1
	v_add_co_u32_e32 v4, vcc, s0, v4
	v_addc_co_u32_e32 v5, vcc, v1, v5, vcc
	global_load_dwordx2 v[6:7], v[4:5], off
	s_cmp_eq_u64 s[8:9], 0
	s_cselect_b64 s[6:7], -1, 0
	s_and_b64 vcc, exec, s[6:7]
	v_pk_mov_b32 v[4:5], 0, 0
	s_cbranch_vccnz .LBB100_3
; %bb.2:
	v_mul_lo_u32 v1, v3, s10
	v_mul_lo_u32 v8, v2, s11
	v_mad_u64_u32 v[4:5], s[0:1], v2, s10, 0
	v_add3_u32 v5, v5, v8, v1
	v_lshlrev_b64 v[4:5], 2, v[4:5]
	v_mov_b32_e32 v1, s9
	v_add_co_u32_e32 v4, vcc, s8, v4
	v_addc_co_u32_e32 v5, vcc, v1, v5, vcc
.LBB100_3:
	s_load_dword s8, s[4:5], 0x18
	s_load_dword s18, s[4:5], 0x0
	s_lshl_b64 s[0:1], s[2:3], 3
	v_and_b32_e32 v114, 0x3ff, v0
	v_mov_b32_e32 v1, s1
	s_waitcnt lgkmcnt(0)
	s_add_i32 s12, s8, s8
	s_waitcnt vmcnt(0)
	v_add_co_u32_e32 v112, vcc, s0, v6
	v_add_u32_e32 v6, s12, v114
	v_addc_co_u32_e32 v113, vcc, v7, v1, vcc
	v_ashrrev_i32_e32 v7, 31, v6
	v_lshlrev_b64 v[0:1], 3, v[6:7]
	v_add_u32_e32 v8, s8, v6
	v_add_co_u32_e32 v0, vcc, v112, v0
	v_ashrrev_i32_e32 v9, 31, v8
	v_addc_co_u32_e32 v1, vcc, v113, v1, vcc
	v_lshlrev_b64 v[6:7], 3, v[8:9]
	v_add_u32_e32 v10, s8, v8
	v_add_co_u32_e32 v6, vcc, v112, v6
	v_ashrrev_i32_e32 v11, 31, v10
	v_addc_co_u32_e32 v7, vcc, v113, v7, vcc
	;; [unrolled: 5-line block ×48, first 2 shown]
	v_lshlrev_b64 v[18:19], 3, v[18:19]
	v_add_co_u32_e32 v162, vcc, v112, v18
	v_addc_co_u32_e32 v163, vcc, v113, v19, vcc
	v_lshlrev_b32_e32 v107, 3, v114
	v_add_co_u32_e32 v18, vcc, v112, v107
	s_ashr_i32 s9, s8, 31
	v_addc_co_u32_e32 v19, vcc, 0, v113, vcc
	s_lshl_b64 s[10:11], s[8:9], 3
	v_mov_b32_e32 v51, s11
	v_add_co_u32_e32 v50, vcc, s10, v18
	v_addc_co_u32_e32 v51, vcc, v19, v51, vcc
	s_max_i32 s0, s18, 51
	global_load_dwordx2 v[100:101], v[18:19], off
	global_load_dwordx2 v[102:103], v[50:51], off
	;; [unrolled: 1-line block ×8, first 2 shown]
                                        ; kill: killed $vgpr16 killed $vgpr17
                                        ; kill: killed $vgpr18 killed $vgpr19
                                        ; kill: killed $vgpr0 killed $vgpr1
                                        ; kill: killed $vgpr50 killed $vgpr51
                                        ; kill: killed $vgpr8 killed $vgpr9
                                        ; kill: killed $vgpr14 killed $vgpr15
                                        ; kill: killed $vgpr6 killed $vgpr7
                                        ; kill: killed $vgpr10 killed $vgpr11
	global_load_dwordx2 v[86:87], v[12:13], off
	global_load_dwordx2 v[84:85], v[20:21], off
	;; [unrolled: 1-line block ×8, first 2 shown]
                                        ; kill: killed $vgpr20 killed $vgpr21
                                        ; kill: killed $vgpr24 killed $vgpr25
                                        ; kill: killed $vgpr28 killed $vgpr29
                                        ; kill: killed $vgpr32 killed $vgpr33
                                        ; kill: killed $vgpr12 killed $vgpr13
                                        ; kill: killed $vgpr22 killed $vgpr23
                                        ; kill: killed $vgpr26 killed $vgpr27
                                        ; kill: killed $vgpr30 killed $vgpr31
	global_load_dwordx2 v[70:71], v[34:35], off
	global_load_dwordx2 v[68:69], v[36:37], off
	global_load_dwordx2 v[66:67], v[38:39], off
	global_load_dwordx2 v[64:65], v[40:41], off
	global_load_dwordx2 v[62:63], v[42:43], off
	global_load_dwordx2 v[60:61], v[44:45], off
	global_load_dwordx2 v[58:59], v[46:47], off
	global_load_dwordx2 v[56:57], v[48:49], off
                                        ; kill: killed $vgpr46 killed $vgpr47
                                        ; kill: killed $vgpr36 killed $vgpr37
                                        ; kill: killed $vgpr40 killed $vgpr41
                                        ; kill: killed $vgpr44 killed $vgpr45
                                        ; kill: killed $vgpr48 killed $vgpr49
                                        ; kill: killed $vgpr34 killed $vgpr35
                                        ; kill: killed $vgpr38 killed $vgpr39
                                        ; kill: killed $vgpr42 killed $vgpr43
	global_load_dwordx2 v[54:55], v[104:105], off
	global_load_dwordx2 v[52:53], v[108:109], off
	;; [unrolled: 1-line block ×3, first 2 shown]
	s_nop 0
	global_load_dwordx2 v[48:49], v[116:117], off
	global_load_dwordx2 v[46:47], v[118:119], off
	global_load_dwordx2 v[44:45], v[120:121], off
	global_load_dwordx2 v[42:43], v[122:123], off
	global_load_dwordx2 v[40:41], v[124:125], off
                                        ; kill: killed $vgpr104 killed $vgpr105
                                        ; kill: killed $vgpr110 killed $vgpr111
                                        ; kill: killed $vgpr118 killed $vgpr119
                                        ; kill: killed $vgpr122 killed $vgpr123
                                        ; kill: killed $vgpr108 killed $vgpr109
                                        ; kill: killed $vgpr116 killed $vgpr117
                                        ; kill: killed $vgpr120 killed $vgpr121
                                        ; kill: killed $vgpr124 killed $vgpr125
	global_load_dwordx2 v[38:39], v[126:127], off
	global_load_dwordx2 v[36:37], v[128:129], off
	;; [unrolled: 1-line block ×8, first 2 shown]
                                        ; kill: killed $vgpr140 killed $vgpr141
                                        ; kill: killed $vgpr126 killed $vgpr127
                                        ; kill: killed $vgpr130 killed $vgpr131
                                        ; kill: killed $vgpr134 killed $vgpr135
                                        ; kill: killed $vgpr138 killed $vgpr139
                                        ; kill: killed $vgpr128 killed $vgpr129
                                        ; kill: killed $vgpr132 killed $vgpr133
                                        ; kill: killed $vgpr136 killed $vgpr137
	global_load_dwordx2 v[22:23], v[142:143], off
	global_load_dwordx2 v[20:21], v[144:145], off
	;; [unrolled: 1-line block ×8, first 2 shown]
                                        ; kill: killed $vgpr144 killed $vgpr145
                                        ; kill: killed $vgpr148 killed $vgpr149
                                        ; kill: killed $vgpr152 killed $vgpr153
                                        ; kill: killed $vgpr156 killed $vgpr157
                                        ; kill: killed $vgpr142 killed $vgpr143
                                        ; kill: killed $vgpr146 killed $vgpr147
                                        ; kill: killed $vgpr150 killed $vgpr151
                                        ; kill: killed $vgpr154 killed $vgpr155
	global_load_dwordx2 v[6:7], v[158:159], off
	global_load_dwordx2 v[0:1], v[160:161], off
	;; [unrolled: 1-line block ×3, first 2 shown]
	v_mul_lo_u32 v108, s0, v106
	v_lshl_add_u32 v110, v108, 3, 0
	v_add_u32_e32 v106, v110, v107
	s_waitcnt vmcnt(50)
	ds_write_b64 v106, v[100:101]
	s_waitcnt lgkmcnt(0)
	s_barrier
	ds_read_b64 v[106:107], v110
	s_cmp_lt_i32 s18, 2
	v_lshlrev_b32_e32 v115, 3, v108
	v_mov_b32_e32 v108, 0
	s_cbranch_scc1 .LBB100_6
; %bb.4:
	v_add3_u32 v109, v115, 0, 8
	s_mov_b32 s0, 1
	v_mov_b32_e32 v108, 0
.LBB100_5:                              ; =>This Inner Loop Header: Depth=1
	ds_read_b64 v[116:117], v109
	v_mov_b32_e32 v111, s0
	s_add_i32 s0, s0, 1
	v_add_u32_e32 v109, 8, v109
	s_cmp_eq_u32 s18, s0
	s_waitcnt lgkmcnt(0)
	v_cmp_lt_f64_e64 vcc, |v[106:107]|, |v[116:117]|
	v_cndmask_b32_e32 v107, v107, v117, vcc
	v_cndmask_b32_e32 v106, v106, v116, vcc
	;; [unrolled: 1-line block ×3, first 2 shown]
	s_cbranch_scc0 .LBB100_5
.LBB100_6:
	v_cmp_ne_u32_e32 vcc, v114, v108
                                        ; implicit-def: $vgpr111
	s_and_saveexec_b64 s[0:1], vcc
	s_xor_b64 s[0:1], exec, s[0:1]
	s_cbranch_execz .LBB100_12
; %bb.7:
	v_cmp_eq_u32_e32 vcc, 0, v114
	s_and_saveexec_b64 s[2:3], vcc
	s_cbranch_execz .LBB100_11
; %bb.8:
	v_cmp_ne_u32_e32 vcc, 0, v108
	s_xor_b64 s[14:15], s[6:7], -1
	s_and_b64 s[16:17], s[14:15], vcc
	s_and_saveexec_b64 s[14:15], s[16:17]
	s_cbranch_execz .LBB100_10
; %bb.9:
	v_ashrrev_i32_e32 v109, 31, v108
	v_lshlrev_b64 v[116:117], 2, v[108:109]
	v_add_co_u32_e32 v116, vcc, v4, v116
	v_addc_co_u32_e32 v117, vcc, v5, v117, vcc
	flat_load_dword v109, v[116:117]
	flat_load_dword v111, v[4:5]
	s_waitcnt vmcnt(0) lgkmcnt(0)
	flat_store_dword v[4:5], v109
	flat_store_dword v[116:117], v111
.LBB100_10:
	s_or_b64 exec, exec, s[14:15]
	v_mov_b32_e32 v114, v108
.LBB100_11:
	s_or_b64 exec, exec, s[2:3]
	v_mov_b32_e32 v111, v114
                                        ; implicit-def: $vgpr114
.LBB100_12:
	s_or_saveexec_b64 s[0:1], s[0:1]
	v_mov_b32_e32 v109, v111
	s_xor_b64 exec, exec, s[0:1]
	s_cbranch_execz .LBB100_14
; %bb.13:
	v_mov_b32_e32 v111, 0
	v_mov_b32_e32 v109, v114
	s_waitcnt vmcnt(0)
	ds_write2_b64 v110, v[102:103], v[98:99] offset0:1 offset1:2
	ds_write2_b64 v110, v[96:97], v[94:95] offset0:3 offset1:4
	;; [unrolled: 1-line block ×25, first 2 shown]
.LBB100_14:
	s_or_b64 exec, exec, s[0:1]
	s_waitcnt lgkmcnt(0)
	v_cmp_eq_f64_e64 s[0:1], 0, v[106:107]
	v_cmp_lt_i32_e32 vcc, 0, v111
	s_barrier
	s_and_saveexec_b64 s[2:3], vcc
	s_cbranch_execz .LBB100_16
; %bb.15:
	v_div_scale_f64 v[116:117], s[14:15], v[106:107], v[106:107], 1.0
	v_rcp_f64_e32 v[118:119], v[116:117]
	v_div_scale_f64 v[120:121], vcc, 1.0, v[106:107], 1.0
	ds_read2_b64 v[124:127], v110 offset0:5 offset1:6
	v_fma_f64 v[122:123], -v[116:117], v[118:119], 1.0
	v_fmac_f64_e32 v[118:119], v[118:119], v[122:123]
	v_fma_f64 v[122:123], -v[116:117], v[118:119], 1.0
	v_fmac_f64_e32 v[118:119], v[118:119], v[122:123]
	v_mul_f64 v[122:123], v[120:121], v[118:119]
	v_fma_f64 v[116:117], -v[116:117], v[122:123], v[120:121]
	v_div_fmas_f64 v[116:117], v[116:117], v[118:119], v[122:123]
	v_div_fixup_f64 v[120:121], v[116:117], v[106:107], 1.0
	ds_read2_b64 v[116:119], v110 offset0:1 offset1:2
	v_cndmask_b32_e64 v107, v121, v107, s[0:1]
	v_cndmask_b32_e64 v106, v120, v106, s[0:1]
	ds_read2_b64 v[120:123], v110 offset0:3 offset1:4
	v_mul_f64 v[100:101], v[106:107], v[100:101]
	s_waitcnt vmcnt(0) lgkmcnt(0)
	v_fma_f64 v[102:103], -v[100:101], v[116:117], v[102:103]
	v_fma_f64 v[98:99], -v[100:101], v[118:119], v[98:99]
	ds_read2_b64 v[116:119], v110 offset0:7 offset1:8
	v_fma_f64 v[96:97], -v[100:101], v[120:121], v[96:97]
	v_fma_f64 v[94:95], -v[100:101], v[122:123], v[94:95]
	;; [unrolled: 1-line block ×3, first 2 shown]
	ds_read2_b64 v[120:123], v110 offset0:9 offset1:10
	v_fma_f64 v[90:91], -v[100:101], v[126:127], v[90:91]
	ds_read2_b64 v[124:127], v110 offset0:11 offset1:12
	s_waitcnt lgkmcnt(2)
	v_fma_f64 v[88:89], -v[100:101], v[116:117], v[88:89]
	v_fma_f64 v[86:87], -v[100:101], v[118:119], v[86:87]
	ds_read2_b64 v[116:119], v110 offset0:13 offset1:14
	s_waitcnt lgkmcnt(2)
	v_fma_f64 v[84:85], -v[100:101], v[120:121], v[84:85]
	v_fma_f64 v[82:83], -v[100:101], v[122:123], v[82:83]
	ds_read2_b64 v[120:123], v110 offset0:15 offset1:16
	s_waitcnt lgkmcnt(2)
	v_fma_f64 v[80:81], -v[100:101], v[124:125], v[80:81]
	v_fma_f64 v[78:79], -v[100:101], v[126:127], v[78:79]
	s_waitcnt lgkmcnt(1)
	v_fma_f64 v[76:77], -v[100:101], v[116:117], v[76:77]
	ds_read2_b64 v[124:127], v110 offset0:17 offset1:18
	v_fma_f64 v[74:75], -v[100:101], v[118:119], v[74:75]
	ds_read2_b64 v[116:119], v110 offset0:19 offset1:20
	s_waitcnt lgkmcnt(2)
	v_fma_f64 v[72:73], -v[100:101], v[120:121], v[72:73]
	v_fma_f64 v[70:71], -v[100:101], v[122:123], v[70:71]
	s_waitcnt lgkmcnt(1)
	v_fma_f64 v[68:69], -v[100:101], v[124:125], v[68:69]
	ds_read2_b64 v[120:123], v110 offset0:21 offset1:22
	v_fma_f64 v[66:67], -v[100:101], v[126:127], v[66:67]
	ds_read2_b64 v[124:127], v110 offset0:23 offset1:24
	s_waitcnt lgkmcnt(2)
	v_fma_f64 v[64:65], -v[100:101], v[116:117], v[64:65]
	v_fma_f64 v[62:63], -v[100:101], v[118:119], v[62:63]
	ds_read2_b64 v[116:119], v110 offset0:25 offset1:26
	s_waitcnt lgkmcnt(2)
	v_fma_f64 v[60:61], -v[100:101], v[120:121], v[60:61]
	v_fma_f64 v[58:59], -v[100:101], v[122:123], v[58:59]
	ds_read2_b64 v[120:123], v110 offset0:27 offset1:28
	s_waitcnt lgkmcnt(2)
	v_fma_f64 v[56:57], -v[100:101], v[124:125], v[56:57]
	v_fma_f64 v[54:55], -v[100:101], v[126:127], v[54:55]
	s_waitcnt lgkmcnt(1)
	v_fma_f64 v[52:53], -v[100:101], v[116:117], v[52:53]
	ds_read2_b64 v[124:127], v110 offset0:29 offset1:30
	v_fma_f64 v[50:51], -v[100:101], v[118:119], v[50:51]
	ds_read2_b64 v[116:119], v110 offset0:31 offset1:32
	s_waitcnt lgkmcnt(2)
	v_fma_f64 v[48:49], -v[100:101], v[120:121], v[48:49]
	v_fma_f64 v[46:47], -v[100:101], v[122:123], v[46:47]
	s_waitcnt lgkmcnt(1)
	v_fma_f64 v[44:45], -v[100:101], v[124:125], v[44:45]
	;; [unrolled: 24-line block ×3, first 2 shown]
	v_fma_f64 v[18:19], -v[100:101], v[126:127], v[18:19]
	ds_read2_b64 v[120:123], v110 offset0:45 offset1:46
	ds_read2_b64 v[124:127], v110 offset0:47 offset1:48
	s_waitcnt lgkmcnt(2)
	v_fma_f64 v[16:17], -v[100:101], v[116:117], v[16:17]
	v_fma_f64 v[14:15], -v[100:101], v[118:119], v[14:15]
	ds_read2_b64 v[116:119], v110 offset0:49 offset1:50
	s_waitcnt lgkmcnt(2)
	v_fma_f64 v[12:13], -v[100:101], v[120:121], v[12:13]
	v_fma_f64 v[10:11], -v[100:101], v[122:123], v[10:11]
	s_waitcnt lgkmcnt(1)
	v_fma_f64 v[8:9], -v[100:101], v[124:125], v[8:9]
	v_fma_f64 v[6:7], -v[100:101], v[126:127], v[6:7]
	;; [unrolled: 3-line block ×3, first 2 shown]
.LBB100_16:
	s_or_b64 exec, exec, s[2:3]
	v_lshl_add_u32 v106, v111, 3, v110
	s_barrier
	s_waitcnt vmcnt(0)
	ds_write_b64 v106, v[102:103]
	s_waitcnt lgkmcnt(0)
	s_barrier
	ds_read_b64 v[106:107], v110 offset:8
	s_cmp_lt_i32 s18, 3
	v_mov_b32_e32 v108, 1
	s_cbranch_scc1 .LBB100_19
; %bb.17:
	v_add3_u32 v114, v115, 0, 16
	s_mov_b32 s2, 2
	v_mov_b32_e32 v108, 1
.LBB100_18:                             ; =>This Inner Loop Header: Depth=1
	ds_read_b64 v[116:117], v114
	v_mov_b32_e32 v118, s2
	s_add_i32 s2, s2, 1
	v_add_u32_e32 v114, 8, v114
	s_cmp_lg_u32 s18, s2
	s_waitcnt lgkmcnt(0)
	v_cmp_lt_f64_e64 vcc, |v[106:107]|, |v[116:117]|
	v_cndmask_b32_e32 v107, v107, v117, vcc
	v_cndmask_b32_e32 v106, v106, v116, vcc
	;; [unrolled: 1-line block ×3, first 2 shown]
	s_cbranch_scc1 .LBB100_18
.LBB100_19:
	v_cmp_ne_u32_e32 vcc, v111, v108
	s_and_saveexec_b64 s[2:3], vcc
	s_xor_b64 s[2:3], exec, s[2:3]
	s_cbranch_execz .LBB100_25
; %bb.20:
	v_cmp_eq_u32_e32 vcc, 1, v111
	s_and_saveexec_b64 s[14:15], vcc
	s_cbranch_execz .LBB100_24
; %bb.21:
	v_cmp_ne_u32_e32 vcc, 1, v108
	s_xor_b64 s[16:17], s[6:7], -1
	s_and_b64 s[20:21], s[16:17], vcc
	s_and_saveexec_b64 s[16:17], s[20:21]
	s_cbranch_execz .LBB100_23
; %bb.22:
	v_ashrrev_i32_e32 v109, 31, v108
	v_lshlrev_b64 v[116:117], 2, v[108:109]
	v_add_co_u32_e32 v116, vcc, v4, v116
	v_addc_co_u32_e32 v117, vcc, v5, v117, vcc
	flat_load_dword v109, v[116:117]
	flat_load_dword v111, v[4:5] offset:4
	s_waitcnt vmcnt(0) lgkmcnt(0)
	flat_store_dword v[4:5], v109 offset:4
	flat_store_dword v[116:117], v111
.LBB100_23:
	s_or_b64 exec, exec, s[16:17]
	v_mov_b32_e32 v109, v108
	v_mov_b32_e32 v111, v108
.LBB100_24:
	s_or_b64 exec, exec, s[14:15]
.LBB100_25:
	s_andn2_saveexec_b64 s[2:3], s[2:3]
	s_cbranch_execz .LBB100_27
; %bb.26:
	v_mov_b32_e32 v116, v98
	v_mov_b32_e32 v117, v99
	v_mov_b32_e32 v118, v96
	v_mov_b32_e32 v119, v97
	ds_write2_b64 v110, v[116:117], v[118:119] offset0:2 offset1:3
	v_mov_b32_e32 v116, v94
	v_mov_b32_e32 v117, v95
	v_mov_b32_e32 v118, v92
	v_mov_b32_e32 v119, v93
	ds_write2_b64 v110, v[116:117], v[118:119] offset0:4 offset1:5
	;; [unrolled: 5-line block ×23, first 2 shown]
	v_mov_b32_e32 v116, v6
	v_mov_b32_e32 v117, v7
	;; [unrolled: 1-line block ×5, first 2 shown]
	ds_write2_b64 v110, v[116:117], v[118:119] offset0:48 offset1:49
	ds_write_b64 v110, v[104:105] offset:400
.LBB100_27:
	s_or_b64 exec, exec, s[2:3]
	s_waitcnt lgkmcnt(0)
	v_cmp_neq_f64_e64 s[2:3], 0, v[106:107]
	v_cmp_lt_i32_e32 vcc, 1, v111
	s_barrier
	s_and_saveexec_b64 s[14:15], vcc
	s_cbranch_execz .LBB100_29
; %bb.28:
	v_div_scale_f64 v[116:117], s[16:17], v[106:107], v[106:107], 1.0
	v_rcp_f64_e32 v[118:119], v[116:117]
	v_div_scale_f64 v[120:121], vcc, 1.0, v[106:107], 1.0
	ds_read2_b64 v[124:127], v110 offset0:6 offset1:7
	v_fma_f64 v[122:123], -v[116:117], v[118:119], 1.0
	v_fmac_f64_e32 v[118:119], v[118:119], v[122:123]
	v_fma_f64 v[122:123], -v[116:117], v[118:119], 1.0
	v_fmac_f64_e32 v[118:119], v[118:119], v[122:123]
	v_mul_f64 v[122:123], v[120:121], v[118:119]
	v_fma_f64 v[116:117], -v[116:117], v[122:123], v[120:121]
	v_div_fmas_f64 v[116:117], v[116:117], v[118:119], v[122:123]
	v_div_fixup_f64 v[120:121], v[116:117], v[106:107], 1.0
	ds_read2_b64 v[116:119], v110 offset0:2 offset1:3
	v_cndmask_b32_e64 v107, v107, v121, s[2:3]
	v_cndmask_b32_e64 v106, v106, v120, s[2:3]
	ds_read2_b64 v[120:123], v110 offset0:4 offset1:5
	v_mul_f64 v[102:103], v[106:107], v[102:103]
	s_waitcnt lgkmcnt(0)
	v_fma_f64 v[98:99], -v[102:103], v[116:117], v[98:99]
	v_fma_f64 v[96:97], -v[102:103], v[118:119], v[96:97]
	ds_read2_b64 v[116:119], v110 offset0:8 offset1:9
	v_fma_f64 v[94:95], -v[102:103], v[120:121], v[94:95]
	v_fma_f64 v[92:93], -v[102:103], v[122:123], v[92:93]
	v_fma_f64 v[90:91], -v[102:103], v[124:125], v[90:91]
	ds_read2_b64 v[120:123], v110 offset0:10 offset1:11
	v_fma_f64 v[88:89], -v[102:103], v[126:127], v[88:89]
	ds_read2_b64 v[124:127], v110 offset0:12 offset1:13
	s_waitcnt lgkmcnt(0)
	v_fma_f64 v[86:87], -v[102:103], v[116:117], v[86:87]
	v_fma_f64 v[84:85], -v[102:103], v[118:119], v[84:85]
	v_fma_f64 v[82:83], -v[102:103], v[120:121], v[82:83]
	ds_read2_b64 v[116:119], v110 offset0:14 offset1:15
	v_fma_f64 v[80:81], -v[102:103], v[122:123], v[80:81]
	ds_read2_b64 v[120:123], v110 offset0:16 offset1:17
	v_fma_f64 v[78:79], -v[102:103], v[124:125], v[78:79]
	v_fma_f64 v[76:77], -v[102:103], v[126:127], v[76:77]
	ds_read2_b64 v[124:127], v110 offset0:18 offset1:19
	s_waitcnt lgkmcnt(0)
	v_fma_f64 v[74:75], -v[102:103], v[116:117], v[74:75]
	v_fma_f64 v[72:73], -v[102:103], v[118:119], v[72:73]
	ds_read2_b64 v[116:119], v110 offset0:20 offset1:21
	v_fma_f64 v[70:71], -v[102:103], v[120:121], v[70:71]
	v_fma_f64 v[68:69], -v[102:103], v[122:123], v[68:69]
	v_fma_f64 v[66:67], -v[102:103], v[124:125], v[66:67]
	ds_read2_b64 v[120:123], v110 offset0:22 offset1:23
	v_fma_f64 v[64:65], -v[102:103], v[126:127], v[64:65]
	ds_read2_b64 v[124:127], v110 offset0:24 offset1:25
	s_waitcnt lgkmcnt(0)
	v_fma_f64 v[62:63], -v[102:103], v[116:117], v[62:63]
	v_fma_f64 v[60:61], -v[102:103], v[118:119], v[60:61]
	v_fma_f64 v[58:59], -v[102:103], v[120:121], v[58:59]
	ds_read2_b64 v[116:119], v110 offset0:26 offset1:27
	v_fma_f64 v[56:57], -v[102:103], v[122:123], v[56:57]
	ds_read2_b64 v[120:123], v110 offset0:28 offset1:29
	v_fma_f64 v[54:55], -v[102:103], v[124:125], v[54:55]
	v_fma_f64 v[52:53], -v[102:103], v[126:127], v[52:53]
	ds_read2_b64 v[124:127], v110 offset0:30 offset1:31
	;; [unrolled: 20-line block ×3, first 2 shown]
	s_waitcnt lgkmcnt(0)
	v_fma_f64 v[26:27], -v[102:103], v[116:117], v[26:27]
	v_fma_f64 v[24:25], -v[102:103], v[118:119], v[24:25]
	ds_read2_b64 v[116:119], v110 offset0:44 offset1:45
	v_fma_f64 v[22:23], -v[102:103], v[120:121], v[22:23]
	v_fma_f64 v[20:21], -v[102:103], v[122:123], v[20:21]
	;; [unrolled: 1-line block ×4, first 2 shown]
	ds_read2_b64 v[120:123], v110 offset0:46 offset1:47
	ds_read2_b64 v[124:127], v110 offset0:48 offset1:49
	ds_read_b64 v[106:107], v110 offset:400
	s_waitcnt lgkmcnt(0)
	v_fma_f64 v[14:15], -v[102:103], v[116:117], v[14:15]
	v_fma_f64 v[12:13], -v[102:103], v[118:119], v[12:13]
	;; [unrolled: 1-line block ×7, first 2 shown]
.LBB100_29:
	s_or_b64 exec, exec, s[14:15]
	v_lshl_add_u32 v106, v111, 3, v110
	s_barrier
	ds_write_b64 v106, v[98:99]
	s_waitcnt lgkmcnt(0)
	s_barrier
	ds_read_b64 v[106:107], v110 offset:16
	s_mov_b32 s9, 3
	s_cmp_lt_i32 s18, 4
	v_mov_b32_e32 v108, 2
	s_cbranch_scc1 .LBB100_32
; %bb.30:
	v_add3_u32 v114, v115, 0, 24
	v_mov_b32_e32 v108, 2
.LBB100_31:                             ; =>This Inner Loop Header: Depth=1
	ds_read_b64 v[116:117], v114
	v_mov_b32_e32 v118, s9
	s_add_i32 s9, s9, 1
	v_add_u32_e32 v114, 8, v114
	s_cmp_lg_u32 s18, s9
	s_waitcnt lgkmcnt(0)
	v_cmp_lt_f64_e64 vcc, |v[106:107]|, |v[116:117]|
	v_cndmask_b32_e32 v107, v107, v117, vcc
	v_cndmask_b32_e32 v106, v106, v116, vcc
	;; [unrolled: 1-line block ×3, first 2 shown]
	s_cbranch_scc1 .LBB100_31
.LBB100_32:
	v_cndmask_b32_e64 v114, 2, 1, s[0:1]
	v_cndmask_b32_e64 v116, 0, 1, s[0:1]
	;; [unrolled: 1-line block ×3, first 2 shown]
	s_waitcnt lgkmcnt(0)
	v_cmp_eq_f64_e32 vcc, 0, v[106:107]
	s_and_saveexec_b64 s[0:1], vcc
	s_xor_b64 s[0:1], exec, s[0:1]
; %bb.33:
	v_cmp_ne_u32_e32 vcc, 0, v114
	v_cndmask_b32_e32 v114, 3, v114, vcc
; %bb.34:
	s_andn2_saveexec_b64 s[0:1], s[0:1]
; %bb.35:
	v_div_scale_f64 v[116:117], s[2:3], v[106:107], v[106:107], 1.0
	v_rcp_f64_e32 v[118:119], v[116:117]
	v_div_scale_f64 v[120:121], vcc, 1.0, v[106:107], 1.0
	v_fma_f64 v[122:123], -v[116:117], v[118:119], 1.0
	v_fmac_f64_e32 v[118:119], v[118:119], v[122:123]
	v_fma_f64 v[122:123], -v[116:117], v[118:119], 1.0
	v_fmac_f64_e32 v[118:119], v[118:119], v[122:123]
	v_mul_f64 v[122:123], v[120:121], v[118:119]
	v_fma_f64 v[116:117], -v[116:117], v[122:123], v[120:121]
	v_div_fmas_f64 v[116:117], v[116:117], v[118:119], v[122:123]
	v_div_fixup_f64 v[106:107], v[116:117], v[106:107], 1.0
; %bb.36:
	s_or_b64 exec, exec, s[0:1]
	v_cmp_ne_u32_e32 vcc, v111, v108
	s_and_saveexec_b64 s[0:1], vcc
	s_xor_b64 s[0:1], exec, s[0:1]
	s_cbranch_execz .LBB100_42
; %bb.37:
	v_cmp_eq_u32_e32 vcc, 2, v111
	s_and_saveexec_b64 s[2:3], vcc
	s_cbranch_execz .LBB100_41
; %bb.38:
	v_cmp_ne_u32_e32 vcc, 2, v108
	s_xor_b64 s[14:15], s[6:7], -1
	s_and_b64 s[16:17], s[14:15], vcc
	s_and_saveexec_b64 s[14:15], s[16:17]
	s_cbranch_execz .LBB100_40
; %bb.39:
	v_ashrrev_i32_e32 v109, 31, v108
	v_lshlrev_b64 v[116:117], 2, v[108:109]
	v_add_co_u32_e32 v116, vcc, v4, v116
	v_addc_co_u32_e32 v117, vcc, v5, v117, vcc
	flat_load_dword v109, v[116:117]
	flat_load_dword v111, v[4:5] offset:8
	s_waitcnt vmcnt(0) lgkmcnt(0)
	flat_store_dword v[4:5], v109 offset:8
	flat_store_dword v[116:117], v111
.LBB100_40:
	s_or_b64 exec, exec, s[14:15]
	v_mov_b32_e32 v109, v108
	v_mov_b32_e32 v111, v108
.LBB100_41:
	s_or_b64 exec, exec, s[2:3]
.LBB100_42:
	s_andn2_saveexec_b64 s[0:1], s[0:1]
	s_cbranch_execz .LBB100_44
; %bb.43:
	v_mov_b32_e32 v111, 2
	ds_write2_b64 v110, v[96:97], v[94:95] offset0:3 offset1:4
	ds_write2_b64 v110, v[92:93], v[90:91] offset0:5 offset1:6
	;; [unrolled: 1-line block ×24, first 2 shown]
.LBB100_44:
	s_or_b64 exec, exec, s[0:1]
	v_cmp_lt_i32_e32 vcc, 2, v111
	s_waitcnt lgkmcnt(0)
	s_barrier
	s_and_saveexec_b64 s[0:1], vcc
	s_cbranch_execz .LBB100_46
; %bb.45:
	ds_read2_b64 v[116:119], v110 offset0:3 offset1:4
	ds_read2_b64 v[120:123], v110 offset0:5 offset1:6
	;; [unrolled: 1-line block ×3, first 2 shown]
	v_mul_f64 v[98:99], v[106:107], v[98:99]
	s_waitcnt lgkmcnt(0)
	v_fma_f64 v[96:97], -v[98:99], v[116:117], v[96:97]
	v_fma_f64 v[94:95], -v[98:99], v[118:119], v[94:95]
	ds_read2_b64 v[116:119], v110 offset0:9 offset1:10
	v_fma_f64 v[92:93], -v[98:99], v[120:121], v[92:93]
	v_fma_f64 v[90:91], -v[98:99], v[122:123], v[90:91]
	v_fma_f64 v[88:89], -v[98:99], v[124:125], v[88:89]
	ds_read2_b64 v[120:123], v110 offset0:11 offset1:12
	v_fma_f64 v[86:87], -v[98:99], v[126:127], v[86:87]
	ds_read2_b64 v[124:127], v110 offset0:13 offset1:14
	s_waitcnt lgkmcnt(0)
	v_fma_f64 v[84:85], -v[98:99], v[116:117], v[84:85]
	v_fma_f64 v[82:83], -v[98:99], v[118:119], v[82:83]
	v_fma_f64 v[80:81], -v[98:99], v[120:121], v[80:81]
	ds_read2_b64 v[116:119], v110 offset0:15 offset1:16
	v_fma_f64 v[78:79], -v[98:99], v[122:123], v[78:79]
	ds_read2_b64 v[120:123], v110 offset0:17 offset1:18
	v_fma_f64 v[76:77], -v[98:99], v[124:125], v[76:77]
	v_fma_f64 v[74:75], -v[98:99], v[126:127], v[74:75]
	ds_read2_b64 v[124:127], v110 offset0:19 offset1:20
	s_waitcnt lgkmcnt(0)
	v_fma_f64 v[72:73], -v[98:99], v[116:117], v[72:73]
	v_fma_f64 v[70:71], -v[98:99], v[118:119], v[70:71]
	ds_read2_b64 v[116:119], v110 offset0:21 offset1:22
	v_fma_f64 v[68:69], -v[98:99], v[120:121], v[68:69]
	v_fma_f64 v[66:67], -v[98:99], v[122:123], v[66:67]
	v_fma_f64 v[64:65], -v[98:99], v[124:125], v[64:65]
	ds_read2_b64 v[120:123], v110 offset0:23 offset1:24
	v_fma_f64 v[62:63], -v[98:99], v[126:127], v[62:63]
	ds_read2_b64 v[124:127], v110 offset0:25 offset1:26
	s_waitcnt lgkmcnt(0)
	v_fma_f64 v[60:61], -v[98:99], v[116:117], v[60:61]
	v_fma_f64 v[58:59], -v[98:99], v[118:119], v[58:59]
	v_fma_f64 v[56:57], -v[98:99], v[120:121], v[56:57]
	ds_read2_b64 v[116:119], v110 offset0:27 offset1:28
	v_fma_f64 v[54:55], -v[98:99], v[122:123], v[54:55]
	ds_read2_b64 v[120:123], v110 offset0:29 offset1:30
	v_fma_f64 v[52:53], -v[98:99], v[124:125], v[52:53]
	v_fma_f64 v[50:51], -v[98:99], v[126:127], v[50:51]
	ds_read2_b64 v[124:127], v110 offset0:31 offset1:32
	;; [unrolled: 20-line block ×3, first 2 shown]
	s_waitcnt lgkmcnt(0)
	v_fma_f64 v[24:25], -v[98:99], v[116:117], v[24:25]
	v_fma_f64 v[22:23], -v[98:99], v[118:119], v[22:23]
	ds_read2_b64 v[116:119], v110 offset0:45 offset1:46
	v_fma_f64 v[20:21], -v[98:99], v[120:121], v[20:21]
	v_fma_f64 v[18:19], -v[98:99], v[122:123], v[18:19]
	;; [unrolled: 1-line block ×3, first 2 shown]
	ds_read2_b64 v[120:123], v110 offset0:47 offset1:48
	v_fma_f64 v[14:15], -v[98:99], v[126:127], v[14:15]
	ds_read2_b64 v[124:127], v110 offset0:49 offset1:50
	s_waitcnt lgkmcnt(0)
	v_fma_f64 v[12:13], -v[98:99], v[116:117], v[12:13]
	v_fma_f64 v[10:11], -v[98:99], v[118:119], v[10:11]
	;; [unrolled: 1-line block ×6, first 2 shown]
.LBB100_46:
	s_or_b64 exec, exec, s[0:1]
	v_lshl_add_u32 v106, v111, 3, v110
	s_barrier
	ds_write_b64 v106, v[96:97]
	s_waitcnt lgkmcnt(0)
	s_barrier
	ds_read_b64 v[106:107], v110 offset:24
	s_cmp_lt_i32 s18, 5
	v_mov_b32_e32 v108, 3
	s_cbranch_scc1 .LBB100_49
; %bb.47:
	v_add3_u32 v116, v115, 0, 32
	s_mov_b32 s0, 4
	v_mov_b32_e32 v108, 3
.LBB100_48:                             ; =>This Inner Loop Header: Depth=1
	ds_read_b64 v[118:119], v116
	v_mov_b32_e32 v117, s0
	s_add_i32 s0, s0, 1
	v_add_u32_e32 v116, 8, v116
	s_cmp_lg_u32 s18, s0
	s_waitcnt lgkmcnt(0)
	v_cmp_lt_f64_e64 vcc, |v[106:107]|, |v[118:119]|
	v_cndmask_b32_e32 v107, v107, v119, vcc
	v_cndmask_b32_e32 v106, v106, v118, vcc
	;; [unrolled: 1-line block ×3, first 2 shown]
	s_cbranch_scc1 .LBB100_48
.LBB100_49:
	s_waitcnt lgkmcnt(0)
	v_cmp_eq_f64_e32 vcc, 0, v[106:107]
	s_and_saveexec_b64 s[0:1], vcc
	s_xor_b64 s[0:1], exec, s[0:1]
; %bb.50:
	v_cmp_ne_u32_e32 vcc, 0, v114
	v_cndmask_b32_e32 v114, 4, v114, vcc
; %bb.51:
	s_andn2_saveexec_b64 s[0:1], s[0:1]
; %bb.52:
	v_div_scale_f64 v[116:117], s[2:3], v[106:107], v[106:107], 1.0
	v_rcp_f64_e32 v[118:119], v[116:117]
	v_div_scale_f64 v[120:121], vcc, 1.0, v[106:107], 1.0
	v_fma_f64 v[122:123], -v[116:117], v[118:119], 1.0
	v_fmac_f64_e32 v[118:119], v[118:119], v[122:123]
	v_fma_f64 v[122:123], -v[116:117], v[118:119], 1.0
	v_fmac_f64_e32 v[118:119], v[118:119], v[122:123]
	v_mul_f64 v[122:123], v[120:121], v[118:119]
	v_fma_f64 v[116:117], -v[116:117], v[122:123], v[120:121]
	v_div_fmas_f64 v[116:117], v[116:117], v[118:119], v[122:123]
	v_div_fixup_f64 v[106:107], v[116:117], v[106:107], 1.0
; %bb.53:
	s_or_b64 exec, exec, s[0:1]
	v_cmp_ne_u32_e32 vcc, v111, v108
	s_and_saveexec_b64 s[0:1], vcc
	s_xor_b64 s[0:1], exec, s[0:1]
	s_cbranch_execz .LBB100_59
; %bb.54:
	v_cmp_eq_u32_e32 vcc, 3, v111
	s_and_saveexec_b64 s[2:3], vcc
	s_cbranch_execz .LBB100_58
; %bb.55:
	v_cmp_ne_u32_e32 vcc, 3, v108
	s_xor_b64 s[14:15], s[6:7], -1
	s_and_b64 s[16:17], s[14:15], vcc
	s_and_saveexec_b64 s[14:15], s[16:17]
	s_cbranch_execz .LBB100_57
; %bb.56:
	v_ashrrev_i32_e32 v109, 31, v108
	v_lshlrev_b64 v[116:117], 2, v[108:109]
	v_add_co_u32_e32 v116, vcc, v4, v116
	v_addc_co_u32_e32 v117, vcc, v5, v117, vcc
	flat_load_dword v109, v[116:117]
	flat_load_dword v111, v[4:5] offset:12
	s_waitcnt vmcnt(0) lgkmcnt(0)
	flat_store_dword v[4:5], v109 offset:12
	flat_store_dword v[116:117], v111
.LBB100_57:
	s_or_b64 exec, exec, s[14:15]
	v_mov_b32_e32 v109, v108
	v_mov_b32_e32 v111, v108
.LBB100_58:
	s_or_b64 exec, exec, s[2:3]
.LBB100_59:
	s_andn2_saveexec_b64 s[0:1], s[0:1]
	s_cbranch_execz .LBB100_61
; %bb.60:
	v_mov_b32_e32 v116, v94
	v_mov_b32_e32 v117, v95
	v_mov_b32_e32 v118, v92
	v_mov_b32_e32 v119, v93
	ds_write2_b64 v110, v[116:117], v[118:119] offset0:4 offset1:5
	v_mov_b32_e32 v116, v90
	v_mov_b32_e32 v117, v91
	v_mov_b32_e32 v118, v88
	v_mov_b32_e32 v119, v89
	ds_write2_b64 v110, v[116:117], v[118:119] offset0:6 offset1:7
	;; [unrolled: 5-line block ×22, first 2 shown]
	v_mov_b32_e32 v116, v6
	v_mov_b32_e32 v117, v7
	;; [unrolled: 1-line block ×5, first 2 shown]
	ds_write2_b64 v110, v[116:117], v[118:119] offset0:48 offset1:49
	ds_write_b64 v110, v[104:105] offset:400
.LBB100_61:
	s_or_b64 exec, exec, s[0:1]
	v_cmp_lt_i32_e32 vcc, 3, v111
	s_waitcnt lgkmcnt(0)
	s_barrier
	s_and_saveexec_b64 s[0:1], vcc
	s_cbranch_execz .LBB100_63
; %bb.62:
	ds_read2_b64 v[116:119], v110 offset0:4 offset1:5
	ds_read2_b64 v[120:123], v110 offset0:6 offset1:7
	v_mul_f64 v[96:97], v[106:107], v[96:97]
	ds_read2_b64 v[124:127], v110 offset0:8 offset1:9
	ds_read_b64 v[106:107], v110 offset:400
	s_waitcnt lgkmcnt(0)
	v_fma_f64 v[94:95], -v[96:97], v[116:117], v[94:95]
	v_fma_f64 v[92:93], -v[96:97], v[118:119], v[92:93]
	ds_read2_b64 v[116:119], v110 offset0:10 offset1:11
	v_fma_f64 v[90:91], -v[96:97], v[120:121], v[90:91]
	v_fma_f64 v[88:89], -v[96:97], v[122:123], v[88:89]
	ds_read2_b64 v[120:123], v110 offset0:12 offset1:13
	;; [unrolled: 3-line block ×3, first 2 shown]
	s_waitcnt lgkmcnt(0)
	v_fma_f64 v[82:83], -v[96:97], v[116:117], v[82:83]
	v_fma_f64 v[80:81], -v[96:97], v[118:119], v[80:81]
	v_fma_f64 v[78:79], -v[96:97], v[120:121], v[78:79]
	ds_read2_b64 v[116:119], v110 offset0:16 offset1:17
	v_fma_f64 v[76:77], -v[96:97], v[122:123], v[76:77]
	ds_read2_b64 v[120:123], v110 offset0:18 offset1:19
	v_fma_f64 v[74:75], -v[96:97], v[124:125], v[74:75]
	v_fma_f64 v[72:73], -v[96:97], v[126:127], v[72:73]
	s_waitcnt lgkmcnt(0)
	v_fma_f64 v[70:71], -v[96:97], v[116:117], v[70:71]
	ds_read2_b64 v[124:127], v110 offset0:20 offset1:21
	v_fma_f64 v[68:69], -v[96:97], v[118:119], v[68:69]
	ds_read2_b64 v[116:119], v110 offset0:22 offset1:23
	v_fma_f64 v[66:67], -v[96:97], v[120:121], v[66:67]
	v_fma_f64 v[64:65], -v[96:97], v[122:123], v[64:65]
	ds_read2_b64 v[120:123], v110 offset0:24 offset1:25
	s_waitcnt lgkmcnt(0)
	v_fma_f64 v[62:63], -v[96:97], v[124:125], v[62:63]
	v_fma_f64 v[60:61], -v[96:97], v[126:127], v[60:61]
	ds_read2_b64 v[124:127], v110 offset0:26 offset1:27
	v_fma_f64 v[58:59], -v[96:97], v[116:117], v[58:59]
	v_fma_f64 v[56:57], -v[96:97], v[118:119], v[56:57]
	;; [unrolled: 1-line block ×3, first 2 shown]
	ds_read2_b64 v[116:119], v110 offset0:28 offset1:29
	v_fma_f64 v[52:53], -v[96:97], v[122:123], v[52:53]
	ds_read2_b64 v[120:123], v110 offset0:30 offset1:31
	s_waitcnt lgkmcnt(0)
	v_fma_f64 v[50:51], -v[96:97], v[124:125], v[50:51]
	v_fma_f64 v[48:49], -v[96:97], v[126:127], v[48:49]
	;; [unrolled: 1-line block ×3, first 2 shown]
	ds_read2_b64 v[124:127], v110 offset0:32 offset1:33
	v_fma_f64 v[44:45], -v[96:97], v[118:119], v[44:45]
	ds_read2_b64 v[116:119], v110 offset0:34 offset1:35
	v_fma_f64 v[42:43], -v[96:97], v[120:121], v[42:43]
	v_fma_f64 v[40:41], -v[96:97], v[122:123], v[40:41]
	ds_read2_b64 v[120:123], v110 offset0:36 offset1:37
	s_waitcnt lgkmcnt(0)
	v_fma_f64 v[38:39], -v[96:97], v[124:125], v[38:39]
	v_fma_f64 v[36:37], -v[96:97], v[126:127], v[36:37]
	ds_read2_b64 v[124:127], v110 offset0:38 offset1:39
	v_fma_f64 v[34:35], -v[96:97], v[116:117], v[34:35]
	v_fma_f64 v[32:33], -v[96:97], v[118:119], v[32:33]
	;; [unrolled: 1-line block ×3, first 2 shown]
	ds_read2_b64 v[116:119], v110 offset0:40 offset1:41
	v_fma_f64 v[28:29], -v[96:97], v[122:123], v[28:29]
	ds_read2_b64 v[120:123], v110 offset0:42 offset1:43
	s_waitcnt lgkmcnt(0)
	v_fma_f64 v[26:27], -v[96:97], v[124:125], v[26:27]
	v_fma_f64 v[24:25], -v[96:97], v[126:127], v[24:25]
	;; [unrolled: 1-line block ×3, first 2 shown]
	ds_read2_b64 v[124:127], v110 offset0:44 offset1:45
	v_fma_f64 v[20:21], -v[96:97], v[118:119], v[20:21]
	ds_read2_b64 v[116:119], v110 offset0:46 offset1:47
	v_fma_f64 v[18:19], -v[96:97], v[120:121], v[18:19]
	v_fma_f64 v[16:17], -v[96:97], v[122:123], v[16:17]
	ds_read2_b64 v[120:123], v110 offset0:48 offset1:49
	s_waitcnt lgkmcnt(0)
	v_fma_f64 v[14:15], -v[96:97], v[124:125], v[14:15]
	v_fma_f64 v[12:13], -v[96:97], v[126:127], v[12:13]
	;; [unrolled: 1-line block ×7, first 2 shown]
.LBB100_63:
	s_or_b64 exec, exec, s[0:1]
	v_lshl_add_u32 v106, v111, 3, v110
	s_barrier
	ds_write_b64 v106, v[94:95]
	s_waitcnt lgkmcnt(0)
	s_barrier
	ds_read_b64 v[106:107], v110 offset:32
	s_cmp_lt_i32 s18, 6
	v_mov_b32_e32 v108, 4
	s_cbranch_scc1 .LBB100_66
; %bb.64:
	v_add3_u32 v116, v115, 0, 40
	s_mov_b32 s0, 5
	v_mov_b32_e32 v108, 4
.LBB100_65:                             ; =>This Inner Loop Header: Depth=1
	ds_read_b64 v[118:119], v116
	v_mov_b32_e32 v117, s0
	s_add_i32 s0, s0, 1
	v_add_u32_e32 v116, 8, v116
	s_cmp_lg_u32 s18, s0
	s_waitcnt lgkmcnt(0)
	v_cmp_lt_f64_e64 vcc, |v[106:107]|, |v[118:119]|
	v_cndmask_b32_e32 v107, v107, v119, vcc
	v_cndmask_b32_e32 v106, v106, v118, vcc
	;; [unrolled: 1-line block ×3, first 2 shown]
	s_cbranch_scc1 .LBB100_65
.LBB100_66:
	s_waitcnt lgkmcnt(0)
	v_cmp_eq_f64_e32 vcc, 0, v[106:107]
	s_and_saveexec_b64 s[0:1], vcc
	s_xor_b64 s[0:1], exec, s[0:1]
; %bb.67:
	v_cmp_ne_u32_e32 vcc, 0, v114
	v_cndmask_b32_e32 v114, 5, v114, vcc
; %bb.68:
	s_andn2_saveexec_b64 s[0:1], s[0:1]
; %bb.69:
	v_div_scale_f64 v[116:117], s[2:3], v[106:107], v[106:107], 1.0
	v_rcp_f64_e32 v[118:119], v[116:117]
	v_div_scale_f64 v[120:121], vcc, 1.0, v[106:107], 1.0
	v_fma_f64 v[122:123], -v[116:117], v[118:119], 1.0
	v_fmac_f64_e32 v[118:119], v[118:119], v[122:123]
	v_fma_f64 v[122:123], -v[116:117], v[118:119], 1.0
	v_fmac_f64_e32 v[118:119], v[118:119], v[122:123]
	v_mul_f64 v[122:123], v[120:121], v[118:119]
	v_fma_f64 v[116:117], -v[116:117], v[122:123], v[120:121]
	v_div_fmas_f64 v[116:117], v[116:117], v[118:119], v[122:123]
	v_div_fixup_f64 v[106:107], v[116:117], v[106:107], 1.0
; %bb.70:
	s_or_b64 exec, exec, s[0:1]
	v_cmp_ne_u32_e32 vcc, v111, v108
	s_and_saveexec_b64 s[0:1], vcc
	s_xor_b64 s[0:1], exec, s[0:1]
	s_cbranch_execz .LBB100_76
; %bb.71:
	v_cmp_eq_u32_e32 vcc, 4, v111
	s_and_saveexec_b64 s[2:3], vcc
	s_cbranch_execz .LBB100_75
; %bb.72:
	v_cmp_ne_u32_e32 vcc, 4, v108
	s_xor_b64 s[14:15], s[6:7], -1
	s_and_b64 s[16:17], s[14:15], vcc
	s_and_saveexec_b64 s[14:15], s[16:17]
	s_cbranch_execz .LBB100_74
; %bb.73:
	v_ashrrev_i32_e32 v109, 31, v108
	v_lshlrev_b64 v[116:117], 2, v[108:109]
	v_add_co_u32_e32 v116, vcc, v4, v116
	v_addc_co_u32_e32 v117, vcc, v5, v117, vcc
	flat_load_dword v109, v[116:117]
	flat_load_dword v111, v[4:5] offset:16
	s_waitcnt vmcnt(0) lgkmcnt(0)
	flat_store_dword v[4:5], v109 offset:16
	flat_store_dword v[116:117], v111
.LBB100_74:
	s_or_b64 exec, exec, s[14:15]
	v_mov_b32_e32 v109, v108
	v_mov_b32_e32 v111, v108
.LBB100_75:
	s_or_b64 exec, exec, s[2:3]
.LBB100_76:
	s_andn2_saveexec_b64 s[0:1], s[0:1]
	s_cbranch_execz .LBB100_78
; %bb.77:
	v_mov_b32_e32 v111, 4
	ds_write2_b64 v110, v[92:93], v[90:91] offset0:5 offset1:6
	ds_write2_b64 v110, v[88:89], v[86:87] offset0:7 offset1:8
	;; [unrolled: 1-line block ×23, first 2 shown]
.LBB100_78:
	s_or_b64 exec, exec, s[0:1]
	v_cmp_lt_i32_e32 vcc, 4, v111
	s_waitcnt lgkmcnt(0)
	s_barrier
	s_and_saveexec_b64 s[0:1], vcc
	s_cbranch_execz .LBB100_80
; %bb.79:
	ds_read2_b64 v[116:119], v110 offset0:5 offset1:6
	ds_read2_b64 v[120:123], v110 offset0:7 offset1:8
	v_mul_f64 v[94:95], v[106:107], v[94:95]
	ds_read2_b64 v[124:127], v110 offset0:9 offset1:10
	s_waitcnt lgkmcnt(0)
	v_fma_f64 v[92:93], -v[94:95], v[116:117], v[92:93]
	v_fma_f64 v[90:91], -v[94:95], v[118:119], v[90:91]
	ds_read2_b64 v[116:119], v110 offset0:11 offset1:12
	v_fma_f64 v[88:89], -v[94:95], v[120:121], v[88:89]
	v_fma_f64 v[86:87], -v[94:95], v[122:123], v[86:87]
	ds_read2_b64 v[120:123], v110 offset0:13 offset1:14
	;; [unrolled: 3-line block ×3, first 2 shown]
	s_waitcnt lgkmcnt(0)
	v_fma_f64 v[80:81], -v[94:95], v[116:117], v[80:81]
	v_fma_f64 v[78:79], -v[94:95], v[118:119], v[78:79]
	;; [unrolled: 1-line block ×3, first 2 shown]
	ds_read2_b64 v[116:119], v110 offset0:17 offset1:18
	v_fma_f64 v[74:75], -v[94:95], v[122:123], v[74:75]
	ds_read2_b64 v[120:123], v110 offset0:19 offset1:20
	v_fma_f64 v[72:73], -v[94:95], v[124:125], v[72:73]
	v_fma_f64 v[70:71], -v[94:95], v[126:127], v[70:71]
	s_waitcnt lgkmcnt(0)
	v_fma_f64 v[68:69], -v[94:95], v[116:117], v[68:69]
	ds_read2_b64 v[124:127], v110 offset0:21 offset1:22
	v_fma_f64 v[66:67], -v[94:95], v[118:119], v[66:67]
	ds_read2_b64 v[116:119], v110 offset0:23 offset1:24
	v_fma_f64 v[64:65], -v[94:95], v[120:121], v[64:65]
	v_fma_f64 v[62:63], -v[94:95], v[122:123], v[62:63]
	ds_read2_b64 v[120:123], v110 offset0:25 offset1:26
	s_waitcnt lgkmcnt(0)
	v_fma_f64 v[60:61], -v[94:95], v[124:125], v[60:61]
	v_fma_f64 v[58:59], -v[94:95], v[126:127], v[58:59]
	ds_read2_b64 v[124:127], v110 offset0:27 offset1:28
	v_fma_f64 v[56:57], -v[94:95], v[116:117], v[56:57]
	v_fma_f64 v[54:55], -v[94:95], v[118:119], v[54:55]
	;; [unrolled: 1-line block ×3, first 2 shown]
	ds_read2_b64 v[116:119], v110 offset0:29 offset1:30
	v_fma_f64 v[50:51], -v[94:95], v[122:123], v[50:51]
	ds_read2_b64 v[120:123], v110 offset0:31 offset1:32
	s_waitcnt lgkmcnt(0)
	v_fma_f64 v[48:49], -v[94:95], v[124:125], v[48:49]
	v_fma_f64 v[46:47], -v[94:95], v[126:127], v[46:47]
	;; [unrolled: 1-line block ×3, first 2 shown]
	ds_read2_b64 v[124:127], v110 offset0:33 offset1:34
	v_fma_f64 v[42:43], -v[94:95], v[118:119], v[42:43]
	ds_read2_b64 v[116:119], v110 offset0:35 offset1:36
	v_fma_f64 v[40:41], -v[94:95], v[120:121], v[40:41]
	v_fma_f64 v[38:39], -v[94:95], v[122:123], v[38:39]
	ds_read2_b64 v[120:123], v110 offset0:37 offset1:38
	s_waitcnt lgkmcnt(0)
	v_fma_f64 v[36:37], -v[94:95], v[124:125], v[36:37]
	v_fma_f64 v[34:35], -v[94:95], v[126:127], v[34:35]
	ds_read2_b64 v[124:127], v110 offset0:39 offset1:40
	v_fma_f64 v[32:33], -v[94:95], v[116:117], v[32:33]
	v_fma_f64 v[30:31], -v[94:95], v[118:119], v[30:31]
	;; [unrolled: 1-line block ×3, first 2 shown]
	ds_read2_b64 v[116:119], v110 offset0:41 offset1:42
	v_fma_f64 v[26:27], -v[94:95], v[122:123], v[26:27]
	ds_read2_b64 v[120:123], v110 offset0:43 offset1:44
	s_waitcnt lgkmcnt(0)
	v_fma_f64 v[24:25], -v[94:95], v[124:125], v[24:25]
	v_fma_f64 v[22:23], -v[94:95], v[126:127], v[22:23]
	;; [unrolled: 1-line block ×4, first 2 shown]
	ds_read2_b64 v[116:119], v110 offset0:45 offset1:46
	ds_read2_b64 v[124:127], v110 offset0:47 offset1:48
	v_fma_f64 v[16:17], -v[94:95], v[120:121], v[16:17]
	v_fma_f64 v[14:15], -v[94:95], v[122:123], v[14:15]
	ds_read2_b64 v[120:123], v110 offset0:49 offset1:50
	s_waitcnt lgkmcnt(0)
	v_fma_f64 v[12:13], -v[94:95], v[116:117], v[12:13]
	v_fma_f64 v[10:11], -v[94:95], v[118:119], v[10:11]
	;; [unrolled: 1-line block ×6, first 2 shown]
.LBB100_80:
	s_or_b64 exec, exec, s[0:1]
	v_lshl_add_u32 v106, v111, 3, v110
	s_barrier
	ds_write_b64 v106, v[92:93]
	s_waitcnt lgkmcnt(0)
	s_barrier
	ds_read_b64 v[106:107], v110 offset:40
	s_cmp_lt_i32 s18, 7
	v_mov_b32_e32 v108, 5
	s_cbranch_scc1 .LBB100_83
; %bb.81:
	v_add3_u32 v116, v115, 0, 48
	s_mov_b32 s0, 6
	v_mov_b32_e32 v108, 5
.LBB100_82:                             ; =>This Inner Loop Header: Depth=1
	ds_read_b64 v[118:119], v116
	v_mov_b32_e32 v117, s0
	s_add_i32 s0, s0, 1
	v_add_u32_e32 v116, 8, v116
	s_cmp_lg_u32 s18, s0
	s_waitcnt lgkmcnt(0)
	v_cmp_lt_f64_e64 vcc, |v[106:107]|, |v[118:119]|
	v_cndmask_b32_e32 v107, v107, v119, vcc
	v_cndmask_b32_e32 v106, v106, v118, vcc
	;; [unrolled: 1-line block ×3, first 2 shown]
	s_cbranch_scc1 .LBB100_82
.LBB100_83:
	s_waitcnt lgkmcnt(0)
	v_cmp_eq_f64_e32 vcc, 0, v[106:107]
	s_and_saveexec_b64 s[0:1], vcc
	s_xor_b64 s[0:1], exec, s[0:1]
; %bb.84:
	v_cmp_ne_u32_e32 vcc, 0, v114
	v_cndmask_b32_e32 v114, 6, v114, vcc
; %bb.85:
	s_andn2_saveexec_b64 s[0:1], s[0:1]
; %bb.86:
	v_div_scale_f64 v[116:117], s[2:3], v[106:107], v[106:107], 1.0
	v_rcp_f64_e32 v[118:119], v[116:117]
	v_div_scale_f64 v[120:121], vcc, 1.0, v[106:107], 1.0
	v_fma_f64 v[122:123], -v[116:117], v[118:119], 1.0
	v_fmac_f64_e32 v[118:119], v[118:119], v[122:123]
	v_fma_f64 v[122:123], -v[116:117], v[118:119], 1.0
	v_fmac_f64_e32 v[118:119], v[118:119], v[122:123]
	v_mul_f64 v[122:123], v[120:121], v[118:119]
	v_fma_f64 v[116:117], -v[116:117], v[122:123], v[120:121]
	v_div_fmas_f64 v[116:117], v[116:117], v[118:119], v[122:123]
	v_div_fixup_f64 v[106:107], v[116:117], v[106:107], 1.0
; %bb.87:
	s_or_b64 exec, exec, s[0:1]
	v_cmp_ne_u32_e32 vcc, v111, v108
	s_and_saveexec_b64 s[0:1], vcc
	s_xor_b64 s[0:1], exec, s[0:1]
	s_cbranch_execz .LBB100_93
; %bb.88:
	v_cmp_eq_u32_e32 vcc, 5, v111
	s_and_saveexec_b64 s[2:3], vcc
	s_cbranch_execz .LBB100_92
; %bb.89:
	v_cmp_ne_u32_e32 vcc, 5, v108
	s_xor_b64 s[14:15], s[6:7], -1
	s_and_b64 s[16:17], s[14:15], vcc
	s_and_saveexec_b64 s[14:15], s[16:17]
	s_cbranch_execz .LBB100_91
; %bb.90:
	v_ashrrev_i32_e32 v109, 31, v108
	v_lshlrev_b64 v[116:117], 2, v[108:109]
	v_add_co_u32_e32 v116, vcc, v4, v116
	v_addc_co_u32_e32 v117, vcc, v5, v117, vcc
	flat_load_dword v109, v[116:117]
	flat_load_dword v111, v[4:5] offset:20
	s_waitcnt vmcnt(0) lgkmcnt(0)
	flat_store_dword v[4:5], v109 offset:20
	flat_store_dword v[116:117], v111
.LBB100_91:
	s_or_b64 exec, exec, s[14:15]
	v_mov_b32_e32 v109, v108
	v_mov_b32_e32 v111, v108
.LBB100_92:
	s_or_b64 exec, exec, s[2:3]
.LBB100_93:
	s_andn2_saveexec_b64 s[0:1], s[0:1]
	s_cbranch_execz .LBB100_95
; %bb.94:
	v_mov_b32_e32 v116, v90
	v_mov_b32_e32 v117, v91
	v_mov_b32_e32 v118, v88
	v_mov_b32_e32 v119, v89
	ds_write2_b64 v110, v[116:117], v[118:119] offset0:6 offset1:7
	v_mov_b32_e32 v116, v86
	v_mov_b32_e32 v117, v87
	v_mov_b32_e32 v118, v84
	v_mov_b32_e32 v119, v85
	ds_write2_b64 v110, v[116:117], v[118:119] offset0:8 offset1:9
	;; [unrolled: 5-line block ×21, first 2 shown]
	v_mov_b32_e32 v116, v6
	v_mov_b32_e32 v117, v7
	;; [unrolled: 1-line block ×5, first 2 shown]
	ds_write2_b64 v110, v[116:117], v[118:119] offset0:48 offset1:49
	ds_write_b64 v110, v[104:105] offset:400
.LBB100_95:
	s_or_b64 exec, exec, s[0:1]
	v_cmp_lt_i32_e32 vcc, 5, v111
	s_waitcnt lgkmcnt(0)
	s_barrier
	s_and_saveexec_b64 s[0:1], vcc
	s_cbranch_execz .LBB100_97
; %bb.96:
	ds_read2_b64 v[116:119], v110 offset0:6 offset1:7
	ds_read2_b64 v[120:123], v110 offset0:8 offset1:9
	v_mul_f64 v[92:93], v[106:107], v[92:93]
	ds_read2_b64 v[124:127], v110 offset0:10 offset1:11
	ds_read_b64 v[106:107], v110 offset:400
	s_waitcnt lgkmcnt(0)
	v_fma_f64 v[90:91], -v[92:93], v[116:117], v[90:91]
	v_fma_f64 v[88:89], -v[92:93], v[118:119], v[88:89]
	ds_read2_b64 v[116:119], v110 offset0:12 offset1:13
	v_fma_f64 v[86:87], -v[92:93], v[120:121], v[86:87]
	v_fma_f64 v[84:85], -v[92:93], v[122:123], v[84:85]
	;; [unrolled: 1-line block ×3, first 2 shown]
	ds_read2_b64 v[120:123], v110 offset0:14 offset1:15
	v_fma_f64 v[80:81], -v[92:93], v[126:127], v[80:81]
	ds_read2_b64 v[124:127], v110 offset0:16 offset1:17
	s_waitcnt lgkmcnt(0)
	v_fma_f64 v[78:79], -v[92:93], v[116:117], v[78:79]
	v_fma_f64 v[76:77], -v[92:93], v[118:119], v[76:77]
	ds_read2_b64 v[116:119], v110 offset0:18 offset1:19
	v_fma_f64 v[74:75], -v[92:93], v[120:121], v[74:75]
	v_fma_f64 v[72:73], -v[92:93], v[122:123], v[72:73]
	ds_read2_b64 v[120:123], v110 offset0:20 offset1:21
	v_fma_f64 v[70:71], -v[92:93], v[124:125], v[70:71]
	v_fma_f64 v[68:69], -v[92:93], v[126:127], v[68:69]
	s_waitcnt lgkmcnt(0)
	v_fma_f64 v[66:67], -v[92:93], v[116:117], v[66:67]
	ds_read2_b64 v[124:127], v110 offset0:22 offset1:23
	v_fma_f64 v[64:65], -v[92:93], v[118:119], v[64:65]
	ds_read2_b64 v[116:119], v110 offset0:24 offset1:25
	v_fma_f64 v[62:63], -v[92:93], v[120:121], v[62:63]
	v_fma_f64 v[60:61], -v[92:93], v[122:123], v[60:61]
	s_waitcnt lgkmcnt(0)
	v_fma_f64 v[58:59], -v[92:93], v[124:125], v[58:59]
	ds_read2_b64 v[120:123], v110 offset0:26 offset1:27
	v_fma_f64 v[56:57], -v[92:93], v[126:127], v[56:57]
	ds_read2_b64 v[124:127], v110 offset0:28 offset1:29
	v_fma_f64 v[54:55], -v[92:93], v[116:117], v[54:55]
	v_fma_f64 v[52:53], -v[92:93], v[118:119], v[52:53]
	ds_read2_b64 v[116:119], v110 offset0:30 offset1:31
	s_waitcnt lgkmcnt(0)
	v_fma_f64 v[50:51], -v[92:93], v[120:121], v[50:51]
	v_fma_f64 v[48:49], -v[92:93], v[122:123], v[48:49]
	ds_read2_b64 v[120:123], v110 offset0:32 offset1:33
	v_fma_f64 v[46:47], -v[92:93], v[124:125], v[46:47]
	v_fma_f64 v[44:45], -v[92:93], v[126:127], v[44:45]
	;; [unrolled: 1-line block ×3, first 2 shown]
	ds_read2_b64 v[124:127], v110 offset0:34 offset1:35
	v_fma_f64 v[40:41], -v[92:93], v[118:119], v[40:41]
	ds_read2_b64 v[116:119], v110 offset0:36 offset1:37
	s_waitcnt lgkmcnt(0)
	v_fma_f64 v[38:39], -v[92:93], v[120:121], v[38:39]
	v_fma_f64 v[36:37], -v[92:93], v[122:123], v[36:37]
	;; [unrolled: 1-line block ×3, first 2 shown]
	ds_read2_b64 v[120:123], v110 offset0:38 offset1:39
	v_fma_f64 v[32:33], -v[92:93], v[126:127], v[32:33]
	ds_read2_b64 v[124:127], v110 offset0:40 offset1:41
	v_fma_f64 v[30:31], -v[92:93], v[116:117], v[30:31]
	v_fma_f64 v[28:29], -v[92:93], v[118:119], v[28:29]
	ds_read2_b64 v[116:119], v110 offset0:42 offset1:43
	s_waitcnt lgkmcnt(0)
	v_fma_f64 v[26:27], -v[92:93], v[120:121], v[26:27]
	v_fma_f64 v[24:25], -v[92:93], v[122:123], v[24:25]
	ds_read2_b64 v[120:123], v110 offset0:44 offset1:45
	v_fma_f64 v[22:23], -v[92:93], v[124:125], v[22:23]
	v_fma_f64 v[20:21], -v[92:93], v[126:127], v[20:21]
	;; [unrolled: 1-line block ×4, first 2 shown]
	ds_read2_b64 v[116:119], v110 offset0:46 offset1:47
	ds_read2_b64 v[124:127], v110 offset0:48 offset1:49
	s_waitcnt lgkmcnt(0)
	v_fma_f64 v[14:15], -v[92:93], v[120:121], v[14:15]
	v_fma_f64 v[12:13], -v[92:93], v[122:123], v[12:13]
	v_fma_f64 v[104:105], -v[92:93], v[106:107], v[104:105]
	v_fma_f64 v[10:11], -v[92:93], v[116:117], v[10:11]
	v_fma_f64 v[8:9], -v[92:93], v[118:119], v[8:9]
	v_fma_f64 v[6:7], -v[92:93], v[124:125], v[6:7]
	v_fma_f64 v[0:1], -v[92:93], v[126:127], v[0:1]
.LBB100_97:
	s_or_b64 exec, exec, s[0:1]
	v_lshl_add_u32 v106, v111, 3, v110
	s_barrier
	ds_write_b64 v106, v[90:91]
	s_waitcnt lgkmcnt(0)
	s_barrier
	ds_read_b64 v[106:107], v110 offset:48
	s_cmp_lt_i32 s18, 8
	v_mov_b32_e32 v108, 6
	s_cbranch_scc1 .LBB100_100
; %bb.98:
	v_add3_u32 v116, v115, 0, 56
	s_mov_b32 s0, 7
	v_mov_b32_e32 v108, 6
.LBB100_99:                             ; =>This Inner Loop Header: Depth=1
	ds_read_b64 v[118:119], v116
	v_mov_b32_e32 v117, s0
	s_add_i32 s0, s0, 1
	v_add_u32_e32 v116, 8, v116
	s_cmp_lg_u32 s18, s0
	s_waitcnt lgkmcnt(0)
	v_cmp_lt_f64_e64 vcc, |v[106:107]|, |v[118:119]|
	v_cndmask_b32_e32 v107, v107, v119, vcc
	v_cndmask_b32_e32 v106, v106, v118, vcc
	;; [unrolled: 1-line block ×3, first 2 shown]
	s_cbranch_scc1 .LBB100_99
.LBB100_100:
	s_waitcnt lgkmcnt(0)
	v_cmp_eq_f64_e32 vcc, 0, v[106:107]
	s_and_saveexec_b64 s[0:1], vcc
	s_xor_b64 s[0:1], exec, s[0:1]
; %bb.101:
	v_cmp_ne_u32_e32 vcc, 0, v114
	v_cndmask_b32_e32 v114, 7, v114, vcc
; %bb.102:
	s_andn2_saveexec_b64 s[0:1], s[0:1]
; %bb.103:
	v_div_scale_f64 v[116:117], s[2:3], v[106:107], v[106:107], 1.0
	v_rcp_f64_e32 v[118:119], v[116:117]
	v_div_scale_f64 v[120:121], vcc, 1.0, v[106:107], 1.0
	v_fma_f64 v[122:123], -v[116:117], v[118:119], 1.0
	v_fmac_f64_e32 v[118:119], v[118:119], v[122:123]
	v_fma_f64 v[122:123], -v[116:117], v[118:119], 1.0
	v_fmac_f64_e32 v[118:119], v[118:119], v[122:123]
	v_mul_f64 v[122:123], v[120:121], v[118:119]
	v_fma_f64 v[116:117], -v[116:117], v[122:123], v[120:121]
	v_div_fmas_f64 v[116:117], v[116:117], v[118:119], v[122:123]
	v_div_fixup_f64 v[106:107], v[116:117], v[106:107], 1.0
; %bb.104:
	s_or_b64 exec, exec, s[0:1]
	v_cmp_ne_u32_e32 vcc, v111, v108
	s_and_saveexec_b64 s[0:1], vcc
	s_xor_b64 s[0:1], exec, s[0:1]
	s_cbranch_execz .LBB100_110
; %bb.105:
	v_cmp_eq_u32_e32 vcc, 6, v111
	s_and_saveexec_b64 s[2:3], vcc
	s_cbranch_execz .LBB100_109
; %bb.106:
	v_cmp_ne_u32_e32 vcc, 6, v108
	s_xor_b64 s[14:15], s[6:7], -1
	s_and_b64 s[16:17], s[14:15], vcc
	s_and_saveexec_b64 s[14:15], s[16:17]
	s_cbranch_execz .LBB100_108
; %bb.107:
	v_ashrrev_i32_e32 v109, 31, v108
	v_lshlrev_b64 v[116:117], 2, v[108:109]
	v_add_co_u32_e32 v116, vcc, v4, v116
	v_addc_co_u32_e32 v117, vcc, v5, v117, vcc
	flat_load_dword v109, v[116:117]
	flat_load_dword v111, v[4:5] offset:24
	s_waitcnt vmcnt(0) lgkmcnt(0)
	flat_store_dword v[4:5], v109 offset:24
	flat_store_dword v[116:117], v111
.LBB100_108:
	s_or_b64 exec, exec, s[14:15]
	v_mov_b32_e32 v109, v108
	v_mov_b32_e32 v111, v108
.LBB100_109:
	s_or_b64 exec, exec, s[2:3]
.LBB100_110:
	s_andn2_saveexec_b64 s[0:1], s[0:1]
	s_cbranch_execz .LBB100_112
; %bb.111:
	v_mov_b32_e32 v111, 6
	ds_write2_b64 v110, v[88:89], v[86:87] offset0:7 offset1:8
	ds_write2_b64 v110, v[84:85], v[82:83] offset0:9 offset1:10
	;; [unrolled: 1-line block ×22, first 2 shown]
.LBB100_112:
	s_or_b64 exec, exec, s[0:1]
	v_cmp_lt_i32_e32 vcc, 6, v111
	s_waitcnt lgkmcnt(0)
	s_barrier
	s_and_saveexec_b64 s[0:1], vcc
	s_cbranch_execz .LBB100_114
; %bb.113:
	ds_read2_b64 v[116:119], v110 offset0:7 offset1:8
	ds_read2_b64 v[120:123], v110 offset0:9 offset1:10
	v_mul_f64 v[90:91], v[106:107], v[90:91]
	ds_read2_b64 v[124:127], v110 offset0:11 offset1:12
	s_waitcnt lgkmcnt(0)
	v_fma_f64 v[88:89], -v[90:91], v[116:117], v[88:89]
	v_fma_f64 v[86:87], -v[90:91], v[118:119], v[86:87]
	ds_read2_b64 v[116:119], v110 offset0:13 offset1:14
	v_fma_f64 v[84:85], -v[90:91], v[120:121], v[84:85]
	v_fma_f64 v[82:83], -v[90:91], v[122:123], v[82:83]
	;; [unrolled: 1-line block ×3, first 2 shown]
	ds_read2_b64 v[120:123], v110 offset0:15 offset1:16
	v_fma_f64 v[78:79], -v[90:91], v[126:127], v[78:79]
	ds_read2_b64 v[124:127], v110 offset0:17 offset1:18
	s_waitcnt lgkmcnt(0)
	v_fma_f64 v[76:77], -v[90:91], v[116:117], v[76:77]
	v_fma_f64 v[74:75], -v[90:91], v[118:119], v[74:75]
	ds_read2_b64 v[116:119], v110 offset0:19 offset1:20
	v_fma_f64 v[72:73], -v[90:91], v[120:121], v[72:73]
	v_fma_f64 v[70:71], -v[90:91], v[122:123], v[70:71]
	ds_read2_b64 v[120:123], v110 offset0:21 offset1:22
	v_fma_f64 v[68:69], -v[90:91], v[124:125], v[68:69]
	v_fma_f64 v[66:67], -v[90:91], v[126:127], v[66:67]
	s_waitcnt lgkmcnt(0)
	v_fma_f64 v[64:65], -v[90:91], v[116:117], v[64:65]
	ds_read2_b64 v[124:127], v110 offset0:23 offset1:24
	v_fma_f64 v[62:63], -v[90:91], v[118:119], v[62:63]
	ds_read2_b64 v[116:119], v110 offset0:25 offset1:26
	v_fma_f64 v[60:61], -v[90:91], v[120:121], v[60:61]
	v_fma_f64 v[58:59], -v[90:91], v[122:123], v[58:59]
	s_waitcnt lgkmcnt(0)
	v_fma_f64 v[56:57], -v[90:91], v[124:125], v[56:57]
	ds_read2_b64 v[120:123], v110 offset0:27 offset1:28
	v_fma_f64 v[54:55], -v[90:91], v[126:127], v[54:55]
	ds_read2_b64 v[124:127], v110 offset0:29 offset1:30
	v_fma_f64 v[52:53], -v[90:91], v[116:117], v[52:53]
	v_fma_f64 v[50:51], -v[90:91], v[118:119], v[50:51]
	ds_read2_b64 v[116:119], v110 offset0:31 offset1:32
	s_waitcnt lgkmcnt(0)
	v_fma_f64 v[48:49], -v[90:91], v[120:121], v[48:49]
	v_fma_f64 v[46:47], -v[90:91], v[122:123], v[46:47]
	ds_read2_b64 v[120:123], v110 offset0:33 offset1:34
	v_fma_f64 v[44:45], -v[90:91], v[124:125], v[44:45]
	v_fma_f64 v[42:43], -v[90:91], v[126:127], v[42:43]
	;; [unrolled: 1-line block ×3, first 2 shown]
	ds_read2_b64 v[124:127], v110 offset0:35 offset1:36
	v_fma_f64 v[38:39], -v[90:91], v[118:119], v[38:39]
	ds_read2_b64 v[116:119], v110 offset0:37 offset1:38
	s_waitcnt lgkmcnt(0)
	v_fma_f64 v[36:37], -v[90:91], v[120:121], v[36:37]
	v_fma_f64 v[34:35], -v[90:91], v[122:123], v[34:35]
	;; [unrolled: 1-line block ×3, first 2 shown]
	ds_read2_b64 v[120:123], v110 offset0:39 offset1:40
	v_fma_f64 v[30:31], -v[90:91], v[126:127], v[30:31]
	ds_read2_b64 v[124:127], v110 offset0:41 offset1:42
	v_fma_f64 v[28:29], -v[90:91], v[116:117], v[28:29]
	v_fma_f64 v[26:27], -v[90:91], v[118:119], v[26:27]
	ds_read2_b64 v[116:119], v110 offset0:43 offset1:44
	s_waitcnt lgkmcnt(0)
	v_fma_f64 v[24:25], -v[90:91], v[120:121], v[24:25]
	v_fma_f64 v[22:23], -v[90:91], v[122:123], v[22:23]
	ds_read2_b64 v[120:123], v110 offset0:45 offset1:46
	v_fma_f64 v[20:21], -v[90:91], v[124:125], v[20:21]
	v_fma_f64 v[18:19], -v[90:91], v[126:127], v[18:19]
	;; [unrolled: 1-line block ×3, first 2 shown]
	ds_read2_b64 v[124:127], v110 offset0:47 offset1:48
	v_fma_f64 v[14:15], -v[90:91], v[118:119], v[14:15]
	ds_read2_b64 v[116:119], v110 offset0:49 offset1:50
	s_waitcnt lgkmcnt(0)
	v_fma_f64 v[12:13], -v[90:91], v[120:121], v[12:13]
	v_fma_f64 v[10:11], -v[90:91], v[122:123], v[10:11]
	;; [unrolled: 1-line block ×6, first 2 shown]
.LBB100_114:
	s_or_b64 exec, exec, s[0:1]
	v_lshl_add_u32 v106, v111, 3, v110
	s_barrier
	ds_write_b64 v106, v[88:89]
	s_waitcnt lgkmcnt(0)
	s_barrier
	ds_read_b64 v[106:107], v110 offset:56
	s_cmp_lt_i32 s18, 9
	v_mov_b32_e32 v108, 7
	s_cbranch_scc1 .LBB100_117
; %bb.115:
	v_add3_u32 v115, v115, 0, 64
	s_mov_b32 s0, 8
	v_mov_b32_e32 v108, 7
.LBB100_116:                            ; =>This Inner Loop Header: Depth=1
	ds_read_b64 v[116:117], v115
	v_mov_b32_e32 v118, s0
	s_add_i32 s0, s0, 1
	v_add_u32_e32 v115, 8, v115
	s_cmp_lg_u32 s18, s0
	s_waitcnt lgkmcnt(0)
	v_cmp_lt_f64_e64 vcc, |v[106:107]|, |v[116:117]|
	v_cndmask_b32_e32 v107, v107, v117, vcc
	v_cndmask_b32_e32 v106, v106, v116, vcc
	;; [unrolled: 1-line block ×3, first 2 shown]
	s_cbranch_scc1 .LBB100_116
.LBB100_117:
	s_waitcnt lgkmcnt(0)
	v_cmp_eq_f64_e32 vcc, 0, v[106:107]
	s_and_saveexec_b64 s[0:1], vcc
	s_xor_b64 s[0:1], exec, s[0:1]
; %bb.118:
	v_cmp_ne_u32_e32 vcc, 0, v114
	v_cndmask_b32_e32 v114, 8, v114, vcc
; %bb.119:
	s_andn2_saveexec_b64 s[0:1], s[0:1]
; %bb.120:
	v_div_scale_f64 v[116:117], s[2:3], v[106:107], v[106:107], 1.0
	v_rcp_f64_e32 v[118:119], v[116:117]
	v_div_scale_f64 v[120:121], vcc, 1.0, v[106:107], 1.0
	v_fma_f64 v[122:123], -v[116:117], v[118:119], 1.0
	v_fmac_f64_e32 v[118:119], v[118:119], v[122:123]
	v_fma_f64 v[122:123], -v[116:117], v[118:119], 1.0
	v_fmac_f64_e32 v[118:119], v[118:119], v[122:123]
	v_mul_f64 v[122:123], v[120:121], v[118:119]
	v_fma_f64 v[116:117], -v[116:117], v[122:123], v[120:121]
	v_div_fmas_f64 v[116:117], v[116:117], v[118:119], v[122:123]
	v_div_fixup_f64 v[106:107], v[116:117], v[106:107], 1.0
; %bb.121:
	s_or_b64 exec, exec, s[0:1]
	v_cmp_ne_u32_e32 vcc, v111, v108
	s_and_saveexec_b64 s[0:1], vcc
	s_xor_b64 s[0:1], exec, s[0:1]
	s_cbranch_execz .LBB100_127
; %bb.122:
	v_cmp_eq_u32_e32 vcc, 7, v111
	s_and_saveexec_b64 s[2:3], vcc
	s_cbranch_execz .LBB100_126
; %bb.123:
	v_cmp_ne_u32_e32 vcc, 7, v108
	s_xor_b64 s[14:15], s[6:7], -1
	s_and_b64 s[16:17], s[14:15], vcc
	s_and_saveexec_b64 s[14:15], s[16:17]
	s_cbranch_execz .LBB100_125
; %bb.124:
	v_ashrrev_i32_e32 v109, 31, v108
	v_lshlrev_b64 v[116:117], 2, v[108:109]
	v_add_co_u32_e32 v116, vcc, v4, v116
	v_addc_co_u32_e32 v117, vcc, v5, v117, vcc
	flat_load_dword v109, v[116:117]
	flat_load_dword v111, v[4:5] offset:28
	s_waitcnt vmcnt(0) lgkmcnt(0)
	flat_store_dword v[4:5], v109 offset:28
	flat_store_dword v[116:117], v111
.LBB100_125:
	s_or_b64 exec, exec, s[14:15]
	v_mov_b32_e32 v109, v108
	v_mov_b32_e32 v111, v108
.LBB100_126:
	s_or_b64 exec, exec, s[2:3]
.LBB100_127:
	s_andn2_saveexec_b64 s[0:1], s[0:1]
	s_cbranch_execz .LBB100_129
; %bb.128:
	v_mov_b32_e32 v116, v86
	v_mov_b32_e32 v117, v87
	v_mov_b32_e32 v118, v84
	v_mov_b32_e32 v119, v85
	ds_write2_b64 v110, v[116:117], v[118:119] offset0:8 offset1:9
	v_mov_b32_e32 v116, v82
	v_mov_b32_e32 v117, v83
	v_mov_b32_e32 v118, v80
	v_mov_b32_e32 v119, v81
	ds_write2_b64 v110, v[116:117], v[118:119] offset0:10 offset1:11
	;; [unrolled: 5-line block ×20, first 2 shown]
	v_mov_b32_e32 v116, v6
	v_mov_b32_e32 v117, v7
	;; [unrolled: 1-line block ×5, first 2 shown]
	ds_write2_b64 v110, v[116:117], v[118:119] offset0:48 offset1:49
	ds_write_b64 v110, v[104:105] offset:400
.LBB100_129:
	s_or_b64 exec, exec, s[0:1]
	v_cmp_lt_i32_e32 vcc, 7, v111
	s_waitcnt lgkmcnt(0)
	s_barrier
	s_and_saveexec_b64 s[0:1], vcc
	s_cbranch_execz .LBB100_131
; %bb.130:
	ds_read2_b64 v[116:119], v110 offset0:8 offset1:9
	ds_read2_b64 v[120:123], v110 offset0:10 offset1:11
	;; [unrolled: 1-line block ×3, first 2 shown]
	v_mul_f64 v[88:89], v[106:107], v[88:89]
	ds_read_b64 v[106:107], v110 offset:400
	s_waitcnt lgkmcnt(0)
	v_fma_f64 v[86:87], -v[88:89], v[116:117], v[86:87]
	v_fma_f64 v[84:85], -v[88:89], v[118:119], v[84:85]
	ds_read2_b64 v[116:119], v110 offset0:14 offset1:15
	v_fma_f64 v[82:83], -v[88:89], v[120:121], v[82:83]
	v_fma_f64 v[80:81], -v[88:89], v[122:123], v[80:81]
	v_fma_f64 v[78:79], -v[88:89], v[124:125], v[78:79]
	ds_read2_b64 v[120:123], v110 offset0:16 offset1:17
	v_fma_f64 v[76:77], -v[88:89], v[126:127], v[76:77]
	ds_read2_b64 v[124:127], v110 offset0:18 offset1:19
	s_waitcnt lgkmcnt(0)
	v_fma_f64 v[74:75], -v[88:89], v[116:117], v[74:75]
	v_fma_f64 v[72:73], -v[88:89], v[118:119], v[72:73]
	v_fma_f64 v[70:71], -v[88:89], v[120:121], v[70:71]
	ds_read2_b64 v[116:119], v110 offset0:20 offset1:21
	v_fma_f64 v[68:69], -v[88:89], v[122:123], v[68:69]
	ds_read2_b64 v[120:123], v110 offset0:22 offset1:23
	v_fma_f64 v[66:67], -v[88:89], v[124:125], v[66:67]
	v_fma_f64 v[64:65], -v[88:89], v[126:127], v[64:65]
	ds_read2_b64 v[124:127], v110 offset0:24 offset1:25
	s_waitcnt lgkmcnt(0)
	v_fma_f64 v[62:63], -v[88:89], v[116:117], v[62:63]
	v_fma_f64 v[60:61], -v[88:89], v[118:119], v[60:61]
	ds_read2_b64 v[116:119], v110 offset0:26 offset1:27
	v_fma_f64 v[58:59], -v[88:89], v[120:121], v[58:59]
	v_fma_f64 v[56:57], -v[88:89], v[122:123], v[56:57]
	v_fma_f64 v[54:55], -v[88:89], v[124:125], v[54:55]
	ds_read2_b64 v[120:123], v110 offset0:28 offset1:29
	v_fma_f64 v[52:53], -v[88:89], v[126:127], v[52:53]
	ds_read2_b64 v[124:127], v110 offset0:30 offset1:31
	s_waitcnt lgkmcnt(0)
	v_fma_f64 v[50:51], -v[88:89], v[116:117], v[50:51]
	v_fma_f64 v[48:49], -v[88:89], v[118:119], v[48:49]
	v_fma_f64 v[46:47], -v[88:89], v[120:121], v[46:47]
	ds_read2_b64 v[116:119], v110 offset0:32 offset1:33
	v_fma_f64 v[44:45], -v[88:89], v[122:123], v[44:45]
	ds_read2_b64 v[120:123], v110 offset0:34 offset1:35
	v_fma_f64 v[42:43], -v[88:89], v[124:125], v[42:43]
	v_fma_f64 v[40:41], -v[88:89], v[126:127], v[40:41]
	ds_read2_b64 v[124:127], v110 offset0:36 offset1:37
	s_waitcnt lgkmcnt(0)
	v_fma_f64 v[38:39], -v[88:89], v[116:117], v[38:39]
	v_fma_f64 v[36:37], -v[88:89], v[118:119], v[36:37]
	ds_read2_b64 v[116:119], v110 offset0:38 offset1:39
	v_fma_f64 v[34:35], -v[88:89], v[120:121], v[34:35]
	v_fma_f64 v[32:33], -v[88:89], v[122:123], v[32:33]
	v_fma_f64 v[30:31], -v[88:89], v[124:125], v[30:31]
	ds_read2_b64 v[120:123], v110 offset0:40 offset1:41
	v_fma_f64 v[28:29], -v[88:89], v[126:127], v[28:29]
	ds_read2_b64 v[124:127], v110 offset0:42 offset1:43
	s_waitcnt lgkmcnt(0)
	v_fma_f64 v[26:27], -v[88:89], v[116:117], v[26:27]
	v_fma_f64 v[24:25], -v[88:89], v[118:119], v[24:25]
	v_fma_f64 v[22:23], -v[88:89], v[120:121], v[22:23]
	ds_read2_b64 v[116:119], v110 offset0:44 offset1:45
	v_fma_f64 v[20:21], -v[88:89], v[122:123], v[20:21]
	ds_read2_b64 v[120:123], v110 offset0:46 offset1:47
	v_fma_f64 v[18:19], -v[88:89], v[124:125], v[18:19]
	v_fma_f64 v[16:17], -v[88:89], v[126:127], v[16:17]
	ds_read2_b64 v[124:127], v110 offset0:48 offset1:49
	s_waitcnt lgkmcnt(0)
	v_fma_f64 v[14:15], -v[88:89], v[116:117], v[14:15]
	v_fma_f64 v[12:13], -v[88:89], v[118:119], v[12:13]
	;; [unrolled: 1-line block ×7, first 2 shown]
.LBB100_131:
	s_or_b64 exec, exec, s[0:1]
	v_lshl_add_u32 v106, v111, 3, v110
	s_barrier
	ds_write_b64 v106, v[86:87]
	s_waitcnt lgkmcnt(0)
	s_barrier
	ds_read_b64 v[106:107], v110 offset:64
	s_cmp_lt_i32 s18, 10
	v_mov_b32_e32 v108, 8
	s_cbranch_scc1 .LBB100_134
; %bb.132:
	v_add_u32_e32 v115, 0x48, v110
	s_mov_b32 s0, 9
	v_mov_b32_e32 v108, 8
.LBB100_133:                            ; =>This Inner Loop Header: Depth=1
	ds_read_b64 v[116:117], v115
	v_mov_b32_e32 v118, s0
	s_add_i32 s0, s0, 1
	v_add_u32_e32 v115, 8, v115
	s_cmp_lg_u32 s18, s0
	s_waitcnt lgkmcnt(0)
	v_cmp_lt_f64_e64 vcc, |v[106:107]|, |v[116:117]|
	v_cndmask_b32_e32 v107, v107, v117, vcc
	v_cndmask_b32_e32 v106, v106, v116, vcc
	;; [unrolled: 1-line block ×3, first 2 shown]
	s_cbranch_scc1 .LBB100_133
.LBB100_134:
	s_waitcnt lgkmcnt(0)
	v_cmp_eq_f64_e32 vcc, 0, v[106:107]
	s_and_saveexec_b64 s[0:1], vcc
	s_xor_b64 s[0:1], exec, s[0:1]
; %bb.135:
	v_cmp_ne_u32_e32 vcc, 0, v114
	v_cndmask_b32_e32 v114, 9, v114, vcc
; %bb.136:
	s_andn2_saveexec_b64 s[0:1], s[0:1]
; %bb.137:
	v_div_scale_f64 v[116:117], s[2:3], v[106:107], v[106:107], 1.0
	v_rcp_f64_e32 v[118:119], v[116:117]
	v_div_scale_f64 v[120:121], vcc, 1.0, v[106:107], 1.0
	v_fma_f64 v[122:123], -v[116:117], v[118:119], 1.0
	v_fmac_f64_e32 v[118:119], v[118:119], v[122:123]
	v_fma_f64 v[122:123], -v[116:117], v[118:119], 1.0
	v_fmac_f64_e32 v[118:119], v[118:119], v[122:123]
	v_mul_f64 v[122:123], v[120:121], v[118:119]
	v_fma_f64 v[116:117], -v[116:117], v[122:123], v[120:121]
	v_div_fmas_f64 v[116:117], v[116:117], v[118:119], v[122:123]
	v_div_fixup_f64 v[106:107], v[116:117], v[106:107], 1.0
; %bb.138:
	s_or_b64 exec, exec, s[0:1]
	v_cmp_ne_u32_e32 vcc, v111, v108
	s_and_saveexec_b64 s[0:1], vcc
	s_xor_b64 s[0:1], exec, s[0:1]
	s_cbranch_execz .LBB100_144
; %bb.139:
	v_cmp_eq_u32_e32 vcc, 8, v111
	s_and_saveexec_b64 s[2:3], vcc
	s_cbranch_execz .LBB100_143
; %bb.140:
	v_cmp_ne_u32_e32 vcc, 8, v108
	s_xor_b64 s[14:15], s[6:7], -1
	s_and_b64 s[16:17], s[14:15], vcc
	s_and_saveexec_b64 s[14:15], s[16:17]
	s_cbranch_execz .LBB100_142
; %bb.141:
	v_ashrrev_i32_e32 v109, 31, v108
	v_lshlrev_b64 v[116:117], 2, v[108:109]
	v_add_co_u32_e32 v116, vcc, v4, v116
	v_addc_co_u32_e32 v117, vcc, v5, v117, vcc
	flat_load_dword v109, v[116:117]
	flat_load_dword v111, v[4:5] offset:32
	s_waitcnt vmcnt(0) lgkmcnt(0)
	flat_store_dword v[4:5], v109 offset:32
	flat_store_dword v[116:117], v111
.LBB100_142:
	s_or_b64 exec, exec, s[14:15]
	v_mov_b32_e32 v109, v108
	v_mov_b32_e32 v111, v108
.LBB100_143:
	s_or_b64 exec, exec, s[2:3]
.LBB100_144:
	s_andn2_saveexec_b64 s[0:1], s[0:1]
	s_cbranch_execz .LBB100_146
; %bb.145:
	v_mov_b32_e32 v111, 8
	ds_write2_b64 v110, v[84:85], v[82:83] offset0:9 offset1:10
	ds_write2_b64 v110, v[80:81], v[78:79] offset0:11 offset1:12
	ds_write2_b64 v110, v[76:77], v[74:75] offset0:13 offset1:14
	ds_write2_b64 v110, v[72:73], v[70:71] offset0:15 offset1:16
	ds_write2_b64 v110, v[68:69], v[66:67] offset0:17 offset1:18
	ds_write2_b64 v110, v[64:65], v[62:63] offset0:19 offset1:20
	ds_write2_b64 v110, v[60:61], v[58:59] offset0:21 offset1:22
	ds_write2_b64 v110, v[56:57], v[54:55] offset0:23 offset1:24
	ds_write2_b64 v110, v[52:53], v[50:51] offset0:25 offset1:26
	ds_write2_b64 v110, v[48:49], v[46:47] offset0:27 offset1:28
	ds_write2_b64 v110, v[44:45], v[42:43] offset0:29 offset1:30
	ds_write2_b64 v110, v[40:41], v[38:39] offset0:31 offset1:32
	ds_write2_b64 v110, v[36:37], v[34:35] offset0:33 offset1:34
	ds_write2_b64 v110, v[32:33], v[30:31] offset0:35 offset1:36
	ds_write2_b64 v110, v[28:29], v[26:27] offset0:37 offset1:38
	ds_write2_b64 v110, v[24:25], v[22:23] offset0:39 offset1:40
	ds_write2_b64 v110, v[20:21], v[18:19] offset0:41 offset1:42
	ds_write2_b64 v110, v[16:17], v[14:15] offset0:43 offset1:44
	ds_write2_b64 v110, v[12:13], v[10:11] offset0:45 offset1:46
	ds_write2_b64 v110, v[8:9], v[6:7] offset0:47 offset1:48
	ds_write2_b64 v110, v[0:1], v[104:105] offset0:49 offset1:50
.LBB100_146:
	s_or_b64 exec, exec, s[0:1]
	v_cmp_lt_i32_e32 vcc, 8, v111
	s_waitcnt lgkmcnt(0)
	s_barrier
	s_and_saveexec_b64 s[0:1], vcc
	s_cbranch_execz .LBB100_148
; %bb.147:
	ds_read2_b64 v[116:119], v110 offset0:9 offset1:10
	ds_read2_b64 v[120:123], v110 offset0:11 offset1:12
	;; [unrolled: 1-line block ×3, first 2 shown]
	v_mul_f64 v[86:87], v[106:107], v[86:87]
	s_waitcnt lgkmcnt(0)
	v_fma_f64 v[84:85], -v[86:87], v[116:117], v[84:85]
	v_fma_f64 v[82:83], -v[86:87], v[118:119], v[82:83]
	ds_read2_b64 v[116:119], v110 offset0:15 offset1:16
	v_fma_f64 v[80:81], -v[86:87], v[120:121], v[80:81]
	v_fma_f64 v[78:79], -v[86:87], v[122:123], v[78:79]
	;; [unrolled: 1-line block ×3, first 2 shown]
	ds_read2_b64 v[120:123], v110 offset0:17 offset1:18
	v_fma_f64 v[74:75], -v[86:87], v[126:127], v[74:75]
	ds_read2_b64 v[124:127], v110 offset0:19 offset1:20
	s_waitcnt lgkmcnt(0)
	v_fma_f64 v[72:73], -v[86:87], v[116:117], v[72:73]
	v_fma_f64 v[70:71], -v[86:87], v[118:119], v[70:71]
	v_fma_f64 v[68:69], -v[86:87], v[120:121], v[68:69]
	ds_read2_b64 v[116:119], v110 offset0:21 offset1:22
	v_fma_f64 v[66:67], -v[86:87], v[122:123], v[66:67]
	ds_read2_b64 v[120:123], v110 offset0:23 offset1:24
	v_fma_f64 v[64:65], -v[86:87], v[124:125], v[64:65]
	v_fma_f64 v[62:63], -v[86:87], v[126:127], v[62:63]
	ds_read2_b64 v[124:127], v110 offset0:25 offset1:26
	s_waitcnt lgkmcnt(0)
	v_fma_f64 v[60:61], -v[86:87], v[116:117], v[60:61]
	v_fma_f64 v[58:59], -v[86:87], v[118:119], v[58:59]
	ds_read2_b64 v[116:119], v110 offset0:27 offset1:28
	v_fma_f64 v[56:57], -v[86:87], v[120:121], v[56:57]
	v_fma_f64 v[54:55], -v[86:87], v[122:123], v[54:55]
	;; [unrolled: 1-line block ×3, first 2 shown]
	ds_read2_b64 v[120:123], v110 offset0:29 offset1:30
	v_fma_f64 v[50:51], -v[86:87], v[126:127], v[50:51]
	ds_read2_b64 v[124:127], v110 offset0:31 offset1:32
	s_waitcnt lgkmcnt(0)
	v_fma_f64 v[48:49], -v[86:87], v[116:117], v[48:49]
	v_fma_f64 v[46:47], -v[86:87], v[118:119], v[46:47]
	;; [unrolled: 1-line block ×3, first 2 shown]
	ds_read2_b64 v[116:119], v110 offset0:33 offset1:34
	v_fma_f64 v[42:43], -v[86:87], v[122:123], v[42:43]
	ds_read2_b64 v[120:123], v110 offset0:35 offset1:36
	v_fma_f64 v[40:41], -v[86:87], v[124:125], v[40:41]
	v_fma_f64 v[38:39], -v[86:87], v[126:127], v[38:39]
	ds_read2_b64 v[124:127], v110 offset0:37 offset1:38
	s_waitcnt lgkmcnt(0)
	v_fma_f64 v[36:37], -v[86:87], v[116:117], v[36:37]
	v_fma_f64 v[34:35], -v[86:87], v[118:119], v[34:35]
	ds_read2_b64 v[116:119], v110 offset0:39 offset1:40
	v_fma_f64 v[32:33], -v[86:87], v[120:121], v[32:33]
	v_fma_f64 v[30:31], -v[86:87], v[122:123], v[30:31]
	;; [unrolled: 1-line block ×3, first 2 shown]
	ds_read2_b64 v[120:123], v110 offset0:41 offset1:42
	v_fma_f64 v[26:27], -v[86:87], v[126:127], v[26:27]
	ds_read2_b64 v[124:127], v110 offset0:43 offset1:44
	s_waitcnt lgkmcnt(0)
	v_fma_f64 v[24:25], -v[86:87], v[116:117], v[24:25]
	v_fma_f64 v[22:23], -v[86:87], v[118:119], v[22:23]
	;; [unrolled: 1-line block ×4, first 2 shown]
	ds_read2_b64 v[116:119], v110 offset0:45 offset1:46
	ds_read2_b64 v[120:123], v110 offset0:47 offset1:48
	v_fma_f64 v[16:17], -v[86:87], v[124:125], v[16:17]
	v_fma_f64 v[14:15], -v[86:87], v[126:127], v[14:15]
	ds_read2_b64 v[124:127], v110 offset0:49 offset1:50
	s_waitcnt lgkmcnt(0)
	v_fma_f64 v[12:13], -v[86:87], v[116:117], v[12:13]
	v_fma_f64 v[10:11], -v[86:87], v[118:119], v[10:11]
	;; [unrolled: 1-line block ×6, first 2 shown]
.LBB100_148:
	s_or_b64 exec, exec, s[0:1]
	v_lshl_add_u32 v106, v111, 3, v110
	s_barrier
	ds_write_b64 v106, v[84:85]
	s_waitcnt lgkmcnt(0)
	s_barrier
	ds_read_b64 v[106:107], v110 offset:72
	s_cmp_lt_i32 s18, 11
	v_mov_b32_e32 v108, 9
	s_cbranch_scc1 .LBB100_151
; %bb.149:
	v_add_u32_e32 v115, 0x50, v110
	s_mov_b32 s0, 10
	v_mov_b32_e32 v108, 9
.LBB100_150:                            ; =>This Inner Loop Header: Depth=1
	ds_read_b64 v[116:117], v115
	v_mov_b32_e32 v118, s0
	s_add_i32 s0, s0, 1
	v_add_u32_e32 v115, 8, v115
	s_cmp_lg_u32 s18, s0
	s_waitcnt lgkmcnt(0)
	v_cmp_lt_f64_e64 vcc, |v[106:107]|, |v[116:117]|
	v_cndmask_b32_e32 v107, v107, v117, vcc
	v_cndmask_b32_e32 v106, v106, v116, vcc
	;; [unrolled: 1-line block ×3, first 2 shown]
	s_cbranch_scc1 .LBB100_150
.LBB100_151:
	s_waitcnt lgkmcnt(0)
	v_cmp_eq_f64_e32 vcc, 0, v[106:107]
	s_and_saveexec_b64 s[0:1], vcc
	s_xor_b64 s[0:1], exec, s[0:1]
; %bb.152:
	v_cmp_ne_u32_e32 vcc, 0, v114
	v_cndmask_b32_e32 v114, 10, v114, vcc
; %bb.153:
	s_andn2_saveexec_b64 s[0:1], s[0:1]
; %bb.154:
	v_div_scale_f64 v[116:117], s[2:3], v[106:107], v[106:107], 1.0
	v_rcp_f64_e32 v[118:119], v[116:117]
	v_div_scale_f64 v[120:121], vcc, 1.0, v[106:107], 1.0
	v_fma_f64 v[122:123], -v[116:117], v[118:119], 1.0
	v_fmac_f64_e32 v[118:119], v[118:119], v[122:123]
	v_fma_f64 v[122:123], -v[116:117], v[118:119], 1.0
	v_fmac_f64_e32 v[118:119], v[118:119], v[122:123]
	v_mul_f64 v[122:123], v[120:121], v[118:119]
	v_fma_f64 v[116:117], -v[116:117], v[122:123], v[120:121]
	v_div_fmas_f64 v[116:117], v[116:117], v[118:119], v[122:123]
	v_div_fixup_f64 v[106:107], v[116:117], v[106:107], 1.0
; %bb.155:
	s_or_b64 exec, exec, s[0:1]
	v_cmp_ne_u32_e32 vcc, v111, v108
	s_and_saveexec_b64 s[0:1], vcc
	s_xor_b64 s[0:1], exec, s[0:1]
	s_cbranch_execz .LBB100_161
; %bb.156:
	v_cmp_eq_u32_e32 vcc, 9, v111
	s_and_saveexec_b64 s[2:3], vcc
	s_cbranch_execz .LBB100_160
; %bb.157:
	v_cmp_ne_u32_e32 vcc, 9, v108
	s_xor_b64 s[14:15], s[6:7], -1
	s_and_b64 s[16:17], s[14:15], vcc
	s_and_saveexec_b64 s[14:15], s[16:17]
	s_cbranch_execz .LBB100_159
; %bb.158:
	v_ashrrev_i32_e32 v109, 31, v108
	v_lshlrev_b64 v[116:117], 2, v[108:109]
	v_add_co_u32_e32 v116, vcc, v4, v116
	v_addc_co_u32_e32 v117, vcc, v5, v117, vcc
	flat_load_dword v109, v[116:117]
	flat_load_dword v111, v[4:5] offset:36
	s_waitcnt vmcnt(0) lgkmcnt(0)
	flat_store_dword v[4:5], v109 offset:36
	flat_store_dword v[116:117], v111
.LBB100_159:
	s_or_b64 exec, exec, s[14:15]
	v_mov_b32_e32 v109, v108
	v_mov_b32_e32 v111, v108
.LBB100_160:
	s_or_b64 exec, exec, s[2:3]
.LBB100_161:
	s_andn2_saveexec_b64 s[0:1], s[0:1]
	s_cbranch_execz .LBB100_163
; %bb.162:
	v_mov_b32_e32 v116, v82
	v_mov_b32_e32 v117, v83
	v_mov_b32_e32 v118, v80
	v_mov_b32_e32 v119, v81
	ds_write2_b64 v110, v[116:117], v[118:119] offset0:10 offset1:11
	v_mov_b32_e32 v116, v78
	v_mov_b32_e32 v117, v79
	v_mov_b32_e32 v118, v76
	v_mov_b32_e32 v119, v77
	ds_write2_b64 v110, v[116:117], v[118:119] offset0:12 offset1:13
	;; [unrolled: 5-line block ×19, first 2 shown]
	v_mov_b32_e32 v116, v6
	v_mov_b32_e32 v117, v7
	;; [unrolled: 1-line block ×5, first 2 shown]
	ds_write2_b64 v110, v[116:117], v[118:119] offset0:48 offset1:49
	ds_write_b64 v110, v[104:105] offset:400
.LBB100_163:
	s_or_b64 exec, exec, s[0:1]
	v_cmp_lt_i32_e32 vcc, 9, v111
	s_waitcnt lgkmcnt(0)
	s_barrier
	s_and_saveexec_b64 s[0:1], vcc
	s_cbranch_execz .LBB100_165
; %bb.164:
	ds_read2_b64 v[116:119], v110 offset0:10 offset1:11
	ds_read2_b64 v[120:123], v110 offset0:12 offset1:13
	v_mul_f64 v[84:85], v[106:107], v[84:85]
	ds_read2_b64 v[124:127], v110 offset0:14 offset1:15
	ds_read_b64 v[106:107], v110 offset:400
	s_waitcnt lgkmcnt(0)
	v_fma_f64 v[82:83], -v[84:85], v[116:117], v[82:83]
	v_fma_f64 v[80:81], -v[84:85], v[118:119], v[80:81]
	ds_read2_b64 v[116:119], v110 offset0:16 offset1:17
	v_fma_f64 v[78:79], -v[84:85], v[120:121], v[78:79]
	v_fma_f64 v[76:77], -v[84:85], v[122:123], v[76:77]
	ds_read2_b64 v[120:123], v110 offset0:18 offset1:19
	;; [unrolled: 3-line block ×3, first 2 shown]
	s_waitcnt lgkmcnt(0)
	v_fma_f64 v[70:71], -v[84:85], v[116:117], v[70:71]
	v_fma_f64 v[68:69], -v[84:85], v[118:119], v[68:69]
	;; [unrolled: 1-line block ×3, first 2 shown]
	ds_read2_b64 v[116:119], v110 offset0:22 offset1:23
	v_fma_f64 v[64:65], -v[84:85], v[122:123], v[64:65]
	ds_read2_b64 v[120:123], v110 offset0:24 offset1:25
	v_fma_f64 v[62:63], -v[84:85], v[124:125], v[62:63]
	v_fma_f64 v[60:61], -v[84:85], v[126:127], v[60:61]
	s_waitcnt lgkmcnt(0)
	v_fma_f64 v[58:59], -v[84:85], v[116:117], v[58:59]
	ds_read2_b64 v[124:127], v110 offset0:26 offset1:27
	v_fma_f64 v[56:57], -v[84:85], v[118:119], v[56:57]
	ds_read2_b64 v[116:119], v110 offset0:28 offset1:29
	v_fma_f64 v[54:55], -v[84:85], v[120:121], v[54:55]
	v_fma_f64 v[52:53], -v[84:85], v[122:123], v[52:53]
	ds_read2_b64 v[120:123], v110 offset0:30 offset1:31
	s_waitcnt lgkmcnt(0)
	v_fma_f64 v[50:51], -v[84:85], v[124:125], v[50:51]
	v_fma_f64 v[48:49], -v[84:85], v[126:127], v[48:49]
	ds_read2_b64 v[124:127], v110 offset0:32 offset1:33
	v_fma_f64 v[46:47], -v[84:85], v[116:117], v[46:47]
	v_fma_f64 v[44:45], -v[84:85], v[118:119], v[44:45]
	;; [unrolled: 1-line block ×3, first 2 shown]
	ds_read2_b64 v[116:119], v110 offset0:34 offset1:35
	v_fma_f64 v[40:41], -v[84:85], v[122:123], v[40:41]
	ds_read2_b64 v[120:123], v110 offset0:36 offset1:37
	s_waitcnt lgkmcnt(0)
	v_fma_f64 v[38:39], -v[84:85], v[124:125], v[38:39]
	v_fma_f64 v[36:37], -v[84:85], v[126:127], v[36:37]
	;; [unrolled: 1-line block ×3, first 2 shown]
	ds_read2_b64 v[124:127], v110 offset0:38 offset1:39
	v_fma_f64 v[32:33], -v[84:85], v[118:119], v[32:33]
	ds_read2_b64 v[116:119], v110 offset0:40 offset1:41
	v_fma_f64 v[30:31], -v[84:85], v[120:121], v[30:31]
	v_fma_f64 v[28:29], -v[84:85], v[122:123], v[28:29]
	ds_read2_b64 v[120:123], v110 offset0:42 offset1:43
	s_waitcnt lgkmcnt(0)
	v_fma_f64 v[26:27], -v[84:85], v[124:125], v[26:27]
	v_fma_f64 v[24:25], -v[84:85], v[126:127], v[24:25]
	ds_read2_b64 v[124:127], v110 offset0:44 offset1:45
	v_fma_f64 v[22:23], -v[84:85], v[116:117], v[22:23]
	v_fma_f64 v[20:21], -v[84:85], v[118:119], v[20:21]
	;; [unrolled: 1-line block ×4, first 2 shown]
	ds_read2_b64 v[116:119], v110 offset0:46 offset1:47
	ds_read2_b64 v[120:123], v110 offset0:48 offset1:49
	s_waitcnt lgkmcnt(0)
	v_fma_f64 v[14:15], -v[84:85], v[124:125], v[14:15]
	v_fma_f64 v[12:13], -v[84:85], v[126:127], v[12:13]
	;; [unrolled: 1-line block ×7, first 2 shown]
.LBB100_165:
	s_or_b64 exec, exec, s[0:1]
	v_lshl_add_u32 v106, v111, 3, v110
	s_barrier
	ds_write_b64 v106, v[82:83]
	s_waitcnt lgkmcnt(0)
	s_barrier
	ds_read_b64 v[106:107], v110 offset:80
	s_cmp_lt_i32 s18, 12
	v_mov_b32_e32 v108, 10
	s_cbranch_scc1 .LBB100_168
; %bb.166:
	v_add_u32_e32 v115, 0x58, v110
	s_mov_b32 s0, 11
	v_mov_b32_e32 v108, 10
.LBB100_167:                            ; =>This Inner Loop Header: Depth=1
	ds_read_b64 v[116:117], v115
	v_mov_b32_e32 v118, s0
	s_add_i32 s0, s0, 1
	v_add_u32_e32 v115, 8, v115
	s_cmp_lg_u32 s18, s0
	s_waitcnt lgkmcnt(0)
	v_cmp_lt_f64_e64 vcc, |v[106:107]|, |v[116:117]|
	v_cndmask_b32_e32 v107, v107, v117, vcc
	v_cndmask_b32_e32 v106, v106, v116, vcc
	;; [unrolled: 1-line block ×3, first 2 shown]
	s_cbranch_scc1 .LBB100_167
.LBB100_168:
	s_waitcnt lgkmcnt(0)
	v_cmp_eq_f64_e32 vcc, 0, v[106:107]
	s_and_saveexec_b64 s[0:1], vcc
	s_xor_b64 s[0:1], exec, s[0:1]
; %bb.169:
	v_cmp_ne_u32_e32 vcc, 0, v114
	v_cndmask_b32_e32 v114, 11, v114, vcc
; %bb.170:
	s_andn2_saveexec_b64 s[0:1], s[0:1]
; %bb.171:
	v_div_scale_f64 v[116:117], s[2:3], v[106:107], v[106:107], 1.0
	v_rcp_f64_e32 v[118:119], v[116:117]
	v_div_scale_f64 v[120:121], vcc, 1.0, v[106:107], 1.0
	v_fma_f64 v[122:123], -v[116:117], v[118:119], 1.0
	v_fmac_f64_e32 v[118:119], v[118:119], v[122:123]
	v_fma_f64 v[122:123], -v[116:117], v[118:119], 1.0
	v_fmac_f64_e32 v[118:119], v[118:119], v[122:123]
	v_mul_f64 v[122:123], v[120:121], v[118:119]
	v_fma_f64 v[116:117], -v[116:117], v[122:123], v[120:121]
	v_div_fmas_f64 v[116:117], v[116:117], v[118:119], v[122:123]
	v_div_fixup_f64 v[106:107], v[116:117], v[106:107], 1.0
; %bb.172:
	s_or_b64 exec, exec, s[0:1]
	v_cmp_ne_u32_e32 vcc, v111, v108
	s_and_saveexec_b64 s[0:1], vcc
	s_xor_b64 s[0:1], exec, s[0:1]
	s_cbranch_execz .LBB100_178
; %bb.173:
	v_cmp_eq_u32_e32 vcc, 10, v111
	s_and_saveexec_b64 s[2:3], vcc
	s_cbranch_execz .LBB100_177
; %bb.174:
	v_cmp_ne_u32_e32 vcc, 10, v108
	s_xor_b64 s[14:15], s[6:7], -1
	s_and_b64 s[16:17], s[14:15], vcc
	s_and_saveexec_b64 s[14:15], s[16:17]
	s_cbranch_execz .LBB100_176
; %bb.175:
	v_ashrrev_i32_e32 v109, 31, v108
	v_lshlrev_b64 v[116:117], 2, v[108:109]
	v_add_co_u32_e32 v116, vcc, v4, v116
	v_addc_co_u32_e32 v117, vcc, v5, v117, vcc
	flat_load_dword v109, v[116:117]
	flat_load_dword v111, v[4:5] offset:40
	s_waitcnt vmcnt(0) lgkmcnt(0)
	flat_store_dword v[4:5], v109 offset:40
	flat_store_dword v[116:117], v111
.LBB100_176:
	s_or_b64 exec, exec, s[14:15]
	v_mov_b32_e32 v109, v108
	v_mov_b32_e32 v111, v108
.LBB100_177:
	s_or_b64 exec, exec, s[2:3]
.LBB100_178:
	s_andn2_saveexec_b64 s[0:1], s[0:1]
	s_cbranch_execz .LBB100_180
; %bb.179:
	v_mov_b32_e32 v111, 10
	ds_write2_b64 v110, v[80:81], v[78:79] offset0:11 offset1:12
	ds_write2_b64 v110, v[76:77], v[74:75] offset0:13 offset1:14
	;; [unrolled: 1-line block ×20, first 2 shown]
.LBB100_180:
	s_or_b64 exec, exec, s[0:1]
	v_cmp_lt_i32_e32 vcc, 10, v111
	s_waitcnt lgkmcnt(0)
	s_barrier
	s_and_saveexec_b64 s[0:1], vcc
	s_cbranch_execz .LBB100_182
; %bb.181:
	ds_read2_b64 v[116:119], v110 offset0:11 offset1:12
	ds_read2_b64 v[120:123], v110 offset0:13 offset1:14
	v_mul_f64 v[82:83], v[106:107], v[82:83]
	ds_read2_b64 v[124:127], v110 offset0:15 offset1:16
	s_waitcnt lgkmcnt(0)
	v_fma_f64 v[80:81], -v[82:83], v[116:117], v[80:81]
	v_fma_f64 v[78:79], -v[82:83], v[118:119], v[78:79]
	ds_read2_b64 v[116:119], v110 offset0:17 offset1:18
	v_fma_f64 v[76:77], -v[82:83], v[120:121], v[76:77]
	v_fma_f64 v[74:75], -v[82:83], v[122:123], v[74:75]
	ds_read2_b64 v[120:123], v110 offset0:19 offset1:20
	v_fma_f64 v[72:73], -v[82:83], v[124:125], v[72:73]
	v_fma_f64 v[70:71], -v[82:83], v[126:127], v[70:71]
	ds_read2_b64 v[124:127], v110 offset0:21 offset1:22
	s_waitcnt lgkmcnt(0)
	v_fma_f64 v[68:69], -v[82:83], v[116:117], v[68:69]
	v_fma_f64 v[66:67], -v[82:83], v[118:119], v[66:67]
	;; [unrolled: 1-line block ×3, first 2 shown]
	ds_read2_b64 v[116:119], v110 offset0:23 offset1:24
	v_fma_f64 v[62:63], -v[82:83], v[122:123], v[62:63]
	ds_read2_b64 v[120:123], v110 offset0:25 offset1:26
	v_fma_f64 v[60:61], -v[82:83], v[124:125], v[60:61]
	v_fma_f64 v[58:59], -v[82:83], v[126:127], v[58:59]
	s_waitcnt lgkmcnt(0)
	v_fma_f64 v[56:57], -v[82:83], v[116:117], v[56:57]
	ds_read2_b64 v[124:127], v110 offset0:27 offset1:28
	v_fma_f64 v[54:55], -v[82:83], v[118:119], v[54:55]
	ds_read2_b64 v[116:119], v110 offset0:29 offset1:30
	v_fma_f64 v[52:53], -v[82:83], v[120:121], v[52:53]
	v_fma_f64 v[50:51], -v[82:83], v[122:123], v[50:51]
	ds_read2_b64 v[120:123], v110 offset0:31 offset1:32
	s_waitcnt lgkmcnt(0)
	v_fma_f64 v[48:49], -v[82:83], v[124:125], v[48:49]
	v_fma_f64 v[46:47], -v[82:83], v[126:127], v[46:47]
	ds_read2_b64 v[124:127], v110 offset0:33 offset1:34
	v_fma_f64 v[44:45], -v[82:83], v[116:117], v[44:45]
	v_fma_f64 v[42:43], -v[82:83], v[118:119], v[42:43]
	;; [unrolled: 1-line block ×3, first 2 shown]
	ds_read2_b64 v[116:119], v110 offset0:35 offset1:36
	v_fma_f64 v[38:39], -v[82:83], v[122:123], v[38:39]
	ds_read2_b64 v[120:123], v110 offset0:37 offset1:38
	s_waitcnt lgkmcnt(0)
	v_fma_f64 v[36:37], -v[82:83], v[124:125], v[36:37]
	v_fma_f64 v[34:35], -v[82:83], v[126:127], v[34:35]
	;; [unrolled: 1-line block ×3, first 2 shown]
	ds_read2_b64 v[124:127], v110 offset0:39 offset1:40
	v_fma_f64 v[30:31], -v[82:83], v[118:119], v[30:31]
	ds_read2_b64 v[116:119], v110 offset0:41 offset1:42
	v_fma_f64 v[28:29], -v[82:83], v[120:121], v[28:29]
	v_fma_f64 v[26:27], -v[82:83], v[122:123], v[26:27]
	ds_read2_b64 v[120:123], v110 offset0:43 offset1:44
	s_waitcnt lgkmcnt(0)
	v_fma_f64 v[24:25], -v[82:83], v[124:125], v[24:25]
	v_fma_f64 v[22:23], -v[82:83], v[126:127], v[22:23]
	;; [unrolled: 1-line block ×4, first 2 shown]
	ds_read2_b64 v[116:119], v110 offset0:45 offset1:46
	v_fma_f64 v[16:17], -v[82:83], v[120:121], v[16:17]
	ds_read2_b64 v[124:127], v110 offset0:47 offset1:48
	v_fma_f64 v[14:15], -v[82:83], v[122:123], v[14:15]
	ds_read2_b64 v[120:123], v110 offset0:49 offset1:50
	s_waitcnt lgkmcnt(0)
	v_fma_f64 v[12:13], -v[82:83], v[116:117], v[12:13]
	v_fma_f64 v[10:11], -v[82:83], v[118:119], v[10:11]
	;; [unrolled: 1-line block ×6, first 2 shown]
.LBB100_182:
	s_or_b64 exec, exec, s[0:1]
	v_lshl_add_u32 v106, v111, 3, v110
	s_barrier
	ds_write_b64 v106, v[80:81]
	s_waitcnt lgkmcnt(0)
	s_barrier
	ds_read_b64 v[106:107], v110 offset:88
	s_cmp_lt_i32 s18, 13
	v_mov_b32_e32 v108, 11
	s_cbranch_scc1 .LBB100_185
; %bb.183:
	v_add_u32_e32 v115, 0x60, v110
	s_mov_b32 s0, 12
	v_mov_b32_e32 v108, 11
.LBB100_184:                            ; =>This Inner Loop Header: Depth=1
	ds_read_b64 v[116:117], v115
	v_mov_b32_e32 v118, s0
	s_add_i32 s0, s0, 1
	v_add_u32_e32 v115, 8, v115
	s_cmp_lg_u32 s18, s0
	s_waitcnt lgkmcnt(0)
	v_cmp_lt_f64_e64 vcc, |v[106:107]|, |v[116:117]|
	v_cndmask_b32_e32 v107, v107, v117, vcc
	v_cndmask_b32_e32 v106, v106, v116, vcc
	;; [unrolled: 1-line block ×3, first 2 shown]
	s_cbranch_scc1 .LBB100_184
.LBB100_185:
	s_waitcnt lgkmcnt(0)
	v_cmp_eq_f64_e32 vcc, 0, v[106:107]
	s_and_saveexec_b64 s[0:1], vcc
	s_xor_b64 s[0:1], exec, s[0:1]
; %bb.186:
	v_cmp_ne_u32_e32 vcc, 0, v114
	v_cndmask_b32_e32 v114, 12, v114, vcc
; %bb.187:
	s_andn2_saveexec_b64 s[0:1], s[0:1]
; %bb.188:
	v_div_scale_f64 v[116:117], s[2:3], v[106:107], v[106:107], 1.0
	v_rcp_f64_e32 v[118:119], v[116:117]
	v_div_scale_f64 v[120:121], vcc, 1.0, v[106:107], 1.0
	v_fma_f64 v[122:123], -v[116:117], v[118:119], 1.0
	v_fmac_f64_e32 v[118:119], v[118:119], v[122:123]
	v_fma_f64 v[122:123], -v[116:117], v[118:119], 1.0
	v_fmac_f64_e32 v[118:119], v[118:119], v[122:123]
	v_mul_f64 v[122:123], v[120:121], v[118:119]
	v_fma_f64 v[116:117], -v[116:117], v[122:123], v[120:121]
	v_div_fmas_f64 v[116:117], v[116:117], v[118:119], v[122:123]
	v_div_fixup_f64 v[106:107], v[116:117], v[106:107], 1.0
; %bb.189:
	s_or_b64 exec, exec, s[0:1]
	v_cmp_ne_u32_e32 vcc, v111, v108
	s_and_saveexec_b64 s[0:1], vcc
	s_xor_b64 s[0:1], exec, s[0:1]
	s_cbranch_execz .LBB100_195
; %bb.190:
	v_cmp_eq_u32_e32 vcc, 11, v111
	s_and_saveexec_b64 s[2:3], vcc
	s_cbranch_execz .LBB100_194
; %bb.191:
	v_cmp_ne_u32_e32 vcc, 11, v108
	s_xor_b64 s[14:15], s[6:7], -1
	s_and_b64 s[16:17], s[14:15], vcc
	s_and_saveexec_b64 s[14:15], s[16:17]
	s_cbranch_execz .LBB100_193
; %bb.192:
	v_ashrrev_i32_e32 v109, 31, v108
	v_lshlrev_b64 v[116:117], 2, v[108:109]
	v_add_co_u32_e32 v116, vcc, v4, v116
	v_addc_co_u32_e32 v117, vcc, v5, v117, vcc
	flat_load_dword v109, v[116:117]
	flat_load_dword v111, v[4:5] offset:44
	s_waitcnt vmcnt(0) lgkmcnt(0)
	flat_store_dword v[4:5], v109 offset:44
	flat_store_dword v[116:117], v111
.LBB100_193:
	s_or_b64 exec, exec, s[14:15]
	v_mov_b32_e32 v109, v108
	v_mov_b32_e32 v111, v108
.LBB100_194:
	s_or_b64 exec, exec, s[2:3]
.LBB100_195:
	s_andn2_saveexec_b64 s[0:1], s[0:1]
	s_cbranch_execz .LBB100_197
; %bb.196:
	v_mov_b32_e32 v116, v78
	v_mov_b32_e32 v117, v79
	v_mov_b32_e32 v118, v76
	v_mov_b32_e32 v119, v77
	ds_write2_b64 v110, v[116:117], v[118:119] offset0:12 offset1:13
	v_mov_b32_e32 v116, v74
	v_mov_b32_e32 v117, v75
	v_mov_b32_e32 v118, v72
	v_mov_b32_e32 v119, v73
	ds_write2_b64 v110, v[116:117], v[118:119] offset0:14 offset1:15
	;; [unrolled: 5-line block ×18, first 2 shown]
	v_mov_b32_e32 v116, v6
	v_mov_b32_e32 v117, v7
	;; [unrolled: 1-line block ×5, first 2 shown]
	ds_write2_b64 v110, v[116:117], v[118:119] offset0:48 offset1:49
	ds_write_b64 v110, v[104:105] offset:400
.LBB100_197:
	s_or_b64 exec, exec, s[0:1]
	v_cmp_lt_i32_e32 vcc, 11, v111
	s_waitcnt lgkmcnt(0)
	s_barrier
	s_and_saveexec_b64 s[0:1], vcc
	s_cbranch_execz .LBB100_199
; %bb.198:
	ds_read2_b64 v[116:119], v110 offset0:12 offset1:13
	ds_read2_b64 v[120:123], v110 offset0:14 offset1:15
	v_mul_f64 v[80:81], v[106:107], v[80:81]
	ds_read2_b64 v[124:127], v110 offset0:16 offset1:17
	ds_read_b64 v[106:107], v110 offset:400
	s_waitcnt lgkmcnt(0)
	v_fma_f64 v[78:79], -v[80:81], v[116:117], v[78:79]
	v_fma_f64 v[76:77], -v[80:81], v[118:119], v[76:77]
	ds_read2_b64 v[116:119], v110 offset0:18 offset1:19
	v_fma_f64 v[74:75], -v[80:81], v[120:121], v[74:75]
	v_fma_f64 v[72:73], -v[80:81], v[122:123], v[72:73]
	;; [unrolled: 1-line block ×3, first 2 shown]
	ds_read2_b64 v[120:123], v110 offset0:20 offset1:21
	v_fma_f64 v[68:69], -v[80:81], v[126:127], v[68:69]
	ds_read2_b64 v[124:127], v110 offset0:22 offset1:23
	s_waitcnt lgkmcnt(0)
	v_fma_f64 v[66:67], -v[80:81], v[116:117], v[66:67]
	v_fma_f64 v[64:65], -v[80:81], v[118:119], v[64:65]
	ds_read2_b64 v[116:119], v110 offset0:24 offset1:25
	v_fma_f64 v[62:63], -v[80:81], v[120:121], v[62:63]
	v_fma_f64 v[60:61], -v[80:81], v[122:123], v[60:61]
	ds_read2_b64 v[120:123], v110 offset0:26 offset1:27
	v_fma_f64 v[58:59], -v[80:81], v[124:125], v[58:59]
	v_fma_f64 v[56:57], -v[80:81], v[126:127], v[56:57]
	s_waitcnt lgkmcnt(0)
	v_fma_f64 v[54:55], -v[80:81], v[116:117], v[54:55]
	ds_read2_b64 v[124:127], v110 offset0:28 offset1:29
	v_fma_f64 v[52:53], -v[80:81], v[118:119], v[52:53]
	ds_read2_b64 v[116:119], v110 offset0:30 offset1:31
	v_fma_f64 v[50:51], -v[80:81], v[120:121], v[50:51]
	v_fma_f64 v[48:49], -v[80:81], v[122:123], v[48:49]
	s_waitcnt lgkmcnt(0)
	v_fma_f64 v[46:47], -v[80:81], v[124:125], v[46:47]
	ds_read2_b64 v[120:123], v110 offset0:32 offset1:33
	v_fma_f64 v[44:45], -v[80:81], v[126:127], v[44:45]
	ds_read2_b64 v[124:127], v110 offset0:34 offset1:35
	v_fma_f64 v[42:43], -v[80:81], v[116:117], v[42:43]
	v_fma_f64 v[40:41], -v[80:81], v[118:119], v[40:41]
	ds_read2_b64 v[116:119], v110 offset0:36 offset1:37
	s_waitcnt lgkmcnt(0)
	v_fma_f64 v[38:39], -v[80:81], v[120:121], v[38:39]
	v_fma_f64 v[36:37], -v[80:81], v[122:123], v[36:37]
	ds_read2_b64 v[120:123], v110 offset0:38 offset1:39
	v_fma_f64 v[34:35], -v[80:81], v[124:125], v[34:35]
	v_fma_f64 v[32:33], -v[80:81], v[126:127], v[32:33]
	;; [unrolled: 1-line block ×3, first 2 shown]
	ds_read2_b64 v[124:127], v110 offset0:40 offset1:41
	v_fma_f64 v[28:29], -v[80:81], v[118:119], v[28:29]
	ds_read2_b64 v[116:119], v110 offset0:42 offset1:43
	s_waitcnt lgkmcnt(0)
	v_fma_f64 v[26:27], -v[80:81], v[120:121], v[26:27]
	v_fma_f64 v[24:25], -v[80:81], v[122:123], v[24:25]
	;; [unrolled: 1-line block ×3, first 2 shown]
	ds_read2_b64 v[120:123], v110 offset0:44 offset1:45
	v_fma_f64 v[20:21], -v[80:81], v[126:127], v[20:21]
	v_fma_f64 v[18:19], -v[80:81], v[116:117], v[18:19]
	v_fma_f64 v[16:17], -v[80:81], v[118:119], v[16:17]
	ds_read2_b64 v[116:119], v110 offset0:46 offset1:47
	ds_read2_b64 v[124:127], v110 offset0:48 offset1:49
	s_waitcnt lgkmcnt(0)
	v_fma_f64 v[14:15], -v[80:81], v[120:121], v[14:15]
	v_fma_f64 v[12:13], -v[80:81], v[122:123], v[12:13]
	;; [unrolled: 1-line block ×7, first 2 shown]
.LBB100_199:
	s_or_b64 exec, exec, s[0:1]
	v_lshl_add_u32 v106, v111, 3, v110
	s_barrier
	ds_write_b64 v106, v[78:79]
	s_waitcnt lgkmcnt(0)
	s_barrier
	ds_read_b64 v[106:107], v110 offset:96
	s_cmp_lt_i32 s18, 14
	v_mov_b32_e32 v108, 12
	s_cbranch_scc1 .LBB100_202
; %bb.200:
	v_add_u32_e32 v115, 0x68, v110
	s_mov_b32 s0, 13
	v_mov_b32_e32 v108, 12
.LBB100_201:                            ; =>This Inner Loop Header: Depth=1
	ds_read_b64 v[116:117], v115
	v_mov_b32_e32 v118, s0
	s_add_i32 s0, s0, 1
	v_add_u32_e32 v115, 8, v115
	s_cmp_lg_u32 s18, s0
	s_waitcnt lgkmcnt(0)
	v_cmp_lt_f64_e64 vcc, |v[106:107]|, |v[116:117]|
	v_cndmask_b32_e32 v107, v107, v117, vcc
	v_cndmask_b32_e32 v106, v106, v116, vcc
	;; [unrolled: 1-line block ×3, first 2 shown]
	s_cbranch_scc1 .LBB100_201
.LBB100_202:
	s_waitcnt lgkmcnt(0)
	v_cmp_eq_f64_e32 vcc, 0, v[106:107]
	s_and_saveexec_b64 s[0:1], vcc
	s_xor_b64 s[0:1], exec, s[0:1]
; %bb.203:
	v_cmp_ne_u32_e32 vcc, 0, v114
	v_cndmask_b32_e32 v114, 13, v114, vcc
; %bb.204:
	s_andn2_saveexec_b64 s[0:1], s[0:1]
; %bb.205:
	v_div_scale_f64 v[116:117], s[2:3], v[106:107], v[106:107], 1.0
	v_rcp_f64_e32 v[118:119], v[116:117]
	v_div_scale_f64 v[120:121], vcc, 1.0, v[106:107], 1.0
	v_fma_f64 v[122:123], -v[116:117], v[118:119], 1.0
	v_fmac_f64_e32 v[118:119], v[118:119], v[122:123]
	v_fma_f64 v[122:123], -v[116:117], v[118:119], 1.0
	v_fmac_f64_e32 v[118:119], v[118:119], v[122:123]
	v_mul_f64 v[122:123], v[120:121], v[118:119]
	v_fma_f64 v[116:117], -v[116:117], v[122:123], v[120:121]
	v_div_fmas_f64 v[116:117], v[116:117], v[118:119], v[122:123]
	v_div_fixup_f64 v[106:107], v[116:117], v[106:107], 1.0
; %bb.206:
	s_or_b64 exec, exec, s[0:1]
	v_cmp_ne_u32_e32 vcc, v111, v108
	s_and_saveexec_b64 s[0:1], vcc
	s_xor_b64 s[0:1], exec, s[0:1]
	s_cbranch_execz .LBB100_212
; %bb.207:
	v_cmp_eq_u32_e32 vcc, 12, v111
	s_and_saveexec_b64 s[2:3], vcc
	s_cbranch_execz .LBB100_211
; %bb.208:
	v_cmp_ne_u32_e32 vcc, 12, v108
	s_xor_b64 s[14:15], s[6:7], -1
	s_and_b64 s[16:17], s[14:15], vcc
	s_and_saveexec_b64 s[14:15], s[16:17]
	s_cbranch_execz .LBB100_210
; %bb.209:
	v_ashrrev_i32_e32 v109, 31, v108
	v_lshlrev_b64 v[116:117], 2, v[108:109]
	v_add_co_u32_e32 v116, vcc, v4, v116
	v_addc_co_u32_e32 v117, vcc, v5, v117, vcc
	flat_load_dword v109, v[116:117]
	flat_load_dword v111, v[4:5] offset:48
	s_waitcnt vmcnt(0) lgkmcnt(0)
	flat_store_dword v[4:5], v109 offset:48
	flat_store_dword v[116:117], v111
.LBB100_210:
	s_or_b64 exec, exec, s[14:15]
	v_mov_b32_e32 v109, v108
	v_mov_b32_e32 v111, v108
.LBB100_211:
	s_or_b64 exec, exec, s[2:3]
.LBB100_212:
	s_andn2_saveexec_b64 s[0:1], s[0:1]
	s_cbranch_execz .LBB100_214
; %bb.213:
	v_mov_b32_e32 v111, 12
	ds_write2_b64 v110, v[76:77], v[74:75] offset0:13 offset1:14
	ds_write2_b64 v110, v[72:73], v[70:71] offset0:15 offset1:16
	;; [unrolled: 1-line block ×19, first 2 shown]
.LBB100_214:
	s_or_b64 exec, exec, s[0:1]
	v_cmp_lt_i32_e32 vcc, 12, v111
	s_waitcnt lgkmcnt(0)
	s_barrier
	s_and_saveexec_b64 s[0:1], vcc
	s_cbranch_execz .LBB100_216
; %bb.215:
	ds_read2_b64 v[116:119], v110 offset0:13 offset1:14
	ds_read2_b64 v[120:123], v110 offset0:15 offset1:16
	v_mul_f64 v[78:79], v[106:107], v[78:79]
	ds_read2_b64 v[124:127], v110 offset0:17 offset1:18
	s_waitcnt lgkmcnt(0)
	v_fma_f64 v[76:77], -v[78:79], v[116:117], v[76:77]
	v_fma_f64 v[74:75], -v[78:79], v[118:119], v[74:75]
	ds_read2_b64 v[116:119], v110 offset0:19 offset1:20
	v_fma_f64 v[72:73], -v[78:79], v[120:121], v[72:73]
	v_fma_f64 v[70:71], -v[78:79], v[122:123], v[70:71]
	;; [unrolled: 1-line block ×3, first 2 shown]
	ds_read2_b64 v[120:123], v110 offset0:21 offset1:22
	v_fma_f64 v[66:67], -v[78:79], v[126:127], v[66:67]
	ds_read2_b64 v[124:127], v110 offset0:23 offset1:24
	s_waitcnt lgkmcnt(0)
	v_fma_f64 v[64:65], -v[78:79], v[116:117], v[64:65]
	v_fma_f64 v[62:63], -v[78:79], v[118:119], v[62:63]
	ds_read2_b64 v[116:119], v110 offset0:25 offset1:26
	v_fma_f64 v[60:61], -v[78:79], v[120:121], v[60:61]
	v_fma_f64 v[58:59], -v[78:79], v[122:123], v[58:59]
	ds_read2_b64 v[120:123], v110 offset0:27 offset1:28
	v_fma_f64 v[56:57], -v[78:79], v[124:125], v[56:57]
	v_fma_f64 v[54:55], -v[78:79], v[126:127], v[54:55]
	s_waitcnt lgkmcnt(0)
	v_fma_f64 v[52:53], -v[78:79], v[116:117], v[52:53]
	ds_read2_b64 v[124:127], v110 offset0:29 offset1:30
	v_fma_f64 v[50:51], -v[78:79], v[118:119], v[50:51]
	ds_read2_b64 v[116:119], v110 offset0:31 offset1:32
	v_fma_f64 v[48:49], -v[78:79], v[120:121], v[48:49]
	v_fma_f64 v[46:47], -v[78:79], v[122:123], v[46:47]
	s_waitcnt lgkmcnt(0)
	v_fma_f64 v[44:45], -v[78:79], v[124:125], v[44:45]
	ds_read2_b64 v[120:123], v110 offset0:33 offset1:34
	v_fma_f64 v[42:43], -v[78:79], v[126:127], v[42:43]
	ds_read2_b64 v[124:127], v110 offset0:35 offset1:36
	v_fma_f64 v[40:41], -v[78:79], v[116:117], v[40:41]
	v_fma_f64 v[38:39], -v[78:79], v[118:119], v[38:39]
	ds_read2_b64 v[116:119], v110 offset0:37 offset1:38
	s_waitcnt lgkmcnt(0)
	v_fma_f64 v[36:37], -v[78:79], v[120:121], v[36:37]
	v_fma_f64 v[34:35], -v[78:79], v[122:123], v[34:35]
	ds_read2_b64 v[120:123], v110 offset0:39 offset1:40
	v_fma_f64 v[32:33], -v[78:79], v[124:125], v[32:33]
	v_fma_f64 v[30:31], -v[78:79], v[126:127], v[30:31]
	;; [unrolled: 1-line block ×3, first 2 shown]
	ds_read2_b64 v[124:127], v110 offset0:41 offset1:42
	v_fma_f64 v[26:27], -v[78:79], v[118:119], v[26:27]
	ds_read2_b64 v[116:119], v110 offset0:43 offset1:44
	s_waitcnt lgkmcnt(0)
	v_fma_f64 v[24:25], -v[78:79], v[120:121], v[24:25]
	v_fma_f64 v[22:23], -v[78:79], v[122:123], v[22:23]
	v_fma_f64 v[20:21], -v[78:79], v[124:125], v[20:21]
	v_fma_f64 v[18:19], -v[78:79], v[126:127], v[18:19]
	ds_read2_b64 v[120:123], v110 offset0:45 offset1:46
	ds_read2_b64 v[124:127], v110 offset0:47 offset1:48
	v_fma_f64 v[16:17], -v[78:79], v[116:117], v[16:17]
	v_fma_f64 v[14:15], -v[78:79], v[118:119], v[14:15]
	ds_read2_b64 v[116:119], v110 offset0:49 offset1:50
	s_waitcnt lgkmcnt(0)
	v_fma_f64 v[12:13], -v[78:79], v[120:121], v[12:13]
	v_fma_f64 v[10:11], -v[78:79], v[122:123], v[10:11]
	;; [unrolled: 1-line block ×6, first 2 shown]
.LBB100_216:
	s_or_b64 exec, exec, s[0:1]
	v_lshl_add_u32 v106, v111, 3, v110
	s_barrier
	ds_write_b64 v106, v[76:77]
	s_waitcnt lgkmcnt(0)
	s_barrier
	ds_read_b64 v[106:107], v110 offset:104
	s_cmp_lt_i32 s18, 15
	v_mov_b32_e32 v108, 13
	s_cbranch_scc1 .LBB100_219
; %bb.217:
	v_add_u32_e32 v115, 0x70, v110
	s_mov_b32 s0, 14
	v_mov_b32_e32 v108, 13
.LBB100_218:                            ; =>This Inner Loop Header: Depth=1
	ds_read_b64 v[116:117], v115
	v_mov_b32_e32 v118, s0
	s_add_i32 s0, s0, 1
	v_add_u32_e32 v115, 8, v115
	s_cmp_lg_u32 s18, s0
	s_waitcnt lgkmcnt(0)
	v_cmp_lt_f64_e64 vcc, |v[106:107]|, |v[116:117]|
	v_cndmask_b32_e32 v107, v107, v117, vcc
	v_cndmask_b32_e32 v106, v106, v116, vcc
	;; [unrolled: 1-line block ×3, first 2 shown]
	s_cbranch_scc1 .LBB100_218
.LBB100_219:
	s_waitcnt lgkmcnt(0)
	v_cmp_eq_f64_e32 vcc, 0, v[106:107]
	s_and_saveexec_b64 s[0:1], vcc
	s_xor_b64 s[0:1], exec, s[0:1]
; %bb.220:
	v_cmp_ne_u32_e32 vcc, 0, v114
	v_cndmask_b32_e32 v114, 14, v114, vcc
; %bb.221:
	s_andn2_saveexec_b64 s[0:1], s[0:1]
; %bb.222:
	v_div_scale_f64 v[116:117], s[2:3], v[106:107], v[106:107], 1.0
	v_rcp_f64_e32 v[118:119], v[116:117]
	v_div_scale_f64 v[120:121], vcc, 1.0, v[106:107], 1.0
	v_fma_f64 v[122:123], -v[116:117], v[118:119], 1.0
	v_fmac_f64_e32 v[118:119], v[118:119], v[122:123]
	v_fma_f64 v[122:123], -v[116:117], v[118:119], 1.0
	v_fmac_f64_e32 v[118:119], v[118:119], v[122:123]
	v_mul_f64 v[122:123], v[120:121], v[118:119]
	v_fma_f64 v[116:117], -v[116:117], v[122:123], v[120:121]
	v_div_fmas_f64 v[116:117], v[116:117], v[118:119], v[122:123]
	v_div_fixup_f64 v[106:107], v[116:117], v[106:107], 1.0
; %bb.223:
	s_or_b64 exec, exec, s[0:1]
	v_cmp_ne_u32_e32 vcc, v111, v108
	s_and_saveexec_b64 s[0:1], vcc
	s_xor_b64 s[0:1], exec, s[0:1]
	s_cbranch_execz .LBB100_229
; %bb.224:
	v_cmp_eq_u32_e32 vcc, 13, v111
	s_and_saveexec_b64 s[2:3], vcc
	s_cbranch_execz .LBB100_228
; %bb.225:
	v_cmp_ne_u32_e32 vcc, 13, v108
	s_xor_b64 s[14:15], s[6:7], -1
	s_and_b64 s[16:17], s[14:15], vcc
	s_and_saveexec_b64 s[14:15], s[16:17]
	s_cbranch_execz .LBB100_227
; %bb.226:
	v_ashrrev_i32_e32 v109, 31, v108
	v_lshlrev_b64 v[116:117], 2, v[108:109]
	v_add_co_u32_e32 v116, vcc, v4, v116
	v_addc_co_u32_e32 v117, vcc, v5, v117, vcc
	flat_load_dword v109, v[116:117]
	flat_load_dword v111, v[4:5] offset:52
	s_waitcnt vmcnt(0) lgkmcnt(0)
	flat_store_dword v[4:5], v109 offset:52
	flat_store_dword v[116:117], v111
.LBB100_227:
	s_or_b64 exec, exec, s[14:15]
	v_mov_b32_e32 v109, v108
	v_mov_b32_e32 v111, v108
.LBB100_228:
	s_or_b64 exec, exec, s[2:3]
.LBB100_229:
	s_andn2_saveexec_b64 s[0:1], s[0:1]
	s_cbranch_execz .LBB100_231
; %bb.230:
	v_mov_b32_e32 v116, v74
	v_mov_b32_e32 v117, v75
	v_mov_b32_e32 v118, v72
	v_mov_b32_e32 v119, v73
	ds_write2_b64 v110, v[116:117], v[118:119] offset0:14 offset1:15
	v_mov_b32_e32 v116, v70
	v_mov_b32_e32 v117, v71
	v_mov_b32_e32 v118, v68
	v_mov_b32_e32 v119, v69
	ds_write2_b64 v110, v[116:117], v[118:119] offset0:16 offset1:17
	;; [unrolled: 5-line block ×17, first 2 shown]
	v_mov_b32_e32 v116, v6
	v_mov_b32_e32 v117, v7
	;; [unrolled: 1-line block ×5, first 2 shown]
	ds_write2_b64 v110, v[116:117], v[118:119] offset0:48 offset1:49
	ds_write_b64 v110, v[104:105] offset:400
.LBB100_231:
	s_or_b64 exec, exec, s[0:1]
	v_cmp_lt_i32_e32 vcc, 13, v111
	s_waitcnt lgkmcnt(0)
	s_barrier
	s_and_saveexec_b64 s[0:1], vcc
	s_cbranch_execz .LBB100_233
; %bb.232:
	ds_read2_b64 v[116:119], v110 offset0:14 offset1:15
	ds_read2_b64 v[120:123], v110 offset0:16 offset1:17
	;; [unrolled: 1-line block ×3, first 2 shown]
	v_mul_f64 v[76:77], v[106:107], v[76:77]
	ds_read_b64 v[106:107], v110 offset:400
	s_waitcnt lgkmcnt(0)
	v_fma_f64 v[74:75], -v[76:77], v[116:117], v[74:75]
	v_fma_f64 v[72:73], -v[76:77], v[118:119], v[72:73]
	ds_read2_b64 v[116:119], v110 offset0:20 offset1:21
	v_fma_f64 v[70:71], -v[76:77], v[120:121], v[70:71]
	v_fma_f64 v[68:69], -v[76:77], v[122:123], v[68:69]
	v_fma_f64 v[66:67], -v[76:77], v[124:125], v[66:67]
	ds_read2_b64 v[120:123], v110 offset0:22 offset1:23
	v_fma_f64 v[64:65], -v[76:77], v[126:127], v[64:65]
	ds_read2_b64 v[124:127], v110 offset0:24 offset1:25
	s_waitcnt lgkmcnt(0)
	v_fma_f64 v[62:63], -v[76:77], v[116:117], v[62:63]
	v_fma_f64 v[60:61], -v[76:77], v[118:119], v[60:61]
	;; [unrolled: 1-line block ×3, first 2 shown]
	ds_read2_b64 v[116:119], v110 offset0:26 offset1:27
	v_fma_f64 v[56:57], -v[76:77], v[122:123], v[56:57]
	ds_read2_b64 v[120:123], v110 offset0:28 offset1:29
	v_fma_f64 v[54:55], -v[76:77], v[124:125], v[54:55]
	v_fma_f64 v[52:53], -v[76:77], v[126:127], v[52:53]
	ds_read2_b64 v[124:127], v110 offset0:30 offset1:31
	s_waitcnt lgkmcnt(0)
	v_fma_f64 v[50:51], -v[76:77], v[116:117], v[50:51]
	v_fma_f64 v[48:49], -v[76:77], v[118:119], v[48:49]
	ds_read2_b64 v[116:119], v110 offset0:32 offset1:33
	v_fma_f64 v[46:47], -v[76:77], v[120:121], v[46:47]
	v_fma_f64 v[44:45], -v[76:77], v[122:123], v[44:45]
	;; [unrolled: 1-line block ×3, first 2 shown]
	ds_read2_b64 v[120:123], v110 offset0:34 offset1:35
	v_fma_f64 v[40:41], -v[76:77], v[126:127], v[40:41]
	ds_read2_b64 v[124:127], v110 offset0:36 offset1:37
	s_waitcnt lgkmcnt(0)
	v_fma_f64 v[38:39], -v[76:77], v[116:117], v[38:39]
	v_fma_f64 v[36:37], -v[76:77], v[118:119], v[36:37]
	;; [unrolled: 1-line block ×3, first 2 shown]
	ds_read2_b64 v[116:119], v110 offset0:38 offset1:39
	v_fma_f64 v[32:33], -v[76:77], v[122:123], v[32:33]
	ds_read2_b64 v[120:123], v110 offset0:40 offset1:41
	v_fma_f64 v[30:31], -v[76:77], v[124:125], v[30:31]
	v_fma_f64 v[28:29], -v[76:77], v[126:127], v[28:29]
	ds_read2_b64 v[124:127], v110 offset0:42 offset1:43
	s_waitcnt lgkmcnt(0)
	v_fma_f64 v[26:27], -v[76:77], v[116:117], v[26:27]
	v_fma_f64 v[24:25], -v[76:77], v[118:119], v[24:25]
	ds_read2_b64 v[116:119], v110 offset0:44 offset1:45
	v_fma_f64 v[22:23], -v[76:77], v[120:121], v[22:23]
	v_fma_f64 v[20:21], -v[76:77], v[122:123], v[20:21]
	;; [unrolled: 1-line block ×4, first 2 shown]
	ds_read2_b64 v[120:123], v110 offset0:46 offset1:47
	ds_read2_b64 v[124:127], v110 offset0:48 offset1:49
	s_waitcnt lgkmcnt(0)
	v_fma_f64 v[14:15], -v[76:77], v[116:117], v[14:15]
	v_fma_f64 v[12:13], -v[76:77], v[118:119], v[12:13]
	;; [unrolled: 1-line block ×7, first 2 shown]
.LBB100_233:
	s_or_b64 exec, exec, s[0:1]
	v_lshl_add_u32 v106, v111, 3, v110
	s_barrier
	ds_write_b64 v106, v[74:75]
	s_waitcnt lgkmcnt(0)
	s_barrier
	ds_read_b64 v[106:107], v110 offset:112
	s_cmp_lt_i32 s18, 16
	v_mov_b32_e32 v108, 14
	s_cbranch_scc1 .LBB100_236
; %bb.234:
	v_add_u32_e32 v115, 0x78, v110
	s_mov_b32 s0, 15
	v_mov_b32_e32 v108, 14
.LBB100_235:                            ; =>This Inner Loop Header: Depth=1
	ds_read_b64 v[116:117], v115
	v_mov_b32_e32 v118, s0
	s_add_i32 s0, s0, 1
	v_add_u32_e32 v115, 8, v115
	s_cmp_lg_u32 s18, s0
	s_waitcnt lgkmcnt(0)
	v_cmp_lt_f64_e64 vcc, |v[106:107]|, |v[116:117]|
	v_cndmask_b32_e32 v107, v107, v117, vcc
	v_cndmask_b32_e32 v106, v106, v116, vcc
	;; [unrolled: 1-line block ×3, first 2 shown]
	s_cbranch_scc1 .LBB100_235
.LBB100_236:
	s_waitcnt lgkmcnt(0)
	v_cmp_eq_f64_e32 vcc, 0, v[106:107]
	s_and_saveexec_b64 s[0:1], vcc
	s_xor_b64 s[0:1], exec, s[0:1]
; %bb.237:
	v_cmp_ne_u32_e32 vcc, 0, v114
	v_cndmask_b32_e32 v114, 15, v114, vcc
; %bb.238:
	s_andn2_saveexec_b64 s[0:1], s[0:1]
; %bb.239:
	v_div_scale_f64 v[116:117], s[2:3], v[106:107], v[106:107], 1.0
	v_rcp_f64_e32 v[118:119], v[116:117]
	v_div_scale_f64 v[120:121], vcc, 1.0, v[106:107], 1.0
	v_fma_f64 v[122:123], -v[116:117], v[118:119], 1.0
	v_fmac_f64_e32 v[118:119], v[118:119], v[122:123]
	v_fma_f64 v[122:123], -v[116:117], v[118:119], 1.0
	v_fmac_f64_e32 v[118:119], v[118:119], v[122:123]
	v_mul_f64 v[122:123], v[120:121], v[118:119]
	v_fma_f64 v[116:117], -v[116:117], v[122:123], v[120:121]
	v_div_fmas_f64 v[116:117], v[116:117], v[118:119], v[122:123]
	v_div_fixup_f64 v[106:107], v[116:117], v[106:107], 1.0
; %bb.240:
	s_or_b64 exec, exec, s[0:1]
	v_cmp_ne_u32_e32 vcc, v111, v108
	s_and_saveexec_b64 s[0:1], vcc
	s_xor_b64 s[0:1], exec, s[0:1]
	s_cbranch_execz .LBB100_246
; %bb.241:
	v_cmp_eq_u32_e32 vcc, 14, v111
	s_and_saveexec_b64 s[2:3], vcc
	s_cbranch_execz .LBB100_245
; %bb.242:
	v_cmp_ne_u32_e32 vcc, 14, v108
	s_xor_b64 s[14:15], s[6:7], -1
	s_and_b64 s[16:17], s[14:15], vcc
	s_and_saveexec_b64 s[14:15], s[16:17]
	s_cbranch_execz .LBB100_244
; %bb.243:
	v_ashrrev_i32_e32 v109, 31, v108
	v_lshlrev_b64 v[116:117], 2, v[108:109]
	v_add_co_u32_e32 v116, vcc, v4, v116
	v_addc_co_u32_e32 v117, vcc, v5, v117, vcc
	flat_load_dword v109, v[116:117]
	flat_load_dword v111, v[4:5] offset:56
	s_waitcnt vmcnt(0) lgkmcnt(0)
	flat_store_dword v[4:5], v109 offset:56
	flat_store_dword v[116:117], v111
.LBB100_244:
	s_or_b64 exec, exec, s[14:15]
	v_mov_b32_e32 v109, v108
	v_mov_b32_e32 v111, v108
.LBB100_245:
	s_or_b64 exec, exec, s[2:3]
.LBB100_246:
	s_andn2_saveexec_b64 s[0:1], s[0:1]
	s_cbranch_execz .LBB100_248
; %bb.247:
	v_mov_b32_e32 v111, 14
	ds_write2_b64 v110, v[72:73], v[70:71] offset0:15 offset1:16
	ds_write2_b64 v110, v[68:69], v[66:67] offset0:17 offset1:18
	ds_write2_b64 v110, v[64:65], v[62:63] offset0:19 offset1:20
	ds_write2_b64 v110, v[60:61], v[58:59] offset0:21 offset1:22
	ds_write2_b64 v110, v[56:57], v[54:55] offset0:23 offset1:24
	ds_write2_b64 v110, v[52:53], v[50:51] offset0:25 offset1:26
	ds_write2_b64 v110, v[48:49], v[46:47] offset0:27 offset1:28
	ds_write2_b64 v110, v[44:45], v[42:43] offset0:29 offset1:30
	ds_write2_b64 v110, v[40:41], v[38:39] offset0:31 offset1:32
	ds_write2_b64 v110, v[36:37], v[34:35] offset0:33 offset1:34
	ds_write2_b64 v110, v[32:33], v[30:31] offset0:35 offset1:36
	ds_write2_b64 v110, v[28:29], v[26:27] offset0:37 offset1:38
	ds_write2_b64 v110, v[24:25], v[22:23] offset0:39 offset1:40
	ds_write2_b64 v110, v[20:21], v[18:19] offset0:41 offset1:42
	ds_write2_b64 v110, v[16:17], v[14:15] offset0:43 offset1:44
	ds_write2_b64 v110, v[12:13], v[10:11] offset0:45 offset1:46
	ds_write2_b64 v110, v[8:9], v[6:7] offset0:47 offset1:48
	ds_write2_b64 v110, v[0:1], v[104:105] offset0:49 offset1:50
.LBB100_248:
	s_or_b64 exec, exec, s[0:1]
	v_cmp_lt_i32_e32 vcc, 14, v111
	s_waitcnt lgkmcnt(0)
	s_barrier
	s_and_saveexec_b64 s[0:1], vcc
	s_cbranch_execz .LBB100_250
; %bb.249:
	ds_read2_b64 v[116:119], v110 offset0:15 offset1:16
	ds_read2_b64 v[120:123], v110 offset0:17 offset1:18
	;; [unrolled: 1-line block ×3, first 2 shown]
	v_mul_f64 v[74:75], v[106:107], v[74:75]
	s_waitcnt lgkmcnt(0)
	v_fma_f64 v[72:73], -v[74:75], v[116:117], v[72:73]
	v_fma_f64 v[70:71], -v[74:75], v[118:119], v[70:71]
	ds_read2_b64 v[116:119], v110 offset0:21 offset1:22
	v_fma_f64 v[68:69], -v[74:75], v[120:121], v[68:69]
	v_fma_f64 v[66:67], -v[74:75], v[122:123], v[66:67]
	;; [unrolled: 1-line block ×3, first 2 shown]
	ds_read2_b64 v[120:123], v110 offset0:23 offset1:24
	v_fma_f64 v[62:63], -v[74:75], v[126:127], v[62:63]
	ds_read2_b64 v[124:127], v110 offset0:25 offset1:26
	s_waitcnt lgkmcnt(0)
	v_fma_f64 v[60:61], -v[74:75], v[116:117], v[60:61]
	v_fma_f64 v[58:59], -v[74:75], v[118:119], v[58:59]
	;; [unrolled: 1-line block ×3, first 2 shown]
	ds_read2_b64 v[116:119], v110 offset0:27 offset1:28
	v_fma_f64 v[54:55], -v[74:75], v[122:123], v[54:55]
	ds_read2_b64 v[120:123], v110 offset0:29 offset1:30
	v_fma_f64 v[52:53], -v[74:75], v[124:125], v[52:53]
	v_fma_f64 v[50:51], -v[74:75], v[126:127], v[50:51]
	ds_read2_b64 v[124:127], v110 offset0:31 offset1:32
	s_waitcnt lgkmcnt(0)
	v_fma_f64 v[48:49], -v[74:75], v[116:117], v[48:49]
	v_fma_f64 v[46:47], -v[74:75], v[118:119], v[46:47]
	ds_read2_b64 v[116:119], v110 offset0:33 offset1:34
	v_fma_f64 v[44:45], -v[74:75], v[120:121], v[44:45]
	v_fma_f64 v[42:43], -v[74:75], v[122:123], v[42:43]
	;; [unrolled: 1-line block ×3, first 2 shown]
	ds_read2_b64 v[120:123], v110 offset0:35 offset1:36
	v_fma_f64 v[38:39], -v[74:75], v[126:127], v[38:39]
	ds_read2_b64 v[124:127], v110 offset0:37 offset1:38
	s_waitcnt lgkmcnt(0)
	v_fma_f64 v[36:37], -v[74:75], v[116:117], v[36:37]
	v_fma_f64 v[34:35], -v[74:75], v[118:119], v[34:35]
	;; [unrolled: 1-line block ×3, first 2 shown]
	ds_read2_b64 v[116:119], v110 offset0:39 offset1:40
	v_fma_f64 v[30:31], -v[74:75], v[122:123], v[30:31]
	ds_read2_b64 v[120:123], v110 offset0:41 offset1:42
	v_fma_f64 v[28:29], -v[74:75], v[124:125], v[28:29]
	v_fma_f64 v[26:27], -v[74:75], v[126:127], v[26:27]
	ds_read2_b64 v[124:127], v110 offset0:43 offset1:44
	s_waitcnt lgkmcnt(0)
	v_fma_f64 v[24:25], -v[74:75], v[116:117], v[24:25]
	v_fma_f64 v[22:23], -v[74:75], v[118:119], v[22:23]
	ds_read2_b64 v[116:119], v110 offset0:45 offset1:46
	v_fma_f64 v[20:21], -v[74:75], v[120:121], v[20:21]
	v_fma_f64 v[18:19], -v[74:75], v[122:123], v[18:19]
	v_fma_f64 v[16:17], -v[74:75], v[124:125], v[16:17]
	ds_read2_b64 v[120:123], v110 offset0:47 offset1:48
	v_fma_f64 v[14:15], -v[74:75], v[126:127], v[14:15]
	ds_read2_b64 v[124:127], v110 offset0:49 offset1:50
	s_waitcnt lgkmcnt(0)
	v_fma_f64 v[12:13], -v[74:75], v[116:117], v[12:13]
	v_fma_f64 v[10:11], -v[74:75], v[118:119], v[10:11]
	;; [unrolled: 1-line block ×6, first 2 shown]
.LBB100_250:
	s_or_b64 exec, exec, s[0:1]
	v_lshl_add_u32 v106, v111, 3, v110
	s_barrier
	ds_write_b64 v106, v[72:73]
	s_waitcnt lgkmcnt(0)
	s_barrier
	ds_read_b64 v[106:107], v110 offset:120
	s_cmp_lt_i32 s18, 17
	v_mov_b32_e32 v108, 15
	s_cbranch_scc1 .LBB100_253
; %bb.251:
	v_add_u32_e32 v115, 0x80, v110
	s_mov_b32 s0, 16
	v_mov_b32_e32 v108, 15
.LBB100_252:                            ; =>This Inner Loop Header: Depth=1
	ds_read_b64 v[116:117], v115
	v_mov_b32_e32 v118, s0
	s_add_i32 s0, s0, 1
	v_add_u32_e32 v115, 8, v115
	s_cmp_lg_u32 s18, s0
	s_waitcnt lgkmcnt(0)
	v_cmp_lt_f64_e64 vcc, |v[106:107]|, |v[116:117]|
	v_cndmask_b32_e32 v107, v107, v117, vcc
	v_cndmask_b32_e32 v106, v106, v116, vcc
	;; [unrolled: 1-line block ×3, first 2 shown]
	s_cbranch_scc1 .LBB100_252
.LBB100_253:
	s_waitcnt lgkmcnt(0)
	v_cmp_eq_f64_e32 vcc, 0, v[106:107]
	s_and_saveexec_b64 s[0:1], vcc
	s_xor_b64 s[0:1], exec, s[0:1]
; %bb.254:
	v_cmp_ne_u32_e32 vcc, 0, v114
	v_cndmask_b32_e32 v114, 16, v114, vcc
; %bb.255:
	s_andn2_saveexec_b64 s[0:1], s[0:1]
; %bb.256:
	v_div_scale_f64 v[116:117], s[2:3], v[106:107], v[106:107], 1.0
	v_rcp_f64_e32 v[118:119], v[116:117]
	v_div_scale_f64 v[120:121], vcc, 1.0, v[106:107], 1.0
	v_fma_f64 v[122:123], -v[116:117], v[118:119], 1.0
	v_fmac_f64_e32 v[118:119], v[118:119], v[122:123]
	v_fma_f64 v[122:123], -v[116:117], v[118:119], 1.0
	v_fmac_f64_e32 v[118:119], v[118:119], v[122:123]
	v_mul_f64 v[122:123], v[120:121], v[118:119]
	v_fma_f64 v[116:117], -v[116:117], v[122:123], v[120:121]
	v_div_fmas_f64 v[116:117], v[116:117], v[118:119], v[122:123]
	v_div_fixup_f64 v[106:107], v[116:117], v[106:107], 1.0
; %bb.257:
	s_or_b64 exec, exec, s[0:1]
	v_cmp_ne_u32_e32 vcc, v111, v108
	s_and_saveexec_b64 s[0:1], vcc
	s_xor_b64 s[0:1], exec, s[0:1]
	s_cbranch_execz .LBB100_263
; %bb.258:
	v_cmp_eq_u32_e32 vcc, 15, v111
	s_and_saveexec_b64 s[2:3], vcc
	s_cbranch_execz .LBB100_262
; %bb.259:
	v_cmp_ne_u32_e32 vcc, 15, v108
	s_xor_b64 s[14:15], s[6:7], -1
	s_and_b64 s[16:17], s[14:15], vcc
	s_and_saveexec_b64 s[14:15], s[16:17]
	s_cbranch_execz .LBB100_261
; %bb.260:
	v_ashrrev_i32_e32 v109, 31, v108
	v_lshlrev_b64 v[116:117], 2, v[108:109]
	v_add_co_u32_e32 v116, vcc, v4, v116
	v_addc_co_u32_e32 v117, vcc, v5, v117, vcc
	flat_load_dword v109, v[116:117]
	flat_load_dword v111, v[4:5] offset:60
	s_waitcnt vmcnt(0) lgkmcnt(0)
	flat_store_dword v[4:5], v109 offset:60
	flat_store_dword v[116:117], v111
.LBB100_261:
	s_or_b64 exec, exec, s[14:15]
	v_mov_b32_e32 v109, v108
	v_mov_b32_e32 v111, v108
.LBB100_262:
	s_or_b64 exec, exec, s[2:3]
.LBB100_263:
	s_andn2_saveexec_b64 s[0:1], s[0:1]
	s_cbranch_execz .LBB100_265
; %bb.264:
	v_mov_b32_e32 v116, v70
	v_mov_b32_e32 v117, v71
	v_mov_b32_e32 v118, v68
	v_mov_b32_e32 v119, v69
	ds_write2_b64 v110, v[116:117], v[118:119] offset0:16 offset1:17
	v_mov_b32_e32 v116, v66
	v_mov_b32_e32 v117, v67
	v_mov_b32_e32 v118, v64
	v_mov_b32_e32 v119, v65
	ds_write2_b64 v110, v[116:117], v[118:119] offset0:18 offset1:19
	;; [unrolled: 5-line block ×16, first 2 shown]
	v_mov_b32_e32 v116, v6
	v_mov_b32_e32 v117, v7
	;; [unrolled: 1-line block ×5, first 2 shown]
	ds_write2_b64 v110, v[116:117], v[118:119] offset0:48 offset1:49
	ds_write_b64 v110, v[104:105] offset:400
.LBB100_265:
	s_or_b64 exec, exec, s[0:1]
	v_cmp_lt_i32_e32 vcc, 15, v111
	s_waitcnt lgkmcnt(0)
	s_barrier
	s_and_saveexec_b64 s[0:1], vcc
	s_cbranch_execz .LBB100_267
; %bb.266:
	ds_read2_b64 v[116:119], v110 offset0:16 offset1:17
	ds_read2_b64 v[120:123], v110 offset0:18 offset1:19
	v_mul_f64 v[72:73], v[106:107], v[72:73]
	ds_read2_b64 v[124:127], v110 offset0:20 offset1:21
	ds_read_b64 v[106:107], v110 offset:400
	s_waitcnt lgkmcnt(0)
	v_fma_f64 v[70:71], -v[72:73], v[116:117], v[70:71]
	v_fma_f64 v[68:69], -v[72:73], v[118:119], v[68:69]
	ds_read2_b64 v[116:119], v110 offset0:22 offset1:23
	v_fma_f64 v[66:67], -v[72:73], v[120:121], v[66:67]
	v_fma_f64 v[64:65], -v[72:73], v[122:123], v[64:65]
	ds_read2_b64 v[120:123], v110 offset0:24 offset1:25
	;; [unrolled: 3-line block ×3, first 2 shown]
	s_waitcnt lgkmcnt(0)
	v_fma_f64 v[58:59], -v[72:73], v[116:117], v[58:59]
	v_fma_f64 v[56:57], -v[72:73], v[118:119], v[56:57]
	;; [unrolled: 1-line block ×3, first 2 shown]
	ds_read2_b64 v[116:119], v110 offset0:28 offset1:29
	v_fma_f64 v[52:53], -v[72:73], v[122:123], v[52:53]
	ds_read2_b64 v[120:123], v110 offset0:30 offset1:31
	v_fma_f64 v[50:51], -v[72:73], v[124:125], v[50:51]
	v_fma_f64 v[48:49], -v[72:73], v[126:127], v[48:49]
	s_waitcnt lgkmcnt(0)
	v_fma_f64 v[46:47], -v[72:73], v[116:117], v[46:47]
	ds_read2_b64 v[124:127], v110 offset0:32 offset1:33
	v_fma_f64 v[44:45], -v[72:73], v[118:119], v[44:45]
	ds_read2_b64 v[116:119], v110 offset0:34 offset1:35
	v_fma_f64 v[42:43], -v[72:73], v[120:121], v[42:43]
	v_fma_f64 v[40:41], -v[72:73], v[122:123], v[40:41]
	ds_read2_b64 v[120:123], v110 offset0:36 offset1:37
	s_waitcnt lgkmcnt(0)
	v_fma_f64 v[38:39], -v[72:73], v[124:125], v[38:39]
	v_fma_f64 v[36:37], -v[72:73], v[126:127], v[36:37]
	ds_read2_b64 v[124:127], v110 offset0:38 offset1:39
	v_fma_f64 v[34:35], -v[72:73], v[116:117], v[34:35]
	v_fma_f64 v[32:33], -v[72:73], v[118:119], v[32:33]
	;; [unrolled: 1-line block ×3, first 2 shown]
	ds_read2_b64 v[116:119], v110 offset0:40 offset1:41
	v_fma_f64 v[28:29], -v[72:73], v[122:123], v[28:29]
	ds_read2_b64 v[120:123], v110 offset0:42 offset1:43
	s_waitcnt lgkmcnt(0)
	v_fma_f64 v[26:27], -v[72:73], v[124:125], v[26:27]
	v_fma_f64 v[24:25], -v[72:73], v[126:127], v[24:25]
	;; [unrolled: 1-line block ×3, first 2 shown]
	ds_read2_b64 v[124:127], v110 offset0:44 offset1:45
	v_fma_f64 v[20:21], -v[72:73], v[118:119], v[20:21]
	ds_read2_b64 v[116:119], v110 offset0:46 offset1:47
	v_fma_f64 v[18:19], -v[72:73], v[120:121], v[18:19]
	v_fma_f64 v[16:17], -v[72:73], v[122:123], v[16:17]
	ds_read2_b64 v[120:123], v110 offset0:48 offset1:49
	s_waitcnt lgkmcnt(0)
	v_fma_f64 v[14:15], -v[72:73], v[124:125], v[14:15]
	v_fma_f64 v[12:13], -v[72:73], v[126:127], v[12:13]
	;; [unrolled: 1-line block ×7, first 2 shown]
.LBB100_267:
	s_or_b64 exec, exec, s[0:1]
	v_lshl_add_u32 v106, v111, 3, v110
	s_barrier
	ds_write_b64 v106, v[70:71]
	s_waitcnt lgkmcnt(0)
	s_barrier
	ds_read_b64 v[106:107], v110 offset:128
	s_cmp_lt_i32 s18, 18
	v_mov_b32_e32 v108, 16
	s_cbranch_scc1 .LBB100_270
; %bb.268:
	v_add_u32_e32 v115, 0x88, v110
	s_mov_b32 s0, 17
	v_mov_b32_e32 v108, 16
.LBB100_269:                            ; =>This Inner Loop Header: Depth=1
	ds_read_b64 v[116:117], v115
	v_mov_b32_e32 v118, s0
	s_add_i32 s0, s0, 1
	v_add_u32_e32 v115, 8, v115
	s_cmp_lg_u32 s18, s0
	s_waitcnt lgkmcnt(0)
	v_cmp_lt_f64_e64 vcc, |v[106:107]|, |v[116:117]|
	v_cndmask_b32_e32 v107, v107, v117, vcc
	v_cndmask_b32_e32 v106, v106, v116, vcc
	v_cndmask_b32_e32 v108, v108, v118, vcc
	s_cbranch_scc1 .LBB100_269
.LBB100_270:
	s_waitcnt lgkmcnt(0)
	v_cmp_eq_f64_e32 vcc, 0, v[106:107]
	s_and_saveexec_b64 s[0:1], vcc
	s_xor_b64 s[0:1], exec, s[0:1]
; %bb.271:
	v_cmp_ne_u32_e32 vcc, 0, v114
	v_cndmask_b32_e32 v114, 17, v114, vcc
; %bb.272:
	s_andn2_saveexec_b64 s[0:1], s[0:1]
; %bb.273:
	v_div_scale_f64 v[116:117], s[2:3], v[106:107], v[106:107], 1.0
	v_rcp_f64_e32 v[118:119], v[116:117]
	v_div_scale_f64 v[120:121], vcc, 1.0, v[106:107], 1.0
	v_fma_f64 v[122:123], -v[116:117], v[118:119], 1.0
	v_fmac_f64_e32 v[118:119], v[118:119], v[122:123]
	v_fma_f64 v[122:123], -v[116:117], v[118:119], 1.0
	v_fmac_f64_e32 v[118:119], v[118:119], v[122:123]
	v_mul_f64 v[122:123], v[120:121], v[118:119]
	v_fma_f64 v[116:117], -v[116:117], v[122:123], v[120:121]
	v_div_fmas_f64 v[116:117], v[116:117], v[118:119], v[122:123]
	v_div_fixup_f64 v[106:107], v[116:117], v[106:107], 1.0
; %bb.274:
	s_or_b64 exec, exec, s[0:1]
	v_cmp_ne_u32_e32 vcc, v111, v108
	s_and_saveexec_b64 s[0:1], vcc
	s_xor_b64 s[0:1], exec, s[0:1]
	s_cbranch_execz .LBB100_280
; %bb.275:
	v_cmp_eq_u32_e32 vcc, 16, v111
	s_and_saveexec_b64 s[2:3], vcc
	s_cbranch_execz .LBB100_279
; %bb.276:
	v_cmp_ne_u32_e32 vcc, 16, v108
	s_xor_b64 s[14:15], s[6:7], -1
	s_and_b64 s[16:17], s[14:15], vcc
	s_and_saveexec_b64 s[14:15], s[16:17]
	s_cbranch_execz .LBB100_278
; %bb.277:
	v_ashrrev_i32_e32 v109, 31, v108
	v_lshlrev_b64 v[116:117], 2, v[108:109]
	v_add_co_u32_e32 v116, vcc, v4, v116
	v_addc_co_u32_e32 v117, vcc, v5, v117, vcc
	flat_load_dword v109, v[116:117]
	flat_load_dword v111, v[4:5] offset:64
	s_waitcnt vmcnt(0) lgkmcnt(0)
	flat_store_dword v[4:5], v109 offset:64
	flat_store_dword v[116:117], v111
.LBB100_278:
	s_or_b64 exec, exec, s[14:15]
	v_mov_b32_e32 v109, v108
	v_mov_b32_e32 v111, v108
.LBB100_279:
	s_or_b64 exec, exec, s[2:3]
.LBB100_280:
	s_andn2_saveexec_b64 s[0:1], s[0:1]
	s_cbranch_execz .LBB100_282
; %bb.281:
	v_mov_b32_e32 v111, 16
	ds_write2_b64 v110, v[68:69], v[66:67] offset0:17 offset1:18
	ds_write2_b64 v110, v[64:65], v[62:63] offset0:19 offset1:20
	;; [unrolled: 1-line block ×17, first 2 shown]
.LBB100_282:
	s_or_b64 exec, exec, s[0:1]
	v_cmp_lt_i32_e32 vcc, 16, v111
	s_waitcnt lgkmcnt(0)
	s_barrier
	s_and_saveexec_b64 s[0:1], vcc
	s_cbranch_execz .LBB100_284
; %bb.283:
	ds_read2_b64 v[116:119], v110 offset0:17 offset1:18
	ds_read2_b64 v[120:123], v110 offset0:19 offset1:20
	v_mul_f64 v[70:71], v[106:107], v[70:71]
	ds_read2_b64 v[124:127], v110 offset0:21 offset1:22
	s_waitcnt lgkmcnt(0)
	v_fma_f64 v[68:69], -v[70:71], v[116:117], v[68:69]
	v_fma_f64 v[66:67], -v[70:71], v[118:119], v[66:67]
	ds_read2_b64 v[116:119], v110 offset0:23 offset1:24
	v_fma_f64 v[64:65], -v[70:71], v[120:121], v[64:65]
	v_fma_f64 v[62:63], -v[70:71], v[122:123], v[62:63]
	ds_read2_b64 v[120:123], v110 offset0:25 offset1:26
	;; [unrolled: 3-line block ×3, first 2 shown]
	s_waitcnt lgkmcnt(0)
	v_fma_f64 v[56:57], -v[70:71], v[116:117], v[56:57]
	v_fma_f64 v[54:55], -v[70:71], v[118:119], v[54:55]
	v_fma_f64 v[52:53], -v[70:71], v[120:121], v[52:53]
	ds_read2_b64 v[116:119], v110 offset0:29 offset1:30
	v_fma_f64 v[50:51], -v[70:71], v[122:123], v[50:51]
	ds_read2_b64 v[120:123], v110 offset0:31 offset1:32
	v_fma_f64 v[48:49], -v[70:71], v[124:125], v[48:49]
	v_fma_f64 v[46:47], -v[70:71], v[126:127], v[46:47]
	s_waitcnt lgkmcnt(0)
	v_fma_f64 v[44:45], -v[70:71], v[116:117], v[44:45]
	ds_read2_b64 v[124:127], v110 offset0:33 offset1:34
	v_fma_f64 v[42:43], -v[70:71], v[118:119], v[42:43]
	ds_read2_b64 v[116:119], v110 offset0:35 offset1:36
	v_fma_f64 v[40:41], -v[70:71], v[120:121], v[40:41]
	v_fma_f64 v[38:39], -v[70:71], v[122:123], v[38:39]
	ds_read2_b64 v[120:123], v110 offset0:37 offset1:38
	s_waitcnt lgkmcnt(0)
	v_fma_f64 v[36:37], -v[70:71], v[124:125], v[36:37]
	v_fma_f64 v[34:35], -v[70:71], v[126:127], v[34:35]
	ds_read2_b64 v[124:127], v110 offset0:39 offset1:40
	v_fma_f64 v[32:33], -v[70:71], v[116:117], v[32:33]
	v_fma_f64 v[30:31], -v[70:71], v[118:119], v[30:31]
	;; [unrolled: 1-line block ×3, first 2 shown]
	ds_read2_b64 v[116:119], v110 offset0:41 offset1:42
	v_fma_f64 v[26:27], -v[70:71], v[122:123], v[26:27]
	ds_read2_b64 v[120:123], v110 offset0:43 offset1:44
	s_waitcnt lgkmcnt(0)
	v_fma_f64 v[24:25], -v[70:71], v[124:125], v[24:25]
	v_fma_f64 v[22:23], -v[70:71], v[126:127], v[22:23]
	;; [unrolled: 1-line block ×4, first 2 shown]
	ds_read2_b64 v[116:119], v110 offset0:45 offset1:46
	ds_read2_b64 v[124:127], v110 offset0:47 offset1:48
	v_fma_f64 v[16:17], -v[70:71], v[120:121], v[16:17]
	v_fma_f64 v[14:15], -v[70:71], v[122:123], v[14:15]
	ds_read2_b64 v[120:123], v110 offset0:49 offset1:50
	s_waitcnt lgkmcnt(0)
	v_fma_f64 v[12:13], -v[70:71], v[116:117], v[12:13]
	v_fma_f64 v[10:11], -v[70:71], v[118:119], v[10:11]
	;; [unrolled: 1-line block ×6, first 2 shown]
.LBB100_284:
	s_or_b64 exec, exec, s[0:1]
	v_lshl_add_u32 v106, v111, 3, v110
	s_barrier
	ds_write_b64 v106, v[68:69]
	s_waitcnt lgkmcnt(0)
	s_barrier
	ds_read_b64 v[106:107], v110 offset:136
	s_cmp_lt_i32 s18, 19
	v_mov_b32_e32 v108, 17
	s_cbranch_scc1 .LBB100_287
; %bb.285:
	v_add_u32_e32 v115, 0x90, v110
	s_mov_b32 s0, 18
	v_mov_b32_e32 v108, 17
.LBB100_286:                            ; =>This Inner Loop Header: Depth=1
	ds_read_b64 v[116:117], v115
	v_mov_b32_e32 v118, s0
	s_add_i32 s0, s0, 1
	v_add_u32_e32 v115, 8, v115
	s_cmp_lg_u32 s18, s0
	s_waitcnt lgkmcnt(0)
	v_cmp_lt_f64_e64 vcc, |v[106:107]|, |v[116:117]|
	v_cndmask_b32_e32 v107, v107, v117, vcc
	v_cndmask_b32_e32 v106, v106, v116, vcc
	;; [unrolled: 1-line block ×3, first 2 shown]
	s_cbranch_scc1 .LBB100_286
.LBB100_287:
	s_waitcnt lgkmcnt(0)
	v_cmp_eq_f64_e32 vcc, 0, v[106:107]
	s_and_saveexec_b64 s[0:1], vcc
	s_xor_b64 s[0:1], exec, s[0:1]
; %bb.288:
	v_cmp_ne_u32_e32 vcc, 0, v114
	v_cndmask_b32_e32 v114, 18, v114, vcc
; %bb.289:
	s_andn2_saveexec_b64 s[0:1], s[0:1]
; %bb.290:
	v_div_scale_f64 v[116:117], s[2:3], v[106:107], v[106:107], 1.0
	v_rcp_f64_e32 v[118:119], v[116:117]
	v_div_scale_f64 v[120:121], vcc, 1.0, v[106:107], 1.0
	v_fma_f64 v[122:123], -v[116:117], v[118:119], 1.0
	v_fmac_f64_e32 v[118:119], v[118:119], v[122:123]
	v_fma_f64 v[122:123], -v[116:117], v[118:119], 1.0
	v_fmac_f64_e32 v[118:119], v[118:119], v[122:123]
	v_mul_f64 v[122:123], v[120:121], v[118:119]
	v_fma_f64 v[116:117], -v[116:117], v[122:123], v[120:121]
	v_div_fmas_f64 v[116:117], v[116:117], v[118:119], v[122:123]
	v_div_fixup_f64 v[106:107], v[116:117], v[106:107], 1.0
; %bb.291:
	s_or_b64 exec, exec, s[0:1]
	v_cmp_ne_u32_e32 vcc, v111, v108
	s_and_saveexec_b64 s[0:1], vcc
	s_xor_b64 s[0:1], exec, s[0:1]
	s_cbranch_execz .LBB100_297
; %bb.292:
	v_cmp_eq_u32_e32 vcc, 17, v111
	s_and_saveexec_b64 s[2:3], vcc
	s_cbranch_execz .LBB100_296
; %bb.293:
	v_cmp_ne_u32_e32 vcc, 17, v108
	s_xor_b64 s[14:15], s[6:7], -1
	s_and_b64 s[16:17], s[14:15], vcc
	s_and_saveexec_b64 s[14:15], s[16:17]
	s_cbranch_execz .LBB100_295
; %bb.294:
	v_ashrrev_i32_e32 v109, 31, v108
	v_lshlrev_b64 v[116:117], 2, v[108:109]
	v_add_co_u32_e32 v116, vcc, v4, v116
	v_addc_co_u32_e32 v117, vcc, v5, v117, vcc
	flat_load_dword v109, v[116:117]
	flat_load_dword v111, v[4:5] offset:68
	s_waitcnt vmcnt(0) lgkmcnt(0)
	flat_store_dword v[4:5], v109 offset:68
	flat_store_dword v[116:117], v111
.LBB100_295:
	s_or_b64 exec, exec, s[14:15]
	v_mov_b32_e32 v109, v108
	v_mov_b32_e32 v111, v108
.LBB100_296:
	s_or_b64 exec, exec, s[2:3]
.LBB100_297:
	s_andn2_saveexec_b64 s[0:1], s[0:1]
	s_cbranch_execz .LBB100_299
; %bb.298:
	v_mov_b32_e32 v116, v66
	v_mov_b32_e32 v117, v67
	v_mov_b32_e32 v118, v64
	v_mov_b32_e32 v119, v65
	ds_write2_b64 v110, v[116:117], v[118:119] offset0:18 offset1:19
	v_mov_b32_e32 v116, v62
	v_mov_b32_e32 v117, v63
	v_mov_b32_e32 v118, v60
	v_mov_b32_e32 v119, v61
	ds_write2_b64 v110, v[116:117], v[118:119] offset0:20 offset1:21
	;; [unrolled: 5-line block ×15, first 2 shown]
	v_mov_b32_e32 v116, v6
	v_mov_b32_e32 v117, v7
	;; [unrolled: 1-line block ×5, first 2 shown]
	ds_write2_b64 v110, v[116:117], v[118:119] offset0:48 offset1:49
	ds_write_b64 v110, v[104:105] offset:400
.LBB100_299:
	s_or_b64 exec, exec, s[0:1]
	v_cmp_lt_i32_e32 vcc, 17, v111
	s_waitcnt lgkmcnt(0)
	s_barrier
	s_and_saveexec_b64 s[0:1], vcc
	s_cbranch_execz .LBB100_301
; %bb.300:
	ds_read2_b64 v[116:119], v110 offset0:18 offset1:19
	ds_read2_b64 v[120:123], v110 offset0:20 offset1:21
	v_mul_f64 v[68:69], v[106:107], v[68:69]
	ds_read2_b64 v[124:127], v110 offset0:22 offset1:23
	ds_read_b64 v[106:107], v110 offset:400
	s_waitcnt lgkmcnt(0)
	v_fma_f64 v[66:67], -v[68:69], v[116:117], v[66:67]
	v_fma_f64 v[64:65], -v[68:69], v[118:119], v[64:65]
	ds_read2_b64 v[116:119], v110 offset0:24 offset1:25
	v_fma_f64 v[62:63], -v[68:69], v[120:121], v[62:63]
	v_fma_f64 v[60:61], -v[68:69], v[122:123], v[60:61]
	;; [unrolled: 1-line block ×3, first 2 shown]
	ds_read2_b64 v[120:123], v110 offset0:26 offset1:27
	v_fma_f64 v[56:57], -v[68:69], v[126:127], v[56:57]
	ds_read2_b64 v[124:127], v110 offset0:28 offset1:29
	s_waitcnt lgkmcnt(0)
	v_fma_f64 v[54:55], -v[68:69], v[116:117], v[54:55]
	v_fma_f64 v[52:53], -v[68:69], v[118:119], v[52:53]
	ds_read2_b64 v[116:119], v110 offset0:30 offset1:31
	v_fma_f64 v[50:51], -v[68:69], v[120:121], v[50:51]
	v_fma_f64 v[48:49], -v[68:69], v[122:123], v[48:49]
	ds_read2_b64 v[120:123], v110 offset0:32 offset1:33
	v_fma_f64 v[46:47], -v[68:69], v[124:125], v[46:47]
	v_fma_f64 v[44:45], -v[68:69], v[126:127], v[44:45]
	s_waitcnt lgkmcnt(0)
	v_fma_f64 v[42:43], -v[68:69], v[116:117], v[42:43]
	ds_read2_b64 v[124:127], v110 offset0:34 offset1:35
	v_fma_f64 v[40:41], -v[68:69], v[118:119], v[40:41]
	ds_read2_b64 v[116:119], v110 offset0:36 offset1:37
	v_fma_f64 v[38:39], -v[68:69], v[120:121], v[38:39]
	v_fma_f64 v[36:37], -v[68:69], v[122:123], v[36:37]
	s_waitcnt lgkmcnt(0)
	v_fma_f64 v[34:35], -v[68:69], v[124:125], v[34:35]
	ds_read2_b64 v[120:123], v110 offset0:38 offset1:39
	v_fma_f64 v[32:33], -v[68:69], v[126:127], v[32:33]
	ds_read2_b64 v[124:127], v110 offset0:40 offset1:41
	v_fma_f64 v[30:31], -v[68:69], v[116:117], v[30:31]
	v_fma_f64 v[28:29], -v[68:69], v[118:119], v[28:29]
	ds_read2_b64 v[116:119], v110 offset0:42 offset1:43
	s_waitcnt lgkmcnt(0)
	v_fma_f64 v[26:27], -v[68:69], v[120:121], v[26:27]
	v_fma_f64 v[24:25], -v[68:69], v[122:123], v[24:25]
	ds_read2_b64 v[120:123], v110 offset0:44 offset1:45
	v_fma_f64 v[22:23], -v[68:69], v[124:125], v[22:23]
	v_fma_f64 v[20:21], -v[68:69], v[126:127], v[20:21]
	;; [unrolled: 1-line block ×4, first 2 shown]
	ds_read2_b64 v[116:119], v110 offset0:46 offset1:47
	ds_read2_b64 v[124:127], v110 offset0:48 offset1:49
	s_waitcnt lgkmcnt(0)
	v_fma_f64 v[14:15], -v[68:69], v[120:121], v[14:15]
	v_fma_f64 v[12:13], -v[68:69], v[122:123], v[12:13]
	;; [unrolled: 1-line block ×7, first 2 shown]
.LBB100_301:
	s_or_b64 exec, exec, s[0:1]
	v_lshl_add_u32 v106, v111, 3, v110
	s_barrier
	ds_write_b64 v106, v[66:67]
	s_waitcnt lgkmcnt(0)
	s_barrier
	ds_read_b64 v[106:107], v110 offset:144
	s_cmp_lt_i32 s18, 20
	v_mov_b32_e32 v108, 18
	s_cbranch_scc1 .LBB100_304
; %bb.302:
	v_add_u32_e32 v115, 0x98, v110
	s_mov_b32 s0, 19
	v_mov_b32_e32 v108, 18
.LBB100_303:                            ; =>This Inner Loop Header: Depth=1
	ds_read_b64 v[116:117], v115
	v_mov_b32_e32 v118, s0
	s_add_i32 s0, s0, 1
	v_add_u32_e32 v115, 8, v115
	s_cmp_lg_u32 s18, s0
	s_waitcnt lgkmcnt(0)
	v_cmp_lt_f64_e64 vcc, |v[106:107]|, |v[116:117]|
	v_cndmask_b32_e32 v107, v107, v117, vcc
	v_cndmask_b32_e32 v106, v106, v116, vcc
	;; [unrolled: 1-line block ×3, first 2 shown]
	s_cbranch_scc1 .LBB100_303
.LBB100_304:
	s_waitcnt lgkmcnt(0)
	v_cmp_eq_f64_e32 vcc, 0, v[106:107]
	s_and_saveexec_b64 s[0:1], vcc
	s_xor_b64 s[0:1], exec, s[0:1]
; %bb.305:
	v_cmp_ne_u32_e32 vcc, 0, v114
	v_cndmask_b32_e32 v114, 19, v114, vcc
; %bb.306:
	s_andn2_saveexec_b64 s[0:1], s[0:1]
; %bb.307:
	v_div_scale_f64 v[116:117], s[2:3], v[106:107], v[106:107], 1.0
	v_rcp_f64_e32 v[118:119], v[116:117]
	v_div_scale_f64 v[120:121], vcc, 1.0, v[106:107], 1.0
	v_fma_f64 v[122:123], -v[116:117], v[118:119], 1.0
	v_fmac_f64_e32 v[118:119], v[118:119], v[122:123]
	v_fma_f64 v[122:123], -v[116:117], v[118:119], 1.0
	v_fmac_f64_e32 v[118:119], v[118:119], v[122:123]
	v_mul_f64 v[122:123], v[120:121], v[118:119]
	v_fma_f64 v[116:117], -v[116:117], v[122:123], v[120:121]
	v_div_fmas_f64 v[116:117], v[116:117], v[118:119], v[122:123]
	v_div_fixup_f64 v[106:107], v[116:117], v[106:107], 1.0
; %bb.308:
	s_or_b64 exec, exec, s[0:1]
	v_cmp_ne_u32_e32 vcc, v111, v108
	s_and_saveexec_b64 s[0:1], vcc
	s_xor_b64 s[0:1], exec, s[0:1]
	s_cbranch_execz .LBB100_314
; %bb.309:
	v_cmp_eq_u32_e32 vcc, 18, v111
	s_and_saveexec_b64 s[2:3], vcc
	s_cbranch_execz .LBB100_313
; %bb.310:
	v_cmp_ne_u32_e32 vcc, 18, v108
	s_xor_b64 s[14:15], s[6:7], -1
	s_and_b64 s[16:17], s[14:15], vcc
	s_and_saveexec_b64 s[14:15], s[16:17]
	s_cbranch_execz .LBB100_312
; %bb.311:
	v_ashrrev_i32_e32 v109, 31, v108
	v_lshlrev_b64 v[116:117], 2, v[108:109]
	v_add_co_u32_e32 v116, vcc, v4, v116
	v_addc_co_u32_e32 v117, vcc, v5, v117, vcc
	flat_load_dword v109, v[116:117]
	flat_load_dword v111, v[4:5] offset:72
	s_waitcnt vmcnt(0) lgkmcnt(0)
	flat_store_dword v[4:5], v109 offset:72
	flat_store_dword v[116:117], v111
.LBB100_312:
	s_or_b64 exec, exec, s[14:15]
	v_mov_b32_e32 v109, v108
	v_mov_b32_e32 v111, v108
.LBB100_313:
	s_or_b64 exec, exec, s[2:3]
.LBB100_314:
	s_andn2_saveexec_b64 s[0:1], s[0:1]
	s_cbranch_execz .LBB100_316
; %bb.315:
	v_mov_b32_e32 v111, 18
	ds_write2_b64 v110, v[64:65], v[62:63] offset0:19 offset1:20
	ds_write2_b64 v110, v[60:61], v[58:59] offset0:21 offset1:22
	;; [unrolled: 1-line block ×16, first 2 shown]
.LBB100_316:
	s_or_b64 exec, exec, s[0:1]
	v_cmp_lt_i32_e32 vcc, 18, v111
	s_waitcnt lgkmcnt(0)
	s_barrier
	s_and_saveexec_b64 s[0:1], vcc
	s_cbranch_execz .LBB100_318
; %bb.317:
	ds_read2_b64 v[116:119], v110 offset0:19 offset1:20
	ds_read2_b64 v[120:123], v110 offset0:21 offset1:22
	v_mul_f64 v[66:67], v[106:107], v[66:67]
	ds_read2_b64 v[124:127], v110 offset0:23 offset1:24
	s_waitcnt lgkmcnt(0)
	v_fma_f64 v[64:65], -v[66:67], v[116:117], v[64:65]
	v_fma_f64 v[62:63], -v[66:67], v[118:119], v[62:63]
	ds_read2_b64 v[116:119], v110 offset0:25 offset1:26
	v_fma_f64 v[60:61], -v[66:67], v[120:121], v[60:61]
	v_fma_f64 v[58:59], -v[66:67], v[122:123], v[58:59]
	;; [unrolled: 1-line block ×3, first 2 shown]
	ds_read2_b64 v[120:123], v110 offset0:27 offset1:28
	v_fma_f64 v[54:55], -v[66:67], v[126:127], v[54:55]
	ds_read2_b64 v[124:127], v110 offset0:29 offset1:30
	s_waitcnt lgkmcnt(0)
	v_fma_f64 v[52:53], -v[66:67], v[116:117], v[52:53]
	v_fma_f64 v[50:51], -v[66:67], v[118:119], v[50:51]
	ds_read2_b64 v[116:119], v110 offset0:31 offset1:32
	v_fma_f64 v[48:49], -v[66:67], v[120:121], v[48:49]
	v_fma_f64 v[46:47], -v[66:67], v[122:123], v[46:47]
	ds_read2_b64 v[120:123], v110 offset0:33 offset1:34
	v_fma_f64 v[44:45], -v[66:67], v[124:125], v[44:45]
	v_fma_f64 v[42:43], -v[66:67], v[126:127], v[42:43]
	s_waitcnt lgkmcnt(0)
	v_fma_f64 v[40:41], -v[66:67], v[116:117], v[40:41]
	ds_read2_b64 v[124:127], v110 offset0:35 offset1:36
	v_fma_f64 v[38:39], -v[66:67], v[118:119], v[38:39]
	ds_read2_b64 v[116:119], v110 offset0:37 offset1:38
	v_fma_f64 v[36:37], -v[66:67], v[120:121], v[36:37]
	v_fma_f64 v[34:35], -v[66:67], v[122:123], v[34:35]
	s_waitcnt lgkmcnt(0)
	v_fma_f64 v[32:33], -v[66:67], v[124:125], v[32:33]
	ds_read2_b64 v[120:123], v110 offset0:39 offset1:40
	v_fma_f64 v[30:31], -v[66:67], v[126:127], v[30:31]
	ds_read2_b64 v[124:127], v110 offset0:41 offset1:42
	v_fma_f64 v[28:29], -v[66:67], v[116:117], v[28:29]
	v_fma_f64 v[26:27], -v[66:67], v[118:119], v[26:27]
	ds_read2_b64 v[116:119], v110 offset0:43 offset1:44
	s_waitcnt lgkmcnt(0)
	v_fma_f64 v[24:25], -v[66:67], v[120:121], v[24:25]
	v_fma_f64 v[22:23], -v[66:67], v[122:123], v[22:23]
	ds_read2_b64 v[120:123], v110 offset0:45 offset1:46
	v_fma_f64 v[20:21], -v[66:67], v[124:125], v[20:21]
	v_fma_f64 v[18:19], -v[66:67], v[126:127], v[18:19]
	v_fma_f64 v[16:17], -v[66:67], v[116:117], v[16:17]
	ds_read2_b64 v[124:127], v110 offset0:47 offset1:48
	v_fma_f64 v[14:15], -v[66:67], v[118:119], v[14:15]
	ds_read2_b64 v[116:119], v110 offset0:49 offset1:50
	s_waitcnt lgkmcnt(0)
	v_fma_f64 v[12:13], -v[66:67], v[120:121], v[12:13]
	v_fma_f64 v[10:11], -v[66:67], v[122:123], v[10:11]
	;; [unrolled: 1-line block ×6, first 2 shown]
.LBB100_318:
	s_or_b64 exec, exec, s[0:1]
	v_lshl_add_u32 v106, v111, 3, v110
	s_barrier
	ds_write_b64 v106, v[64:65]
	s_waitcnt lgkmcnt(0)
	s_barrier
	ds_read_b64 v[106:107], v110 offset:152
	s_cmp_lt_i32 s18, 21
	v_mov_b32_e32 v108, 19
	s_cbranch_scc1 .LBB100_321
; %bb.319:
	v_add_u32_e32 v115, 0xa0, v110
	s_mov_b32 s0, 20
	v_mov_b32_e32 v108, 19
.LBB100_320:                            ; =>This Inner Loop Header: Depth=1
	ds_read_b64 v[116:117], v115
	v_mov_b32_e32 v118, s0
	s_add_i32 s0, s0, 1
	v_add_u32_e32 v115, 8, v115
	s_cmp_lg_u32 s18, s0
	s_waitcnt lgkmcnt(0)
	v_cmp_lt_f64_e64 vcc, |v[106:107]|, |v[116:117]|
	v_cndmask_b32_e32 v107, v107, v117, vcc
	v_cndmask_b32_e32 v106, v106, v116, vcc
	;; [unrolled: 1-line block ×3, first 2 shown]
	s_cbranch_scc1 .LBB100_320
.LBB100_321:
	s_waitcnt lgkmcnt(0)
	v_cmp_eq_f64_e32 vcc, 0, v[106:107]
	s_and_saveexec_b64 s[0:1], vcc
	s_xor_b64 s[0:1], exec, s[0:1]
; %bb.322:
	v_cmp_ne_u32_e32 vcc, 0, v114
	v_cndmask_b32_e32 v114, 20, v114, vcc
; %bb.323:
	s_andn2_saveexec_b64 s[0:1], s[0:1]
; %bb.324:
	v_div_scale_f64 v[116:117], s[2:3], v[106:107], v[106:107], 1.0
	v_rcp_f64_e32 v[118:119], v[116:117]
	v_div_scale_f64 v[120:121], vcc, 1.0, v[106:107], 1.0
	v_fma_f64 v[122:123], -v[116:117], v[118:119], 1.0
	v_fmac_f64_e32 v[118:119], v[118:119], v[122:123]
	v_fma_f64 v[122:123], -v[116:117], v[118:119], 1.0
	v_fmac_f64_e32 v[118:119], v[118:119], v[122:123]
	v_mul_f64 v[122:123], v[120:121], v[118:119]
	v_fma_f64 v[116:117], -v[116:117], v[122:123], v[120:121]
	v_div_fmas_f64 v[116:117], v[116:117], v[118:119], v[122:123]
	v_div_fixup_f64 v[106:107], v[116:117], v[106:107], 1.0
; %bb.325:
	s_or_b64 exec, exec, s[0:1]
	v_cmp_ne_u32_e32 vcc, v111, v108
	s_and_saveexec_b64 s[0:1], vcc
	s_xor_b64 s[0:1], exec, s[0:1]
	s_cbranch_execz .LBB100_331
; %bb.326:
	v_cmp_eq_u32_e32 vcc, 19, v111
	s_and_saveexec_b64 s[2:3], vcc
	s_cbranch_execz .LBB100_330
; %bb.327:
	v_cmp_ne_u32_e32 vcc, 19, v108
	s_xor_b64 s[14:15], s[6:7], -1
	s_and_b64 s[16:17], s[14:15], vcc
	s_and_saveexec_b64 s[14:15], s[16:17]
	s_cbranch_execz .LBB100_329
; %bb.328:
	v_ashrrev_i32_e32 v109, 31, v108
	v_lshlrev_b64 v[116:117], 2, v[108:109]
	v_add_co_u32_e32 v116, vcc, v4, v116
	v_addc_co_u32_e32 v117, vcc, v5, v117, vcc
	flat_load_dword v109, v[116:117]
	flat_load_dword v111, v[4:5] offset:76
	s_waitcnt vmcnt(0) lgkmcnt(0)
	flat_store_dword v[4:5], v109 offset:76
	flat_store_dword v[116:117], v111
.LBB100_329:
	s_or_b64 exec, exec, s[14:15]
	v_mov_b32_e32 v109, v108
	v_mov_b32_e32 v111, v108
.LBB100_330:
	s_or_b64 exec, exec, s[2:3]
.LBB100_331:
	s_andn2_saveexec_b64 s[0:1], s[0:1]
	s_cbranch_execz .LBB100_333
; %bb.332:
	v_mov_b32_e32 v116, v62
	v_mov_b32_e32 v117, v63
	v_mov_b32_e32 v118, v60
	v_mov_b32_e32 v119, v61
	ds_write2_b64 v110, v[116:117], v[118:119] offset0:20 offset1:21
	v_mov_b32_e32 v116, v58
	v_mov_b32_e32 v117, v59
	v_mov_b32_e32 v118, v56
	v_mov_b32_e32 v119, v57
	ds_write2_b64 v110, v[116:117], v[118:119] offset0:22 offset1:23
	;; [unrolled: 5-line block ×14, first 2 shown]
	v_mov_b32_e32 v116, v6
	v_mov_b32_e32 v117, v7
	v_mov_b32_e32 v118, v0
	v_mov_b32_e32 v119, v1
	v_mov_b32_e32 v111, 19
	ds_write2_b64 v110, v[116:117], v[118:119] offset0:48 offset1:49
	ds_write_b64 v110, v[104:105] offset:400
.LBB100_333:
	s_or_b64 exec, exec, s[0:1]
	v_cmp_lt_i32_e32 vcc, 19, v111
	s_waitcnt lgkmcnt(0)
	s_barrier
	s_and_saveexec_b64 s[0:1], vcc
	s_cbranch_execz .LBB100_335
; %bb.334:
	ds_read2_b64 v[116:119], v110 offset0:20 offset1:21
	ds_read2_b64 v[120:123], v110 offset0:22 offset1:23
	;; [unrolled: 1-line block ×3, first 2 shown]
	v_mul_f64 v[64:65], v[106:107], v[64:65]
	ds_read_b64 v[106:107], v110 offset:400
	s_waitcnt lgkmcnt(0)
	v_fma_f64 v[62:63], -v[64:65], v[116:117], v[62:63]
	v_fma_f64 v[60:61], -v[64:65], v[118:119], v[60:61]
	ds_read2_b64 v[116:119], v110 offset0:26 offset1:27
	v_fma_f64 v[58:59], -v[64:65], v[120:121], v[58:59]
	v_fma_f64 v[56:57], -v[64:65], v[122:123], v[56:57]
	;; [unrolled: 1-line block ×3, first 2 shown]
	ds_read2_b64 v[120:123], v110 offset0:28 offset1:29
	v_fma_f64 v[52:53], -v[64:65], v[126:127], v[52:53]
	ds_read2_b64 v[124:127], v110 offset0:30 offset1:31
	s_waitcnt lgkmcnt(0)
	v_fma_f64 v[50:51], -v[64:65], v[116:117], v[50:51]
	v_fma_f64 v[48:49], -v[64:65], v[118:119], v[48:49]
	;; [unrolled: 1-line block ×3, first 2 shown]
	ds_read2_b64 v[116:119], v110 offset0:32 offset1:33
	v_fma_f64 v[44:45], -v[64:65], v[122:123], v[44:45]
	ds_read2_b64 v[120:123], v110 offset0:34 offset1:35
	v_fma_f64 v[42:43], -v[64:65], v[124:125], v[42:43]
	v_fma_f64 v[40:41], -v[64:65], v[126:127], v[40:41]
	ds_read2_b64 v[124:127], v110 offset0:36 offset1:37
	s_waitcnt lgkmcnt(0)
	v_fma_f64 v[38:39], -v[64:65], v[116:117], v[38:39]
	v_fma_f64 v[36:37], -v[64:65], v[118:119], v[36:37]
	ds_read2_b64 v[116:119], v110 offset0:38 offset1:39
	v_fma_f64 v[34:35], -v[64:65], v[120:121], v[34:35]
	v_fma_f64 v[32:33], -v[64:65], v[122:123], v[32:33]
	;; [unrolled: 1-line block ×3, first 2 shown]
	ds_read2_b64 v[120:123], v110 offset0:40 offset1:41
	v_fma_f64 v[28:29], -v[64:65], v[126:127], v[28:29]
	ds_read2_b64 v[124:127], v110 offset0:42 offset1:43
	s_waitcnt lgkmcnt(0)
	v_fma_f64 v[26:27], -v[64:65], v[116:117], v[26:27]
	v_fma_f64 v[24:25], -v[64:65], v[118:119], v[24:25]
	;; [unrolled: 1-line block ×3, first 2 shown]
	ds_read2_b64 v[116:119], v110 offset0:44 offset1:45
	v_fma_f64 v[20:21], -v[64:65], v[122:123], v[20:21]
	ds_read2_b64 v[120:123], v110 offset0:46 offset1:47
	v_fma_f64 v[18:19], -v[64:65], v[124:125], v[18:19]
	v_fma_f64 v[16:17], -v[64:65], v[126:127], v[16:17]
	ds_read2_b64 v[124:127], v110 offset0:48 offset1:49
	s_waitcnt lgkmcnt(0)
	v_fma_f64 v[14:15], -v[64:65], v[116:117], v[14:15]
	v_fma_f64 v[12:13], -v[64:65], v[118:119], v[12:13]
	;; [unrolled: 1-line block ×7, first 2 shown]
.LBB100_335:
	s_or_b64 exec, exec, s[0:1]
	v_lshl_add_u32 v106, v111, 3, v110
	s_barrier
	ds_write_b64 v106, v[62:63]
	s_waitcnt lgkmcnt(0)
	s_barrier
	ds_read_b64 v[106:107], v110 offset:160
	s_cmp_lt_i32 s18, 22
	v_mov_b32_e32 v108, 20
	s_cbranch_scc1 .LBB100_338
; %bb.336:
	v_add_u32_e32 v115, 0xa8, v110
	s_mov_b32 s0, 21
	v_mov_b32_e32 v108, 20
.LBB100_337:                            ; =>This Inner Loop Header: Depth=1
	ds_read_b64 v[116:117], v115
	v_mov_b32_e32 v118, s0
	s_add_i32 s0, s0, 1
	v_add_u32_e32 v115, 8, v115
	s_cmp_lg_u32 s18, s0
	s_waitcnt lgkmcnt(0)
	v_cmp_lt_f64_e64 vcc, |v[106:107]|, |v[116:117]|
	v_cndmask_b32_e32 v107, v107, v117, vcc
	v_cndmask_b32_e32 v106, v106, v116, vcc
	;; [unrolled: 1-line block ×3, first 2 shown]
	s_cbranch_scc1 .LBB100_337
.LBB100_338:
	s_waitcnt lgkmcnt(0)
	v_cmp_eq_f64_e32 vcc, 0, v[106:107]
	s_and_saveexec_b64 s[0:1], vcc
	s_xor_b64 s[0:1], exec, s[0:1]
; %bb.339:
	v_cmp_ne_u32_e32 vcc, 0, v114
	v_cndmask_b32_e32 v114, 21, v114, vcc
; %bb.340:
	s_andn2_saveexec_b64 s[0:1], s[0:1]
; %bb.341:
	v_div_scale_f64 v[116:117], s[2:3], v[106:107], v[106:107], 1.0
	v_rcp_f64_e32 v[118:119], v[116:117]
	v_div_scale_f64 v[120:121], vcc, 1.0, v[106:107], 1.0
	v_fma_f64 v[122:123], -v[116:117], v[118:119], 1.0
	v_fmac_f64_e32 v[118:119], v[118:119], v[122:123]
	v_fma_f64 v[122:123], -v[116:117], v[118:119], 1.0
	v_fmac_f64_e32 v[118:119], v[118:119], v[122:123]
	v_mul_f64 v[122:123], v[120:121], v[118:119]
	v_fma_f64 v[116:117], -v[116:117], v[122:123], v[120:121]
	v_div_fmas_f64 v[116:117], v[116:117], v[118:119], v[122:123]
	v_div_fixup_f64 v[106:107], v[116:117], v[106:107], 1.0
; %bb.342:
	s_or_b64 exec, exec, s[0:1]
	v_cmp_ne_u32_e32 vcc, v111, v108
	s_and_saveexec_b64 s[0:1], vcc
	s_xor_b64 s[0:1], exec, s[0:1]
	s_cbranch_execz .LBB100_348
; %bb.343:
	v_cmp_eq_u32_e32 vcc, 20, v111
	s_and_saveexec_b64 s[2:3], vcc
	s_cbranch_execz .LBB100_347
; %bb.344:
	v_cmp_ne_u32_e32 vcc, 20, v108
	s_xor_b64 s[14:15], s[6:7], -1
	s_and_b64 s[16:17], s[14:15], vcc
	s_and_saveexec_b64 s[14:15], s[16:17]
	s_cbranch_execz .LBB100_346
; %bb.345:
	v_ashrrev_i32_e32 v109, 31, v108
	v_lshlrev_b64 v[116:117], 2, v[108:109]
	v_add_co_u32_e32 v116, vcc, v4, v116
	v_addc_co_u32_e32 v117, vcc, v5, v117, vcc
	flat_load_dword v109, v[116:117]
	flat_load_dword v111, v[4:5] offset:80
	s_waitcnt vmcnt(0) lgkmcnt(0)
	flat_store_dword v[4:5], v109 offset:80
	flat_store_dword v[116:117], v111
.LBB100_346:
	s_or_b64 exec, exec, s[14:15]
	v_mov_b32_e32 v109, v108
	v_mov_b32_e32 v111, v108
.LBB100_347:
	s_or_b64 exec, exec, s[2:3]
.LBB100_348:
	s_andn2_saveexec_b64 s[0:1], s[0:1]
	s_cbranch_execz .LBB100_350
; %bb.349:
	v_mov_b32_e32 v111, 20
	ds_write2_b64 v110, v[60:61], v[58:59] offset0:21 offset1:22
	ds_write2_b64 v110, v[56:57], v[54:55] offset0:23 offset1:24
	;; [unrolled: 1-line block ×15, first 2 shown]
.LBB100_350:
	s_or_b64 exec, exec, s[0:1]
	v_cmp_lt_i32_e32 vcc, 20, v111
	s_waitcnt lgkmcnt(0)
	s_barrier
	s_and_saveexec_b64 s[0:1], vcc
	s_cbranch_execz .LBB100_352
; %bb.351:
	ds_read2_b64 v[116:119], v110 offset0:21 offset1:22
	ds_read2_b64 v[120:123], v110 offset0:23 offset1:24
	;; [unrolled: 1-line block ×3, first 2 shown]
	v_mul_f64 v[62:63], v[106:107], v[62:63]
	s_waitcnt lgkmcnt(0)
	v_fma_f64 v[60:61], -v[62:63], v[116:117], v[60:61]
	v_fma_f64 v[58:59], -v[62:63], v[118:119], v[58:59]
	ds_read2_b64 v[116:119], v110 offset0:27 offset1:28
	v_fma_f64 v[56:57], -v[62:63], v[120:121], v[56:57]
	v_fma_f64 v[54:55], -v[62:63], v[122:123], v[54:55]
	;; [unrolled: 1-line block ×3, first 2 shown]
	ds_read2_b64 v[120:123], v110 offset0:29 offset1:30
	v_fma_f64 v[50:51], -v[62:63], v[126:127], v[50:51]
	ds_read2_b64 v[124:127], v110 offset0:31 offset1:32
	s_waitcnt lgkmcnt(0)
	v_fma_f64 v[48:49], -v[62:63], v[116:117], v[48:49]
	v_fma_f64 v[46:47], -v[62:63], v[118:119], v[46:47]
	;; [unrolled: 1-line block ×3, first 2 shown]
	ds_read2_b64 v[116:119], v110 offset0:33 offset1:34
	v_fma_f64 v[42:43], -v[62:63], v[122:123], v[42:43]
	ds_read2_b64 v[120:123], v110 offset0:35 offset1:36
	v_fma_f64 v[40:41], -v[62:63], v[124:125], v[40:41]
	v_fma_f64 v[38:39], -v[62:63], v[126:127], v[38:39]
	ds_read2_b64 v[124:127], v110 offset0:37 offset1:38
	s_waitcnt lgkmcnt(0)
	v_fma_f64 v[36:37], -v[62:63], v[116:117], v[36:37]
	v_fma_f64 v[34:35], -v[62:63], v[118:119], v[34:35]
	ds_read2_b64 v[116:119], v110 offset0:39 offset1:40
	v_fma_f64 v[32:33], -v[62:63], v[120:121], v[32:33]
	v_fma_f64 v[30:31], -v[62:63], v[122:123], v[30:31]
	v_fma_f64 v[28:29], -v[62:63], v[124:125], v[28:29]
	ds_read2_b64 v[120:123], v110 offset0:41 offset1:42
	v_fma_f64 v[26:27], -v[62:63], v[126:127], v[26:27]
	ds_read2_b64 v[124:127], v110 offset0:43 offset1:44
	s_waitcnt lgkmcnt(0)
	v_fma_f64 v[24:25], -v[62:63], v[116:117], v[24:25]
	v_fma_f64 v[22:23], -v[62:63], v[118:119], v[22:23]
	;; [unrolled: 1-line block ×4, first 2 shown]
	ds_read2_b64 v[116:119], v110 offset0:45 offset1:46
	ds_read2_b64 v[120:123], v110 offset0:47 offset1:48
	v_fma_f64 v[16:17], -v[62:63], v[124:125], v[16:17]
	v_fma_f64 v[14:15], -v[62:63], v[126:127], v[14:15]
	ds_read2_b64 v[124:127], v110 offset0:49 offset1:50
	s_waitcnt lgkmcnt(0)
	v_fma_f64 v[12:13], -v[62:63], v[116:117], v[12:13]
	v_fma_f64 v[10:11], -v[62:63], v[118:119], v[10:11]
	v_fma_f64 v[8:9], -v[62:63], v[120:121], v[8:9]
	v_fma_f64 v[6:7], -v[62:63], v[122:123], v[6:7]
	v_fma_f64 v[0:1], -v[62:63], v[124:125], v[0:1]
	v_fma_f64 v[104:105], -v[62:63], v[126:127], v[104:105]
.LBB100_352:
	s_or_b64 exec, exec, s[0:1]
	v_lshl_add_u32 v106, v111, 3, v110
	s_barrier
	ds_write_b64 v106, v[60:61]
	s_waitcnt lgkmcnt(0)
	s_barrier
	ds_read_b64 v[106:107], v110 offset:168
	s_cmp_lt_i32 s18, 23
	v_mov_b32_e32 v108, 21
	s_cbranch_scc1 .LBB100_355
; %bb.353:
	v_add_u32_e32 v115, 0xb0, v110
	s_mov_b32 s0, 22
	v_mov_b32_e32 v108, 21
.LBB100_354:                            ; =>This Inner Loop Header: Depth=1
	ds_read_b64 v[116:117], v115
	v_mov_b32_e32 v118, s0
	s_add_i32 s0, s0, 1
	v_add_u32_e32 v115, 8, v115
	s_cmp_lg_u32 s18, s0
	s_waitcnt lgkmcnt(0)
	v_cmp_lt_f64_e64 vcc, |v[106:107]|, |v[116:117]|
	v_cndmask_b32_e32 v107, v107, v117, vcc
	v_cndmask_b32_e32 v106, v106, v116, vcc
	;; [unrolled: 1-line block ×3, first 2 shown]
	s_cbranch_scc1 .LBB100_354
.LBB100_355:
	s_waitcnt lgkmcnt(0)
	v_cmp_eq_f64_e32 vcc, 0, v[106:107]
	s_and_saveexec_b64 s[0:1], vcc
	s_xor_b64 s[0:1], exec, s[0:1]
; %bb.356:
	v_cmp_ne_u32_e32 vcc, 0, v114
	v_cndmask_b32_e32 v114, 22, v114, vcc
; %bb.357:
	s_andn2_saveexec_b64 s[0:1], s[0:1]
; %bb.358:
	v_div_scale_f64 v[116:117], s[2:3], v[106:107], v[106:107], 1.0
	v_rcp_f64_e32 v[118:119], v[116:117]
	v_div_scale_f64 v[120:121], vcc, 1.0, v[106:107], 1.0
	v_fma_f64 v[122:123], -v[116:117], v[118:119], 1.0
	v_fmac_f64_e32 v[118:119], v[118:119], v[122:123]
	v_fma_f64 v[122:123], -v[116:117], v[118:119], 1.0
	v_fmac_f64_e32 v[118:119], v[118:119], v[122:123]
	v_mul_f64 v[122:123], v[120:121], v[118:119]
	v_fma_f64 v[116:117], -v[116:117], v[122:123], v[120:121]
	v_div_fmas_f64 v[116:117], v[116:117], v[118:119], v[122:123]
	v_div_fixup_f64 v[106:107], v[116:117], v[106:107], 1.0
; %bb.359:
	s_or_b64 exec, exec, s[0:1]
	v_cmp_ne_u32_e32 vcc, v111, v108
	s_and_saveexec_b64 s[0:1], vcc
	s_xor_b64 s[0:1], exec, s[0:1]
	s_cbranch_execz .LBB100_365
; %bb.360:
	v_cmp_eq_u32_e32 vcc, 21, v111
	s_and_saveexec_b64 s[2:3], vcc
	s_cbranch_execz .LBB100_364
; %bb.361:
	v_cmp_ne_u32_e32 vcc, 21, v108
	s_xor_b64 s[14:15], s[6:7], -1
	s_and_b64 s[16:17], s[14:15], vcc
	s_and_saveexec_b64 s[14:15], s[16:17]
	s_cbranch_execz .LBB100_363
; %bb.362:
	v_ashrrev_i32_e32 v109, 31, v108
	v_lshlrev_b64 v[116:117], 2, v[108:109]
	v_add_co_u32_e32 v116, vcc, v4, v116
	v_addc_co_u32_e32 v117, vcc, v5, v117, vcc
	flat_load_dword v109, v[116:117]
	flat_load_dword v111, v[4:5] offset:84
	s_waitcnt vmcnt(0) lgkmcnt(0)
	flat_store_dword v[4:5], v109 offset:84
	flat_store_dword v[116:117], v111
.LBB100_363:
	s_or_b64 exec, exec, s[14:15]
	v_mov_b32_e32 v109, v108
	v_mov_b32_e32 v111, v108
.LBB100_364:
	s_or_b64 exec, exec, s[2:3]
.LBB100_365:
	s_andn2_saveexec_b64 s[0:1], s[0:1]
	s_cbranch_execz .LBB100_367
; %bb.366:
	v_mov_b32_e32 v116, v58
	v_mov_b32_e32 v117, v59
	v_mov_b32_e32 v118, v56
	v_mov_b32_e32 v119, v57
	ds_write2_b64 v110, v[116:117], v[118:119] offset0:22 offset1:23
	v_mov_b32_e32 v116, v54
	v_mov_b32_e32 v117, v55
	v_mov_b32_e32 v118, v52
	v_mov_b32_e32 v119, v53
	ds_write2_b64 v110, v[116:117], v[118:119] offset0:24 offset1:25
	;; [unrolled: 5-line block ×13, first 2 shown]
	v_mov_b32_e32 v116, v6
	v_mov_b32_e32 v117, v7
	;; [unrolled: 1-line block ×5, first 2 shown]
	ds_write2_b64 v110, v[116:117], v[118:119] offset0:48 offset1:49
	ds_write_b64 v110, v[104:105] offset:400
.LBB100_367:
	s_or_b64 exec, exec, s[0:1]
	v_cmp_lt_i32_e32 vcc, 21, v111
	s_waitcnt lgkmcnt(0)
	s_barrier
	s_and_saveexec_b64 s[0:1], vcc
	s_cbranch_execz .LBB100_369
; %bb.368:
	ds_read2_b64 v[116:119], v110 offset0:22 offset1:23
	ds_read2_b64 v[120:123], v110 offset0:24 offset1:25
	v_mul_f64 v[60:61], v[106:107], v[60:61]
	ds_read2_b64 v[124:127], v110 offset0:26 offset1:27
	ds_read_b64 v[106:107], v110 offset:400
	s_waitcnt lgkmcnt(0)
	v_fma_f64 v[58:59], -v[60:61], v[116:117], v[58:59]
	v_fma_f64 v[56:57], -v[60:61], v[118:119], v[56:57]
	ds_read2_b64 v[116:119], v110 offset0:28 offset1:29
	v_fma_f64 v[54:55], -v[60:61], v[120:121], v[54:55]
	v_fma_f64 v[52:53], -v[60:61], v[122:123], v[52:53]
	ds_read2_b64 v[120:123], v110 offset0:30 offset1:31
	;; [unrolled: 3-line block ×3, first 2 shown]
	s_waitcnt lgkmcnt(0)
	v_fma_f64 v[46:47], -v[60:61], v[116:117], v[46:47]
	v_fma_f64 v[44:45], -v[60:61], v[118:119], v[44:45]
	;; [unrolled: 1-line block ×3, first 2 shown]
	ds_read2_b64 v[116:119], v110 offset0:34 offset1:35
	v_fma_f64 v[40:41], -v[60:61], v[122:123], v[40:41]
	ds_read2_b64 v[120:123], v110 offset0:36 offset1:37
	v_fma_f64 v[38:39], -v[60:61], v[124:125], v[38:39]
	v_fma_f64 v[36:37], -v[60:61], v[126:127], v[36:37]
	s_waitcnt lgkmcnt(0)
	v_fma_f64 v[34:35], -v[60:61], v[116:117], v[34:35]
	ds_read2_b64 v[124:127], v110 offset0:38 offset1:39
	v_fma_f64 v[32:33], -v[60:61], v[118:119], v[32:33]
	ds_read2_b64 v[116:119], v110 offset0:40 offset1:41
	v_fma_f64 v[30:31], -v[60:61], v[120:121], v[30:31]
	v_fma_f64 v[28:29], -v[60:61], v[122:123], v[28:29]
	ds_read2_b64 v[120:123], v110 offset0:42 offset1:43
	s_waitcnt lgkmcnt(0)
	v_fma_f64 v[26:27], -v[60:61], v[124:125], v[26:27]
	v_fma_f64 v[24:25], -v[60:61], v[126:127], v[24:25]
	ds_read2_b64 v[124:127], v110 offset0:44 offset1:45
	v_fma_f64 v[22:23], -v[60:61], v[116:117], v[22:23]
	v_fma_f64 v[20:21], -v[60:61], v[118:119], v[20:21]
	;; [unrolled: 1-line block ×4, first 2 shown]
	ds_read2_b64 v[116:119], v110 offset0:46 offset1:47
	ds_read2_b64 v[120:123], v110 offset0:48 offset1:49
	s_waitcnt lgkmcnt(0)
	v_fma_f64 v[14:15], -v[60:61], v[124:125], v[14:15]
	v_fma_f64 v[12:13], -v[60:61], v[126:127], v[12:13]
	;; [unrolled: 1-line block ×7, first 2 shown]
.LBB100_369:
	s_or_b64 exec, exec, s[0:1]
	v_lshl_add_u32 v106, v111, 3, v110
	s_barrier
	ds_write_b64 v106, v[58:59]
	s_waitcnt lgkmcnt(0)
	s_barrier
	ds_read_b64 v[106:107], v110 offset:176
	s_cmp_lt_i32 s18, 24
	v_mov_b32_e32 v108, 22
	s_cbranch_scc1 .LBB100_372
; %bb.370:
	v_add_u32_e32 v115, 0xb8, v110
	s_mov_b32 s0, 23
	v_mov_b32_e32 v108, 22
.LBB100_371:                            ; =>This Inner Loop Header: Depth=1
	ds_read_b64 v[116:117], v115
	v_mov_b32_e32 v118, s0
	s_add_i32 s0, s0, 1
	v_add_u32_e32 v115, 8, v115
	s_cmp_lg_u32 s18, s0
	s_waitcnt lgkmcnt(0)
	v_cmp_lt_f64_e64 vcc, |v[106:107]|, |v[116:117]|
	v_cndmask_b32_e32 v107, v107, v117, vcc
	v_cndmask_b32_e32 v106, v106, v116, vcc
	;; [unrolled: 1-line block ×3, first 2 shown]
	s_cbranch_scc1 .LBB100_371
.LBB100_372:
	s_waitcnt lgkmcnt(0)
	v_cmp_eq_f64_e32 vcc, 0, v[106:107]
	s_and_saveexec_b64 s[0:1], vcc
	s_xor_b64 s[0:1], exec, s[0:1]
; %bb.373:
	v_cmp_ne_u32_e32 vcc, 0, v114
	v_cndmask_b32_e32 v114, 23, v114, vcc
; %bb.374:
	s_andn2_saveexec_b64 s[0:1], s[0:1]
; %bb.375:
	v_div_scale_f64 v[116:117], s[2:3], v[106:107], v[106:107], 1.0
	v_rcp_f64_e32 v[118:119], v[116:117]
	v_div_scale_f64 v[120:121], vcc, 1.0, v[106:107], 1.0
	v_fma_f64 v[122:123], -v[116:117], v[118:119], 1.0
	v_fmac_f64_e32 v[118:119], v[118:119], v[122:123]
	v_fma_f64 v[122:123], -v[116:117], v[118:119], 1.0
	v_fmac_f64_e32 v[118:119], v[118:119], v[122:123]
	v_mul_f64 v[122:123], v[120:121], v[118:119]
	v_fma_f64 v[116:117], -v[116:117], v[122:123], v[120:121]
	v_div_fmas_f64 v[116:117], v[116:117], v[118:119], v[122:123]
	v_div_fixup_f64 v[106:107], v[116:117], v[106:107], 1.0
; %bb.376:
	s_or_b64 exec, exec, s[0:1]
	v_cmp_ne_u32_e32 vcc, v111, v108
	s_and_saveexec_b64 s[0:1], vcc
	s_xor_b64 s[0:1], exec, s[0:1]
	s_cbranch_execz .LBB100_382
; %bb.377:
	v_cmp_eq_u32_e32 vcc, 22, v111
	s_and_saveexec_b64 s[2:3], vcc
	s_cbranch_execz .LBB100_381
; %bb.378:
	v_cmp_ne_u32_e32 vcc, 22, v108
	s_xor_b64 s[14:15], s[6:7], -1
	s_and_b64 s[16:17], s[14:15], vcc
	s_and_saveexec_b64 s[14:15], s[16:17]
	s_cbranch_execz .LBB100_380
; %bb.379:
	v_ashrrev_i32_e32 v109, 31, v108
	v_lshlrev_b64 v[116:117], 2, v[108:109]
	v_add_co_u32_e32 v116, vcc, v4, v116
	v_addc_co_u32_e32 v117, vcc, v5, v117, vcc
	flat_load_dword v109, v[116:117]
	flat_load_dword v111, v[4:5] offset:88
	s_waitcnt vmcnt(0) lgkmcnt(0)
	flat_store_dword v[4:5], v109 offset:88
	flat_store_dword v[116:117], v111
.LBB100_380:
	s_or_b64 exec, exec, s[14:15]
	v_mov_b32_e32 v109, v108
	v_mov_b32_e32 v111, v108
.LBB100_381:
	s_or_b64 exec, exec, s[2:3]
.LBB100_382:
	s_andn2_saveexec_b64 s[0:1], s[0:1]
	s_cbranch_execz .LBB100_384
; %bb.383:
	v_mov_b32_e32 v111, 22
	ds_write2_b64 v110, v[56:57], v[54:55] offset0:23 offset1:24
	ds_write2_b64 v110, v[52:53], v[50:51] offset0:25 offset1:26
	;; [unrolled: 1-line block ×14, first 2 shown]
.LBB100_384:
	s_or_b64 exec, exec, s[0:1]
	v_cmp_lt_i32_e32 vcc, 22, v111
	s_waitcnt lgkmcnt(0)
	s_barrier
	s_and_saveexec_b64 s[0:1], vcc
	s_cbranch_execz .LBB100_386
; %bb.385:
	ds_read2_b64 v[116:119], v110 offset0:23 offset1:24
	ds_read2_b64 v[120:123], v110 offset0:25 offset1:26
	v_mul_f64 v[58:59], v[106:107], v[58:59]
	ds_read2_b64 v[124:127], v110 offset0:27 offset1:28
	s_waitcnt lgkmcnt(0)
	v_fma_f64 v[56:57], -v[58:59], v[116:117], v[56:57]
	v_fma_f64 v[54:55], -v[58:59], v[118:119], v[54:55]
	ds_read2_b64 v[116:119], v110 offset0:29 offset1:30
	v_fma_f64 v[52:53], -v[58:59], v[120:121], v[52:53]
	v_fma_f64 v[50:51], -v[58:59], v[122:123], v[50:51]
	ds_read2_b64 v[120:123], v110 offset0:31 offset1:32
	;; [unrolled: 3-line block ×3, first 2 shown]
	s_waitcnt lgkmcnt(0)
	v_fma_f64 v[44:45], -v[58:59], v[116:117], v[44:45]
	v_fma_f64 v[42:43], -v[58:59], v[118:119], v[42:43]
	;; [unrolled: 1-line block ×3, first 2 shown]
	ds_read2_b64 v[116:119], v110 offset0:35 offset1:36
	v_fma_f64 v[38:39], -v[58:59], v[122:123], v[38:39]
	ds_read2_b64 v[120:123], v110 offset0:37 offset1:38
	v_fma_f64 v[36:37], -v[58:59], v[124:125], v[36:37]
	v_fma_f64 v[34:35], -v[58:59], v[126:127], v[34:35]
	s_waitcnt lgkmcnt(0)
	v_fma_f64 v[32:33], -v[58:59], v[116:117], v[32:33]
	ds_read2_b64 v[124:127], v110 offset0:39 offset1:40
	v_fma_f64 v[30:31], -v[58:59], v[118:119], v[30:31]
	ds_read2_b64 v[116:119], v110 offset0:41 offset1:42
	v_fma_f64 v[28:29], -v[58:59], v[120:121], v[28:29]
	v_fma_f64 v[26:27], -v[58:59], v[122:123], v[26:27]
	ds_read2_b64 v[120:123], v110 offset0:43 offset1:44
	s_waitcnt lgkmcnt(0)
	v_fma_f64 v[24:25], -v[58:59], v[124:125], v[24:25]
	v_fma_f64 v[22:23], -v[58:59], v[126:127], v[22:23]
	v_fma_f64 v[20:21], -v[58:59], v[116:117], v[20:21]
	v_fma_f64 v[18:19], -v[58:59], v[118:119], v[18:19]
	ds_read2_b64 v[116:119], v110 offset0:45 offset1:46
	v_fma_f64 v[16:17], -v[58:59], v[120:121], v[16:17]
	ds_read2_b64 v[124:127], v110 offset0:47 offset1:48
	v_fma_f64 v[14:15], -v[58:59], v[122:123], v[14:15]
	ds_read2_b64 v[120:123], v110 offset0:49 offset1:50
	s_waitcnt lgkmcnt(0)
	v_fma_f64 v[12:13], -v[58:59], v[116:117], v[12:13]
	v_fma_f64 v[10:11], -v[58:59], v[118:119], v[10:11]
	;; [unrolled: 1-line block ×6, first 2 shown]
.LBB100_386:
	s_or_b64 exec, exec, s[0:1]
	v_lshl_add_u32 v106, v111, 3, v110
	s_barrier
	ds_write_b64 v106, v[56:57]
	s_waitcnt lgkmcnt(0)
	s_barrier
	ds_read_b64 v[106:107], v110 offset:184
	s_cmp_lt_i32 s18, 25
	v_mov_b32_e32 v108, 23
	s_cbranch_scc1 .LBB100_389
; %bb.387:
	v_add_u32_e32 v115, 0xc0, v110
	s_mov_b32 s0, 24
	v_mov_b32_e32 v108, 23
.LBB100_388:                            ; =>This Inner Loop Header: Depth=1
	ds_read_b64 v[116:117], v115
	v_mov_b32_e32 v118, s0
	s_add_i32 s0, s0, 1
	v_add_u32_e32 v115, 8, v115
	s_cmp_lg_u32 s18, s0
	s_waitcnt lgkmcnt(0)
	v_cmp_lt_f64_e64 vcc, |v[106:107]|, |v[116:117]|
	v_cndmask_b32_e32 v107, v107, v117, vcc
	v_cndmask_b32_e32 v106, v106, v116, vcc
	;; [unrolled: 1-line block ×3, first 2 shown]
	s_cbranch_scc1 .LBB100_388
.LBB100_389:
	s_waitcnt lgkmcnt(0)
	v_cmp_eq_f64_e32 vcc, 0, v[106:107]
	s_and_saveexec_b64 s[0:1], vcc
	s_xor_b64 s[0:1], exec, s[0:1]
; %bb.390:
	v_cmp_ne_u32_e32 vcc, 0, v114
	v_cndmask_b32_e32 v114, 24, v114, vcc
; %bb.391:
	s_andn2_saveexec_b64 s[0:1], s[0:1]
; %bb.392:
	v_div_scale_f64 v[116:117], s[2:3], v[106:107], v[106:107], 1.0
	v_rcp_f64_e32 v[118:119], v[116:117]
	v_div_scale_f64 v[120:121], vcc, 1.0, v[106:107], 1.0
	v_fma_f64 v[122:123], -v[116:117], v[118:119], 1.0
	v_fmac_f64_e32 v[118:119], v[118:119], v[122:123]
	v_fma_f64 v[122:123], -v[116:117], v[118:119], 1.0
	v_fmac_f64_e32 v[118:119], v[118:119], v[122:123]
	v_mul_f64 v[122:123], v[120:121], v[118:119]
	v_fma_f64 v[116:117], -v[116:117], v[122:123], v[120:121]
	v_div_fmas_f64 v[116:117], v[116:117], v[118:119], v[122:123]
	v_div_fixup_f64 v[106:107], v[116:117], v[106:107], 1.0
; %bb.393:
	s_or_b64 exec, exec, s[0:1]
	v_cmp_ne_u32_e32 vcc, v111, v108
	s_and_saveexec_b64 s[0:1], vcc
	s_xor_b64 s[0:1], exec, s[0:1]
	s_cbranch_execz .LBB100_399
; %bb.394:
	v_cmp_eq_u32_e32 vcc, 23, v111
	s_and_saveexec_b64 s[2:3], vcc
	s_cbranch_execz .LBB100_398
; %bb.395:
	v_cmp_ne_u32_e32 vcc, 23, v108
	s_xor_b64 s[14:15], s[6:7], -1
	s_and_b64 s[16:17], s[14:15], vcc
	s_and_saveexec_b64 s[14:15], s[16:17]
	s_cbranch_execz .LBB100_397
; %bb.396:
	v_ashrrev_i32_e32 v109, 31, v108
	v_lshlrev_b64 v[116:117], 2, v[108:109]
	v_add_co_u32_e32 v116, vcc, v4, v116
	v_addc_co_u32_e32 v117, vcc, v5, v117, vcc
	flat_load_dword v109, v[116:117]
	flat_load_dword v111, v[4:5] offset:92
	s_waitcnt vmcnt(0) lgkmcnt(0)
	flat_store_dword v[4:5], v109 offset:92
	flat_store_dword v[116:117], v111
.LBB100_397:
	s_or_b64 exec, exec, s[14:15]
	v_mov_b32_e32 v109, v108
	v_mov_b32_e32 v111, v108
.LBB100_398:
	s_or_b64 exec, exec, s[2:3]
.LBB100_399:
	s_andn2_saveexec_b64 s[0:1], s[0:1]
	s_cbranch_execz .LBB100_401
; %bb.400:
	v_mov_b32_e32 v116, v54
	v_mov_b32_e32 v117, v55
	v_mov_b32_e32 v118, v52
	v_mov_b32_e32 v119, v53
	ds_write2_b64 v110, v[116:117], v[118:119] offset0:24 offset1:25
	v_mov_b32_e32 v116, v50
	v_mov_b32_e32 v117, v51
	v_mov_b32_e32 v118, v48
	v_mov_b32_e32 v119, v49
	ds_write2_b64 v110, v[116:117], v[118:119] offset0:26 offset1:27
	;; [unrolled: 5-line block ×12, first 2 shown]
	v_mov_b32_e32 v116, v6
	v_mov_b32_e32 v117, v7
	;; [unrolled: 1-line block ×5, first 2 shown]
	ds_write2_b64 v110, v[116:117], v[118:119] offset0:48 offset1:49
	ds_write_b64 v110, v[104:105] offset:400
.LBB100_401:
	s_or_b64 exec, exec, s[0:1]
	v_cmp_lt_i32_e32 vcc, 23, v111
	s_waitcnt lgkmcnt(0)
	s_barrier
	s_and_saveexec_b64 s[0:1], vcc
	s_cbranch_execz .LBB100_403
; %bb.402:
	ds_read2_b64 v[116:119], v110 offset0:24 offset1:25
	ds_read2_b64 v[120:123], v110 offset0:26 offset1:27
	v_mul_f64 v[56:57], v[106:107], v[56:57]
	ds_read2_b64 v[124:127], v110 offset0:28 offset1:29
	ds_read_b64 v[106:107], v110 offset:400
	s_waitcnt lgkmcnt(0)
	v_fma_f64 v[54:55], -v[56:57], v[116:117], v[54:55]
	v_fma_f64 v[52:53], -v[56:57], v[118:119], v[52:53]
	ds_read2_b64 v[116:119], v110 offset0:30 offset1:31
	v_fma_f64 v[50:51], -v[56:57], v[120:121], v[50:51]
	v_fma_f64 v[48:49], -v[56:57], v[122:123], v[48:49]
	;; [unrolled: 1-line block ×3, first 2 shown]
	ds_read2_b64 v[120:123], v110 offset0:32 offset1:33
	v_fma_f64 v[44:45], -v[56:57], v[126:127], v[44:45]
	ds_read2_b64 v[124:127], v110 offset0:34 offset1:35
	s_waitcnt lgkmcnt(0)
	v_fma_f64 v[42:43], -v[56:57], v[116:117], v[42:43]
	v_fma_f64 v[40:41], -v[56:57], v[118:119], v[40:41]
	ds_read2_b64 v[116:119], v110 offset0:36 offset1:37
	v_fma_f64 v[38:39], -v[56:57], v[120:121], v[38:39]
	v_fma_f64 v[36:37], -v[56:57], v[122:123], v[36:37]
	ds_read2_b64 v[120:123], v110 offset0:38 offset1:39
	v_fma_f64 v[34:35], -v[56:57], v[124:125], v[34:35]
	v_fma_f64 v[32:33], -v[56:57], v[126:127], v[32:33]
	s_waitcnt lgkmcnt(0)
	v_fma_f64 v[30:31], -v[56:57], v[116:117], v[30:31]
	ds_read2_b64 v[124:127], v110 offset0:40 offset1:41
	v_fma_f64 v[28:29], -v[56:57], v[118:119], v[28:29]
	ds_read2_b64 v[116:119], v110 offset0:42 offset1:43
	v_fma_f64 v[26:27], -v[56:57], v[120:121], v[26:27]
	v_fma_f64 v[24:25], -v[56:57], v[122:123], v[24:25]
	s_waitcnt lgkmcnt(0)
	v_fma_f64 v[22:23], -v[56:57], v[124:125], v[22:23]
	ds_read2_b64 v[120:123], v110 offset0:44 offset1:45
	v_fma_f64 v[20:21], -v[56:57], v[126:127], v[20:21]
	v_fma_f64 v[18:19], -v[56:57], v[116:117], v[18:19]
	;; [unrolled: 1-line block ×3, first 2 shown]
	ds_read2_b64 v[116:119], v110 offset0:46 offset1:47
	ds_read2_b64 v[124:127], v110 offset0:48 offset1:49
	s_waitcnt lgkmcnt(0)
	v_fma_f64 v[14:15], -v[56:57], v[120:121], v[14:15]
	v_fma_f64 v[12:13], -v[56:57], v[122:123], v[12:13]
	;; [unrolled: 1-line block ×7, first 2 shown]
.LBB100_403:
	s_or_b64 exec, exec, s[0:1]
	v_lshl_add_u32 v106, v111, 3, v110
	s_barrier
	ds_write_b64 v106, v[54:55]
	s_waitcnt lgkmcnt(0)
	s_barrier
	ds_read_b64 v[106:107], v110 offset:192
	s_cmp_lt_i32 s18, 26
	v_mov_b32_e32 v108, 24
	s_cbranch_scc1 .LBB100_406
; %bb.404:
	v_add_u32_e32 v115, 0xc8, v110
	s_mov_b32 s0, 25
	v_mov_b32_e32 v108, 24
.LBB100_405:                            ; =>This Inner Loop Header: Depth=1
	ds_read_b64 v[116:117], v115
	v_mov_b32_e32 v118, s0
	s_add_i32 s0, s0, 1
	v_add_u32_e32 v115, 8, v115
	s_cmp_lg_u32 s18, s0
	s_waitcnt lgkmcnt(0)
	v_cmp_lt_f64_e64 vcc, |v[106:107]|, |v[116:117]|
	v_cndmask_b32_e32 v107, v107, v117, vcc
	v_cndmask_b32_e32 v106, v106, v116, vcc
	;; [unrolled: 1-line block ×3, first 2 shown]
	s_cbranch_scc1 .LBB100_405
.LBB100_406:
	s_waitcnt lgkmcnt(0)
	v_cmp_eq_f64_e32 vcc, 0, v[106:107]
	s_and_saveexec_b64 s[0:1], vcc
	s_xor_b64 s[0:1], exec, s[0:1]
; %bb.407:
	v_cmp_ne_u32_e32 vcc, 0, v114
	v_cndmask_b32_e32 v114, 25, v114, vcc
; %bb.408:
	s_andn2_saveexec_b64 s[0:1], s[0:1]
; %bb.409:
	v_div_scale_f64 v[116:117], s[2:3], v[106:107], v[106:107], 1.0
	v_rcp_f64_e32 v[118:119], v[116:117]
	v_div_scale_f64 v[120:121], vcc, 1.0, v[106:107], 1.0
	v_fma_f64 v[122:123], -v[116:117], v[118:119], 1.0
	v_fmac_f64_e32 v[118:119], v[118:119], v[122:123]
	v_fma_f64 v[122:123], -v[116:117], v[118:119], 1.0
	v_fmac_f64_e32 v[118:119], v[118:119], v[122:123]
	v_mul_f64 v[122:123], v[120:121], v[118:119]
	v_fma_f64 v[116:117], -v[116:117], v[122:123], v[120:121]
	v_div_fmas_f64 v[116:117], v[116:117], v[118:119], v[122:123]
	v_div_fixup_f64 v[106:107], v[116:117], v[106:107], 1.0
; %bb.410:
	s_or_b64 exec, exec, s[0:1]
	v_cmp_ne_u32_e32 vcc, v111, v108
	s_and_saveexec_b64 s[0:1], vcc
	s_xor_b64 s[0:1], exec, s[0:1]
	s_cbranch_execz .LBB100_416
; %bb.411:
	v_cmp_eq_u32_e32 vcc, 24, v111
	s_and_saveexec_b64 s[2:3], vcc
	s_cbranch_execz .LBB100_415
; %bb.412:
	v_cmp_ne_u32_e32 vcc, 24, v108
	s_xor_b64 s[14:15], s[6:7], -1
	s_and_b64 s[16:17], s[14:15], vcc
	s_and_saveexec_b64 s[14:15], s[16:17]
	s_cbranch_execz .LBB100_414
; %bb.413:
	v_ashrrev_i32_e32 v109, 31, v108
	v_lshlrev_b64 v[116:117], 2, v[108:109]
	v_add_co_u32_e32 v116, vcc, v4, v116
	v_addc_co_u32_e32 v117, vcc, v5, v117, vcc
	flat_load_dword v109, v[116:117]
	flat_load_dword v111, v[4:5] offset:96
	s_waitcnt vmcnt(0) lgkmcnt(0)
	flat_store_dword v[4:5], v109 offset:96
	flat_store_dword v[116:117], v111
.LBB100_414:
	s_or_b64 exec, exec, s[14:15]
	v_mov_b32_e32 v109, v108
	v_mov_b32_e32 v111, v108
.LBB100_415:
	s_or_b64 exec, exec, s[2:3]
.LBB100_416:
	s_andn2_saveexec_b64 s[0:1], s[0:1]
	s_cbranch_execz .LBB100_418
; %bb.417:
	v_mov_b32_e32 v111, 24
	ds_write2_b64 v110, v[52:53], v[50:51] offset0:25 offset1:26
	ds_write2_b64 v110, v[48:49], v[46:47] offset0:27 offset1:28
	;; [unrolled: 1-line block ×13, first 2 shown]
.LBB100_418:
	s_or_b64 exec, exec, s[0:1]
	v_cmp_lt_i32_e32 vcc, 24, v111
	s_waitcnt lgkmcnt(0)
	s_barrier
	s_and_saveexec_b64 s[0:1], vcc
	s_cbranch_execz .LBB100_420
; %bb.419:
	ds_read2_b64 v[116:119], v110 offset0:25 offset1:26
	ds_read2_b64 v[120:123], v110 offset0:27 offset1:28
	v_mul_f64 v[54:55], v[106:107], v[54:55]
	ds_read2_b64 v[124:127], v110 offset0:29 offset1:30
	s_waitcnt lgkmcnt(0)
	v_fma_f64 v[52:53], -v[54:55], v[116:117], v[52:53]
	v_fma_f64 v[50:51], -v[54:55], v[118:119], v[50:51]
	ds_read2_b64 v[116:119], v110 offset0:31 offset1:32
	v_fma_f64 v[48:49], -v[54:55], v[120:121], v[48:49]
	v_fma_f64 v[46:47], -v[54:55], v[122:123], v[46:47]
	;; [unrolled: 1-line block ×3, first 2 shown]
	ds_read2_b64 v[120:123], v110 offset0:33 offset1:34
	v_fma_f64 v[42:43], -v[54:55], v[126:127], v[42:43]
	ds_read2_b64 v[124:127], v110 offset0:35 offset1:36
	s_waitcnt lgkmcnt(0)
	v_fma_f64 v[40:41], -v[54:55], v[116:117], v[40:41]
	v_fma_f64 v[38:39], -v[54:55], v[118:119], v[38:39]
	ds_read2_b64 v[116:119], v110 offset0:37 offset1:38
	v_fma_f64 v[36:37], -v[54:55], v[120:121], v[36:37]
	v_fma_f64 v[34:35], -v[54:55], v[122:123], v[34:35]
	ds_read2_b64 v[120:123], v110 offset0:39 offset1:40
	v_fma_f64 v[32:33], -v[54:55], v[124:125], v[32:33]
	v_fma_f64 v[30:31], -v[54:55], v[126:127], v[30:31]
	s_waitcnt lgkmcnt(0)
	v_fma_f64 v[28:29], -v[54:55], v[116:117], v[28:29]
	ds_read2_b64 v[124:127], v110 offset0:41 offset1:42
	v_fma_f64 v[26:27], -v[54:55], v[118:119], v[26:27]
	ds_read2_b64 v[116:119], v110 offset0:43 offset1:44
	v_fma_f64 v[24:25], -v[54:55], v[120:121], v[24:25]
	v_fma_f64 v[22:23], -v[54:55], v[122:123], v[22:23]
	s_waitcnt lgkmcnt(0)
	v_fma_f64 v[20:21], -v[54:55], v[124:125], v[20:21]
	v_fma_f64 v[18:19], -v[54:55], v[126:127], v[18:19]
	ds_read2_b64 v[120:123], v110 offset0:45 offset1:46
	ds_read2_b64 v[124:127], v110 offset0:47 offset1:48
	v_fma_f64 v[16:17], -v[54:55], v[116:117], v[16:17]
	v_fma_f64 v[14:15], -v[54:55], v[118:119], v[14:15]
	ds_read2_b64 v[116:119], v110 offset0:49 offset1:50
	s_waitcnt lgkmcnt(0)
	v_fma_f64 v[12:13], -v[54:55], v[120:121], v[12:13]
	v_fma_f64 v[10:11], -v[54:55], v[122:123], v[10:11]
	;; [unrolled: 1-line block ×6, first 2 shown]
.LBB100_420:
	s_or_b64 exec, exec, s[0:1]
	v_lshl_add_u32 v106, v111, 3, v110
	s_barrier
	ds_write_b64 v106, v[52:53]
	s_waitcnt lgkmcnt(0)
	s_barrier
	ds_read_b64 v[106:107], v110 offset:200
	s_cmp_lt_i32 s18, 27
	v_mov_b32_e32 v108, 25
	s_cbranch_scc1 .LBB100_423
; %bb.421:
	v_add_u32_e32 v115, 0xd0, v110
	s_mov_b32 s0, 26
	v_mov_b32_e32 v108, 25
.LBB100_422:                            ; =>This Inner Loop Header: Depth=1
	ds_read_b64 v[116:117], v115
	v_mov_b32_e32 v118, s0
	s_add_i32 s0, s0, 1
	v_add_u32_e32 v115, 8, v115
	s_cmp_lg_u32 s18, s0
	s_waitcnt lgkmcnt(0)
	v_cmp_lt_f64_e64 vcc, |v[106:107]|, |v[116:117]|
	v_cndmask_b32_e32 v107, v107, v117, vcc
	v_cndmask_b32_e32 v106, v106, v116, vcc
	;; [unrolled: 1-line block ×3, first 2 shown]
	s_cbranch_scc1 .LBB100_422
.LBB100_423:
	s_waitcnt lgkmcnt(0)
	v_cmp_eq_f64_e32 vcc, 0, v[106:107]
	s_and_saveexec_b64 s[0:1], vcc
	s_xor_b64 s[0:1], exec, s[0:1]
; %bb.424:
	v_cmp_ne_u32_e32 vcc, 0, v114
	v_cndmask_b32_e32 v114, 26, v114, vcc
; %bb.425:
	s_andn2_saveexec_b64 s[0:1], s[0:1]
; %bb.426:
	v_div_scale_f64 v[116:117], s[2:3], v[106:107], v[106:107], 1.0
	v_rcp_f64_e32 v[118:119], v[116:117]
	v_div_scale_f64 v[120:121], vcc, 1.0, v[106:107], 1.0
	v_fma_f64 v[122:123], -v[116:117], v[118:119], 1.0
	v_fmac_f64_e32 v[118:119], v[118:119], v[122:123]
	v_fma_f64 v[122:123], -v[116:117], v[118:119], 1.0
	v_fmac_f64_e32 v[118:119], v[118:119], v[122:123]
	v_mul_f64 v[122:123], v[120:121], v[118:119]
	v_fma_f64 v[116:117], -v[116:117], v[122:123], v[120:121]
	v_div_fmas_f64 v[116:117], v[116:117], v[118:119], v[122:123]
	v_div_fixup_f64 v[106:107], v[116:117], v[106:107], 1.0
; %bb.427:
	s_or_b64 exec, exec, s[0:1]
	v_cmp_ne_u32_e32 vcc, v111, v108
	s_and_saveexec_b64 s[0:1], vcc
	s_xor_b64 s[0:1], exec, s[0:1]
	s_cbranch_execz .LBB100_433
; %bb.428:
	v_cmp_eq_u32_e32 vcc, 25, v111
	s_and_saveexec_b64 s[2:3], vcc
	s_cbranch_execz .LBB100_432
; %bb.429:
	v_cmp_ne_u32_e32 vcc, 25, v108
	s_xor_b64 s[14:15], s[6:7], -1
	s_and_b64 s[16:17], s[14:15], vcc
	s_and_saveexec_b64 s[14:15], s[16:17]
	s_cbranch_execz .LBB100_431
; %bb.430:
	v_ashrrev_i32_e32 v109, 31, v108
	v_lshlrev_b64 v[116:117], 2, v[108:109]
	v_add_co_u32_e32 v116, vcc, v4, v116
	v_addc_co_u32_e32 v117, vcc, v5, v117, vcc
	flat_load_dword v109, v[116:117]
	flat_load_dword v111, v[4:5] offset:100
	s_waitcnt vmcnt(0) lgkmcnt(0)
	flat_store_dword v[4:5], v109 offset:100
	flat_store_dword v[116:117], v111
.LBB100_431:
	s_or_b64 exec, exec, s[14:15]
	v_mov_b32_e32 v109, v108
	v_mov_b32_e32 v111, v108
.LBB100_432:
	s_or_b64 exec, exec, s[2:3]
.LBB100_433:
	s_andn2_saveexec_b64 s[0:1], s[0:1]
	s_cbranch_execz .LBB100_435
; %bb.434:
	v_mov_b32_e32 v116, v50
	v_mov_b32_e32 v117, v51
	v_mov_b32_e32 v118, v48
	v_mov_b32_e32 v119, v49
	ds_write2_b64 v110, v[116:117], v[118:119] offset0:26 offset1:27
	v_mov_b32_e32 v116, v46
	v_mov_b32_e32 v117, v47
	v_mov_b32_e32 v118, v44
	v_mov_b32_e32 v119, v45
	ds_write2_b64 v110, v[116:117], v[118:119] offset0:28 offset1:29
	;; [unrolled: 5-line block ×11, first 2 shown]
	v_mov_b32_e32 v116, v6
	v_mov_b32_e32 v117, v7
	;; [unrolled: 1-line block ×5, first 2 shown]
	ds_write2_b64 v110, v[116:117], v[118:119] offset0:48 offset1:49
	ds_write_b64 v110, v[104:105] offset:400
.LBB100_435:
	s_or_b64 exec, exec, s[0:1]
	v_cmp_lt_i32_e32 vcc, 25, v111
	s_waitcnt lgkmcnt(0)
	s_barrier
	s_and_saveexec_b64 s[0:1], vcc
	s_cbranch_execz .LBB100_437
; %bb.436:
	ds_read2_b64 v[116:119], v110 offset0:26 offset1:27
	ds_read2_b64 v[120:123], v110 offset0:28 offset1:29
	;; [unrolled: 1-line block ×3, first 2 shown]
	v_mul_f64 v[52:53], v[106:107], v[52:53]
	ds_read_b64 v[106:107], v110 offset:400
	s_waitcnt lgkmcnt(0)
	v_fma_f64 v[50:51], -v[52:53], v[116:117], v[50:51]
	v_fma_f64 v[48:49], -v[52:53], v[118:119], v[48:49]
	ds_read2_b64 v[116:119], v110 offset0:32 offset1:33
	v_fma_f64 v[46:47], -v[52:53], v[120:121], v[46:47]
	v_fma_f64 v[44:45], -v[52:53], v[122:123], v[44:45]
	;; [unrolled: 1-line block ×3, first 2 shown]
	ds_read2_b64 v[120:123], v110 offset0:34 offset1:35
	v_fma_f64 v[40:41], -v[52:53], v[126:127], v[40:41]
	ds_read2_b64 v[124:127], v110 offset0:36 offset1:37
	s_waitcnt lgkmcnt(0)
	v_fma_f64 v[38:39], -v[52:53], v[116:117], v[38:39]
	v_fma_f64 v[36:37], -v[52:53], v[118:119], v[36:37]
	;; [unrolled: 1-line block ×3, first 2 shown]
	ds_read2_b64 v[116:119], v110 offset0:38 offset1:39
	v_fma_f64 v[32:33], -v[52:53], v[122:123], v[32:33]
	ds_read2_b64 v[120:123], v110 offset0:40 offset1:41
	v_fma_f64 v[30:31], -v[52:53], v[124:125], v[30:31]
	v_fma_f64 v[28:29], -v[52:53], v[126:127], v[28:29]
	ds_read2_b64 v[124:127], v110 offset0:42 offset1:43
	s_waitcnt lgkmcnt(0)
	v_fma_f64 v[26:27], -v[52:53], v[116:117], v[26:27]
	v_fma_f64 v[24:25], -v[52:53], v[118:119], v[24:25]
	ds_read2_b64 v[116:119], v110 offset0:44 offset1:45
	v_fma_f64 v[22:23], -v[52:53], v[120:121], v[22:23]
	v_fma_f64 v[20:21], -v[52:53], v[122:123], v[20:21]
	v_fma_f64 v[18:19], -v[52:53], v[124:125], v[18:19]
	v_fma_f64 v[16:17], -v[52:53], v[126:127], v[16:17]
	ds_read2_b64 v[120:123], v110 offset0:46 offset1:47
	ds_read2_b64 v[124:127], v110 offset0:48 offset1:49
	s_waitcnt lgkmcnt(0)
	v_fma_f64 v[14:15], -v[52:53], v[116:117], v[14:15]
	v_fma_f64 v[12:13], -v[52:53], v[118:119], v[12:13]
	;; [unrolled: 1-line block ×7, first 2 shown]
.LBB100_437:
	s_or_b64 exec, exec, s[0:1]
	v_lshl_add_u32 v106, v111, 3, v110
	s_barrier
	ds_write_b64 v106, v[50:51]
	s_waitcnt lgkmcnt(0)
	s_barrier
	ds_read_b64 v[106:107], v110 offset:208
	s_cmp_lt_i32 s18, 28
	v_mov_b32_e32 v108, 26
	s_cbranch_scc1 .LBB100_440
; %bb.438:
	v_add_u32_e32 v115, 0xd8, v110
	s_mov_b32 s0, 27
	v_mov_b32_e32 v108, 26
.LBB100_439:                            ; =>This Inner Loop Header: Depth=1
	ds_read_b64 v[116:117], v115
	v_mov_b32_e32 v118, s0
	s_add_i32 s0, s0, 1
	v_add_u32_e32 v115, 8, v115
	s_cmp_lg_u32 s18, s0
	s_waitcnt lgkmcnt(0)
	v_cmp_lt_f64_e64 vcc, |v[106:107]|, |v[116:117]|
	v_cndmask_b32_e32 v107, v107, v117, vcc
	v_cndmask_b32_e32 v106, v106, v116, vcc
	;; [unrolled: 1-line block ×3, first 2 shown]
	s_cbranch_scc1 .LBB100_439
.LBB100_440:
	s_waitcnt lgkmcnt(0)
	v_cmp_eq_f64_e32 vcc, 0, v[106:107]
	s_and_saveexec_b64 s[0:1], vcc
	s_xor_b64 s[0:1], exec, s[0:1]
; %bb.441:
	v_cmp_ne_u32_e32 vcc, 0, v114
	v_cndmask_b32_e32 v114, 27, v114, vcc
; %bb.442:
	s_andn2_saveexec_b64 s[0:1], s[0:1]
; %bb.443:
	v_div_scale_f64 v[116:117], s[2:3], v[106:107], v[106:107], 1.0
	v_rcp_f64_e32 v[118:119], v[116:117]
	v_div_scale_f64 v[120:121], vcc, 1.0, v[106:107], 1.0
	v_fma_f64 v[122:123], -v[116:117], v[118:119], 1.0
	v_fmac_f64_e32 v[118:119], v[118:119], v[122:123]
	v_fma_f64 v[122:123], -v[116:117], v[118:119], 1.0
	v_fmac_f64_e32 v[118:119], v[118:119], v[122:123]
	v_mul_f64 v[122:123], v[120:121], v[118:119]
	v_fma_f64 v[116:117], -v[116:117], v[122:123], v[120:121]
	v_div_fmas_f64 v[116:117], v[116:117], v[118:119], v[122:123]
	v_div_fixup_f64 v[106:107], v[116:117], v[106:107], 1.0
; %bb.444:
	s_or_b64 exec, exec, s[0:1]
	v_cmp_ne_u32_e32 vcc, v111, v108
	s_and_saveexec_b64 s[0:1], vcc
	s_xor_b64 s[0:1], exec, s[0:1]
	s_cbranch_execz .LBB100_450
; %bb.445:
	v_cmp_eq_u32_e32 vcc, 26, v111
	s_and_saveexec_b64 s[2:3], vcc
	s_cbranch_execz .LBB100_449
; %bb.446:
	v_cmp_ne_u32_e32 vcc, 26, v108
	s_xor_b64 s[14:15], s[6:7], -1
	s_and_b64 s[16:17], s[14:15], vcc
	s_and_saveexec_b64 s[14:15], s[16:17]
	s_cbranch_execz .LBB100_448
; %bb.447:
	v_ashrrev_i32_e32 v109, 31, v108
	v_lshlrev_b64 v[116:117], 2, v[108:109]
	v_add_co_u32_e32 v116, vcc, v4, v116
	v_addc_co_u32_e32 v117, vcc, v5, v117, vcc
	flat_load_dword v109, v[116:117]
	flat_load_dword v111, v[4:5] offset:104
	s_waitcnt vmcnt(0) lgkmcnt(0)
	flat_store_dword v[4:5], v109 offset:104
	flat_store_dword v[116:117], v111
.LBB100_448:
	s_or_b64 exec, exec, s[14:15]
	v_mov_b32_e32 v109, v108
	v_mov_b32_e32 v111, v108
.LBB100_449:
	s_or_b64 exec, exec, s[2:3]
.LBB100_450:
	s_andn2_saveexec_b64 s[0:1], s[0:1]
	s_cbranch_execz .LBB100_452
; %bb.451:
	v_mov_b32_e32 v111, 26
	ds_write2_b64 v110, v[48:49], v[46:47] offset0:27 offset1:28
	ds_write2_b64 v110, v[44:45], v[42:43] offset0:29 offset1:30
	;; [unrolled: 1-line block ×12, first 2 shown]
.LBB100_452:
	s_or_b64 exec, exec, s[0:1]
	v_cmp_lt_i32_e32 vcc, 26, v111
	s_waitcnt lgkmcnt(0)
	s_barrier
	s_and_saveexec_b64 s[0:1], vcc
	s_cbranch_execz .LBB100_454
; %bb.453:
	ds_read2_b64 v[116:119], v110 offset0:27 offset1:28
	ds_read2_b64 v[120:123], v110 offset0:29 offset1:30
	;; [unrolled: 1-line block ×3, first 2 shown]
	v_mul_f64 v[50:51], v[106:107], v[50:51]
	s_waitcnt lgkmcnt(0)
	v_fma_f64 v[48:49], -v[50:51], v[116:117], v[48:49]
	v_fma_f64 v[46:47], -v[50:51], v[118:119], v[46:47]
	ds_read2_b64 v[116:119], v110 offset0:33 offset1:34
	v_fma_f64 v[44:45], -v[50:51], v[120:121], v[44:45]
	v_fma_f64 v[42:43], -v[50:51], v[122:123], v[42:43]
	;; [unrolled: 1-line block ×3, first 2 shown]
	ds_read2_b64 v[120:123], v110 offset0:35 offset1:36
	v_fma_f64 v[38:39], -v[50:51], v[126:127], v[38:39]
	ds_read2_b64 v[124:127], v110 offset0:37 offset1:38
	s_waitcnt lgkmcnt(0)
	v_fma_f64 v[36:37], -v[50:51], v[116:117], v[36:37]
	v_fma_f64 v[34:35], -v[50:51], v[118:119], v[34:35]
	;; [unrolled: 1-line block ×3, first 2 shown]
	ds_read2_b64 v[116:119], v110 offset0:39 offset1:40
	v_fma_f64 v[30:31], -v[50:51], v[122:123], v[30:31]
	ds_read2_b64 v[120:123], v110 offset0:41 offset1:42
	v_fma_f64 v[28:29], -v[50:51], v[124:125], v[28:29]
	v_fma_f64 v[26:27], -v[50:51], v[126:127], v[26:27]
	ds_read2_b64 v[124:127], v110 offset0:43 offset1:44
	s_waitcnt lgkmcnt(0)
	v_fma_f64 v[24:25], -v[50:51], v[116:117], v[24:25]
	v_fma_f64 v[22:23], -v[50:51], v[118:119], v[22:23]
	ds_read2_b64 v[116:119], v110 offset0:45 offset1:46
	v_fma_f64 v[20:21], -v[50:51], v[120:121], v[20:21]
	v_fma_f64 v[18:19], -v[50:51], v[122:123], v[18:19]
	;; [unrolled: 1-line block ×3, first 2 shown]
	ds_read2_b64 v[120:123], v110 offset0:47 offset1:48
	v_fma_f64 v[14:15], -v[50:51], v[126:127], v[14:15]
	ds_read2_b64 v[124:127], v110 offset0:49 offset1:50
	s_waitcnt lgkmcnt(0)
	v_fma_f64 v[12:13], -v[50:51], v[116:117], v[12:13]
	v_fma_f64 v[10:11], -v[50:51], v[118:119], v[10:11]
	;; [unrolled: 1-line block ×6, first 2 shown]
.LBB100_454:
	s_or_b64 exec, exec, s[0:1]
	v_lshl_add_u32 v106, v111, 3, v110
	s_barrier
	ds_write_b64 v106, v[48:49]
	s_waitcnt lgkmcnt(0)
	s_barrier
	ds_read_b64 v[106:107], v110 offset:216
	s_cmp_lt_i32 s18, 29
	v_mov_b32_e32 v108, 27
	s_cbranch_scc1 .LBB100_457
; %bb.455:
	v_add_u32_e32 v115, 0xe0, v110
	s_mov_b32 s0, 28
	v_mov_b32_e32 v108, 27
.LBB100_456:                            ; =>This Inner Loop Header: Depth=1
	ds_read_b64 v[116:117], v115
	v_mov_b32_e32 v118, s0
	s_add_i32 s0, s0, 1
	v_add_u32_e32 v115, 8, v115
	s_cmp_lg_u32 s18, s0
	s_waitcnt lgkmcnt(0)
	v_cmp_lt_f64_e64 vcc, |v[106:107]|, |v[116:117]|
	v_cndmask_b32_e32 v107, v107, v117, vcc
	v_cndmask_b32_e32 v106, v106, v116, vcc
	;; [unrolled: 1-line block ×3, first 2 shown]
	s_cbranch_scc1 .LBB100_456
.LBB100_457:
	s_waitcnt lgkmcnt(0)
	v_cmp_eq_f64_e32 vcc, 0, v[106:107]
	s_and_saveexec_b64 s[0:1], vcc
	s_xor_b64 s[0:1], exec, s[0:1]
; %bb.458:
	v_cmp_ne_u32_e32 vcc, 0, v114
	v_cndmask_b32_e32 v114, 28, v114, vcc
; %bb.459:
	s_andn2_saveexec_b64 s[0:1], s[0:1]
; %bb.460:
	v_div_scale_f64 v[116:117], s[2:3], v[106:107], v[106:107], 1.0
	v_rcp_f64_e32 v[118:119], v[116:117]
	v_div_scale_f64 v[120:121], vcc, 1.0, v[106:107], 1.0
	v_fma_f64 v[122:123], -v[116:117], v[118:119], 1.0
	v_fmac_f64_e32 v[118:119], v[118:119], v[122:123]
	v_fma_f64 v[122:123], -v[116:117], v[118:119], 1.0
	v_fmac_f64_e32 v[118:119], v[118:119], v[122:123]
	v_mul_f64 v[122:123], v[120:121], v[118:119]
	v_fma_f64 v[116:117], -v[116:117], v[122:123], v[120:121]
	v_div_fmas_f64 v[116:117], v[116:117], v[118:119], v[122:123]
	v_div_fixup_f64 v[106:107], v[116:117], v[106:107], 1.0
; %bb.461:
	s_or_b64 exec, exec, s[0:1]
	v_cmp_ne_u32_e32 vcc, v111, v108
	s_and_saveexec_b64 s[0:1], vcc
	s_xor_b64 s[0:1], exec, s[0:1]
	s_cbranch_execz .LBB100_467
; %bb.462:
	v_cmp_eq_u32_e32 vcc, 27, v111
	s_and_saveexec_b64 s[2:3], vcc
	s_cbranch_execz .LBB100_466
; %bb.463:
	v_cmp_ne_u32_e32 vcc, 27, v108
	s_xor_b64 s[14:15], s[6:7], -1
	s_and_b64 s[16:17], s[14:15], vcc
	s_and_saveexec_b64 s[14:15], s[16:17]
	s_cbranch_execz .LBB100_465
; %bb.464:
	v_ashrrev_i32_e32 v109, 31, v108
	v_lshlrev_b64 v[116:117], 2, v[108:109]
	v_add_co_u32_e32 v116, vcc, v4, v116
	v_addc_co_u32_e32 v117, vcc, v5, v117, vcc
	flat_load_dword v109, v[116:117]
	flat_load_dword v111, v[4:5] offset:108
	s_waitcnt vmcnt(0) lgkmcnt(0)
	flat_store_dword v[4:5], v109 offset:108
	flat_store_dword v[116:117], v111
.LBB100_465:
	s_or_b64 exec, exec, s[14:15]
	v_mov_b32_e32 v109, v108
	v_mov_b32_e32 v111, v108
.LBB100_466:
	s_or_b64 exec, exec, s[2:3]
.LBB100_467:
	s_andn2_saveexec_b64 s[0:1], s[0:1]
	s_cbranch_execz .LBB100_469
; %bb.468:
	v_mov_b32_e32 v116, v46
	v_mov_b32_e32 v117, v47
	v_mov_b32_e32 v118, v44
	v_mov_b32_e32 v119, v45
	ds_write2_b64 v110, v[116:117], v[118:119] offset0:28 offset1:29
	v_mov_b32_e32 v116, v42
	v_mov_b32_e32 v117, v43
	v_mov_b32_e32 v118, v40
	v_mov_b32_e32 v119, v41
	ds_write2_b64 v110, v[116:117], v[118:119] offset0:30 offset1:31
	v_mov_b32_e32 v116, v38
	v_mov_b32_e32 v117, v39
	v_mov_b32_e32 v118, v36
	v_mov_b32_e32 v119, v37
	ds_write2_b64 v110, v[116:117], v[118:119] offset0:32 offset1:33
	v_mov_b32_e32 v116, v34
	v_mov_b32_e32 v117, v35
	v_mov_b32_e32 v118, v32
	v_mov_b32_e32 v119, v33
	ds_write2_b64 v110, v[116:117], v[118:119] offset0:34 offset1:35
	v_mov_b32_e32 v116, v30
	v_mov_b32_e32 v117, v31
	v_mov_b32_e32 v118, v28
	v_mov_b32_e32 v119, v29
	ds_write2_b64 v110, v[116:117], v[118:119] offset0:36 offset1:37
	v_mov_b32_e32 v116, v26
	v_mov_b32_e32 v117, v27
	v_mov_b32_e32 v118, v24
	v_mov_b32_e32 v119, v25
	ds_write2_b64 v110, v[116:117], v[118:119] offset0:38 offset1:39
	v_mov_b32_e32 v116, v22
	v_mov_b32_e32 v117, v23
	v_mov_b32_e32 v118, v20
	v_mov_b32_e32 v119, v21
	ds_write2_b64 v110, v[116:117], v[118:119] offset0:40 offset1:41
	v_mov_b32_e32 v116, v18
	v_mov_b32_e32 v117, v19
	v_mov_b32_e32 v118, v16
	v_mov_b32_e32 v119, v17
	ds_write2_b64 v110, v[116:117], v[118:119] offset0:42 offset1:43
	v_mov_b32_e32 v116, v14
	v_mov_b32_e32 v117, v15
	v_mov_b32_e32 v118, v12
	v_mov_b32_e32 v119, v13
	ds_write2_b64 v110, v[116:117], v[118:119] offset0:44 offset1:45
	v_mov_b32_e32 v116, v10
	v_mov_b32_e32 v117, v11
	v_mov_b32_e32 v118, v8
	v_mov_b32_e32 v119, v9
	ds_write2_b64 v110, v[116:117], v[118:119] offset0:46 offset1:47
	v_mov_b32_e32 v116, v6
	v_mov_b32_e32 v117, v7
	v_mov_b32_e32 v118, v0
	v_mov_b32_e32 v119, v1
	v_mov_b32_e32 v111, 27
	ds_write2_b64 v110, v[116:117], v[118:119] offset0:48 offset1:49
	ds_write_b64 v110, v[104:105] offset:400
.LBB100_469:
	s_or_b64 exec, exec, s[0:1]
	v_cmp_lt_i32_e32 vcc, 27, v111
	s_waitcnt lgkmcnt(0)
	s_barrier
	s_and_saveexec_b64 s[0:1], vcc
	s_cbranch_execz .LBB100_471
; %bb.470:
	ds_read2_b64 v[116:119], v110 offset0:28 offset1:29
	ds_read2_b64 v[120:123], v110 offset0:30 offset1:31
	v_mul_f64 v[48:49], v[106:107], v[48:49]
	ds_read2_b64 v[124:127], v110 offset0:32 offset1:33
	ds_read_b64 v[106:107], v110 offset:400
	s_waitcnt lgkmcnt(0)
	v_fma_f64 v[46:47], -v[48:49], v[116:117], v[46:47]
	v_fma_f64 v[44:45], -v[48:49], v[118:119], v[44:45]
	ds_read2_b64 v[116:119], v110 offset0:34 offset1:35
	v_fma_f64 v[42:43], -v[48:49], v[120:121], v[42:43]
	v_fma_f64 v[40:41], -v[48:49], v[122:123], v[40:41]
	ds_read2_b64 v[120:123], v110 offset0:36 offset1:37
	;; [unrolled: 3-line block ×3, first 2 shown]
	s_waitcnt lgkmcnt(0)
	v_fma_f64 v[34:35], -v[48:49], v[116:117], v[34:35]
	v_fma_f64 v[32:33], -v[48:49], v[118:119], v[32:33]
	;; [unrolled: 1-line block ×3, first 2 shown]
	ds_read2_b64 v[116:119], v110 offset0:40 offset1:41
	v_fma_f64 v[28:29], -v[48:49], v[122:123], v[28:29]
	ds_read2_b64 v[120:123], v110 offset0:42 offset1:43
	v_fma_f64 v[26:27], -v[48:49], v[124:125], v[26:27]
	v_fma_f64 v[24:25], -v[48:49], v[126:127], v[24:25]
	s_waitcnt lgkmcnt(0)
	v_fma_f64 v[22:23], -v[48:49], v[116:117], v[22:23]
	ds_read2_b64 v[124:127], v110 offset0:44 offset1:45
	v_fma_f64 v[20:21], -v[48:49], v[118:119], v[20:21]
	ds_read2_b64 v[116:119], v110 offset0:46 offset1:47
	v_fma_f64 v[18:19], -v[48:49], v[120:121], v[18:19]
	v_fma_f64 v[16:17], -v[48:49], v[122:123], v[16:17]
	ds_read2_b64 v[120:123], v110 offset0:48 offset1:49
	s_waitcnt lgkmcnt(0)
	v_fma_f64 v[14:15], -v[48:49], v[124:125], v[14:15]
	v_fma_f64 v[12:13], -v[48:49], v[126:127], v[12:13]
	;; [unrolled: 1-line block ×7, first 2 shown]
.LBB100_471:
	s_or_b64 exec, exec, s[0:1]
	v_lshl_add_u32 v106, v111, 3, v110
	s_barrier
	ds_write_b64 v106, v[46:47]
	s_waitcnt lgkmcnt(0)
	s_barrier
	ds_read_b64 v[106:107], v110 offset:224
	s_cmp_lt_i32 s18, 30
	v_mov_b32_e32 v108, 28
	s_cbranch_scc1 .LBB100_474
; %bb.472:
	v_add_u32_e32 v115, 0xe8, v110
	s_mov_b32 s0, 29
	v_mov_b32_e32 v108, 28
.LBB100_473:                            ; =>This Inner Loop Header: Depth=1
	ds_read_b64 v[116:117], v115
	v_mov_b32_e32 v118, s0
	s_add_i32 s0, s0, 1
	v_add_u32_e32 v115, 8, v115
	s_cmp_lg_u32 s18, s0
	s_waitcnt lgkmcnt(0)
	v_cmp_lt_f64_e64 vcc, |v[106:107]|, |v[116:117]|
	v_cndmask_b32_e32 v107, v107, v117, vcc
	v_cndmask_b32_e32 v106, v106, v116, vcc
	;; [unrolled: 1-line block ×3, first 2 shown]
	s_cbranch_scc1 .LBB100_473
.LBB100_474:
	s_waitcnt lgkmcnt(0)
	v_cmp_eq_f64_e32 vcc, 0, v[106:107]
	s_and_saveexec_b64 s[0:1], vcc
	s_xor_b64 s[0:1], exec, s[0:1]
; %bb.475:
	v_cmp_ne_u32_e32 vcc, 0, v114
	v_cndmask_b32_e32 v114, 29, v114, vcc
; %bb.476:
	s_andn2_saveexec_b64 s[0:1], s[0:1]
; %bb.477:
	v_div_scale_f64 v[116:117], s[2:3], v[106:107], v[106:107], 1.0
	v_rcp_f64_e32 v[118:119], v[116:117]
	v_div_scale_f64 v[120:121], vcc, 1.0, v[106:107], 1.0
	v_fma_f64 v[122:123], -v[116:117], v[118:119], 1.0
	v_fmac_f64_e32 v[118:119], v[118:119], v[122:123]
	v_fma_f64 v[122:123], -v[116:117], v[118:119], 1.0
	v_fmac_f64_e32 v[118:119], v[118:119], v[122:123]
	v_mul_f64 v[122:123], v[120:121], v[118:119]
	v_fma_f64 v[116:117], -v[116:117], v[122:123], v[120:121]
	v_div_fmas_f64 v[116:117], v[116:117], v[118:119], v[122:123]
	v_div_fixup_f64 v[106:107], v[116:117], v[106:107], 1.0
; %bb.478:
	s_or_b64 exec, exec, s[0:1]
	v_cmp_ne_u32_e32 vcc, v111, v108
	s_and_saveexec_b64 s[0:1], vcc
	s_xor_b64 s[0:1], exec, s[0:1]
	s_cbranch_execz .LBB100_484
; %bb.479:
	v_cmp_eq_u32_e32 vcc, 28, v111
	s_and_saveexec_b64 s[2:3], vcc
	s_cbranch_execz .LBB100_483
; %bb.480:
	v_cmp_ne_u32_e32 vcc, 28, v108
	s_xor_b64 s[14:15], s[6:7], -1
	s_and_b64 s[16:17], s[14:15], vcc
	s_and_saveexec_b64 s[14:15], s[16:17]
	s_cbranch_execz .LBB100_482
; %bb.481:
	v_ashrrev_i32_e32 v109, 31, v108
	v_lshlrev_b64 v[116:117], 2, v[108:109]
	v_add_co_u32_e32 v116, vcc, v4, v116
	v_addc_co_u32_e32 v117, vcc, v5, v117, vcc
	flat_load_dword v109, v[116:117]
	flat_load_dword v111, v[4:5] offset:112
	s_waitcnt vmcnt(0) lgkmcnt(0)
	flat_store_dword v[4:5], v109 offset:112
	flat_store_dword v[116:117], v111
.LBB100_482:
	s_or_b64 exec, exec, s[14:15]
	v_mov_b32_e32 v109, v108
	v_mov_b32_e32 v111, v108
.LBB100_483:
	s_or_b64 exec, exec, s[2:3]
.LBB100_484:
	s_andn2_saveexec_b64 s[0:1], s[0:1]
	s_cbranch_execz .LBB100_486
; %bb.485:
	v_mov_b32_e32 v111, 28
	ds_write2_b64 v110, v[44:45], v[42:43] offset0:29 offset1:30
	ds_write2_b64 v110, v[40:41], v[38:39] offset0:31 offset1:32
	;; [unrolled: 1-line block ×11, first 2 shown]
.LBB100_486:
	s_or_b64 exec, exec, s[0:1]
	v_cmp_lt_i32_e32 vcc, 28, v111
	s_waitcnt lgkmcnt(0)
	s_barrier
	s_and_saveexec_b64 s[0:1], vcc
	s_cbranch_execz .LBB100_488
; %bb.487:
	ds_read2_b64 v[116:119], v110 offset0:29 offset1:30
	ds_read2_b64 v[120:123], v110 offset0:31 offset1:32
	v_mul_f64 v[46:47], v[106:107], v[46:47]
	ds_read2_b64 v[124:127], v110 offset0:33 offset1:34
	s_waitcnt lgkmcnt(0)
	v_fma_f64 v[44:45], -v[46:47], v[116:117], v[44:45]
	v_fma_f64 v[42:43], -v[46:47], v[118:119], v[42:43]
	ds_read2_b64 v[116:119], v110 offset0:35 offset1:36
	v_fma_f64 v[40:41], -v[46:47], v[120:121], v[40:41]
	v_fma_f64 v[38:39], -v[46:47], v[122:123], v[38:39]
	ds_read2_b64 v[120:123], v110 offset0:37 offset1:38
	;; [unrolled: 3-line block ×3, first 2 shown]
	s_waitcnt lgkmcnt(0)
	v_fma_f64 v[32:33], -v[46:47], v[116:117], v[32:33]
	v_fma_f64 v[30:31], -v[46:47], v[118:119], v[30:31]
	;; [unrolled: 1-line block ×3, first 2 shown]
	ds_read2_b64 v[116:119], v110 offset0:41 offset1:42
	v_fma_f64 v[26:27], -v[46:47], v[122:123], v[26:27]
	ds_read2_b64 v[120:123], v110 offset0:43 offset1:44
	v_fma_f64 v[24:25], -v[46:47], v[124:125], v[24:25]
	v_fma_f64 v[22:23], -v[46:47], v[126:127], v[22:23]
	s_waitcnt lgkmcnt(0)
	v_fma_f64 v[20:21], -v[46:47], v[116:117], v[20:21]
	v_fma_f64 v[18:19], -v[46:47], v[118:119], v[18:19]
	ds_read2_b64 v[116:119], v110 offset0:45 offset1:46
	ds_read2_b64 v[124:127], v110 offset0:47 offset1:48
	v_fma_f64 v[16:17], -v[46:47], v[120:121], v[16:17]
	v_fma_f64 v[14:15], -v[46:47], v[122:123], v[14:15]
	ds_read2_b64 v[120:123], v110 offset0:49 offset1:50
	s_waitcnt lgkmcnt(0)
	v_fma_f64 v[12:13], -v[46:47], v[116:117], v[12:13]
	v_fma_f64 v[10:11], -v[46:47], v[118:119], v[10:11]
	;; [unrolled: 1-line block ×6, first 2 shown]
.LBB100_488:
	s_or_b64 exec, exec, s[0:1]
	v_lshl_add_u32 v106, v111, 3, v110
	s_barrier
	ds_write_b64 v106, v[44:45]
	s_waitcnt lgkmcnt(0)
	s_barrier
	ds_read_b64 v[106:107], v110 offset:232
	s_cmp_lt_i32 s18, 31
	v_mov_b32_e32 v108, 29
	s_cbranch_scc1 .LBB100_491
; %bb.489:
	v_add_u32_e32 v115, 0xf0, v110
	s_mov_b32 s0, 30
	v_mov_b32_e32 v108, 29
.LBB100_490:                            ; =>This Inner Loop Header: Depth=1
	ds_read_b64 v[116:117], v115
	v_mov_b32_e32 v118, s0
	s_add_i32 s0, s0, 1
	v_add_u32_e32 v115, 8, v115
	s_cmp_lg_u32 s18, s0
	s_waitcnt lgkmcnt(0)
	v_cmp_lt_f64_e64 vcc, |v[106:107]|, |v[116:117]|
	v_cndmask_b32_e32 v107, v107, v117, vcc
	v_cndmask_b32_e32 v106, v106, v116, vcc
	;; [unrolled: 1-line block ×3, first 2 shown]
	s_cbranch_scc1 .LBB100_490
.LBB100_491:
	s_waitcnt lgkmcnt(0)
	v_cmp_eq_f64_e32 vcc, 0, v[106:107]
	s_and_saveexec_b64 s[0:1], vcc
	s_xor_b64 s[0:1], exec, s[0:1]
; %bb.492:
	v_cmp_ne_u32_e32 vcc, 0, v114
	v_cndmask_b32_e32 v114, 30, v114, vcc
; %bb.493:
	s_andn2_saveexec_b64 s[0:1], s[0:1]
; %bb.494:
	v_div_scale_f64 v[116:117], s[2:3], v[106:107], v[106:107], 1.0
	v_rcp_f64_e32 v[118:119], v[116:117]
	v_div_scale_f64 v[120:121], vcc, 1.0, v[106:107], 1.0
	v_fma_f64 v[122:123], -v[116:117], v[118:119], 1.0
	v_fmac_f64_e32 v[118:119], v[118:119], v[122:123]
	v_fma_f64 v[122:123], -v[116:117], v[118:119], 1.0
	v_fmac_f64_e32 v[118:119], v[118:119], v[122:123]
	v_mul_f64 v[122:123], v[120:121], v[118:119]
	v_fma_f64 v[116:117], -v[116:117], v[122:123], v[120:121]
	v_div_fmas_f64 v[116:117], v[116:117], v[118:119], v[122:123]
	v_div_fixup_f64 v[106:107], v[116:117], v[106:107], 1.0
; %bb.495:
	s_or_b64 exec, exec, s[0:1]
	v_cmp_ne_u32_e32 vcc, v111, v108
	s_and_saveexec_b64 s[0:1], vcc
	s_xor_b64 s[0:1], exec, s[0:1]
	s_cbranch_execz .LBB100_501
; %bb.496:
	v_cmp_eq_u32_e32 vcc, 29, v111
	s_and_saveexec_b64 s[2:3], vcc
	s_cbranch_execz .LBB100_500
; %bb.497:
	v_cmp_ne_u32_e32 vcc, 29, v108
	s_xor_b64 s[14:15], s[6:7], -1
	s_and_b64 s[16:17], s[14:15], vcc
	s_and_saveexec_b64 s[14:15], s[16:17]
	s_cbranch_execz .LBB100_499
; %bb.498:
	v_ashrrev_i32_e32 v109, 31, v108
	v_lshlrev_b64 v[116:117], 2, v[108:109]
	v_add_co_u32_e32 v116, vcc, v4, v116
	v_addc_co_u32_e32 v117, vcc, v5, v117, vcc
	flat_load_dword v109, v[116:117]
	flat_load_dword v111, v[4:5] offset:116
	s_waitcnt vmcnt(0) lgkmcnt(0)
	flat_store_dword v[4:5], v109 offset:116
	flat_store_dword v[116:117], v111
.LBB100_499:
	s_or_b64 exec, exec, s[14:15]
	v_mov_b32_e32 v109, v108
	v_mov_b32_e32 v111, v108
.LBB100_500:
	s_or_b64 exec, exec, s[2:3]
.LBB100_501:
	s_andn2_saveexec_b64 s[0:1], s[0:1]
	s_cbranch_execz .LBB100_503
; %bb.502:
	v_mov_b32_e32 v116, v42
	v_mov_b32_e32 v117, v43
	v_mov_b32_e32 v118, v40
	v_mov_b32_e32 v119, v41
	ds_write2_b64 v110, v[116:117], v[118:119] offset0:30 offset1:31
	v_mov_b32_e32 v116, v38
	v_mov_b32_e32 v117, v39
	v_mov_b32_e32 v118, v36
	v_mov_b32_e32 v119, v37
	ds_write2_b64 v110, v[116:117], v[118:119] offset0:32 offset1:33
	;; [unrolled: 5-line block ×9, first 2 shown]
	v_mov_b32_e32 v116, v6
	v_mov_b32_e32 v117, v7
	;; [unrolled: 1-line block ×5, first 2 shown]
	ds_write2_b64 v110, v[116:117], v[118:119] offset0:48 offset1:49
	ds_write_b64 v110, v[104:105] offset:400
.LBB100_503:
	s_or_b64 exec, exec, s[0:1]
	v_cmp_lt_i32_e32 vcc, 29, v111
	s_waitcnt lgkmcnt(0)
	s_barrier
	s_and_saveexec_b64 s[0:1], vcc
	s_cbranch_execz .LBB100_505
; %bb.504:
	ds_read2_b64 v[116:119], v110 offset0:30 offset1:31
	ds_read2_b64 v[120:123], v110 offset0:32 offset1:33
	v_mul_f64 v[44:45], v[106:107], v[44:45]
	ds_read2_b64 v[124:127], v110 offset0:34 offset1:35
	ds_read_b64 v[106:107], v110 offset:400
	s_waitcnt lgkmcnt(0)
	v_fma_f64 v[42:43], -v[44:45], v[116:117], v[42:43]
	v_fma_f64 v[40:41], -v[44:45], v[118:119], v[40:41]
	ds_read2_b64 v[116:119], v110 offset0:36 offset1:37
	v_fma_f64 v[38:39], -v[44:45], v[120:121], v[38:39]
	v_fma_f64 v[36:37], -v[44:45], v[122:123], v[36:37]
	;; [unrolled: 1-line block ×3, first 2 shown]
	ds_read2_b64 v[120:123], v110 offset0:38 offset1:39
	v_fma_f64 v[32:33], -v[44:45], v[126:127], v[32:33]
	ds_read2_b64 v[124:127], v110 offset0:40 offset1:41
	s_waitcnt lgkmcnt(0)
	v_fma_f64 v[30:31], -v[44:45], v[116:117], v[30:31]
	v_fma_f64 v[28:29], -v[44:45], v[118:119], v[28:29]
	ds_read2_b64 v[116:119], v110 offset0:42 offset1:43
	v_fma_f64 v[26:27], -v[44:45], v[120:121], v[26:27]
	v_fma_f64 v[24:25], -v[44:45], v[122:123], v[24:25]
	ds_read2_b64 v[120:123], v110 offset0:44 offset1:45
	v_fma_f64 v[22:23], -v[44:45], v[124:125], v[22:23]
	v_fma_f64 v[20:21], -v[44:45], v[126:127], v[20:21]
	s_waitcnt lgkmcnt(0)
	v_fma_f64 v[18:19], -v[44:45], v[116:117], v[18:19]
	v_fma_f64 v[16:17], -v[44:45], v[118:119], v[16:17]
	ds_read2_b64 v[116:119], v110 offset0:46 offset1:47
	ds_read2_b64 v[124:127], v110 offset0:48 offset1:49
	v_fma_f64 v[14:15], -v[44:45], v[120:121], v[14:15]
	v_fma_f64 v[12:13], -v[44:45], v[122:123], v[12:13]
	;; [unrolled: 1-line block ×3, first 2 shown]
	s_waitcnt lgkmcnt(0)
	v_fma_f64 v[10:11], -v[44:45], v[116:117], v[10:11]
	v_fma_f64 v[8:9], -v[44:45], v[118:119], v[8:9]
	;; [unrolled: 1-line block ×4, first 2 shown]
.LBB100_505:
	s_or_b64 exec, exec, s[0:1]
	v_lshl_add_u32 v106, v111, 3, v110
	s_barrier
	ds_write_b64 v106, v[42:43]
	s_waitcnt lgkmcnt(0)
	s_barrier
	ds_read_b64 v[106:107], v110 offset:240
	s_cmp_lt_i32 s18, 32
	v_mov_b32_e32 v108, 30
	s_cbranch_scc1 .LBB100_508
; %bb.506:
	v_add_u32_e32 v115, 0xf8, v110
	s_mov_b32 s0, 31
	v_mov_b32_e32 v108, 30
.LBB100_507:                            ; =>This Inner Loop Header: Depth=1
	ds_read_b64 v[116:117], v115
	v_mov_b32_e32 v118, s0
	s_add_i32 s0, s0, 1
	v_add_u32_e32 v115, 8, v115
	s_cmp_lg_u32 s18, s0
	s_waitcnt lgkmcnt(0)
	v_cmp_lt_f64_e64 vcc, |v[106:107]|, |v[116:117]|
	v_cndmask_b32_e32 v107, v107, v117, vcc
	v_cndmask_b32_e32 v106, v106, v116, vcc
	;; [unrolled: 1-line block ×3, first 2 shown]
	s_cbranch_scc1 .LBB100_507
.LBB100_508:
	s_waitcnt lgkmcnt(0)
	v_cmp_eq_f64_e32 vcc, 0, v[106:107]
	s_and_saveexec_b64 s[0:1], vcc
	s_xor_b64 s[0:1], exec, s[0:1]
; %bb.509:
	v_cmp_ne_u32_e32 vcc, 0, v114
	v_cndmask_b32_e32 v114, 31, v114, vcc
; %bb.510:
	s_andn2_saveexec_b64 s[0:1], s[0:1]
; %bb.511:
	v_div_scale_f64 v[116:117], s[2:3], v[106:107], v[106:107], 1.0
	v_rcp_f64_e32 v[118:119], v[116:117]
	v_div_scale_f64 v[120:121], vcc, 1.0, v[106:107], 1.0
	v_fma_f64 v[122:123], -v[116:117], v[118:119], 1.0
	v_fmac_f64_e32 v[118:119], v[118:119], v[122:123]
	v_fma_f64 v[122:123], -v[116:117], v[118:119], 1.0
	v_fmac_f64_e32 v[118:119], v[118:119], v[122:123]
	v_mul_f64 v[122:123], v[120:121], v[118:119]
	v_fma_f64 v[116:117], -v[116:117], v[122:123], v[120:121]
	v_div_fmas_f64 v[116:117], v[116:117], v[118:119], v[122:123]
	v_div_fixup_f64 v[106:107], v[116:117], v[106:107], 1.0
; %bb.512:
	s_or_b64 exec, exec, s[0:1]
	v_cmp_ne_u32_e32 vcc, v111, v108
	s_and_saveexec_b64 s[0:1], vcc
	s_xor_b64 s[0:1], exec, s[0:1]
	s_cbranch_execz .LBB100_518
; %bb.513:
	v_cmp_eq_u32_e32 vcc, 30, v111
	s_and_saveexec_b64 s[2:3], vcc
	s_cbranch_execz .LBB100_517
; %bb.514:
	v_cmp_ne_u32_e32 vcc, 30, v108
	s_xor_b64 s[14:15], s[6:7], -1
	s_and_b64 s[16:17], s[14:15], vcc
	s_and_saveexec_b64 s[14:15], s[16:17]
	s_cbranch_execz .LBB100_516
; %bb.515:
	v_ashrrev_i32_e32 v109, 31, v108
	v_lshlrev_b64 v[116:117], 2, v[108:109]
	v_add_co_u32_e32 v116, vcc, v4, v116
	v_addc_co_u32_e32 v117, vcc, v5, v117, vcc
	flat_load_dword v109, v[116:117]
	flat_load_dword v111, v[4:5] offset:120
	s_waitcnt vmcnt(0) lgkmcnt(0)
	flat_store_dword v[4:5], v109 offset:120
	flat_store_dword v[116:117], v111
.LBB100_516:
	s_or_b64 exec, exec, s[14:15]
	v_mov_b32_e32 v109, v108
	v_mov_b32_e32 v111, v108
.LBB100_517:
	s_or_b64 exec, exec, s[2:3]
.LBB100_518:
	s_andn2_saveexec_b64 s[0:1], s[0:1]
	s_cbranch_execz .LBB100_520
; %bb.519:
	v_mov_b32_e32 v111, 30
	ds_write2_b64 v110, v[40:41], v[38:39] offset0:31 offset1:32
	ds_write2_b64 v110, v[36:37], v[34:35] offset0:33 offset1:34
	;; [unrolled: 1-line block ×10, first 2 shown]
.LBB100_520:
	s_or_b64 exec, exec, s[0:1]
	v_cmp_lt_i32_e32 vcc, 30, v111
	s_waitcnt lgkmcnt(0)
	s_barrier
	s_and_saveexec_b64 s[0:1], vcc
	s_cbranch_execz .LBB100_522
; %bb.521:
	ds_read2_b64 v[116:119], v110 offset0:31 offset1:32
	ds_read2_b64 v[120:123], v110 offset0:33 offset1:34
	v_mul_f64 v[42:43], v[106:107], v[42:43]
	ds_read2_b64 v[124:127], v110 offset0:35 offset1:36
	s_waitcnt lgkmcnt(0)
	v_fma_f64 v[40:41], -v[42:43], v[116:117], v[40:41]
	v_fma_f64 v[38:39], -v[42:43], v[118:119], v[38:39]
	ds_read2_b64 v[116:119], v110 offset0:37 offset1:38
	v_fma_f64 v[36:37], -v[42:43], v[120:121], v[36:37]
	v_fma_f64 v[34:35], -v[42:43], v[122:123], v[34:35]
	;; [unrolled: 1-line block ×3, first 2 shown]
	ds_read2_b64 v[120:123], v110 offset0:39 offset1:40
	v_fma_f64 v[30:31], -v[42:43], v[126:127], v[30:31]
	ds_read2_b64 v[124:127], v110 offset0:41 offset1:42
	s_waitcnt lgkmcnt(0)
	v_fma_f64 v[28:29], -v[42:43], v[116:117], v[28:29]
	v_fma_f64 v[26:27], -v[42:43], v[118:119], v[26:27]
	ds_read2_b64 v[116:119], v110 offset0:43 offset1:44
	v_fma_f64 v[24:25], -v[42:43], v[120:121], v[24:25]
	v_fma_f64 v[22:23], -v[42:43], v[122:123], v[22:23]
	ds_read2_b64 v[120:123], v110 offset0:45 offset1:46
	v_fma_f64 v[20:21], -v[42:43], v[124:125], v[20:21]
	v_fma_f64 v[18:19], -v[42:43], v[126:127], v[18:19]
	s_waitcnt lgkmcnt(0)
	v_fma_f64 v[16:17], -v[42:43], v[116:117], v[16:17]
	ds_read2_b64 v[124:127], v110 offset0:47 offset1:48
	v_fma_f64 v[14:15], -v[42:43], v[118:119], v[14:15]
	ds_read2_b64 v[116:119], v110 offset0:49 offset1:50
	v_fma_f64 v[12:13], -v[42:43], v[120:121], v[12:13]
	v_fma_f64 v[10:11], -v[42:43], v[122:123], v[10:11]
	s_waitcnt lgkmcnt(0)
	v_fma_f64 v[8:9], -v[42:43], v[124:125], v[8:9]
	v_fma_f64 v[6:7], -v[42:43], v[126:127], v[6:7]
	;; [unrolled: 1-line block ×4, first 2 shown]
.LBB100_522:
	s_or_b64 exec, exec, s[0:1]
	v_lshl_add_u32 v106, v111, 3, v110
	s_barrier
	ds_write_b64 v106, v[40:41]
	s_waitcnt lgkmcnt(0)
	s_barrier
	ds_read_b64 v[106:107], v110 offset:248
	s_cmp_lt_i32 s18, 33
	v_mov_b32_e32 v108, 31
	s_cbranch_scc1 .LBB100_525
; %bb.523:
	v_add_u32_e32 v115, 0x100, v110
	s_mov_b32 s0, 32
	v_mov_b32_e32 v108, 31
.LBB100_524:                            ; =>This Inner Loop Header: Depth=1
	ds_read_b64 v[116:117], v115
	v_mov_b32_e32 v118, s0
	s_add_i32 s0, s0, 1
	v_add_u32_e32 v115, 8, v115
	s_cmp_lg_u32 s18, s0
	s_waitcnt lgkmcnt(0)
	v_cmp_lt_f64_e64 vcc, |v[106:107]|, |v[116:117]|
	v_cndmask_b32_e32 v107, v107, v117, vcc
	v_cndmask_b32_e32 v106, v106, v116, vcc
	;; [unrolled: 1-line block ×3, first 2 shown]
	s_cbranch_scc1 .LBB100_524
.LBB100_525:
	s_waitcnt lgkmcnt(0)
	v_cmp_eq_f64_e32 vcc, 0, v[106:107]
	s_and_saveexec_b64 s[0:1], vcc
	s_xor_b64 s[0:1], exec, s[0:1]
; %bb.526:
	v_cmp_ne_u32_e32 vcc, 0, v114
	v_cndmask_b32_e32 v114, 32, v114, vcc
; %bb.527:
	s_andn2_saveexec_b64 s[0:1], s[0:1]
; %bb.528:
	v_div_scale_f64 v[116:117], s[2:3], v[106:107], v[106:107], 1.0
	v_rcp_f64_e32 v[118:119], v[116:117]
	v_div_scale_f64 v[120:121], vcc, 1.0, v[106:107], 1.0
	v_fma_f64 v[122:123], -v[116:117], v[118:119], 1.0
	v_fmac_f64_e32 v[118:119], v[118:119], v[122:123]
	v_fma_f64 v[122:123], -v[116:117], v[118:119], 1.0
	v_fmac_f64_e32 v[118:119], v[118:119], v[122:123]
	v_mul_f64 v[122:123], v[120:121], v[118:119]
	v_fma_f64 v[116:117], -v[116:117], v[122:123], v[120:121]
	v_div_fmas_f64 v[116:117], v[116:117], v[118:119], v[122:123]
	v_div_fixup_f64 v[106:107], v[116:117], v[106:107], 1.0
; %bb.529:
	s_or_b64 exec, exec, s[0:1]
	v_cmp_ne_u32_e32 vcc, v111, v108
	s_and_saveexec_b64 s[0:1], vcc
	s_xor_b64 s[0:1], exec, s[0:1]
	s_cbranch_execz .LBB100_535
; %bb.530:
	v_cmp_eq_u32_e32 vcc, 31, v111
	s_and_saveexec_b64 s[2:3], vcc
	s_cbranch_execz .LBB100_534
; %bb.531:
	v_cmp_ne_u32_e32 vcc, 31, v108
	s_xor_b64 s[14:15], s[6:7], -1
	s_and_b64 s[16:17], s[14:15], vcc
	s_and_saveexec_b64 s[14:15], s[16:17]
	s_cbranch_execz .LBB100_533
; %bb.532:
	v_ashrrev_i32_e32 v109, 31, v108
	v_lshlrev_b64 v[116:117], 2, v[108:109]
	v_add_co_u32_e32 v116, vcc, v4, v116
	v_addc_co_u32_e32 v117, vcc, v5, v117, vcc
	flat_load_dword v109, v[116:117]
	flat_load_dword v111, v[4:5] offset:124
	s_waitcnt vmcnt(0) lgkmcnt(0)
	flat_store_dword v[4:5], v109 offset:124
	flat_store_dword v[116:117], v111
.LBB100_533:
	s_or_b64 exec, exec, s[14:15]
	v_mov_b32_e32 v109, v108
	v_mov_b32_e32 v111, v108
.LBB100_534:
	s_or_b64 exec, exec, s[2:3]
.LBB100_535:
	s_andn2_saveexec_b64 s[0:1], s[0:1]
	s_cbranch_execz .LBB100_537
; %bb.536:
	v_mov_b32_e32 v116, v38
	v_mov_b32_e32 v117, v39
	v_mov_b32_e32 v118, v36
	v_mov_b32_e32 v119, v37
	ds_write2_b64 v110, v[116:117], v[118:119] offset0:32 offset1:33
	v_mov_b32_e32 v116, v34
	v_mov_b32_e32 v117, v35
	v_mov_b32_e32 v118, v32
	v_mov_b32_e32 v119, v33
	ds_write2_b64 v110, v[116:117], v[118:119] offset0:34 offset1:35
	;; [unrolled: 5-line block ×8, first 2 shown]
	v_mov_b32_e32 v116, v6
	v_mov_b32_e32 v117, v7
	;; [unrolled: 1-line block ×5, first 2 shown]
	ds_write2_b64 v110, v[116:117], v[118:119] offset0:48 offset1:49
	ds_write_b64 v110, v[104:105] offset:400
.LBB100_537:
	s_or_b64 exec, exec, s[0:1]
	v_cmp_lt_i32_e32 vcc, 31, v111
	s_waitcnt lgkmcnt(0)
	s_barrier
	s_and_saveexec_b64 s[0:1], vcc
	s_cbranch_execz .LBB100_539
; %bb.538:
	ds_read2_b64 v[116:119], v110 offset0:32 offset1:33
	ds_read2_b64 v[120:123], v110 offset0:34 offset1:35
	;; [unrolled: 1-line block ×3, first 2 shown]
	v_mul_f64 v[40:41], v[106:107], v[40:41]
	ds_read_b64 v[106:107], v110 offset:400
	s_waitcnt lgkmcnt(0)
	v_fma_f64 v[38:39], -v[40:41], v[116:117], v[38:39]
	v_fma_f64 v[36:37], -v[40:41], v[118:119], v[36:37]
	ds_read2_b64 v[116:119], v110 offset0:38 offset1:39
	v_fma_f64 v[34:35], -v[40:41], v[120:121], v[34:35]
	v_fma_f64 v[32:33], -v[40:41], v[122:123], v[32:33]
	;; [unrolled: 1-line block ×3, first 2 shown]
	ds_read2_b64 v[120:123], v110 offset0:40 offset1:41
	v_fma_f64 v[28:29], -v[40:41], v[126:127], v[28:29]
	ds_read2_b64 v[124:127], v110 offset0:42 offset1:43
	s_waitcnt lgkmcnt(0)
	v_fma_f64 v[26:27], -v[40:41], v[116:117], v[26:27]
	v_fma_f64 v[24:25], -v[40:41], v[118:119], v[24:25]
	;; [unrolled: 1-line block ×3, first 2 shown]
	ds_read2_b64 v[116:119], v110 offset0:44 offset1:45
	v_fma_f64 v[20:21], -v[40:41], v[122:123], v[20:21]
	ds_read2_b64 v[120:123], v110 offset0:46 offset1:47
	v_fma_f64 v[18:19], -v[40:41], v[124:125], v[18:19]
	v_fma_f64 v[16:17], -v[40:41], v[126:127], v[16:17]
	ds_read2_b64 v[124:127], v110 offset0:48 offset1:49
	s_waitcnt lgkmcnt(0)
	v_fma_f64 v[14:15], -v[40:41], v[116:117], v[14:15]
	v_fma_f64 v[12:13], -v[40:41], v[118:119], v[12:13]
	;; [unrolled: 1-line block ×7, first 2 shown]
.LBB100_539:
	s_or_b64 exec, exec, s[0:1]
	v_lshl_add_u32 v106, v111, 3, v110
	s_barrier
	ds_write_b64 v106, v[38:39]
	s_waitcnt lgkmcnt(0)
	s_barrier
	ds_read_b64 v[106:107], v110 offset:256
	s_cmp_lt_i32 s18, 34
	v_mov_b32_e32 v108, 32
	s_cbranch_scc1 .LBB100_542
; %bb.540:
	v_add_u32_e32 v115, 0x108, v110
	s_mov_b32 s0, 33
	v_mov_b32_e32 v108, 32
.LBB100_541:                            ; =>This Inner Loop Header: Depth=1
	ds_read_b64 v[116:117], v115
	v_mov_b32_e32 v118, s0
	s_add_i32 s0, s0, 1
	v_add_u32_e32 v115, 8, v115
	s_cmp_lg_u32 s18, s0
	s_waitcnt lgkmcnt(0)
	v_cmp_lt_f64_e64 vcc, |v[106:107]|, |v[116:117]|
	v_cndmask_b32_e32 v107, v107, v117, vcc
	v_cndmask_b32_e32 v106, v106, v116, vcc
	;; [unrolled: 1-line block ×3, first 2 shown]
	s_cbranch_scc1 .LBB100_541
.LBB100_542:
	s_waitcnt lgkmcnt(0)
	v_cmp_eq_f64_e32 vcc, 0, v[106:107]
	s_and_saveexec_b64 s[0:1], vcc
	s_xor_b64 s[0:1], exec, s[0:1]
; %bb.543:
	v_cmp_ne_u32_e32 vcc, 0, v114
	v_cndmask_b32_e32 v114, 33, v114, vcc
; %bb.544:
	s_andn2_saveexec_b64 s[0:1], s[0:1]
; %bb.545:
	v_div_scale_f64 v[116:117], s[2:3], v[106:107], v[106:107], 1.0
	v_rcp_f64_e32 v[118:119], v[116:117]
	v_div_scale_f64 v[120:121], vcc, 1.0, v[106:107], 1.0
	v_fma_f64 v[122:123], -v[116:117], v[118:119], 1.0
	v_fmac_f64_e32 v[118:119], v[118:119], v[122:123]
	v_fma_f64 v[122:123], -v[116:117], v[118:119], 1.0
	v_fmac_f64_e32 v[118:119], v[118:119], v[122:123]
	v_mul_f64 v[122:123], v[120:121], v[118:119]
	v_fma_f64 v[116:117], -v[116:117], v[122:123], v[120:121]
	v_div_fmas_f64 v[116:117], v[116:117], v[118:119], v[122:123]
	v_div_fixup_f64 v[106:107], v[116:117], v[106:107], 1.0
; %bb.546:
	s_or_b64 exec, exec, s[0:1]
	v_cmp_ne_u32_e32 vcc, v111, v108
	s_and_saveexec_b64 s[0:1], vcc
	s_xor_b64 s[0:1], exec, s[0:1]
	s_cbranch_execz .LBB100_552
; %bb.547:
	v_cmp_eq_u32_e32 vcc, 32, v111
	s_and_saveexec_b64 s[2:3], vcc
	s_cbranch_execz .LBB100_551
; %bb.548:
	v_cmp_ne_u32_e32 vcc, 32, v108
	s_xor_b64 s[14:15], s[6:7], -1
	s_and_b64 s[16:17], s[14:15], vcc
	s_and_saveexec_b64 s[14:15], s[16:17]
	s_cbranch_execz .LBB100_550
; %bb.549:
	v_ashrrev_i32_e32 v109, 31, v108
	v_lshlrev_b64 v[116:117], 2, v[108:109]
	v_add_co_u32_e32 v116, vcc, v4, v116
	v_addc_co_u32_e32 v117, vcc, v5, v117, vcc
	flat_load_dword v109, v[116:117]
	flat_load_dword v111, v[4:5] offset:128
	s_waitcnt vmcnt(0) lgkmcnt(0)
	flat_store_dword v[4:5], v109 offset:128
	flat_store_dword v[116:117], v111
.LBB100_550:
	s_or_b64 exec, exec, s[14:15]
	v_mov_b32_e32 v109, v108
	v_mov_b32_e32 v111, v108
.LBB100_551:
	s_or_b64 exec, exec, s[2:3]
.LBB100_552:
	s_andn2_saveexec_b64 s[0:1], s[0:1]
	s_cbranch_execz .LBB100_554
; %bb.553:
	v_mov_b32_e32 v111, 32
	ds_write2_b64 v110, v[36:37], v[34:35] offset0:33 offset1:34
	ds_write2_b64 v110, v[32:33], v[30:31] offset0:35 offset1:36
	;; [unrolled: 1-line block ×9, first 2 shown]
.LBB100_554:
	s_or_b64 exec, exec, s[0:1]
	v_cmp_lt_i32_e32 vcc, 32, v111
	s_waitcnt lgkmcnt(0)
	s_barrier
	s_and_saveexec_b64 s[0:1], vcc
	s_cbranch_execz .LBB100_556
; %bb.555:
	ds_read2_b64 v[116:119], v110 offset0:33 offset1:34
	ds_read2_b64 v[120:123], v110 offset0:35 offset1:36
	;; [unrolled: 1-line block ×3, first 2 shown]
	v_mul_f64 v[38:39], v[106:107], v[38:39]
	s_waitcnt lgkmcnt(0)
	v_fma_f64 v[36:37], -v[38:39], v[116:117], v[36:37]
	v_fma_f64 v[34:35], -v[38:39], v[118:119], v[34:35]
	ds_read2_b64 v[116:119], v110 offset0:39 offset1:40
	v_fma_f64 v[32:33], -v[38:39], v[120:121], v[32:33]
	v_fma_f64 v[30:31], -v[38:39], v[122:123], v[30:31]
	;; [unrolled: 1-line block ×3, first 2 shown]
	ds_read2_b64 v[120:123], v110 offset0:41 offset1:42
	v_fma_f64 v[26:27], -v[38:39], v[126:127], v[26:27]
	ds_read2_b64 v[124:127], v110 offset0:43 offset1:44
	s_waitcnt lgkmcnt(0)
	v_fma_f64 v[24:25], -v[38:39], v[116:117], v[24:25]
	v_fma_f64 v[22:23], -v[38:39], v[118:119], v[22:23]
	v_fma_f64 v[20:21], -v[38:39], v[120:121], v[20:21]
	v_fma_f64 v[18:19], -v[38:39], v[122:123], v[18:19]
	ds_read2_b64 v[116:119], v110 offset0:45 offset1:46
	ds_read2_b64 v[120:123], v110 offset0:47 offset1:48
	v_fma_f64 v[16:17], -v[38:39], v[124:125], v[16:17]
	v_fma_f64 v[14:15], -v[38:39], v[126:127], v[14:15]
	ds_read2_b64 v[124:127], v110 offset0:49 offset1:50
	s_waitcnt lgkmcnt(0)
	v_fma_f64 v[12:13], -v[38:39], v[116:117], v[12:13]
	v_fma_f64 v[10:11], -v[38:39], v[118:119], v[10:11]
	;; [unrolled: 1-line block ×6, first 2 shown]
.LBB100_556:
	s_or_b64 exec, exec, s[0:1]
	v_lshl_add_u32 v106, v111, 3, v110
	s_barrier
	ds_write_b64 v106, v[36:37]
	s_waitcnt lgkmcnt(0)
	s_barrier
	ds_read_b64 v[106:107], v110 offset:264
	s_cmp_lt_i32 s18, 35
	v_mov_b32_e32 v108, 33
	s_cbranch_scc1 .LBB100_559
; %bb.557:
	v_add_u32_e32 v115, 0x110, v110
	s_mov_b32 s0, 34
	v_mov_b32_e32 v108, 33
.LBB100_558:                            ; =>This Inner Loop Header: Depth=1
	ds_read_b64 v[116:117], v115
	v_mov_b32_e32 v118, s0
	s_add_i32 s0, s0, 1
	v_add_u32_e32 v115, 8, v115
	s_cmp_lg_u32 s18, s0
	s_waitcnt lgkmcnt(0)
	v_cmp_lt_f64_e64 vcc, |v[106:107]|, |v[116:117]|
	v_cndmask_b32_e32 v107, v107, v117, vcc
	v_cndmask_b32_e32 v106, v106, v116, vcc
	;; [unrolled: 1-line block ×3, first 2 shown]
	s_cbranch_scc1 .LBB100_558
.LBB100_559:
	s_waitcnt lgkmcnt(0)
	v_cmp_eq_f64_e32 vcc, 0, v[106:107]
	s_and_saveexec_b64 s[0:1], vcc
	s_xor_b64 s[0:1], exec, s[0:1]
; %bb.560:
	v_cmp_ne_u32_e32 vcc, 0, v114
	v_cndmask_b32_e32 v114, 34, v114, vcc
; %bb.561:
	s_andn2_saveexec_b64 s[0:1], s[0:1]
; %bb.562:
	v_div_scale_f64 v[116:117], s[2:3], v[106:107], v[106:107], 1.0
	v_rcp_f64_e32 v[118:119], v[116:117]
	v_div_scale_f64 v[120:121], vcc, 1.0, v[106:107], 1.0
	v_fma_f64 v[122:123], -v[116:117], v[118:119], 1.0
	v_fmac_f64_e32 v[118:119], v[118:119], v[122:123]
	v_fma_f64 v[122:123], -v[116:117], v[118:119], 1.0
	v_fmac_f64_e32 v[118:119], v[118:119], v[122:123]
	v_mul_f64 v[122:123], v[120:121], v[118:119]
	v_fma_f64 v[116:117], -v[116:117], v[122:123], v[120:121]
	v_div_fmas_f64 v[116:117], v[116:117], v[118:119], v[122:123]
	v_div_fixup_f64 v[106:107], v[116:117], v[106:107], 1.0
; %bb.563:
	s_or_b64 exec, exec, s[0:1]
	v_cmp_ne_u32_e32 vcc, v111, v108
	s_and_saveexec_b64 s[0:1], vcc
	s_xor_b64 s[0:1], exec, s[0:1]
	s_cbranch_execz .LBB100_569
; %bb.564:
	v_cmp_eq_u32_e32 vcc, 33, v111
	s_and_saveexec_b64 s[2:3], vcc
	s_cbranch_execz .LBB100_568
; %bb.565:
	v_cmp_ne_u32_e32 vcc, 33, v108
	s_xor_b64 s[14:15], s[6:7], -1
	s_and_b64 s[16:17], s[14:15], vcc
	s_and_saveexec_b64 s[14:15], s[16:17]
	s_cbranch_execz .LBB100_567
; %bb.566:
	v_ashrrev_i32_e32 v109, 31, v108
	v_lshlrev_b64 v[116:117], 2, v[108:109]
	v_add_co_u32_e32 v116, vcc, v4, v116
	v_addc_co_u32_e32 v117, vcc, v5, v117, vcc
	flat_load_dword v109, v[116:117]
	flat_load_dword v111, v[4:5] offset:132
	s_waitcnt vmcnt(0) lgkmcnt(0)
	flat_store_dword v[4:5], v109 offset:132
	flat_store_dword v[116:117], v111
.LBB100_567:
	s_or_b64 exec, exec, s[14:15]
	v_mov_b32_e32 v109, v108
	v_mov_b32_e32 v111, v108
.LBB100_568:
	s_or_b64 exec, exec, s[2:3]
.LBB100_569:
	s_andn2_saveexec_b64 s[0:1], s[0:1]
	s_cbranch_execz .LBB100_571
; %bb.570:
	v_mov_b32_e32 v116, v34
	v_mov_b32_e32 v117, v35
	v_mov_b32_e32 v118, v32
	v_mov_b32_e32 v119, v33
	ds_write2_b64 v110, v[116:117], v[118:119] offset0:34 offset1:35
	v_mov_b32_e32 v116, v30
	v_mov_b32_e32 v117, v31
	v_mov_b32_e32 v118, v28
	v_mov_b32_e32 v119, v29
	ds_write2_b64 v110, v[116:117], v[118:119] offset0:36 offset1:37
	v_mov_b32_e32 v116, v26
	v_mov_b32_e32 v117, v27
	v_mov_b32_e32 v118, v24
	v_mov_b32_e32 v119, v25
	ds_write2_b64 v110, v[116:117], v[118:119] offset0:38 offset1:39
	v_mov_b32_e32 v116, v22
	v_mov_b32_e32 v117, v23
	v_mov_b32_e32 v118, v20
	v_mov_b32_e32 v119, v21
	ds_write2_b64 v110, v[116:117], v[118:119] offset0:40 offset1:41
	v_mov_b32_e32 v116, v18
	v_mov_b32_e32 v117, v19
	v_mov_b32_e32 v118, v16
	v_mov_b32_e32 v119, v17
	ds_write2_b64 v110, v[116:117], v[118:119] offset0:42 offset1:43
	v_mov_b32_e32 v116, v14
	v_mov_b32_e32 v117, v15
	v_mov_b32_e32 v118, v12
	v_mov_b32_e32 v119, v13
	ds_write2_b64 v110, v[116:117], v[118:119] offset0:44 offset1:45
	v_mov_b32_e32 v116, v10
	v_mov_b32_e32 v117, v11
	v_mov_b32_e32 v118, v8
	v_mov_b32_e32 v119, v9
	ds_write2_b64 v110, v[116:117], v[118:119] offset0:46 offset1:47
	v_mov_b32_e32 v116, v6
	v_mov_b32_e32 v117, v7
	;; [unrolled: 1-line block ×5, first 2 shown]
	ds_write2_b64 v110, v[116:117], v[118:119] offset0:48 offset1:49
	ds_write_b64 v110, v[104:105] offset:400
.LBB100_571:
	s_or_b64 exec, exec, s[0:1]
	v_cmp_lt_i32_e32 vcc, 33, v111
	s_waitcnt lgkmcnt(0)
	s_barrier
	s_and_saveexec_b64 s[0:1], vcc
	s_cbranch_execz .LBB100_573
; %bb.572:
	ds_read2_b64 v[116:119], v110 offset0:34 offset1:35
	ds_read2_b64 v[120:123], v110 offset0:36 offset1:37
	v_mul_f64 v[36:37], v[106:107], v[36:37]
	ds_read2_b64 v[124:127], v110 offset0:38 offset1:39
	ds_read_b64 v[106:107], v110 offset:400
	s_waitcnt lgkmcnt(0)
	v_fma_f64 v[34:35], -v[36:37], v[116:117], v[34:35]
	v_fma_f64 v[32:33], -v[36:37], v[118:119], v[32:33]
	ds_read2_b64 v[116:119], v110 offset0:40 offset1:41
	v_fma_f64 v[30:31], -v[36:37], v[120:121], v[30:31]
	v_fma_f64 v[28:29], -v[36:37], v[122:123], v[28:29]
	ds_read2_b64 v[120:123], v110 offset0:42 offset1:43
	;; [unrolled: 3-line block ×3, first 2 shown]
	s_waitcnt lgkmcnt(0)
	v_fma_f64 v[22:23], -v[36:37], v[116:117], v[22:23]
	v_fma_f64 v[20:21], -v[36:37], v[118:119], v[20:21]
	;; [unrolled: 1-line block ×4, first 2 shown]
	ds_read2_b64 v[116:119], v110 offset0:46 offset1:47
	ds_read2_b64 v[120:123], v110 offset0:48 offset1:49
	v_fma_f64 v[14:15], -v[36:37], v[124:125], v[14:15]
	v_fma_f64 v[12:13], -v[36:37], v[126:127], v[12:13]
	v_fma_f64 v[104:105], -v[36:37], v[106:107], v[104:105]
	s_waitcnt lgkmcnt(0)
	v_fma_f64 v[10:11], -v[36:37], v[116:117], v[10:11]
	v_fma_f64 v[8:9], -v[36:37], v[118:119], v[8:9]
	;; [unrolled: 1-line block ×4, first 2 shown]
.LBB100_573:
	s_or_b64 exec, exec, s[0:1]
	v_lshl_add_u32 v106, v111, 3, v110
	s_barrier
	ds_write_b64 v106, v[34:35]
	s_waitcnt lgkmcnt(0)
	s_barrier
	ds_read_b64 v[106:107], v110 offset:272
	s_cmp_lt_i32 s18, 36
	v_mov_b32_e32 v108, 34
	s_cbranch_scc1 .LBB100_576
; %bb.574:
	v_add_u32_e32 v115, 0x118, v110
	s_mov_b32 s0, 35
	v_mov_b32_e32 v108, 34
.LBB100_575:                            ; =>This Inner Loop Header: Depth=1
	ds_read_b64 v[116:117], v115
	v_mov_b32_e32 v118, s0
	s_add_i32 s0, s0, 1
	v_add_u32_e32 v115, 8, v115
	s_cmp_lg_u32 s18, s0
	s_waitcnt lgkmcnt(0)
	v_cmp_lt_f64_e64 vcc, |v[106:107]|, |v[116:117]|
	v_cndmask_b32_e32 v107, v107, v117, vcc
	v_cndmask_b32_e32 v106, v106, v116, vcc
	;; [unrolled: 1-line block ×3, first 2 shown]
	s_cbranch_scc1 .LBB100_575
.LBB100_576:
	s_waitcnt lgkmcnt(0)
	v_cmp_eq_f64_e32 vcc, 0, v[106:107]
	s_and_saveexec_b64 s[0:1], vcc
	s_xor_b64 s[0:1], exec, s[0:1]
; %bb.577:
	v_cmp_ne_u32_e32 vcc, 0, v114
	v_cndmask_b32_e32 v114, 35, v114, vcc
; %bb.578:
	s_andn2_saveexec_b64 s[0:1], s[0:1]
; %bb.579:
	v_div_scale_f64 v[116:117], s[2:3], v[106:107], v[106:107], 1.0
	v_rcp_f64_e32 v[118:119], v[116:117]
	v_div_scale_f64 v[120:121], vcc, 1.0, v[106:107], 1.0
	v_fma_f64 v[122:123], -v[116:117], v[118:119], 1.0
	v_fmac_f64_e32 v[118:119], v[118:119], v[122:123]
	v_fma_f64 v[122:123], -v[116:117], v[118:119], 1.0
	v_fmac_f64_e32 v[118:119], v[118:119], v[122:123]
	v_mul_f64 v[122:123], v[120:121], v[118:119]
	v_fma_f64 v[116:117], -v[116:117], v[122:123], v[120:121]
	v_div_fmas_f64 v[116:117], v[116:117], v[118:119], v[122:123]
	v_div_fixup_f64 v[106:107], v[116:117], v[106:107], 1.0
; %bb.580:
	s_or_b64 exec, exec, s[0:1]
	v_cmp_ne_u32_e32 vcc, v111, v108
	s_and_saveexec_b64 s[0:1], vcc
	s_xor_b64 s[0:1], exec, s[0:1]
	s_cbranch_execz .LBB100_586
; %bb.581:
	v_cmp_eq_u32_e32 vcc, 34, v111
	s_and_saveexec_b64 s[2:3], vcc
	s_cbranch_execz .LBB100_585
; %bb.582:
	v_cmp_ne_u32_e32 vcc, 34, v108
	s_xor_b64 s[14:15], s[6:7], -1
	s_and_b64 s[16:17], s[14:15], vcc
	s_and_saveexec_b64 s[14:15], s[16:17]
	s_cbranch_execz .LBB100_584
; %bb.583:
	v_ashrrev_i32_e32 v109, 31, v108
	v_lshlrev_b64 v[116:117], 2, v[108:109]
	v_add_co_u32_e32 v116, vcc, v4, v116
	v_addc_co_u32_e32 v117, vcc, v5, v117, vcc
	flat_load_dword v109, v[116:117]
	flat_load_dword v111, v[4:5] offset:136
	s_waitcnt vmcnt(0) lgkmcnt(0)
	flat_store_dword v[4:5], v109 offset:136
	flat_store_dword v[116:117], v111
.LBB100_584:
	s_or_b64 exec, exec, s[14:15]
	v_mov_b32_e32 v109, v108
	v_mov_b32_e32 v111, v108
.LBB100_585:
	s_or_b64 exec, exec, s[2:3]
.LBB100_586:
	s_andn2_saveexec_b64 s[0:1], s[0:1]
	s_cbranch_execz .LBB100_588
; %bb.587:
	v_mov_b32_e32 v111, 34
	ds_write2_b64 v110, v[32:33], v[30:31] offset0:35 offset1:36
	ds_write2_b64 v110, v[28:29], v[26:27] offset0:37 offset1:38
	;; [unrolled: 1-line block ×8, first 2 shown]
.LBB100_588:
	s_or_b64 exec, exec, s[0:1]
	v_cmp_lt_i32_e32 vcc, 34, v111
	s_waitcnt lgkmcnt(0)
	s_barrier
	s_and_saveexec_b64 s[0:1], vcc
	s_cbranch_execz .LBB100_590
; %bb.589:
	ds_read2_b64 v[116:119], v110 offset0:35 offset1:36
	ds_read2_b64 v[120:123], v110 offset0:37 offset1:38
	v_mul_f64 v[34:35], v[106:107], v[34:35]
	ds_read2_b64 v[124:127], v110 offset0:39 offset1:40
	s_waitcnt lgkmcnt(0)
	v_fma_f64 v[32:33], -v[34:35], v[116:117], v[32:33]
	v_fma_f64 v[30:31], -v[34:35], v[118:119], v[30:31]
	ds_read2_b64 v[116:119], v110 offset0:41 offset1:42
	v_fma_f64 v[28:29], -v[34:35], v[120:121], v[28:29]
	v_fma_f64 v[26:27], -v[34:35], v[122:123], v[26:27]
	ds_read2_b64 v[120:123], v110 offset0:43 offset1:44
	v_fma_f64 v[24:25], -v[34:35], v[124:125], v[24:25]
	v_fma_f64 v[22:23], -v[34:35], v[126:127], v[22:23]
	s_waitcnt lgkmcnt(0)
	v_fma_f64 v[20:21], -v[34:35], v[116:117], v[20:21]
	v_fma_f64 v[18:19], -v[34:35], v[118:119], v[18:19]
	ds_read2_b64 v[116:119], v110 offset0:45 offset1:46
	v_fma_f64 v[16:17], -v[34:35], v[120:121], v[16:17]
	ds_read2_b64 v[124:127], v110 offset0:47 offset1:48
	;; [unrolled: 2-line block ×3, first 2 shown]
	s_waitcnt lgkmcnt(0)
	v_fma_f64 v[12:13], -v[34:35], v[116:117], v[12:13]
	v_fma_f64 v[10:11], -v[34:35], v[118:119], v[10:11]
	;; [unrolled: 1-line block ×6, first 2 shown]
.LBB100_590:
	s_or_b64 exec, exec, s[0:1]
	v_lshl_add_u32 v106, v111, 3, v110
	s_barrier
	ds_write_b64 v106, v[32:33]
	s_waitcnt lgkmcnt(0)
	s_barrier
	ds_read_b64 v[106:107], v110 offset:280
	s_cmp_lt_i32 s18, 37
	v_mov_b32_e32 v108, 35
	s_cbranch_scc1 .LBB100_593
; %bb.591:
	v_add_u32_e32 v115, 0x120, v110
	s_mov_b32 s0, 36
	v_mov_b32_e32 v108, 35
.LBB100_592:                            ; =>This Inner Loop Header: Depth=1
	ds_read_b64 v[116:117], v115
	v_mov_b32_e32 v118, s0
	s_add_i32 s0, s0, 1
	v_add_u32_e32 v115, 8, v115
	s_cmp_lg_u32 s18, s0
	s_waitcnt lgkmcnt(0)
	v_cmp_lt_f64_e64 vcc, |v[106:107]|, |v[116:117]|
	v_cndmask_b32_e32 v107, v107, v117, vcc
	v_cndmask_b32_e32 v106, v106, v116, vcc
	;; [unrolled: 1-line block ×3, first 2 shown]
	s_cbranch_scc1 .LBB100_592
.LBB100_593:
	s_waitcnt lgkmcnt(0)
	v_cmp_eq_f64_e32 vcc, 0, v[106:107]
	s_and_saveexec_b64 s[0:1], vcc
	s_xor_b64 s[0:1], exec, s[0:1]
; %bb.594:
	v_cmp_ne_u32_e32 vcc, 0, v114
	v_cndmask_b32_e32 v114, 36, v114, vcc
; %bb.595:
	s_andn2_saveexec_b64 s[0:1], s[0:1]
; %bb.596:
	v_div_scale_f64 v[116:117], s[2:3], v[106:107], v[106:107], 1.0
	v_rcp_f64_e32 v[118:119], v[116:117]
	v_div_scale_f64 v[120:121], vcc, 1.0, v[106:107], 1.0
	v_fma_f64 v[122:123], -v[116:117], v[118:119], 1.0
	v_fmac_f64_e32 v[118:119], v[118:119], v[122:123]
	v_fma_f64 v[122:123], -v[116:117], v[118:119], 1.0
	v_fmac_f64_e32 v[118:119], v[118:119], v[122:123]
	v_mul_f64 v[122:123], v[120:121], v[118:119]
	v_fma_f64 v[116:117], -v[116:117], v[122:123], v[120:121]
	v_div_fmas_f64 v[116:117], v[116:117], v[118:119], v[122:123]
	v_div_fixup_f64 v[106:107], v[116:117], v[106:107], 1.0
; %bb.597:
	s_or_b64 exec, exec, s[0:1]
	v_cmp_ne_u32_e32 vcc, v111, v108
	s_and_saveexec_b64 s[0:1], vcc
	s_xor_b64 s[0:1], exec, s[0:1]
	s_cbranch_execz .LBB100_603
; %bb.598:
	v_cmp_eq_u32_e32 vcc, 35, v111
	s_and_saveexec_b64 s[2:3], vcc
	s_cbranch_execz .LBB100_602
; %bb.599:
	v_cmp_ne_u32_e32 vcc, 35, v108
	s_xor_b64 s[14:15], s[6:7], -1
	s_and_b64 s[16:17], s[14:15], vcc
	s_and_saveexec_b64 s[14:15], s[16:17]
	s_cbranch_execz .LBB100_601
; %bb.600:
	v_ashrrev_i32_e32 v109, 31, v108
	v_lshlrev_b64 v[116:117], 2, v[108:109]
	v_add_co_u32_e32 v116, vcc, v4, v116
	v_addc_co_u32_e32 v117, vcc, v5, v117, vcc
	flat_load_dword v109, v[116:117]
	flat_load_dword v111, v[4:5] offset:140
	s_waitcnt vmcnt(0) lgkmcnt(0)
	flat_store_dword v[4:5], v109 offset:140
	flat_store_dword v[116:117], v111
.LBB100_601:
	s_or_b64 exec, exec, s[14:15]
	v_mov_b32_e32 v109, v108
	v_mov_b32_e32 v111, v108
.LBB100_602:
	s_or_b64 exec, exec, s[2:3]
.LBB100_603:
	s_andn2_saveexec_b64 s[0:1], s[0:1]
	s_cbranch_execz .LBB100_605
; %bb.604:
	v_mov_b32_e32 v116, v30
	v_mov_b32_e32 v117, v31
	v_mov_b32_e32 v118, v28
	v_mov_b32_e32 v119, v29
	ds_write2_b64 v110, v[116:117], v[118:119] offset0:36 offset1:37
	v_mov_b32_e32 v116, v26
	v_mov_b32_e32 v117, v27
	v_mov_b32_e32 v118, v24
	v_mov_b32_e32 v119, v25
	ds_write2_b64 v110, v[116:117], v[118:119] offset0:38 offset1:39
	;; [unrolled: 5-line block ×6, first 2 shown]
	v_mov_b32_e32 v116, v6
	v_mov_b32_e32 v117, v7
	v_mov_b32_e32 v118, v0
	v_mov_b32_e32 v119, v1
	v_mov_b32_e32 v111, 35
	ds_write2_b64 v110, v[116:117], v[118:119] offset0:48 offset1:49
	ds_write_b64 v110, v[104:105] offset:400
.LBB100_605:
	s_or_b64 exec, exec, s[0:1]
	v_cmp_lt_i32_e32 vcc, 35, v111
	s_waitcnt lgkmcnt(0)
	s_barrier
	s_and_saveexec_b64 s[0:1], vcc
	s_cbranch_execz .LBB100_607
; %bb.606:
	ds_read2_b64 v[116:119], v110 offset0:36 offset1:37
	ds_read2_b64 v[120:123], v110 offset0:38 offset1:39
	v_mul_f64 v[32:33], v[106:107], v[32:33]
	ds_read2_b64 v[124:127], v110 offset0:40 offset1:41
	ds_read_b64 v[106:107], v110 offset:400
	s_waitcnt lgkmcnt(0)
	v_fma_f64 v[30:31], -v[32:33], v[116:117], v[30:31]
	v_fma_f64 v[28:29], -v[32:33], v[118:119], v[28:29]
	ds_read2_b64 v[116:119], v110 offset0:42 offset1:43
	v_fma_f64 v[26:27], -v[32:33], v[120:121], v[26:27]
	v_fma_f64 v[24:25], -v[32:33], v[122:123], v[24:25]
	;; [unrolled: 1-line block ×3, first 2 shown]
	ds_read2_b64 v[120:123], v110 offset0:44 offset1:45
	v_fma_f64 v[20:21], -v[32:33], v[126:127], v[20:21]
	s_waitcnt lgkmcnt(0)
	v_fma_f64 v[18:19], -v[32:33], v[116:117], v[18:19]
	v_fma_f64 v[16:17], -v[32:33], v[118:119], v[16:17]
	ds_read2_b64 v[116:119], v110 offset0:46 offset1:47
	ds_read2_b64 v[124:127], v110 offset0:48 offset1:49
	v_fma_f64 v[14:15], -v[32:33], v[120:121], v[14:15]
	v_fma_f64 v[12:13], -v[32:33], v[122:123], v[12:13]
	;; [unrolled: 1-line block ×3, first 2 shown]
	s_waitcnt lgkmcnt(0)
	v_fma_f64 v[10:11], -v[32:33], v[116:117], v[10:11]
	v_fma_f64 v[8:9], -v[32:33], v[118:119], v[8:9]
	;; [unrolled: 1-line block ×4, first 2 shown]
.LBB100_607:
	s_or_b64 exec, exec, s[0:1]
	v_lshl_add_u32 v106, v111, 3, v110
	s_barrier
	ds_write_b64 v106, v[30:31]
	s_waitcnt lgkmcnt(0)
	s_barrier
	ds_read_b64 v[106:107], v110 offset:288
	s_cmp_lt_i32 s18, 38
	v_mov_b32_e32 v108, 36
	s_cbranch_scc1 .LBB100_610
; %bb.608:
	v_add_u32_e32 v115, 0x128, v110
	s_mov_b32 s0, 37
	v_mov_b32_e32 v108, 36
.LBB100_609:                            ; =>This Inner Loop Header: Depth=1
	ds_read_b64 v[116:117], v115
	v_mov_b32_e32 v118, s0
	s_add_i32 s0, s0, 1
	v_add_u32_e32 v115, 8, v115
	s_cmp_lg_u32 s18, s0
	s_waitcnt lgkmcnt(0)
	v_cmp_lt_f64_e64 vcc, |v[106:107]|, |v[116:117]|
	v_cndmask_b32_e32 v107, v107, v117, vcc
	v_cndmask_b32_e32 v106, v106, v116, vcc
	;; [unrolled: 1-line block ×3, first 2 shown]
	s_cbranch_scc1 .LBB100_609
.LBB100_610:
	s_waitcnt lgkmcnt(0)
	v_cmp_eq_f64_e32 vcc, 0, v[106:107]
	s_and_saveexec_b64 s[0:1], vcc
	s_xor_b64 s[0:1], exec, s[0:1]
; %bb.611:
	v_cmp_ne_u32_e32 vcc, 0, v114
	v_cndmask_b32_e32 v114, 37, v114, vcc
; %bb.612:
	s_andn2_saveexec_b64 s[0:1], s[0:1]
; %bb.613:
	v_div_scale_f64 v[116:117], s[2:3], v[106:107], v[106:107], 1.0
	v_rcp_f64_e32 v[118:119], v[116:117]
	v_div_scale_f64 v[120:121], vcc, 1.0, v[106:107], 1.0
	v_fma_f64 v[122:123], -v[116:117], v[118:119], 1.0
	v_fmac_f64_e32 v[118:119], v[118:119], v[122:123]
	v_fma_f64 v[122:123], -v[116:117], v[118:119], 1.0
	v_fmac_f64_e32 v[118:119], v[118:119], v[122:123]
	v_mul_f64 v[122:123], v[120:121], v[118:119]
	v_fma_f64 v[116:117], -v[116:117], v[122:123], v[120:121]
	v_div_fmas_f64 v[116:117], v[116:117], v[118:119], v[122:123]
	v_div_fixup_f64 v[106:107], v[116:117], v[106:107], 1.0
; %bb.614:
	s_or_b64 exec, exec, s[0:1]
	v_cmp_ne_u32_e32 vcc, v111, v108
	s_and_saveexec_b64 s[0:1], vcc
	s_xor_b64 s[0:1], exec, s[0:1]
	s_cbranch_execz .LBB100_620
; %bb.615:
	v_cmp_eq_u32_e32 vcc, 36, v111
	s_and_saveexec_b64 s[2:3], vcc
	s_cbranch_execz .LBB100_619
; %bb.616:
	v_cmp_ne_u32_e32 vcc, 36, v108
	s_xor_b64 s[14:15], s[6:7], -1
	s_and_b64 s[16:17], s[14:15], vcc
	s_and_saveexec_b64 s[14:15], s[16:17]
	s_cbranch_execz .LBB100_618
; %bb.617:
	v_ashrrev_i32_e32 v109, 31, v108
	v_lshlrev_b64 v[116:117], 2, v[108:109]
	v_add_co_u32_e32 v116, vcc, v4, v116
	v_addc_co_u32_e32 v117, vcc, v5, v117, vcc
	flat_load_dword v109, v[116:117]
	flat_load_dword v111, v[4:5] offset:144
	s_waitcnt vmcnt(0) lgkmcnt(0)
	flat_store_dword v[4:5], v109 offset:144
	flat_store_dword v[116:117], v111
.LBB100_618:
	s_or_b64 exec, exec, s[14:15]
	v_mov_b32_e32 v109, v108
	v_mov_b32_e32 v111, v108
.LBB100_619:
	s_or_b64 exec, exec, s[2:3]
.LBB100_620:
	s_andn2_saveexec_b64 s[0:1], s[0:1]
	s_cbranch_execz .LBB100_622
; %bb.621:
	v_mov_b32_e32 v111, 36
	ds_write2_b64 v110, v[28:29], v[26:27] offset0:37 offset1:38
	ds_write2_b64 v110, v[24:25], v[22:23] offset0:39 offset1:40
	;; [unrolled: 1-line block ×7, first 2 shown]
.LBB100_622:
	s_or_b64 exec, exec, s[0:1]
	v_cmp_lt_i32_e32 vcc, 36, v111
	s_waitcnt lgkmcnt(0)
	s_barrier
	s_and_saveexec_b64 s[0:1], vcc
	s_cbranch_execz .LBB100_624
; %bb.623:
	ds_read2_b64 v[116:119], v110 offset0:37 offset1:38
	ds_read2_b64 v[120:123], v110 offset0:39 offset1:40
	v_mul_f64 v[30:31], v[106:107], v[30:31]
	ds_read2_b64 v[124:127], v110 offset0:41 offset1:42
	s_waitcnt lgkmcnt(0)
	v_fma_f64 v[28:29], -v[30:31], v[116:117], v[28:29]
	v_fma_f64 v[26:27], -v[30:31], v[118:119], v[26:27]
	ds_read2_b64 v[116:119], v110 offset0:43 offset1:44
	v_fma_f64 v[24:25], -v[30:31], v[120:121], v[24:25]
	v_fma_f64 v[22:23], -v[30:31], v[122:123], v[22:23]
	;; [unrolled: 1-line block ×4, first 2 shown]
	ds_read2_b64 v[120:123], v110 offset0:45 offset1:46
	ds_read2_b64 v[124:127], v110 offset0:47 offset1:48
	s_waitcnt lgkmcnt(0)
	v_fma_f64 v[16:17], -v[30:31], v[116:117], v[16:17]
	v_fma_f64 v[14:15], -v[30:31], v[118:119], v[14:15]
	ds_read2_b64 v[116:119], v110 offset0:49 offset1:50
	v_fma_f64 v[12:13], -v[30:31], v[120:121], v[12:13]
	v_fma_f64 v[10:11], -v[30:31], v[122:123], v[10:11]
	;; [unrolled: 1-line block ×4, first 2 shown]
	s_waitcnt lgkmcnt(0)
	v_fma_f64 v[0:1], -v[30:31], v[116:117], v[0:1]
	v_fma_f64 v[104:105], -v[30:31], v[118:119], v[104:105]
.LBB100_624:
	s_or_b64 exec, exec, s[0:1]
	v_lshl_add_u32 v106, v111, 3, v110
	s_barrier
	ds_write_b64 v106, v[28:29]
	s_waitcnt lgkmcnt(0)
	s_barrier
	ds_read_b64 v[106:107], v110 offset:296
	s_cmp_lt_i32 s18, 39
	v_mov_b32_e32 v108, 37
	s_cbranch_scc1 .LBB100_627
; %bb.625:
	v_add_u32_e32 v115, 0x130, v110
	s_mov_b32 s0, 38
	v_mov_b32_e32 v108, 37
.LBB100_626:                            ; =>This Inner Loop Header: Depth=1
	ds_read_b64 v[116:117], v115
	v_mov_b32_e32 v118, s0
	s_add_i32 s0, s0, 1
	v_add_u32_e32 v115, 8, v115
	s_cmp_lg_u32 s18, s0
	s_waitcnt lgkmcnt(0)
	v_cmp_lt_f64_e64 vcc, |v[106:107]|, |v[116:117]|
	v_cndmask_b32_e32 v107, v107, v117, vcc
	v_cndmask_b32_e32 v106, v106, v116, vcc
	;; [unrolled: 1-line block ×3, first 2 shown]
	s_cbranch_scc1 .LBB100_626
.LBB100_627:
	s_waitcnt lgkmcnt(0)
	v_cmp_eq_f64_e32 vcc, 0, v[106:107]
	s_and_saveexec_b64 s[0:1], vcc
	s_xor_b64 s[0:1], exec, s[0:1]
; %bb.628:
	v_cmp_ne_u32_e32 vcc, 0, v114
	v_cndmask_b32_e32 v114, 38, v114, vcc
; %bb.629:
	s_andn2_saveexec_b64 s[0:1], s[0:1]
; %bb.630:
	v_div_scale_f64 v[116:117], s[2:3], v[106:107], v[106:107], 1.0
	v_rcp_f64_e32 v[118:119], v[116:117]
	v_div_scale_f64 v[120:121], vcc, 1.0, v[106:107], 1.0
	v_fma_f64 v[122:123], -v[116:117], v[118:119], 1.0
	v_fmac_f64_e32 v[118:119], v[118:119], v[122:123]
	v_fma_f64 v[122:123], -v[116:117], v[118:119], 1.0
	v_fmac_f64_e32 v[118:119], v[118:119], v[122:123]
	v_mul_f64 v[122:123], v[120:121], v[118:119]
	v_fma_f64 v[116:117], -v[116:117], v[122:123], v[120:121]
	v_div_fmas_f64 v[116:117], v[116:117], v[118:119], v[122:123]
	v_div_fixup_f64 v[106:107], v[116:117], v[106:107], 1.0
; %bb.631:
	s_or_b64 exec, exec, s[0:1]
	v_cmp_ne_u32_e32 vcc, v111, v108
	s_and_saveexec_b64 s[0:1], vcc
	s_xor_b64 s[0:1], exec, s[0:1]
	s_cbranch_execz .LBB100_637
; %bb.632:
	v_cmp_eq_u32_e32 vcc, 37, v111
	s_and_saveexec_b64 s[2:3], vcc
	s_cbranch_execz .LBB100_636
; %bb.633:
	v_cmp_ne_u32_e32 vcc, 37, v108
	s_xor_b64 s[14:15], s[6:7], -1
	s_and_b64 s[16:17], s[14:15], vcc
	s_and_saveexec_b64 s[14:15], s[16:17]
	s_cbranch_execz .LBB100_635
; %bb.634:
	v_ashrrev_i32_e32 v109, 31, v108
	v_lshlrev_b64 v[116:117], 2, v[108:109]
	v_add_co_u32_e32 v116, vcc, v4, v116
	v_addc_co_u32_e32 v117, vcc, v5, v117, vcc
	flat_load_dword v109, v[116:117]
	flat_load_dword v111, v[4:5] offset:148
	s_waitcnt vmcnt(0) lgkmcnt(0)
	flat_store_dword v[4:5], v109 offset:148
	flat_store_dword v[116:117], v111
.LBB100_635:
	s_or_b64 exec, exec, s[14:15]
	v_mov_b32_e32 v109, v108
	v_mov_b32_e32 v111, v108
.LBB100_636:
	s_or_b64 exec, exec, s[2:3]
.LBB100_637:
	s_andn2_saveexec_b64 s[0:1], s[0:1]
	s_cbranch_execz .LBB100_639
; %bb.638:
	v_mov_b32_e32 v116, v26
	v_mov_b32_e32 v117, v27
	v_mov_b32_e32 v118, v24
	v_mov_b32_e32 v119, v25
	ds_write2_b64 v110, v[116:117], v[118:119] offset0:38 offset1:39
	v_mov_b32_e32 v116, v22
	v_mov_b32_e32 v117, v23
	v_mov_b32_e32 v118, v20
	v_mov_b32_e32 v119, v21
	ds_write2_b64 v110, v[116:117], v[118:119] offset0:40 offset1:41
	;; [unrolled: 5-line block ×5, first 2 shown]
	v_mov_b32_e32 v116, v6
	v_mov_b32_e32 v117, v7
	;; [unrolled: 1-line block ×5, first 2 shown]
	ds_write2_b64 v110, v[116:117], v[118:119] offset0:48 offset1:49
	ds_write_b64 v110, v[104:105] offset:400
.LBB100_639:
	s_or_b64 exec, exec, s[0:1]
	v_cmp_lt_i32_e32 vcc, 37, v111
	s_waitcnt lgkmcnt(0)
	s_barrier
	s_and_saveexec_b64 s[0:1], vcc
	s_cbranch_execz .LBB100_641
; %bb.640:
	ds_read2_b64 v[116:119], v110 offset0:38 offset1:39
	ds_read2_b64 v[120:123], v110 offset0:40 offset1:41
	;; [unrolled: 1-line block ×3, first 2 shown]
	v_mul_f64 v[28:29], v[106:107], v[28:29]
	ds_read_b64 v[106:107], v110 offset:400
	s_waitcnt lgkmcnt(0)
	v_fma_f64 v[26:27], -v[28:29], v[116:117], v[26:27]
	v_fma_f64 v[24:25], -v[28:29], v[118:119], v[24:25]
	ds_read2_b64 v[116:119], v110 offset0:44 offset1:45
	v_fma_f64 v[22:23], -v[28:29], v[120:121], v[22:23]
	v_fma_f64 v[20:21], -v[28:29], v[122:123], v[20:21]
	v_fma_f64 v[18:19], -v[28:29], v[124:125], v[18:19]
	v_fma_f64 v[16:17], -v[28:29], v[126:127], v[16:17]
	ds_read2_b64 v[120:123], v110 offset0:46 offset1:47
	ds_read2_b64 v[124:127], v110 offset0:48 offset1:49
	s_waitcnt lgkmcnt(0)
	v_fma_f64 v[14:15], -v[28:29], v[116:117], v[14:15]
	v_fma_f64 v[12:13], -v[28:29], v[118:119], v[12:13]
	;; [unrolled: 1-line block ×7, first 2 shown]
.LBB100_641:
	s_or_b64 exec, exec, s[0:1]
	v_lshl_add_u32 v106, v111, 3, v110
	s_barrier
	ds_write_b64 v106, v[26:27]
	s_waitcnt lgkmcnt(0)
	s_barrier
	ds_read_b64 v[106:107], v110 offset:304
	s_cmp_lt_i32 s18, 40
	v_mov_b32_e32 v108, 38
	s_cbranch_scc1 .LBB100_644
; %bb.642:
	v_add_u32_e32 v115, 0x138, v110
	s_mov_b32 s0, 39
	v_mov_b32_e32 v108, 38
.LBB100_643:                            ; =>This Inner Loop Header: Depth=1
	ds_read_b64 v[116:117], v115
	v_mov_b32_e32 v118, s0
	s_add_i32 s0, s0, 1
	v_add_u32_e32 v115, 8, v115
	s_cmp_lg_u32 s18, s0
	s_waitcnt lgkmcnt(0)
	v_cmp_lt_f64_e64 vcc, |v[106:107]|, |v[116:117]|
	v_cndmask_b32_e32 v107, v107, v117, vcc
	v_cndmask_b32_e32 v106, v106, v116, vcc
	;; [unrolled: 1-line block ×3, first 2 shown]
	s_cbranch_scc1 .LBB100_643
.LBB100_644:
	s_waitcnt lgkmcnt(0)
	v_cmp_eq_f64_e32 vcc, 0, v[106:107]
	s_and_saveexec_b64 s[0:1], vcc
	s_xor_b64 s[0:1], exec, s[0:1]
; %bb.645:
	v_cmp_ne_u32_e32 vcc, 0, v114
	v_cndmask_b32_e32 v114, 39, v114, vcc
; %bb.646:
	s_andn2_saveexec_b64 s[0:1], s[0:1]
; %bb.647:
	v_div_scale_f64 v[116:117], s[2:3], v[106:107], v[106:107], 1.0
	v_rcp_f64_e32 v[118:119], v[116:117]
	v_div_scale_f64 v[120:121], vcc, 1.0, v[106:107], 1.0
	v_fma_f64 v[122:123], -v[116:117], v[118:119], 1.0
	v_fmac_f64_e32 v[118:119], v[118:119], v[122:123]
	v_fma_f64 v[122:123], -v[116:117], v[118:119], 1.0
	v_fmac_f64_e32 v[118:119], v[118:119], v[122:123]
	v_mul_f64 v[122:123], v[120:121], v[118:119]
	v_fma_f64 v[116:117], -v[116:117], v[122:123], v[120:121]
	v_div_fmas_f64 v[116:117], v[116:117], v[118:119], v[122:123]
	v_div_fixup_f64 v[106:107], v[116:117], v[106:107], 1.0
; %bb.648:
	s_or_b64 exec, exec, s[0:1]
	v_cmp_ne_u32_e32 vcc, v111, v108
	s_and_saveexec_b64 s[0:1], vcc
	s_xor_b64 s[0:1], exec, s[0:1]
	s_cbranch_execz .LBB100_654
; %bb.649:
	v_cmp_eq_u32_e32 vcc, 38, v111
	s_and_saveexec_b64 s[2:3], vcc
	s_cbranch_execz .LBB100_653
; %bb.650:
	v_cmp_ne_u32_e32 vcc, 38, v108
	s_xor_b64 s[14:15], s[6:7], -1
	s_and_b64 s[16:17], s[14:15], vcc
	s_and_saveexec_b64 s[14:15], s[16:17]
	s_cbranch_execz .LBB100_652
; %bb.651:
	v_ashrrev_i32_e32 v109, 31, v108
	v_lshlrev_b64 v[116:117], 2, v[108:109]
	v_add_co_u32_e32 v116, vcc, v4, v116
	v_addc_co_u32_e32 v117, vcc, v5, v117, vcc
	flat_load_dword v109, v[116:117]
	flat_load_dword v111, v[4:5] offset:152
	s_waitcnt vmcnt(0) lgkmcnt(0)
	flat_store_dword v[4:5], v109 offset:152
	flat_store_dword v[116:117], v111
.LBB100_652:
	s_or_b64 exec, exec, s[14:15]
	v_mov_b32_e32 v109, v108
	v_mov_b32_e32 v111, v108
.LBB100_653:
	s_or_b64 exec, exec, s[2:3]
.LBB100_654:
	s_andn2_saveexec_b64 s[0:1], s[0:1]
	s_cbranch_execz .LBB100_656
; %bb.655:
	v_mov_b32_e32 v111, 38
	ds_write2_b64 v110, v[24:25], v[22:23] offset0:39 offset1:40
	ds_write2_b64 v110, v[20:21], v[18:19] offset0:41 offset1:42
	;; [unrolled: 1-line block ×6, first 2 shown]
.LBB100_656:
	s_or_b64 exec, exec, s[0:1]
	v_cmp_lt_i32_e32 vcc, 38, v111
	s_waitcnt lgkmcnt(0)
	s_barrier
	s_and_saveexec_b64 s[0:1], vcc
	s_cbranch_execz .LBB100_658
; %bb.657:
	ds_read2_b64 v[116:119], v110 offset0:39 offset1:40
	ds_read2_b64 v[120:123], v110 offset0:41 offset1:42
	;; [unrolled: 1-line block ×3, first 2 shown]
	v_mul_f64 v[26:27], v[106:107], v[26:27]
	s_waitcnt lgkmcnt(0)
	v_fma_f64 v[24:25], -v[26:27], v[116:117], v[24:25]
	v_fma_f64 v[22:23], -v[26:27], v[118:119], v[22:23]
	ds_read2_b64 v[116:119], v110 offset0:45 offset1:46
	v_fma_f64 v[20:21], -v[26:27], v[120:121], v[20:21]
	v_fma_f64 v[18:19], -v[26:27], v[122:123], v[18:19]
	;; [unrolled: 1-line block ×3, first 2 shown]
	ds_read2_b64 v[120:123], v110 offset0:47 offset1:48
	v_fma_f64 v[14:15], -v[26:27], v[126:127], v[14:15]
	ds_read2_b64 v[124:127], v110 offset0:49 offset1:50
	s_waitcnt lgkmcnt(0)
	v_fma_f64 v[12:13], -v[26:27], v[116:117], v[12:13]
	v_fma_f64 v[10:11], -v[26:27], v[118:119], v[10:11]
	;; [unrolled: 1-line block ×6, first 2 shown]
.LBB100_658:
	s_or_b64 exec, exec, s[0:1]
	v_lshl_add_u32 v106, v111, 3, v110
	s_barrier
	ds_write_b64 v106, v[24:25]
	s_waitcnt lgkmcnt(0)
	s_barrier
	ds_read_b64 v[106:107], v110 offset:312
	s_cmp_lt_i32 s18, 41
	v_mov_b32_e32 v108, 39
	s_cbranch_scc1 .LBB100_661
; %bb.659:
	v_add_u32_e32 v115, 0x140, v110
	s_mov_b32 s0, 40
	v_mov_b32_e32 v108, 39
.LBB100_660:                            ; =>This Inner Loop Header: Depth=1
	ds_read_b64 v[116:117], v115
	v_mov_b32_e32 v118, s0
	s_add_i32 s0, s0, 1
	v_add_u32_e32 v115, 8, v115
	s_cmp_lg_u32 s18, s0
	s_waitcnt lgkmcnt(0)
	v_cmp_lt_f64_e64 vcc, |v[106:107]|, |v[116:117]|
	v_cndmask_b32_e32 v107, v107, v117, vcc
	v_cndmask_b32_e32 v106, v106, v116, vcc
	;; [unrolled: 1-line block ×3, first 2 shown]
	s_cbranch_scc1 .LBB100_660
.LBB100_661:
	s_waitcnt lgkmcnt(0)
	v_cmp_eq_f64_e32 vcc, 0, v[106:107]
	s_and_saveexec_b64 s[0:1], vcc
	s_xor_b64 s[0:1], exec, s[0:1]
; %bb.662:
	v_cmp_ne_u32_e32 vcc, 0, v114
	v_cndmask_b32_e32 v114, 40, v114, vcc
; %bb.663:
	s_andn2_saveexec_b64 s[0:1], s[0:1]
; %bb.664:
	v_div_scale_f64 v[116:117], s[2:3], v[106:107], v[106:107], 1.0
	v_rcp_f64_e32 v[118:119], v[116:117]
	v_div_scale_f64 v[120:121], vcc, 1.0, v[106:107], 1.0
	v_fma_f64 v[122:123], -v[116:117], v[118:119], 1.0
	v_fmac_f64_e32 v[118:119], v[118:119], v[122:123]
	v_fma_f64 v[122:123], -v[116:117], v[118:119], 1.0
	v_fmac_f64_e32 v[118:119], v[118:119], v[122:123]
	v_mul_f64 v[122:123], v[120:121], v[118:119]
	v_fma_f64 v[116:117], -v[116:117], v[122:123], v[120:121]
	v_div_fmas_f64 v[116:117], v[116:117], v[118:119], v[122:123]
	v_div_fixup_f64 v[106:107], v[116:117], v[106:107], 1.0
; %bb.665:
	s_or_b64 exec, exec, s[0:1]
	v_cmp_ne_u32_e32 vcc, v111, v108
	s_and_saveexec_b64 s[0:1], vcc
	s_xor_b64 s[0:1], exec, s[0:1]
	s_cbranch_execz .LBB100_671
; %bb.666:
	v_cmp_eq_u32_e32 vcc, 39, v111
	s_and_saveexec_b64 s[2:3], vcc
	s_cbranch_execz .LBB100_670
; %bb.667:
	v_cmp_ne_u32_e32 vcc, 39, v108
	s_xor_b64 s[14:15], s[6:7], -1
	s_and_b64 s[16:17], s[14:15], vcc
	s_and_saveexec_b64 s[14:15], s[16:17]
	s_cbranch_execz .LBB100_669
; %bb.668:
	v_ashrrev_i32_e32 v109, 31, v108
	v_lshlrev_b64 v[116:117], 2, v[108:109]
	v_add_co_u32_e32 v116, vcc, v4, v116
	v_addc_co_u32_e32 v117, vcc, v5, v117, vcc
	flat_load_dword v109, v[116:117]
	flat_load_dword v111, v[4:5] offset:156
	s_waitcnt vmcnt(0) lgkmcnt(0)
	flat_store_dword v[4:5], v109 offset:156
	flat_store_dword v[116:117], v111
.LBB100_669:
	s_or_b64 exec, exec, s[14:15]
	v_mov_b32_e32 v109, v108
	v_mov_b32_e32 v111, v108
.LBB100_670:
	s_or_b64 exec, exec, s[2:3]
.LBB100_671:
	s_andn2_saveexec_b64 s[0:1], s[0:1]
	s_cbranch_execz .LBB100_673
; %bb.672:
	v_mov_b32_e32 v116, v22
	v_mov_b32_e32 v117, v23
	v_mov_b32_e32 v118, v20
	v_mov_b32_e32 v119, v21
	ds_write2_b64 v110, v[116:117], v[118:119] offset0:40 offset1:41
	v_mov_b32_e32 v116, v18
	v_mov_b32_e32 v117, v19
	v_mov_b32_e32 v118, v16
	v_mov_b32_e32 v119, v17
	ds_write2_b64 v110, v[116:117], v[118:119] offset0:42 offset1:43
	;; [unrolled: 5-line block ×4, first 2 shown]
	v_mov_b32_e32 v116, v6
	v_mov_b32_e32 v117, v7
	;; [unrolled: 1-line block ×5, first 2 shown]
	ds_write2_b64 v110, v[116:117], v[118:119] offset0:48 offset1:49
	ds_write_b64 v110, v[104:105] offset:400
.LBB100_673:
	s_or_b64 exec, exec, s[0:1]
	v_cmp_lt_i32_e32 vcc, 39, v111
	s_waitcnt lgkmcnt(0)
	s_barrier
	s_and_saveexec_b64 s[0:1], vcc
	s_cbranch_execz .LBB100_675
; %bb.674:
	ds_read2_b64 v[116:119], v110 offset0:40 offset1:41
	ds_read2_b64 v[120:123], v110 offset0:42 offset1:43
	v_mul_f64 v[24:25], v[106:107], v[24:25]
	ds_read2_b64 v[124:127], v110 offset0:44 offset1:45
	ds_read_b64 v[106:107], v110 offset:400
	s_waitcnt lgkmcnt(0)
	v_fma_f64 v[22:23], -v[24:25], v[116:117], v[22:23]
	v_fma_f64 v[20:21], -v[24:25], v[118:119], v[20:21]
	ds_read2_b64 v[116:119], v110 offset0:46 offset1:47
	v_fma_f64 v[18:19], -v[24:25], v[120:121], v[18:19]
	v_fma_f64 v[16:17], -v[24:25], v[122:123], v[16:17]
	ds_read2_b64 v[120:123], v110 offset0:48 offset1:49
	v_fma_f64 v[14:15], -v[24:25], v[124:125], v[14:15]
	v_fma_f64 v[12:13], -v[24:25], v[126:127], v[12:13]
	s_waitcnt lgkmcnt(0)
	v_fma_f64 v[10:11], -v[24:25], v[116:117], v[10:11]
	v_fma_f64 v[8:9], -v[24:25], v[118:119], v[8:9]
	;; [unrolled: 1-line block ×5, first 2 shown]
.LBB100_675:
	s_or_b64 exec, exec, s[0:1]
	v_lshl_add_u32 v106, v111, 3, v110
	s_barrier
	ds_write_b64 v106, v[22:23]
	s_waitcnt lgkmcnt(0)
	s_barrier
	ds_read_b64 v[106:107], v110 offset:320
	s_cmp_lt_i32 s18, 42
	v_mov_b32_e32 v108, 40
	s_cbranch_scc1 .LBB100_678
; %bb.676:
	v_add_u32_e32 v115, 0x148, v110
	s_mov_b32 s0, 41
	v_mov_b32_e32 v108, 40
.LBB100_677:                            ; =>This Inner Loop Header: Depth=1
	ds_read_b64 v[116:117], v115
	v_mov_b32_e32 v118, s0
	s_add_i32 s0, s0, 1
	v_add_u32_e32 v115, 8, v115
	s_cmp_lg_u32 s18, s0
	s_waitcnt lgkmcnt(0)
	v_cmp_lt_f64_e64 vcc, |v[106:107]|, |v[116:117]|
	v_cndmask_b32_e32 v107, v107, v117, vcc
	v_cndmask_b32_e32 v106, v106, v116, vcc
	;; [unrolled: 1-line block ×3, first 2 shown]
	s_cbranch_scc1 .LBB100_677
.LBB100_678:
	s_waitcnt lgkmcnt(0)
	v_cmp_eq_f64_e32 vcc, 0, v[106:107]
	s_and_saveexec_b64 s[0:1], vcc
	s_xor_b64 s[0:1], exec, s[0:1]
; %bb.679:
	v_cmp_ne_u32_e32 vcc, 0, v114
	v_cndmask_b32_e32 v114, 41, v114, vcc
; %bb.680:
	s_andn2_saveexec_b64 s[0:1], s[0:1]
; %bb.681:
	v_div_scale_f64 v[116:117], s[2:3], v[106:107], v[106:107], 1.0
	v_rcp_f64_e32 v[118:119], v[116:117]
	v_div_scale_f64 v[120:121], vcc, 1.0, v[106:107], 1.0
	v_fma_f64 v[122:123], -v[116:117], v[118:119], 1.0
	v_fmac_f64_e32 v[118:119], v[118:119], v[122:123]
	v_fma_f64 v[122:123], -v[116:117], v[118:119], 1.0
	v_fmac_f64_e32 v[118:119], v[118:119], v[122:123]
	v_mul_f64 v[122:123], v[120:121], v[118:119]
	v_fma_f64 v[116:117], -v[116:117], v[122:123], v[120:121]
	v_div_fmas_f64 v[116:117], v[116:117], v[118:119], v[122:123]
	v_div_fixup_f64 v[106:107], v[116:117], v[106:107], 1.0
; %bb.682:
	s_or_b64 exec, exec, s[0:1]
	v_cmp_ne_u32_e32 vcc, v111, v108
	s_and_saveexec_b64 s[0:1], vcc
	s_xor_b64 s[0:1], exec, s[0:1]
	s_cbranch_execz .LBB100_688
; %bb.683:
	v_cmp_eq_u32_e32 vcc, 40, v111
	s_and_saveexec_b64 s[2:3], vcc
	s_cbranch_execz .LBB100_687
; %bb.684:
	v_cmp_ne_u32_e32 vcc, 40, v108
	s_xor_b64 s[14:15], s[6:7], -1
	s_and_b64 s[16:17], s[14:15], vcc
	s_and_saveexec_b64 s[14:15], s[16:17]
	s_cbranch_execz .LBB100_686
; %bb.685:
	v_ashrrev_i32_e32 v109, 31, v108
	v_lshlrev_b64 v[116:117], 2, v[108:109]
	v_add_co_u32_e32 v116, vcc, v4, v116
	v_addc_co_u32_e32 v117, vcc, v5, v117, vcc
	flat_load_dword v109, v[116:117]
	flat_load_dword v111, v[4:5] offset:160
	s_waitcnt vmcnt(0) lgkmcnt(0)
	flat_store_dword v[4:5], v109 offset:160
	flat_store_dword v[116:117], v111
.LBB100_686:
	s_or_b64 exec, exec, s[14:15]
	v_mov_b32_e32 v109, v108
	v_mov_b32_e32 v111, v108
.LBB100_687:
	s_or_b64 exec, exec, s[2:3]
.LBB100_688:
	s_andn2_saveexec_b64 s[0:1], s[0:1]
	s_cbranch_execz .LBB100_690
; %bb.689:
	v_mov_b32_e32 v111, 40
	ds_write2_b64 v110, v[20:21], v[18:19] offset0:41 offset1:42
	ds_write2_b64 v110, v[16:17], v[14:15] offset0:43 offset1:44
	;; [unrolled: 1-line block ×5, first 2 shown]
.LBB100_690:
	s_or_b64 exec, exec, s[0:1]
	v_cmp_lt_i32_e32 vcc, 40, v111
	s_waitcnt lgkmcnt(0)
	s_barrier
	s_and_saveexec_b64 s[0:1], vcc
	s_cbranch_execz .LBB100_692
; %bb.691:
	ds_read2_b64 v[116:119], v110 offset0:41 offset1:42
	ds_read2_b64 v[120:123], v110 offset0:43 offset1:44
	v_mul_f64 v[22:23], v[106:107], v[22:23]
	ds_read2_b64 v[124:127], v110 offset0:47 offset1:48
	s_waitcnt lgkmcnt(0)
	v_fma_f64 v[20:21], -v[22:23], v[116:117], v[20:21]
	v_fma_f64 v[18:19], -v[22:23], v[118:119], v[18:19]
	ds_read2_b64 v[116:119], v110 offset0:45 offset1:46
	v_fma_f64 v[16:17], -v[22:23], v[120:121], v[16:17]
	v_fma_f64 v[14:15], -v[22:23], v[122:123], v[14:15]
	ds_read2_b64 v[120:123], v110 offset0:49 offset1:50
	v_fma_f64 v[8:9], -v[22:23], v[124:125], v[8:9]
	s_waitcnt lgkmcnt(0)
	v_fma_f64 v[12:13], -v[22:23], v[116:117], v[12:13]
	v_fma_f64 v[10:11], -v[22:23], v[118:119], v[10:11]
	;; [unrolled: 1-line block ×5, first 2 shown]
.LBB100_692:
	s_or_b64 exec, exec, s[0:1]
	v_lshl_add_u32 v106, v111, 3, v110
	s_barrier
	ds_write_b64 v106, v[20:21]
	s_waitcnt lgkmcnt(0)
	s_barrier
	ds_read_b64 v[106:107], v110 offset:328
	s_cmp_lt_i32 s18, 43
	v_mov_b32_e32 v108, 41
	s_cbranch_scc1 .LBB100_695
; %bb.693:
	v_add_u32_e32 v115, 0x150, v110
	s_mov_b32 s0, 42
	v_mov_b32_e32 v108, 41
.LBB100_694:                            ; =>This Inner Loop Header: Depth=1
	ds_read_b64 v[116:117], v115
	v_mov_b32_e32 v118, s0
	s_add_i32 s0, s0, 1
	v_add_u32_e32 v115, 8, v115
	s_cmp_lg_u32 s18, s0
	s_waitcnt lgkmcnt(0)
	v_cmp_lt_f64_e64 vcc, |v[106:107]|, |v[116:117]|
	v_cndmask_b32_e32 v107, v107, v117, vcc
	v_cndmask_b32_e32 v106, v106, v116, vcc
	;; [unrolled: 1-line block ×3, first 2 shown]
	s_cbranch_scc1 .LBB100_694
.LBB100_695:
	s_waitcnt lgkmcnt(0)
	v_cmp_eq_f64_e32 vcc, 0, v[106:107]
	s_and_saveexec_b64 s[0:1], vcc
	s_xor_b64 s[0:1], exec, s[0:1]
; %bb.696:
	v_cmp_ne_u32_e32 vcc, 0, v114
	v_cndmask_b32_e32 v114, 42, v114, vcc
; %bb.697:
	s_andn2_saveexec_b64 s[0:1], s[0:1]
; %bb.698:
	v_div_scale_f64 v[116:117], s[2:3], v[106:107], v[106:107], 1.0
	v_rcp_f64_e32 v[118:119], v[116:117]
	v_div_scale_f64 v[120:121], vcc, 1.0, v[106:107], 1.0
	v_fma_f64 v[122:123], -v[116:117], v[118:119], 1.0
	v_fmac_f64_e32 v[118:119], v[118:119], v[122:123]
	v_fma_f64 v[122:123], -v[116:117], v[118:119], 1.0
	v_fmac_f64_e32 v[118:119], v[118:119], v[122:123]
	v_mul_f64 v[122:123], v[120:121], v[118:119]
	v_fma_f64 v[116:117], -v[116:117], v[122:123], v[120:121]
	v_div_fmas_f64 v[116:117], v[116:117], v[118:119], v[122:123]
	v_div_fixup_f64 v[106:107], v[116:117], v[106:107], 1.0
; %bb.699:
	s_or_b64 exec, exec, s[0:1]
	v_cmp_ne_u32_e32 vcc, v111, v108
	s_and_saveexec_b64 s[0:1], vcc
	s_xor_b64 s[0:1], exec, s[0:1]
	s_cbranch_execz .LBB100_705
; %bb.700:
	v_cmp_eq_u32_e32 vcc, 41, v111
	s_and_saveexec_b64 s[2:3], vcc
	s_cbranch_execz .LBB100_704
; %bb.701:
	v_cmp_ne_u32_e32 vcc, 41, v108
	s_xor_b64 s[14:15], s[6:7], -1
	s_and_b64 s[16:17], s[14:15], vcc
	s_and_saveexec_b64 s[14:15], s[16:17]
	s_cbranch_execz .LBB100_703
; %bb.702:
	v_ashrrev_i32_e32 v109, 31, v108
	v_lshlrev_b64 v[116:117], 2, v[108:109]
	v_add_co_u32_e32 v116, vcc, v4, v116
	v_addc_co_u32_e32 v117, vcc, v5, v117, vcc
	flat_load_dword v109, v[116:117]
	flat_load_dword v111, v[4:5] offset:164
	s_waitcnt vmcnt(0) lgkmcnt(0)
	flat_store_dword v[4:5], v109 offset:164
	flat_store_dword v[116:117], v111
.LBB100_703:
	s_or_b64 exec, exec, s[14:15]
	v_mov_b32_e32 v109, v108
	v_mov_b32_e32 v111, v108
.LBB100_704:
	s_or_b64 exec, exec, s[2:3]
.LBB100_705:
	s_andn2_saveexec_b64 s[0:1], s[0:1]
	s_cbranch_execz .LBB100_707
; %bb.706:
	v_mov_b32_e32 v116, v18
	v_mov_b32_e32 v117, v19
	v_mov_b32_e32 v118, v16
	v_mov_b32_e32 v119, v17
	ds_write2_b64 v110, v[116:117], v[118:119] offset0:42 offset1:43
	v_mov_b32_e32 v116, v14
	v_mov_b32_e32 v117, v15
	v_mov_b32_e32 v118, v12
	v_mov_b32_e32 v119, v13
	ds_write2_b64 v110, v[116:117], v[118:119] offset0:44 offset1:45
	;; [unrolled: 5-line block ×3, first 2 shown]
	v_mov_b32_e32 v116, v6
	v_mov_b32_e32 v117, v7
	;; [unrolled: 1-line block ×5, first 2 shown]
	ds_write2_b64 v110, v[116:117], v[118:119] offset0:48 offset1:49
	ds_write_b64 v110, v[104:105] offset:400
.LBB100_707:
	s_or_b64 exec, exec, s[0:1]
	v_cmp_lt_i32_e32 vcc, 41, v111
	s_waitcnt lgkmcnt(0)
	s_barrier
	s_and_saveexec_b64 s[0:1], vcc
	s_cbranch_execz .LBB100_709
; %bb.708:
	ds_read2_b64 v[116:119], v110 offset0:42 offset1:43
	ds_read2_b64 v[120:123], v110 offset0:44 offset1:45
	v_mul_f64 v[20:21], v[106:107], v[20:21]
	ds_read_b64 v[106:107], v110 offset:400
	ds_read2_b64 v[124:127], v110 offset0:48 offset1:49
	s_waitcnt lgkmcnt(0)
	v_fma_f64 v[18:19], -v[20:21], v[116:117], v[18:19]
	v_fma_f64 v[16:17], -v[20:21], v[118:119], v[16:17]
	ds_read2_b64 v[116:119], v110 offset0:46 offset1:47
	v_fma_f64 v[14:15], -v[20:21], v[120:121], v[14:15]
	v_fma_f64 v[12:13], -v[20:21], v[122:123], v[12:13]
	;; [unrolled: 1-line block ×4, first 2 shown]
	s_waitcnt lgkmcnt(0)
	v_fma_f64 v[10:11], -v[20:21], v[116:117], v[10:11]
	v_fma_f64 v[8:9], -v[20:21], v[118:119], v[8:9]
	;; [unrolled: 1-line block ×3, first 2 shown]
.LBB100_709:
	s_or_b64 exec, exec, s[0:1]
	v_lshl_add_u32 v106, v111, 3, v110
	s_barrier
	ds_write_b64 v106, v[18:19]
	s_waitcnt lgkmcnt(0)
	s_barrier
	ds_read_b64 v[106:107], v110 offset:336
	s_cmp_lt_i32 s18, 44
	v_mov_b32_e32 v108, 42
	s_cbranch_scc1 .LBB100_712
; %bb.710:
	v_add_u32_e32 v115, 0x158, v110
	s_mov_b32 s0, 43
	v_mov_b32_e32 v108, 42
.LBB100_711:                            ; =>This Inner Loop Header: Depth=1
	ds_read_b64 v[116:117], v115
	v_mov_b32_e32 v118, s0
	s_add_i32 s0, s0, 1
	v_add_u32_e32 v115, 8, v115
	s_cmp_lg_u32 s18, s0
	s_waitcnt lgkmcnt(0)
	v_cmp_lt_f64_e64 vcc, |v[106:107]|, |v[116:117]|
	v_cndmask_b32_e32 v107, v107, v117, vcc
	v_cndmask_b32_e32 v106, v106, v116, vcc
	;; [unrolled: 1-line block ×3, first 2 shown]
	s_cbranch_scc1 .LBB100_711
.LBB100_712:
	s_waitcnt lgkmcnt(0)
	v_cmp_eq_f64_e32 vcc, 0, v[106:107]
	s_and_saveexec_b64 s[0:1], vcc
	s_xor_b64 s[0:1], exec, s[0:1]
; %bb.713:
	v_cmp_ne_u32_e32 vcc, 0, v114
	v_cndmask_b32_e32 v114, 43, v114, vcc
; %bb.714:
	s_andn2_saveexec_b64 s[0:1], s[0:1]
; %bb.715:
	v_div_scale_f64 v[116:117], s[2:3], v[106:107], v[106:107], 1.0
	v_rcp_f64_e32 v[118:119], v[116:117]
	v_div_scale_f64 v[120:121], vcc, 1.0, v[106:107], 1.0
	v_fma_f64 v[122:123], -v[116:117], v[118:119], 1.0
	v_fmac_f64_e32 v[118:119], v[118:119], v[122:123]
	v_fma_f64 v[122:123], -v[116:117], v[118:119], 1.0
	v_fmac_f64_e32 v[118:119], v[118:119], v[122:123]
	v_mul_f64 v[122:123], v[120:121], v[118:119]
	v_fma_f64 v[116:117], -v[116:117], v[122:123], v[120:121]
	v_div_fmas_f64 v[116:117], v[116:117], v[118:119], v[122:123]
	v_div_fixup_f64 v[106:107], v[116:117], v[106:107], 1.0
; %bb.716:
	s_or_b64 exec, exec, s[0:1]
	v_cmp_ne_u32_e32 vcc, v111, v108
	s_and_saveexec_b64 s[0:1], vcc
	s_xor_b64 s[0:1], exec, s[0:1]
	s_cbranch_execz .LBB100_722
; %bb.717:
	v_cmp_eq_u32_e32 vcc, 42, v111
	s_and_saveexec_b64 s[2:3], vcc
	s_cbranch_execz .LBB100_721
; %bb.718:
	v_cmp_ne_u32_e32 vcc, 42, v108
	s_xor_b64 s[14:15], s[6:7], -1
	s_and_b64 s[16:17], s[14:15], vcc
	s_and_saveexec_b64 s[14:15], s[16:17]
	s_cbranch_execz .LBB100_720
; %bb.719:
	v_ashrrev_i32_e32 v109, 31, v108
	v_lshlrev_b64 v[116:117], 2, v[108:109]
	v_add_co_u32_e32 v116, vcc, v4, v116
	v_addc_co_u32_e32 v117, vcc, v5, v117, vcc
	flat_load_dword v109, v[116:117]
	flat_load_dword v111, v[4:5] offset:168
	s_waitcnt vmcnt(0) lgkmcnt(0)
	flat_store_dword v[4:5], v109 offset:168
	flat_store_dword v[116:117], v111
.LBB100_720:
	s_or_b64 exec, exec, s[14:15]
	v_mov_b32_e32 v109, v108
	v_mov_b32_e32 v111, v108
.LBB100_721:
	s_or_b64 exec, exec, s[2:3]
.LBB100_722:
	s_andn2_saveexec_b64 s[0:1], s[0:1]
	s_cbranch_execz .LBB100_724
; %bb.723:
	v_mov_b32_e32 v111, 42
	ds_write2_b64 v110, v[16:17], v[14:15] offset0:43 offset1:44
	ds_write2_b64 v110, v[12:13], v[10:11] offset0:45 offset1:46
	;; [unrolled: 1-line block ×4, first 2 shown]
.LBB100_724:
	s_or_b64 exec, exec, s[0:1]
	v_cmp_lt_i32_e32 vcc, 42, v111
	s_waitcnt lgkmcnt(0)
	s_barrier
	s_and_saveexec_b64 s[0:1], vcc
	s_cbranch_execz .LBB100_726
; %bb.725:
	ds_read2_b64 v[116:119], v110 offset0:43 offset1:44
	ds_read2_b64 v[120:123], v110 offset0:45 offset1:46
	v_mul_f64 v[18:19], v[106:107], v[18:19]
	ds_read2_b64 v[124:127], v110 offset0:47 offset1:48
	s_waitcnt lgkmcnt(0)
	v_fma_f64 v[16:17], -v[18:19], v[116:117], v[16:17]
	v_fma_f64 v[14:15], -v[18:19], v[118:119], v[14:15]
	ds_read2_b64 v[116:119], v110 offset0:49 offset1:50
	v_fma_f64 v[12:13], -v[18:19], v[120:121], v[12:13]
	v_fma_f64 v[10:11], -v[18:19], v[122:123], v[10:11]
	;; [unrolled: 1-line block ×4, first 2 shown]
	s_waitcnt lgkmcnt(0)
	v_fma_f64 v[0:1], -v[18:19], v[116:117], v[0:1]
	v_fma_f64 v[104:105], -v[18:19], v[118:119], v[104:105]
.LBB100_726:
	s_or_b64 exec, exec, s[0:1]
	v_lshl_add_u32 v106, v111, 3, v110
	s_barrier
	ds_write_b64 v106, v[16:17]
	s_waitcnt lgkmcnt(0)
	s_barrier
	ds_read_b64 v[106:107], v110 offset:344
	s_cmp_lt_i32 s18, 45
	v_mov_b32_e32 v108, 43
	s_cbranch_scc1 .LBB100_729
; %bb.727:
	v_add_u32_e32 v115, 0x160, v110
	s_mov_b32 s0, 44
	v_mov_b32_e32 v108, 43
.LBB100_728:                            ; =>This Inner Loop Header: Depth=1
	ds_read_b64 v[116:117], v115
	v_mov_b32_e32 v118, s0
	s_add_i32 s0, s0, 1
	v_add_u32_e32 v115, 8, v115
	s_cmp_lg_u32 s18, s0
	s_waitcnt lgkmcnt(0)
	v_cmp_lt_f64_e64 vcc, |v[106:107]|, |v[116:117]|
	v_cndmask_b32_e32 v107, v107, v117, vcc
	v_cndmask_b32_e32 v106, v106, v116, vcc
	;; [unrolled: 1-line block ×3, first 2 shown]
	s_cbranch_scc1 .LBB100_728
.LBB100_729:
	s_waitcnt lgkmcnt(0)
	v_cmp_eq_f64_e32 vcc, 0, v[106:107]
	s_and_saveexec_b64 s[0:1], vcc
	s_xor_b64 s[0:1], exec, s[0:1]
; %bb.730:
	v_cmp_ne_u32_e32 vcc, 0, v114
	v_cndmask_b32_e32 v114, 44, v114, vcc
; %bb.731:
	s_andn2_saveexec_b64 s[0:1], s[0:1]
; %bb.732:
	v_div_scale_f64 v[116:117], s[2:3], v[106:107], v[106:107], 1.0
	v_rcp_f64_e32 v[118:119], v[116:117]
	v_div_scale_f64 v[120:121], vcc, 1.0, v[106:107], 1.0
	v_fma_f64 v[122:123], -v[116:117], v[118:119], 1.0
	v_fmac_f64_e32 v[118:119], v[118:119], v[122:123]
	v_fma_f64 v[122:123], -v[116:117], v[118:119], 1.0
	v_fmac_f64_e32 v[118:119], v[118:119], v[122:123]
	v_mul_f64 v[122:123], v[120:121], v[118:119]
	v_fma_f64 v[116:117], -v[116:117], v[122:123], v[120:121]
	v_div_fmas_f64 v[116:117], v[116:117], v[118:119], v[122:123]
	v_div_fixup_f64 v[106:107], v[116:117], v[106:107], 1.0
; %bb.733:
	s_or_b64 exec, exec, s[0:1]
	v_cmp_ne_u32_e32 vcc, v111, v108
	s_and_saveexec_b64 s[0:1], vcc
	s_xor_b64 s[0:1], exec, s[0:1]
	s_cbranch_execz .LBB100_739
; %bb.734:
	v_cmp_eq_u32_e32 vcc, 43, v111
	s_and_saveexec_b64 s[2:3], vcc
	s_cbranch_execz .LBB100_738
; %bb.735:
	v_cmp_ne_u32_e32 vcc, 43, v108
	s_xor_b64 s[14:15], s[6:7], -1
	s_and_b64 s[16:17], s[14:15], vcc
	s_and_saveexec_b64 s[14:15], s[16:17]
	s_cbranch_execz .LBB100_737
; %bb.736:
	v_ashrrev_i32_e32 v109, 31, v108
	v_lshlrev_b64 v[116:117], 2, v[108:109]
	v_add_co_u32_e32 v116, vcc, v4, v116
	v_addc_co_u32_e32 v117, vcc, v5, v117, vcc
	flat_load_dword v109, v[116:117]
	flat_load_dword v111, v[4:5] offset:172
	s_waitcnt vmcnt(0) lgkmcnt(0)
	flat_store_dword v[4:5], v109 offset:172
	flat_store_dword v[116:117], v111
.LBB100_737:
	s_or_b64 exec, exec, s[14:15]
	v_mov_b32_e32 v109, v108
	v_mov_b32_e32 v111, v108
.LBB100_738:
	s_or_b64 exec, exec, s[2:3]
.LBB100_739:
	s_andn2_saveexec_b64 s[0:1], s[0:1]
	s_cbranch_execz .LBB100_741
; %bb.740:
	v_mov_b32_e32 v116, v14
	v_mov_b32_e32 v117, v15
	;; [unrolled: 1-line block ×4, first 2 shown]
	ds_write2_b64 v110, v[116:117], v[118:119] offset0:44 offset1:45
	v_mov_b32_e32 v116, v10
	v_mov_b32_e32 v117, v11
	;; [unrolled: 1-line block ×4, first 2 shown]
	ds_write2_b64 v110, v[116:117], v[118:119] offset0:46 offset1:47
	v_mov_b32_e32 v116, v6
	v_mov_b32_e32 v117, v7
	;; [unrolled: 1-line block ×5, first 2 shown]
	ds_write2_b64 v110, v[116:117], v[118:119] offset0:48 offset1:49
	ds_write_b64 v110, v[104:105] offset:400
.LBB100_741:
	s_or_b64 exec, exec, s[0:1]
	v_cmp_lt_i32_e32 vcc, 43, v111
	s_waitcnt lgkmcnt(0)
	s_barrier
	s_and_saveexec_b64 s[0:1], vcc
	s_cbranch_execz .LBB100_743
; %bb.742:
	ds_read2_b64 v[116:119], v110 offset0:44 offset1:45
	ds_read2_b64 v[120:123], v110 offset0:46 offset1:47
	v_mul_f64 v[16:17], v[106:107], v[16:17]
	ds_read2_b64 v[124:127], v110 offset0:48 offset1:49
	ds_read_b64 v[106:107], v110 offset:400
	s_waitcnt lgkmcnt(0)
	v_fma_f64 v[14:15], -v[16:17], v[116:117], v[14:15]
	v_fma_f64 v[12:13], -v[16:17], v[118:119], v[12:13]
	;; [unrolled: 1-line block ×7, first 2 shown]
.LBB100_743:
	s_or_b64 exec, exec, s[0:1]
	v_lshl_add_u32 v106, v111, 3, v110
	s_barrier
	ds_write_b64 v106, v[14:15]
	s_waitcnt lgkmcnt(0)
	s_barrier
	ds_read_b64 v[106:107], v110 offset:352
	s_cmp_lt_i32 s18, 46
	v_mov_b32_e32 v108, 44
	s_cbranch_scc1 .LBB100_746
; %bb.744:
	v_add_u32_e32 v115, 0x168, v110
	s_mov_b32 s0, 45
	v_mov_b32_e32 v108, 44
.LBB100_745:                            ; =>This Inner Loop Header: Depth=1
	ds_read_b64 v[116:117], v115
	v_mov_b32_e32 v118, s0
	s_add_i32 s0, s0, 1
	v_add_u32_e32 v115, 8, v115
	s_cmp_lg_u32 s18, s0
	s_waitcnt lgkmcnt(0)
	v_cmp_lt_f64_e64 vcc, |v[106:107]|, |v[116:117]|
	v_cndmask_b32_e32 v107, v107, v117, vcc
	v_cndmask_b32_e32 v106, v106, v116, vcc
	;; [unrolled: 1-line block ×3, first 2 shown]
	s_cbranch_scc1 .LBB100_745
.LBB100_746:
	s_waitcnt lgkmcnt(0)
	v_cmp_eq_f64_e32 vcc, 0, v[106:107]
	s_and_saveexec_b64 s[0:1], vcc
	s_xor_b64 s[0:1], exec, s[0:1]
; %bb.747:
	v_cmp_ne_u32_e32 vcc, 0, v114
	v_cndmask_b32_e32 v114, 45, v114, vcc
; %bb.748:
	s_andn2_saveexec_b64 s[0:1], s[0:1]
; %bb.749:
	v_div_scale_f64 v[116:117], s[2:3], v[106:107], v[106:107], 1.0
	v_rcp_f64_e32 v[118:119], v[116:117]
	v_div_scale_f64 v[120:121], vcc, 1.0, v[106:107], 1.0
	v_fma_f64 v[122:123], -v[116:117], v[118:119], 1.0
	v_fmac_f64_e32 v[118:119], v[118:119], v[122:123]
	v_fma_f64 v[122:123], -v[116:117], v[118:119], 1.0
	v_fmac_f64_e32 v[118:119], v[118:119], v[122:123]
	v_mul_f64 v[122:123], v[120:121], v[118:119]
	v_fma_f64 v[116:117], -v[116:117], v[122:123], v[120:121]
	v_div_fmas_f64 v[116:117], v[116:117], v[118:119], v[122:123]
	v_div_fixup_f64 v[106:107], v[116:117], v[106:107], 1.0
; %bb.750:
	s_or_b64 exec, exec, s[0:1]
	v_cmp_ne_u32_e32 vcc, v111, v108
	s_and_saveexec_b64 s[0:1], vcc
	s_xor_b64 s[0:1], exec, s[0:1]
	s_cbranch_execz .LBB100_756
; %bb.751:
	v_cmp_eq_u32_e32 vcc, 44, v111
	s_and_saveexec_b64 s[2:3], vcc
	s_cbranch_execz .LBB100_755
; %bb.752:
	v_cmp_ne_u32_e32 vcc, 44, v108
	s_xor_b64 s[14:15], s[6:7], -1
	s_and_b64 s[16:17], s[14:15], vcc
	s_and_saveexec_b64 s[14:15], s[16:17]
	s_cbranch_execz .LBB100_754
; %bb.753:
	v_ashrrev_i32_e32 v109, 31, v108
	v_lshlrev_b64 v[116:117], 2, v[108:109]
	v_add_co_u32_e32 v116, vcc, v4, v116
	v_addc_co_u32_e32 v117, vcc, v5, v117, vcc
	flat_load_dword v109, v[116:117]
	flat_load_dword v111, v[4:5] offset:176
	s_waitcnt vmcnt(0) lgkmcnt(0)
	flat_store_dword v[4:5], v109 offset:176
	flat_store_dword v[116:117], v111
.LBB100_754:
	s_or_b64 exec, exec, s[14:15]
	v_mov_b32_e32 v109, v108
	v_mov_b32_e32 v111, v108
.LBB100_755:
	s_or_b64 exec, exec, s[2:3]
.LBB100_756:
	s_andn2_saveexec_b64 s[0:1], s[0:1]
	s_cbranch_execz .LBB100_758
; %bb.757:
	v_mov_b32_e32 v111, 44
	ds_write2_b64 v110, v[12:13], v[10:11] offset0:45 offset1:46
	ds_write2_b64 v110, v[8:9], v[6:7] offset0:47 offset1:48
	;; [unrolled: 1-line block ×3, first 2 shown]
.LBB100_758:
	s_or_b64 exec, exec, s[0:1]
	v_cmp_lt_i32_e32 vcc, 44, v111
	s_waitcnt lgkmcnt(0)
	s_barrier
	s_and_saveexec_b64 s[0:1], vcc
	s_cbranch_execz .LBB100_760
; %bb.759:
	ds_read2_b64 v[116:119], v110 offset0:45 offset1:46
	ds_read2_b64 v[120:123], v110 offset0:47 offset1:48
	;; [unrolled: 1-line block ×3, first 2 shown]
	v_mul_f64 v[14:15], v[106:107], v[14:15]
	s_waitcnt lgkmcnt(0)
	v_fma_f64 v[12:13], -v[14:15], v[116:117], v[12:13]
	v_fma_f64 v[10:11], -v[14:15], v[118:119], v[10:11]
	;; [unrolled: 1-line block ×6, first 2 shown]
.LBB100_760:
	s_or_b64 exec, exec, s[0:1]
	v_lshl_add_u32 v106, v111, 3, v110
	s_barrier
	ds_write_b64 v106, v[12:13]
	s_waitcnt lgkmcnt(0)
	s_barrier
	ds_read_b64 v[106:107], v110 offset:360
	s_cmp_lt_i32 s18, 47
	v_mov_b32_e32 v108, 45
	s_cbranch_scc1 .LBB100_763
; %bb.761:
	v_add_u32_e32 v115, 0x170, v110
	s_mov_b32 s0, 46
	v_mov_b32_e32 v108, 45
.LBB100_762:                            ; =>This Inner Loop Header: Depth=1
	ds_read_b64 v[116:117], v115
	v_mov_b32_e32 v118, s0
	s_add_i32 s0, s0, 1
	v_add_u32_e32 v115, 8, v115
	s_cmp_lg_u32 s18, s0
	s_waitcnt lgkmcnt(0)
	v_cmp_lt_f64_e64 vcc, |v[106:107]|, |v[116:117]|
	v_cndmask_b32_e32 v107, v107, v117, vcc
	v_cndmask_b32_e32 v106, v106, v116, vcc
	;; [unrolled: 1-line block ×3, first 2 shown]
	s_cbranch_scc1 .LBB100_762
.LBB100_763:
	s_waitcnt lgkmcnt(0)
	v_cmp_eq_f64_e32 vcc, 0, v[106:107]
	s_and_saveexec_b64 s[0:1], vcc
	s_xor_b64 s[0:1], exec, s[0:1]
; %bb.764:
	v_cmp_ne_u32_e32 vcc, 0, v114
	v_cndmask_b32_e32 v114, 46, v114, vcc
; %bb.765:
	s_andn2_saveexec_b64 s[0:1], s[0:1]
; %bb.766:
	v_div_scale_f64 v[116:117], s[2:3], v[106:107], v[106:107], 1.0
	v_rcp_f64_e32 v[118:119], v[116:117]
	v_div_scale_f64 v[120:121], vcc, 1.0, v[106:107], 1.0
	v_fma_f64 v[122:123], -v[116:117], v[118:119], 1.0
	v_fmac_f64_e32 v[118:119], v[118:119], v[122:123]
	v_fma_f64 v[122:123], -v[116:117], v[118:119], 1.0
	v_fmac_f64_e32 v[118:119], v[118:119], v[122:123]
	v_mul_f64 v[122:123], v[120:121], v[118:119]
	v_fma_f64 v[116:117], -v[116:117], v[122:123], v[120:121]
	v_div_fmas_f64 v[116:117], v[116:117], v[118:119], v[122:123]
	v_div_fixup_f64 v[106:107], v[116:117], v[106:107], 1.0
; %bb.767:
	s_or_b64 exec, exec, s[0:1]
	v_cmp_ne_u32_e32 vcc, v111, v108
	s_and_saveexec_b64 s[0:1], vcc
	s_xor_b64 s[0:1], exec, s[0:1]
	s_cbranch_execz .LBB100_773
; %bb.768:
	v_cmp_eq_u32_e32 vcc, 45, v111
	s_and_saveexec_b64 s[2:3], vcc
	s_cbranch_execz .LBB100_772
; %bb.769:
	v_cmp_ne_u32_e32 vcc, 45, v108
	s_xor_b64 s[14:15], s[6:7], -1
	s_and_b64 s[16:17], s[14:15], vcc
	s_and_saveexec_b64 s[14:15], s[16:17]
	s_cbranch_execz .LBB100_771
; %bb.770:
	v_ashrrev_i32_e32 v109, 31, v108
	v_lshlrev_b64 v[116:117], 2, v[108:109]
	v_add_co_u32_e32 v116, vcc, v4, v116
	v_addc_co_u32_e32 v117, vcc, v5, v117, vcc
	flat_load_dword v109, v[116:117]
	flat_load_dword v111, v[4:5] offset:180
	s_waitcnt vmcnt(0) lgkmcnt(0)
	flat_store_dword v[4:5], v109 offset:180
	flat_store_dword v[116:117], v111
.LBB100_771:
	s_or_b64 exec, exec, s[14:15]
	v_mov_b32_e32 v109, v108
	v_mov_b32_e32 v111, v108
.LBB100_772:
	s_or_b64 exec, exec, s[2:3]
.LBB100_773:
	s_andn2_saveexec_b64 s[0:1], s[0:1]
	s_cbranch_execz .LBB100_775
; %bb.774:
	v_mov_b32_e32 v116, v10
	v_mov_b32_e32 v117, v11
	;; [unrolled: 1-line block ×4, first 2 shown]
	ds_write2_b64 v110, v[116:117], v[118:119] offset0:46 offset1:47
	v_mov_b32_e32 v116, v6
	v_mov_b32_e32 v117, v7
	;; [unrolled: 1-line block ×5, first 2 shown]
	ds_write2_b64 v110, v[116:117], v[118:119] offset0:48 offset1:49
	ds_write_b64 v110, v[104:105] offset:400
.LBB100_775:
	s_or_b64 exec, exec, s[0:1]
	v_cmp_lt_i32_e32 vcc, 45, v111
	s_waitcnt lgkmcnt(0)
	s_barrier
	s_and_saveexec_b64 s[0:1], vcc
	s_cbranch_execz .LBB100_777
; %bb.776:
	ds_read2_b64 v[116:119], v110 offset0:46 offset1:47
	ds_read2_b64 v[120:123], v110 offset0:48 offset1:49
	v_mul_f64 v[12:13], v[106:107], v[12:13]
	ds_read_b64 v[106:107], v110 offset:400
	s_waitcnt lgkmcnt(0)
	v_fma_f64 v[10:11], -v[12:13], v[116:117], v[10:11]
	v_fma_f64 v[8:9], -v[12:13], v[118:119], v[8:9]
	;; [unrolled: 1-line block ×5, first 2 shown]
.LBB100_777:
	s_or_b64 exec, exec, s[0:1]
	v_lshl_add_u32 v106, v111, 3, v110
	s_barrier
	ds_write_b64 v106, v[10:11]
	s_waitcnt lgkmcnt(0)
	s_barrier
	ds_read_b64 v[106:107], v110 offset:368
	s_cmp_lt_i32 s18, 48
	v_mov_b32_e32 v108, 46
	s_cbranch_scc1 .LBB100_780
; %bb.778:
	v_add_u32_e32 v115, 0x178, v110
	s_mov_b32 s0, 47
	v_mov_b32_e32 v108, 46
.LBB100_779:                            ; =>This Inner Loop Header: Depth=1
	ds_read_b64 v[116:117], v115
	v_mov_b32_e32 v118, s0
	s_add_i32 s0, s0, 1
	v_add_u32_e32 v115, 8, v115
	s_cmp_lg_u32 s18, s0
	s_waitcnt lgkmcnt(0)
	v_cmp_lt_f64_e64 vcc, |v[106:107]|, |v[116:117]|
	v_cndmask_b32_e32 v107, v107, v117, vcc
	v_cndmask_b32_e32 v106, v106, v116, vcc
	;; [unrolled: 1-line block ×3, first 2 shown]
	s_cbranch_scc1 .LBB100_779
.LBB100_780:
	s_waitcnt lgkmcnt(0)
	v_cmp_eq_f64_e32 vcc, 0, v[106:107]
	s_and_saveexec_b64 s[0:1], vcc
	s_xor_b64 s[0:1], exec, s[0:1]
; %bb.781:
	v_cmp_ne_u32_e32 vcc, 0, v114
	v_cndmask_b32_e32 v114, 47, v114, vcc
; %bb.782:
	s_andn2_saveexec_b64 s[0:1], s[0:1]
; %bb.783:
	v_div_scale_f64 v[116:117], s[2:3], v[106:107], v[106:107], 1.0
	v_rcp_f64_e32 v[118:119], v[116:117]
	v_div_scale_f64 v[120:121], vcc, 1.0, v[106:107], 1.0
	v_fma_f64 v[122:123], -v[116:117], v[118:119], 1.0
	v_fmac_f64_e32 v[118:119], v[118:119], v[122:123]
	v_fma_f64 v[122:123], -v[116:117], v[118:119], 1.0
	v_fmac_f64_e32 v[118:119], v[118:119], v[122:123]
	v_mul_f64 v[122:123], v[120:121], v[118:119]
	v_fma_f64 v[116:117], -v[116:117], v[122:123], v[120:121]
	v_div_fmas_f64 v[116:117], v[116:117], v[118:119], v[122:123]
	v_div_fixup_f64 v[106:107], v[116:117], v[106:107], 1.0
; %bb.784:
	s_or_b64 exec, exec, s[0:1]
	v_cmp_ne_u32_e32 vcc, v111, v108
	s_and_saveexec_b64 s[0:1], vcc
	s_xor_b64 s[0:1], exec, s[0:1]
	s_cbranch_execz .LBB100_790
; %bb.785:
	v_cmp_eq_u32_e32 vcc, 46, v111
	s_and_saveexec_b64 s[2:3], vcc
	s_cbranch_execz .LBB100_789
; %bb.786:
	v_cmp_ne_u32_e32 vcc, 46, v108
	s_xor_b64 s[14:15], s[6:7], -1
	s_and_b64 s[16:17], s[14:15], vcc
	s_and_saveexec_b64 s[14:15], s[16:17]
	s_cbranch_execz .LBB100_788
; %bb.787:
	v_ashrrev_i32_e32 v109, 31, v108
	v_lshlrev_b64 v[116:117], 2, v[108:109]
	v_add_co_u32_e32 v116, vcc, v4, v116
	v_addc_co_u32_e32 v117, vcc, v5, v117, vcc
	flat_load_dword v109, v[116:117]
	flat_load_dword v111, v[4:5] offset:184
	s_waitcnt vmcnt(0) lgkmcnt(0)
	flat_store_dword v[4:5], v109 offset:184
	flat_store_dword v[116:117], v111
.LBB100_788:
	s_or_b64 exec, exec, s[14:15]
	v_mov_b32_e32 v109, v108
	v_mov_b32_e32 v111, v108
.LBB100_789:
	s_or_b64 exec, exec, s[2:3]
.LBB100_790:
	s_andn2_saveexec_b64 s[0:1], s[0:1]
	s_cbranch_execz .LBB100_792
; %bb.791:
	v_mov_b32_e32 v111, 46
	ds_write2_b64 v110, v[8:9], v[6:7] offset0:47 offset1:48
	ds_write2_b64 v110, v[0:1], v[104:105] offset0:49 offset1:50
.LBB100_792:
	s_or_b64 exec, exec, s[0:1]
	v_cmp_lt_i32_e32 vcc, 46, v111
	s_waitcnt lgkmcnt(0)
	s_barrier
	s_and_saveexec_b64 s[0:1], vcc
	s_cbranch_execz .LBB100_794
; %bb.793:
	ds_read2_b64 v[116:119], v110 offset0:47 offset1:48
	ds_read2_b64 v[120:123], v110 offset0:49 offset1:50
	v_mul_f64 v[10:11], v[106:107], v[10:11]
	s_waitcnt lgkmcnt(0)
	v_fma_f64 v[8:9], -v[10:11], v[116:117], v[8:9]
	v_fma_f64 v[6:7], -v[10:11], v[118:119], v[6:7]
	;; [unrolled: 1-line block ×4, first 2 shown]
.LBB100_794:
	s_or_b64 exec, exec, s[0:1]
	v_lshl_add_u32 v106, v111, 3, v110
	s_barrier
	ds_write_b64 v106, v[8:9]
	s_waitcnt lgkmcnt(0)
	s_barrier
	ds_read_b64 v[106:107], v110 offset:376
	s_cmp_lt_i32 s18, 49
	v_mov_b32_e32 v108, 47
	s_cbranch_scc1 .LBB100_797
; %bb.795:
	v_add_u32_e32 v115, 0x180, v110
	s_mov_b32 s0, 48
	v_mov_b32_e32 v108, 47
.LBB100_796:                            ; =>This Inner Loop Header: Depth=1
	ds_read_b64 v[116:117], v115
	v_mov_b32_e32 v118, s0
	s_add_i32 s0, s0, 1
	v_add_u32_e32 v115, 8, v115
	s_cmp_lg_u32 s18, s0
	s_waitcnt lgkmcnt(0)
	v_cmp_lt_f64_e64 vcc, |v[106:107]|, |v[116:117]|
	v_cndmask_b32_e32 v107, v107, v117, vcc
	v_cndmask_b32_e32 v106, v106, v116, vcc
	;; [unrolled: 1-line block ×3, first 2 shown]
	s_cbranch_scc1 .LBB100_796
.LBB100_797:
	s_waitcnt lgkmcnt(0)
	v_cmp_eq_f64_e32 vcc, 0, v[106:107]
	s_and_saveexec_b64 s[0:1], vcc
	s_xor_b64 s[0:1], exec, s[0:1]
; %bb.798:
	v_cmp_ne_u32_e32 vcc, 0, v114
	v_cndmask_b32_e32 v114, 48, v114, vcc
; %bb.799:
	s_andn2_saveexec_b64 s[0:1], s[0:1]
; %bb.800:
	v_div_scale_f64 v[116:117], s[2:3], v[106:107], v[106:107], 1.0
	v_rcp_f64_e32 v[118:119], v[116:117]
	v_div_scale_f64 v[120:121], vcc, 1.0, v[106:107], 1.0
	v_fma_f64 v[122:123], -v[116:117], v[118:119], 1.0
	v_fmac_f64_e32 v[118:119], v[118:119], v[122:123]
	v_fma_f64 v[122:123], -v[116:117], v[118:119], 1.0
	v_fmac_f64_e32 v[118:119], v[118:119], v[122:123]
	v_mul_f64 v[122:123], v[120:121], v[118:119]
	v_fma_f64 v[116:117], -v[116:117], v[122:123], v[120:121]
	v_div_fmas_f64 v[116:117], v[116:117], v[118:119], v[122:123]
	v_div_fixup_f64 v[106:107], v[116:117], v[106:107], 1.0
; %bb.801:
	s_or_b64 exec, exec, s[0:1]
	v_cmp_ne_u32_e32 vcc, v111, v108
	s_and_saveexec_b64 s[0:1], vcc
	s_xor_b64 s[0:1], exec, s[0:1]
	s_cbranch_execz .LBB100_807
; %bb.802:
	v_cmp_eq_u32_e32 vcc, 47, v111
	s_and_saveexec_b64 s[2:3], vcc
	s_cbranch_execz .LBB100_806
; %bb.803:
	v_cmp_ne_u32_e32 vcc, 47, v108
	s_xor_b64 s[14:15], s[6:7], -1
	s_and_b64 s[16:17], s[14:15], vcc
	s_and_saveexec_b64 s[14:15], s[16:17]
	s_cbranch_execz .LBB100_805
; %bb.804:
	v_ashrrev_i32_e32 v109, 31, v108
	v_lshlrev_b64 v[116:117], 2, v[108:109]
	v_add_co_u32_e32 v116, vcc, v4, v116
	v_addc_co_u32_e32 v117, vcc, v5, v117, vcc
	flat_load_dword v109, v[116:117]
	flat_load_dword v111, v[4:5] offset:188
	s_waitcnt vmcnt(0) lgkmcnt(0)
	flat_store_dword v[4:5], v109 offset:188
	flat_store_dword v[116:117], v111
.LBB100_805:
	s_or_b64 exec, exec, s[14:15]
	v_mov_b32_e32 v109, v108
	v_mov_b32_e32 v111, v108
.LBB100_806:
	s_or_b64 exec, exec, s[2:3]
.LBB100_807:
	s_andn2_saveexec_b64 s[0:1], s[0:1]
	s_cbranch_execz .LBB100_809
; %bb.808:
	v_mov_b32_e32 v116, v6
	v_mov_b32_e32 v117, v7
	;; [unrolled: 1-line block ×5, first 2 shown]
	ds_write2_b64 v110, v[116:117], v[118:119] offset0:48 offset1:49
	ds_write_b64 v110, v[104:105] offset:400
.LBB100_809:
	s_or_b64 exec, exec, s[0:1]
	v_cmp_lt_i32_e32 vcc, 47, v111
	s_waitcnt lgkmcnt(0)
	s_barrier
	s_and_saveexec_b64 s[0:1], vcc
	s_cbranch_execz .LBB100_811
; %bb.810:
	ds_read2_b64 v[116:119], v110 offset0:48 offset1:49
	ds_read_b64 v[120:121], v110 offset:400
	v_mul_f64 v[8:9], v[106:107], v[8:9]
	s_waitcnt lgkmcnt(0)
	v_fma_f64 v[6:7], -v[8:9], v[116:117], v[6:7]
	v_fma_f64 v[0:1], -v[8:9], v[118:119], v[0:1]
	;; [unrolled: 1-line block ×3, first 2 shown]
.LBB100_811:
	s_or_b64 exec, exec, s[0:1]
	v_lshl_add_u32 v106, v111, 3, v110
	s_barrier
	ds_write_b64 v106, v[6:7]
	s_waitcnt lgkmcnt(0)
	s_barrier
	ds_read_b64 v[106:107], v110 offset:384
	s_cmp_lt_i32 s18, 50
	v_mov_b32_e32 v108, 48
	s_cbranch_scc1 .LBB100_814
; %bb.812:
	v_add_u32_e32 v115, 0x188, v110
	s_mov_b32 s0, 49
	v_mov_b32_e32 v108, 48
.LBB100_813:                            ; =>This Inner Loop Header: Depth=1
	ds_read_b64 v[116:117], v115
	v_mov_b32_e32 v118, s0
	s_add_i32 s0, s0, 1
	v_add_u32_e32 v115, 8, v115
	s_cmp_lg_u32 s18, s0
	s_waitcnt lgkmcnt(0)
	v_cmp_lt_f64_e64 vcc, |v[106:107]|, |v[116:117]|
	v_cndmask_b32_e32 v107, v107, v117, vcc
	v_cndmask_b32_e32 v106, v106, v116, vcc
	v_cndmask_b32_e32 v108, v108, v118, vcc
	s_cbranch_scc1 .LBB100_813
.LBB100_814:
	s_waitcnt lgkmcnt(0)
	v_cmp_eq_f64_e32 vcc, 0, v[106:107]
	s_and_saveexec_b64 s[0:1], vcc
	s_xor_b64 s[0:1], exec, s[0:1]
; %bb.815:
	v_cmp_ne_u32_e32 vcc, 0, v114
	v_cndmask_b32_e32 v114, 49, v114, vcc
; %bb.816:
	s_andn2_saveexec_b64 s[0:1], s[0:1]
; %bb.817:
	v_div_scale_f64 v[116:117], s[2:3], v[106:107], v[106:107], 1.0
	v_rcp_f64_e32 v[118:119], v[116:117]
	v_div_scale_f64 v[120:121], vcc, 1.0, v[106:107], 1.0
	v_fma_f64 v[122:123], -v[116:117], v[118:119], 1.0
	v_fmac_f64_e32 v[118:119], v[118:119], v[122:123]
	v_fma_f64 v[122:123], -v[116:117], v[118:119], 1.0
	v_fmac_f64_e32 v[118:119], v[118:119], v[122:123]
	v_mul_f64 v[122:123], v[120:121], v[118:119]
	v_fma_f64 v[116:117], -v[116:117], v[122:123], v[120:121]
	v_div_fmas_f64 v[116:117], v[116:117], v[118:119], v[122:123]
	v_div_fixup_f64 v[106:107], v[116:117], v[106:107], 1.0
; %bb.818:
	s_or_b64 exec, exec, s[0:1]
	v_cmp_ne_u32_e32 vcc, v111, v108
	s_and_saveexec_b64 s[0:1], vcc
	s_xor_b64 s[0:1], exec, s[0:1]
	s_cbranch_execz .LBB100_824
; %bb.819:
	v_cmp_eq_u32_e32 vcc, 48, v111
	s_and_saveexec_b64 s[2:3], vcc
	s_cbranch_execz .LBB100_823
; %bb.820:
	v_cmp_ne_u32_e32 vcc, 48, v108
	s_xor_b64 s[14:15], s[6:7], -1
	s_and_b64 s[16:17], s[14:15], vcc
	s_and_saveexec_b64 s[14:15], s[16:17]
	s_cbranch_execz .LBB100_822
; %bb.821:
	v_ashrrev_i32_e32 v109, 31, v108
	v_lshlrev_b64 v[116:117], 2, v[108:109]
	v_add_co_u32_e32 v116, vcc, v4, v116
	v_addc_co_u32_e32 v117, vcc, v5, v117, vcc
	flat_load_dword v109, v[116:117]
	flat_load_dword v111, v[4:5] offset:192
	s_waitcnt vmcnt(0) lgkmcnt(0)
	flat_store_dword v[4:5], v109 offset:192
	flat_store_dword v[116:117], v111
.LBB100_822:
	s_or_b64 exec, exec, s[14:15]
	v_mov_b32_e32 v109, v108
	v_mov_b32_e32 v111, v108
.LBB100_823:
	s_or_b64 exec, exec, s[2:3]
.LBB100_824:
	s_andn2_saveexec_b64 s[0:1], s[0:1]
	s_cbranch_execz .LBB100_826
; %bb.825:
	v_mov_b32_e32 v111, 48
	ds_write2_b64 v110, v[0:1], v[104:105] offset0:49 offset1:50
.LBB100_826:
	s_or_b64 exec, exec, s[0:1]
	v_cmp_lt_i32_e32 vcc, 48, v111
	s_waitcnt lgkmcnt(0)
	s_barrier
	s_and_saveexec_b64 s[0:1], vcc
	s_cbranch_execz .LBB100_828
; %bb.827:
	ds_read2_b64 v[116:119], v110 offset0:49 offset1:50
	v_mul_f64 v[6:7], v[106:107], v[6:7]
	s_waitcnt lgkmcnt(0)
	v_fma_f64 v[0:1], -v[6:7], v[116:117], v[0:1]
	v_fma_f64 v[104:105], -v[6:7], v[118:119], v[104:105]
.LBB100_828:
	s_or_b64 exec, exec, s[0:1]
	v_lshl_add_u32 v106, v111, 3, v110
	s_barrier
	ds_write_b64 v106, v[0:1]
	s_waitcnt lgkmcnt(0)
	s_barrier
	ds_read_b64 v[106:107], v110 offset:392
	s_cmp_lt_i32 s18, 51
	v_mov_b32_e32 v108, 49
	s_cbranch_scc1 .LBB100_831
; %bb.829:
	v_add_u32_e32 v115, 0x190, v110
	s_mov_b32 s0, 50
	v_mov_b32_e32 v108, 49
.LBB100_830:                            ; =>This Inner Loop Header: Depth=1
	ds_read_b64 v[116:117], v115
	v_mov_b32_e32 v118, s0
	s_add_i32 s0, s0, 1
	v_add_u32_e32 v115, 8, v115
	s_cmp_lg_u32 s18, s0
	s_waitcnt lgkmcnt(0)
	v_cmp_lt_f64_e64 vcc, |v[106:107]|, |v[116:117]|
	v_cndmask_b32_e32 v107, v107, v117, vcc
	v_cndmask_b32_e32 v106, v106, v116, vcc
	;; [unrolled: 1-line block ×3, first 2 shown]
	s_cbranch_scc1 .LBB100_830
.LBB100_831:
	s_waitcnt lgkmcnt(0)
	v_cmp_eq_f64_e32 vcc, 0, v[106:107]
	s_and_saveexec_b64 s[0:1], vcc
	s_xor_b64 s[0:1], exec, s[0:1]
; %bb.832:
	v_cmp_ne_u32_e32 vcc, 0, v114
	v_cndmask_b32_e32 v114, 50, v114, vcc
; %bb.833:
	s_andn2_saveexec_b64 s[0:1], s[0:1]
; %bb.834:
	v_div_scale_f64 v[116:117], s[2:3], v[106:107], v[106:107], 1.0
	v_rcp_f64_e32 v[118:119], v[116:117]
	v_div_scale_f64 v[120:121], vcc, 1.0, v[106:107], 1.0
	v_fma_f64 v[122:123], -v[116:117], v[118:119], 1.0
	v_fmac_f64_e32 v[118:119], v[118:119], v[122:123]
	v_fma_f64 v[122:123], -v[116:117], v[118:119], 1.0
	v_fmac_f64_e32 v[118:119], v[118:119], v[122:123]
	v_mul_f64 v[122:123], v[120:121], v[118:119]
	v_fma_f64 v[116:117], -v[116:117], v[122:123], v[120:121]
	v_div_fmas_f64 v[116:117], v[116:117], v[118:119], v[122:123]
	v_div_fixup_f64 v[106:107], v[116:117], v[106:107], 1.0
; %bb.835:
	s_or_b64 exec, exec, s[0:1]
	v_cmp_ne_u32_e32 vcc, v111, v108
	s_and_saveexec_b64 s[0:1], vcc
	s_xor_b64 s[0:1], exec, s[0:1]
	s_cbranch_execz .LBB100_841
; %bb.836:
	v_cmp_eq_u32_e32 vcc, 49, v111
	s_and_saveexec_b64 s[2:3], vcc
	s_cbranch_execz .LBB100_840
; %bb.837:
	v_cmp_ne_u32_e32 vcc, 49, v108
	s_xor_b64 s[14:15], s[6:7], -1
	s_and_b64 s[16:17], s[14:15], vcc
	s_and_saveexec_b64 s[14:15], s[16:17]
	s_cbranch_execz .LBB100_839
; %bb.838:
	v_ashrrev_i32_e32 v109, 31, v108
	v_lshlrev_b64 v[116:117], 2, v[108:109]
	v_add_co_u32_e32 v116, vcc, v4, v116
	v_addc_co_u32_e32 v117, vcc, v5, v117, vcc
	flat_load_dword v109, v[116:117]
	flat_load_dword v111, v[4:5] offset:196
	s_waitcnt vmcnt(0) lgkmcnt(0)
	flat_store_dword v[4:5], v109 offset:196
	flat_store_dword v[116:117], v111
.LBB100_839:
	s_or_b64 exec, exec, s[14:15]
	v_mov_b32_e32 v109, v108
	v_mov_b32_e32 v111, v108
.LBB100_840:
	s_or_b64 exec, exec, s[2:3]
.LBB100_841:
	s_andn2_saveexec_b64 s[0:1], s[0:1]
	s_cbranch_execz .LBB100_843
; %bb.842:
	v_mov_b32_e32 v111, 49
	ds_write_b64 v110, v[104:105] offset:400
.LBB100_843:
	s_or_b64 exec, exec, s[0:1]
	v_cmp_lt_i32_e32 vcc, 49, v111
	s_waitcnt lgkmcnt(0)
	s_barrier
	s_and_saveexec_b64 s[0:1], vcc
	s_cbranch_execz .LBB100_845
; %bb.844:
	ds_read_b64 v[116:117], v110 offset:400
	v_mul_f64 v[0:1], v[106:107], v[0:1]
	s_waitcnt lgkmcnt(0)
	v_fma_f64 v[104:105], -v[0:1], v[116:117], v[104:105]
.LBB100_845:
	s_or_b64 exec, exec, s[0:1]
	v_lshl_add_u32 v106, v111, 3, v110
	s_barrier
	ds_write_b64 v106, v[104:105]
	s_waitcnt lgkmcnt(0)
	s_barrier
	ds_read_b64 v[106:107], v110 offset:400
	s_cmp_lt_i32 s18, 52
	v_mov_b32_e32 v108, 50
	s_cbranch_scc1 .LBB100_848
; %bb.846:
	v_add_u32_e32 v110, 0x198, v110
	s_mov_b32 s0, 51
	v_mov_b32_e32 v108, 50
.LBB100_847:                            ; =>This Inner Loop Header: Depth=1
	ds_read_b64 v[116:117], v110
	v_mov_b32_e32 v115, s0
	s_add_i32 s0, s0, 1
	v_add_u32_e32 v110, 8, v110
	s_cmp_lg_u32 s18, s0
	s_waitcnt lgkmcnt(0)
	v_cmp_lt_f64_e64 vcc, |v[106:107]|, |v[116:117]|
	v_cndmask_b32_e32 v107, v107, v117, vcc
	v_cndmask_b32_e32 v106, v106, v116, vcc
	;; [unrolled: 1-line block ×3, first 2 shown]
	s_cbranch_scc1 .LBB100_847
.LBB100_848:
	s_waitcnt lgkmcnt(0)
	v_cmp_eq_f64_e32 vcc, 0, v[106:107]
	s_and_saveexec_b64 s[0:1], vcc
	s_xor_b64 s[0:1], exec, s[0:1]
; %bb.849:
	v_cmp_ne_u32_e32 vcc, 0, v114
	v_cndmask_b32_e32 v114, 51, v114, vcc
; %bb.850:
	s_andn2_saveexec_b64 s[0:1], s[0:1]
; %bb.851:
	v_div_scale_f64 v[116:117], s[2:3], v[106:107], v[106:107], 1.0
	v_rcp_f64_e32 v[118:119], v[116:117]
	v_div_scale_f64 v[120:121], vcc, 1.0, v[106:107], 1.0
	v_fma_f64 v[122:123], -v[116:117], v[118:119], 1.0
	v_fmac_f64_e32 v[118:119], v[118:119], v[122:123]
	v_fma_f64 v[122:123], -v[116:117], v[118:119], 1.0
	v_fmac_f64_e32 v[118:119], v[118:119], v[122:123]
	v_mul_f64 v[122:123], v[120:121], v[118:119]
	v_fma_f64 v[116:117], -v[116:117], v[122:123], v[120:121]
	v_div_fmas_f64 v[116:117], v[116:117], v[118:119], v[122:123]
	v_div_fixup_f64 v[106:107], v[116:117], v[106:107], 1.0
; %bb.852:
	s_or_b64 exec, exec, s[0:1]
	v_cmp_ne_u32_e32 vcc, v111, v108
	v_mov_b32_e32 v110, 50
	s_and_saveexec_b64 s[0:1], vcc
	s_cbranch_execz .LBB100_858
; %bb.853:
	v_cmp_eq_u32_e32 vcc, 50, v111
	s_and_saveexec_b64 s[2:3], vcc
	s_cbranch_execz .LBB100_857
; %bb.854:
	v_cmp_ne_u32_e32 vcc, 50, v108
	s_xor_b64 s[6:7], s[6:7], -1
	s_and_b64 s[14:15], s[6:7], vcc
	s_and_saveexec_b64 s[6:7], s[14:15]
	s_cbranch_execz .LBB100_856
; %bb.855:
	v_ashrrev_i32_e32 v109, 31, v108
	v_lshlrev_b64 v[110:111], 2, v[108:109]
	v_add_co_u32_e32 v110, vcc, v4, v110
	v_addc_co_u32_e32 v111, vcc, v5, v111, vcc
	flat_load_dword v109, v[110:111]
	flat_load_dword v115, v[4:5] offset:200
	s_waitcnt vmcnt(0) lgkmcnt(0)
	flat_store_dword v[4:5], v109 offset:200
	flat_store_dword v[110:111], v115
.LBB100_856:
	s_or_b64 exec, exec, s[6:7]
	v_mov_b32_e32 v109, v108
	v_mov_b32_e32 v111, v108
.LBB100_857:
	s_or_b64 exec, exec, s[2:3]
	v_mov_b32_e32 v110, v111
.LBB100_858:
	s_or_b64 exec, exec, s[0:1]
	s_load_dwordx8 s[0:7], s[4:5], 0x28
	v_cmp_gt_i32_e32 vcc, 51, v110
	v_ashrrev_i32_e32 v111, 31, v110
	s_waitcnt lgkmcnt(0)
	s_barrier
	s_barrier
	s_and_saveexec_b64 s[14:15], vcc
	s_cbranch_execz .LBB100_860
; %bb.859:
	v_mul_lo_u32 v108, v3, s4
	v_mul_lo_u32 v115, v2, s5
	v_mad_u64_u32 v[4:5], s[4:5], v2, s4, 0
	s_lshl_b64 s[2:3], s[2:3], 2
	v_add3_u32 v5, v5, v115, v108
	s_add_u32 s0, s2, s0
	v_lshlrev_b64 v[4:5], 2, v[4:5]
	s_addc_u32 s1, s3, s1
	v_mov_b32_e32 v108, s1
	v_add_co_u32_e32 v115, vcc, s0, v4
	v_addc_co_u32_e32 v108, vcc, v108, v5, vcc
	v_lshlrev_b64 v[4:5], 2, v[110:111]
	v_add_co_u32_e32 v4, vcc, v115, v4
	v_addc_co_u32_e32 v5, vcc, v108, v5, vcc
	v_add3_u32 v108, v109, s13, 1
	global_store_dword v[4:5], v108, off
.LBB100_860:
	s_or_b64 exec, exec, s[14:15]
	v_cmp_eq_u32_e32 vcc, 0, v110
	s_and_saveexec_b64 s[2:3], vcc
	s_cbranch_execz .LBB100_863
; %bb.861:
	v_lshlrev_b64 v[2:3], 2, v[2:3]
	v_mov_b32_e32 v4, s7
	v_add_co_u32_e32 v2, vcc, s6, v2
	v_addc_co_u32_e32 v3, vcc, v4, v3, vcc
	global_load_dword v4, v[2:3], off
	v_cmp_lt_i32_e64 s[0:1], 0, v114
	s_waitcnt vmcnt(0)
	v_cmp_eq_u32_e32 vcc, 0, v4
	s_and_b64 s[0:1], vcc, s[0:1]
	s_and_b64 exec, exec, s[0:1]
	s_cbranch_execz .LBB100_863
; %bb.862:
	v_add_u32_e32 v4, s13, v114
	global_store_dword v[2:3], v4, off
.LBB100_863:
	s_or_b64 exec, exec, s[2:3]
	v_mul_f64 v[2:3], v[106:107], v[104:105]
	v_cmp_lt_i32_e32 vcc, 50, v110
	v_lshlrev_b64 v[4:5], 3, v[110:111]
	v_cndmask_b32_e32 v3, v105, v3, vcc
	v_cndmask_b32_e32 v2, v104, v2, vcc
	v_add_co_u32_e32 v4, vcc, v112, v4
	v_addc_co_u32_e32 v5, vcc, v113, v5, vcc
	global_store_dwordx2 v[4:5], v[100:101], off
	v_mov_b32_e32 v100, s11
	v_add_co_u32_e32 v4, vcc, s10, v4
	v_addc_co_u32_e32 v5, vcc, v5, v100, vcc
	global_store_dwordx2 v[4:5], v[102:103], off
	v_add_u32_e32 v4, s12, v110
	v_ashrrev_i32_e32 v5, 31, v4
	v_lshlrev_b64 v[100:101], 3, v[4:5]
	v_add_co_u32_e32 v100, vcc, v112, v100
	v_add_u32_e32 v4, s8, v4
	v_addc_co_u32_e32 v101, vcc, v113, v101, vcc
	v_ashrrev_i32_e32 v5, 31, v4
	global_store_dwordx2 v[100:101], v[98:99], off
	v_lshlrev_b64 v[98:99], 3, v[4:5]
	v_add_co_u32_e32 v98, vcc, v112, v98
	v_add_u32_e32 v4, s8, v4
	v_addc_co_u32_e32 v99, vcc, v113, v99, vcc
	v_ashrrev_i32_e32 v5, 31, v4
	global_store_dwordx2 v[98:99], v[96:97], off
	;; [unrolled: 6-line block ×47, first 2 shown]
	v_lshlrev_b64 v[6:7], 3, v[4:5]
	v_add_co_u32_e32 v6, vcc, v112, v6
	v_addc_co_u32_e32 v7, vcc, v113, v7, vcc
	global_store_dwordx2 v[6:7], v[0:1], off
	v_add_u32_e32 v0, s8, v4
	v_ashrrev_i32_e32 v1, 31, v0
	v_lshlrev_b64 v[0:1], 3, v[0:1]
	v_add_co_u32_e32 v0, vcc, v112, v0
	v_addc_co_u32_e32 v1, vcc, v113, v1, vcc
	global_store_dwordx2 v[0:1], v[2:3], off
.LBB100_864:
	s_endpgm
	.section	.rodata,"a",@progbits
	.p2align	6, 0x0
	.amdhsa_kernel _ZN9rocsolver6v33100L18getf2_small_kernelILi51EdiiPKPdEEvT1_T3_lS5_lPS5_llPT2_S5_S5_S7_l
		.amdhsa_group_segment_fixed_size 0
		.amdhsa_private_segment_fixed_size 0
		.amdhsa_kernarg_size 352
		.amdhsa_user_sgpr_count 6
		.amdhsa_user_sgpr_private_segment_buffer 1
		.amdhsa_user_sgpr_dispatch_ptr 0
		.amdhsa_user_sgpr_queue_ptr 0
		.amdhsa_user_sgpr_kernarg_segment_ptr 1
		.amdhsa_user_sgpr_dispatch_id 0
		.amdhsa_user_sgpr_flat_scratch_init 0
		.amdhsa_user_sgpr_kernarg_preload_length 0
		.amdhsa_user_sgpr_kernarg_preload_offset 0
		.amdhsa_user_sgpr_private_segment_size 0
		.amdhsa_uses_dynamic_stack 0
		.amdhsa_system_sgpr_private_segment_wavefront_offset 0
		.amdhsa_system_sgpr_workgroup_id_x 1
		.amdhsa_system_sgpr_workgroup_id_y 1
		.amdhsa_system_sgpr_workgroup_id_z 0
		.amdhsa_system_sgpr_workgroup_info 0
		.amdhsa_system_vgpr_workitem_id 1
		.amdhsa_next_free_vgpr 164
		.amdhsa_next_free_sgpr 22
		.amdhsa_accum_offset 164
		.amdhsa_reserve_vcc 1
		.amdhsa_reserve_flat_scratch 0
		.amdhsa_float_round_mode_32 0
		.amdhsa_float_round_mode_16_64 0
		.amdhsa_float_denorm_mode_32 3
		.amdhsa_float_denorm_mode_16_64 3
		.amdhsa_dx10_clamp 1
		.amdhsa_ieee_mode 1
		.amdhsa_fp16_overflow 0
		.amdhsa_tg_split 0
		.amdhsa_exception_fp_ieee_invalid_op 0
		.amdhsa_exception_fp_denorm_src 0
		.amdhsa_exception_fp_ieee_div_zero 0
		.amdhsa_exception_fp_ieee_overflow 0
		.amdhsa_exception_fp_ieee_underflow 0
		.amdhsa_exception_fp_ieee_inexact 0
		.amdhsa_exception_int_div_zero 0
	.end_amdhsa_kernel
	.section	.text._ZN9rocsolver6v33100L18getf2_small_kernelILi51EdiiPKPdEEvT1_T3_lS5_lPS5_llPT2_S5_S5_S7_l,"axG",@progbits,_ZN9rocsolver6v33100L18getf2_small_kernelILi51EdiiPKPdEEvT1_T3_lS5_lPS5_llPT2_S5_S5_S7_l,comdat
.Lfunc_end100:
	.size	_ZN9rocsolver6v33100L18getf2_small_kernelILi51EdiiPKPdEEvT1_T3_lS5_lPS5_llPT2_S5_S5_S7_l, .Lfunc_end100-_ZN9rocsolver6v33100L18getf2_small_kernelILi51EdiiPKPdEEvT1_T3_lS5_lPS5_llPT2_S5_S5_S7_l
                                        ; -- End function
	.section	.AMDGPU.csdata,"",@progbits
; Kernel info:
; codeLenInByte = 50068
; NumSgprs: 26
; NumVgprs: 164
; NumAgprs: 0
; TotalNumVgprs: 164
; ScratchSize: 0
; MemoryBound: 0
; FloatMode: 240
; IeeeMode: 1
; LDSByteSize: 0 bytes/workgroup (compile time only)
; SGPRBlocks: 3
; VGPRBlocks: 20
; NumSGPRsForWavesPerEU: 26
; NumVGPRsForWavesPerEU: 164
; AccumOffset: 164
; Occupancy: 3
; WaveLimiterHint : 1
; COMPUTE_PGM_RSRC2:SCRATCH_EN: 0
; COMPUTE_PGM_RSRC2:USER_SGPR: 6
; COMPUTE_PGM_RSRC2:TRAP_HANDLER: 0
; COMPUTE_PGM_RSRC2:TGID_X_EN: 1
; COMPUTE_PGM_RSRC2:TGID_Y_EN: 1
; COMPUTE_PGM_RSRC2:TGID_Z_EN: 0
; COMPUTE_PGM_RSRC2:TIDIG_COMP_CNT: 1
; COMPUTE_PGM_RSRC3_GFX90A:ACCUM_OFFSET: 40
; COMPUTE_PGM_RSRC3_GFX90A:TG_SPLIT: 0
	.section	.text._ZN9rocsolver6v33100L23getf2_npvt_small_kernelILi51EdiiPKPdEEvT1_T3_lS5_lPT2_S5_S5_,"axG",@progbits,_ZN9rocsolver6v33100L23getf2_npvt_small_kernelILi51EdiiPKPdEEvT1_T3_lS5_lPT2_S5_S5_,comdat
	.globl	_ZN9rocsolver6v33100L23getf2_npvt_small_kernelILi51EdiiPKPdEEvT1_T3_lS5_lPT2_S5_S5_ ; -- Begin function _ZN9rocsolver6v33100L23getf2_npvt_small_kernelILi51EdiiPKPdEEvT1_T3_lS5_lPT2_S5_S5_
	.p2align	8
	.type	_ZN9rocsolver6v33100L23getf2_npvt_small_kernelILi51EdiiPKPdEEvT1_T3_lS5_lPT2_S5_S5_,@function
_ZN9rocsolver6v33100L23getf2_npvt_small_kernelILi51EdiiPKPdEEvT1_T3_lS5_lPT2_S5_S5_: ; @_ZN9rocsolver6v33100L23getf2_npvt_small_kernelILi51EdiiPKPdEEvT1_T3_lS5_lPT2_S5_S5_
; %bb.0:
	s_mov_b64 s[18:19], s[2:3]
	s_mov_b64 s[16:17], s[0:1]
	s_add_u32 s16, s16, s8
	s_load_dword s0, s[4:5], 0x44
	s_load_dwordx2 s[8:9], s[4:5], 0x30
	s_addc_u32 s17, s17, 0
	v_bfe_u32 v1, v0, 10, 10
	s_waitcnt lgkmcnt(0)
	s_lshr_b32 s6, s0, 16
	s_mul_i32 s7, s7, s6
	v_add_u32_e32 v2, s7, v1
	v_cmp_gt_i32_e32 vcc, s8, v2
	s_and_saveexec_b64 s[0:1], vcc
	s_cbranch_execz .LBB101_258
; %bb.1:
	v_ashrrev_i32_e32 v3, 31, v2
	s_load_dwordx4 s[12:15], s[4:5], 0x8
	s_load_dword s0, s[4:5], 0x18
	buffer_store_dword v2, off, s[16:19], 0 offset:240 ; 4-byte Folded Spill
	s_nop 0
	buffer_store_dword v3, off, s[16:19], 0 offset:244 ; 4-byte Folded Spill
	v_and_b32_e32 v8, 0x3ff, v0
	s_mulk_i32 s6, 0x198
	s_waitcnt lgkmcnt(0)
	v_mov_b32_e32 v4, s13
	s_add_i32 s1, s0, s0
	s_lshl_b64 s[2:3], s[14:15], 3
	v_mov_b32_e32 v0, s3
	v_lshlrev_b64 v[2:3], 3, v[2:3]
	v_add_co_u32_e32 v2, vcc, s12, v2
	v_addc_co_u32_e32 v3, vcc, v4, v3, vcc
	global_load_dwordx2 v[2:3], v[2:3], off
	v_add_u32_e32 v4, s1, v8
	v_ashrrev_i32_e32 v5, 31, v4
	v_add_u32_e32 v6, s0, v4
	v_lshlrev_b64 v[4:5], 3, v[4:5]
	v_ashrrev_i32_e32 v7, 31, v6
	v_add_u32_e32 v10, s0, v6
	v_lshlrev_b64 v[6:7], 3, v[6:7]
	;; [unrolled: 3-line block ×10, first 2 shown]
	v_ashrrev_i32_e32 v27, 31, v26
	s_ashr_i32 s1, s0, 31
	s_waitcnt vmcnt(0)
	v_add_co_u32_e32 v9, vcc, s2, v2
	v_addc_co_u32_e32 v0, vcc, v3, v0, vcc
	v_add_co_u32_e32 v106, vcc, v9, v4
	v_addc_co_u32_e32 v107, vcc, v0, v5, vcc
	v_add_co_u32_e32 v6, vcc, v9, v6
	v_addc_co_u32_e32 v7, vcc, v0, v7, vcc
	v_add_co_u32_e32 v10, vcc, v9, v10
	v_addc_co_u32_e32 v11, vcc, v0, v11, vcc
	v_add_co_u32_e32 v12, vcc, v9, v12
	v_addc_co_u32_e32 v13, vcc, v0, v13, vcc
	v_add_co_u32_e32 v14, vcc, v9, v14
	v_addc_co_u32_e32 v15, vcc, v0, v15, vcc
	v_add_co_u32_e32 v16, vcc, v9, v16
	v_addc_co_u32_e32 v17, vcc, v0, v17, vcc
	v_add_co_u32_e32 v108, vcc, v9, v18
	v_addc_co_u32_e32 v109, vcc, v0, v19, vcc
	v_add_co_u32_e32 v110, vcc, v9, v20
	v_addc_co_u32_e32 v111, vcc, v0, v21, vcc
	v_add_co_u32_e32 v18, vcc, v9, v22
	v_addc_co_u32_e32 v19, vcc, v0, v23, vcc
	v_add_co_u32_e32 v20, vcc, v9, v24
	v_addc_co_u32_e32 v21, vcc, v0, v25, vcc
	v_lshlrev_b64 v[2:3], 3, v[26:27]
	v_add_co_u32_e32 v22, vcc, v9, v2
	v_add_u32_e32 v2, s0, v26
	v_addc_co_u32_e32 v23, vcc, v0, v3, vcc
	v_ashrrev_i32_e32 v3, 31, v2
	v_lshlrev_b64 v[4:5], 3, v[2:3]
	v_add_u32_e32 v2, s0, v2
	v_add_co_u32_e32 v24, vcc, v9, v4
	v_ashrrev_i32_e32 v3, 31, v2
	v_addc_co_u32_e32 v25, vcc, v0, v5, vcc
	v_lshlrev_b64 v[4:5], 3, v[2:3]
	v_add_u32_e32 v2, s0, v2
	v_add_co_u32_e32 v26, vcc, v9, v4
	v_ashrrev_i32_e32 v3, 31, v2
	v_addc_co_u32_e32 v27, vcc, v0, v5, vcc
	;; [unrolled: 5-line block ×37, first 2 shown]
	v_lshlrev_b64 v[2:3], 3, v[2:3]
	v_add_co_u32_e32 v98, vcc, v9, v2
	v_addc_co_u32_e32 v99, vcc, v0, v3, vcc
	v_lshlrev_b32_e32 v2, 3, v8
	v_add_co_u32_e32 v100, vcc, v9, v2
	v_addc_co_u32_e32 v101, vcc, 0, v0, vcc
	s_lshl_b64 s[0:1], s[0:1], 3
	v_mov_b32_e32 v0, s1
	v_add_co_u32_e32 v102, vcc, s0, v100
	v_addc_co_u32_e32 v103, vcc, v101, v0, vcc
	global_load_dwordx2 v[104:105], v[100:101], off
	global_load_dwordx2 v[154:155], v[102:103], off
	s_nop 0
	buffer_store_dword v106, off, s[16:19], 0 ; 4-byte Folded Spill
	s_nop 0
	buffer_store_dword v107, off, s[16:19], 0 offset:4 ; 4-byte Folded Spill
	s_movk_i32 s0, 0x198
	s_add_i32 s1, s6, 0
	v_cmp_ne_u32_e64 s[2:3], 0, v8
	global_load_dwordx2 v[202:203], v[106:107], off
	s_nop 0
	buffer_store_dword v6, off, s[16:19], 0 offset:8 ; 4-byte Folded Spill
	s_nop 0
	buffer_store_dword v7, off, s[16:19], 0 offset:12 ; 4-byte Folded Spill
	global_load_dwordx2 v[152:153], v[6:7], off
	s_nop 0
	buffer_store_dword v10, off, s[16:19], 0 offset:16 ; 4-byte Folded Spill
	s_nop 0
	buffer_store_dword v11, off, s[16:19], 0 offset:20 ; 4-byte Folded Spill
	v_mad_u32_u24 v7, v1, s0, 0
	v_lshl_add_u32 v6, v1, 3, s1
	v_cmp_eq_u32_e64 s[0:1], 0, v8
	global_load_dwordx2 v[200:201], v[10:11], off
	s_nop 0
	buffer_store_dword v12, off, s[16:19], 0 offset:24 ; 4-byte Folded Spill
	s_nop 0
	buffer_store_dword v13, off, s[16:19], 0 offset:28 ; 4-byte Folded Spill
	global_load_dwordx2 v[150:151], v[12:13], off
	s_nop 0
	buffer_store_dword v14, off, s[16:19], 0 offset:32 ; 4-byte Folded Spill
	s_nop 0
	buffer_store_dword v15, off, s[16:19], 0 offset:36 ; 4-byte Folded Spill
	;; [unrolled: 5-line block ×5, first 2 shown]
	global_load_dwordx2 v[146:147], v[110:111], off
	global_load_dwordx2 v[194:195], v[18:19], off
	;; [unrolled: 1-line block ×42, first 2 shown]
	s_and_saveexec_b64 s[6:7], s[0:1]
	s_cbranch_execz .LBB101_4
; %bb.2:
	s_waitcnt vmcnt(62)
	ds_write_b64 v6, v[104:105]
	ds_write2_b64 v7, v[154:155], v[202:203] offset0:1 offset1:2
	s_waitcnt vmcnt(56)
	ds_write2_b64 v7, v[152:153], v[200:201] offset0:3 offset1:4
	s_waitcnt vmcnt(50)
	;; [unrolled: 2-line block ×24, first 2 shown]
	ds_write2_b64 v7, v[106:107], v[204:205] offset0:49 offset1:50
	ds_read_b64 v[0:1], v6
	s_waitcnt lgkmcnt(0)
	v_cmp_neq_f64_e32 vcc, 0, v[0:1]
	s_and_b64 exec, exec, vcc
	s_cbranch_execz .LBB101_4
; %bb.3:
	v_div_scale_f64 v[2:3], s[10:11], v[0:1], v[0:1], 1.0
	v_rcp_f64_e32 v[4:5], v[2:3]
	v_div_scale_f64 v[10:11], vcc, 1.0, v[0:1], 1.0
	v_fma_f64 v[12:13], -v[2:3], v[4:5], 1.0
	v_fmac_f64_e32 v[4:5], v[4:5], v[12:13]
	v_fma_f64 v[12:13], -v[2:3], v[4:5], 1.0
	v_fmac_f64_e32 v[4:5], v[4:5], v[12:13]
	v_mul_f64 v[12:13], v[10:11], v[4:5]
	v_fma_f64 v[2:3], -v[2:3], v[12:13], v[10:11]
	v_div_fmas_f64 v[2:3], v[2:3], v[4:5], v[12:13]
	v_div_fixup_f64 v[0:1], v[2:3], v[0:1], 1.0
	ds_write_b64 v6, v[0:1]
.LBB101_4:
	s_or_b64 exec, exec, s[6:7]
	s_waitcnt lgkmcnt(0)
	s_barrier
	ds_read_b64 v[16:17], v6
	s_and_saveexec_b64 s[6:7], s[2:3]
	s_cbranch_execz .LBB101_6
; %bb.5:
	ds_read2_b64 v[0:3], v7 offset0:1 offset1:2
	ds_read2_b64 v[206:209], v7 offset0:3 offset1:4
	s_waitcnt lgkmcnt(2)
	v_mul_f64 v[104:105], v[16:17], v[104:105]
	ds_read2_b64 v[210:213], v7 offset0:5 offset1:6
	s_waitcnt lgkmcnt(2)
	v_fma_f64 v[154:155], -v[104:105], v[0:1], v[154:155]
	s_waitcnt vmcnt(62)
	v_fma_f64 v[202:203], -v[104:105], v[2:3], v[202:203]
	ds_read2_b64 v[0:3], v7 offset0:7 offset1:8
	s_waitcnt vmcnt(59) lgkmcnt(2)
	v_fma_f64 v[152:153], -v[104:105], v[206:207], v[152:153]
	s_waitcnt vmcnt(56)
	v_fma_f64 v[200:201], -v[104:105], v[208:209], v[200:201]
	s_waitcnt vmcnt(53) lgkmcnt(1)
	v_fma_f64 v[150:151], -v[104:105], v[210:211], v[150:151]
	ds_read2_b64 v[206:209], v7 offset0:9 offset1:10
	s_waitcnt vmcnt(50)
	v_fma_f64 v[198:199], -v[104:105], v[212:213], v[198:199]
	ds_read2_b64 v[210:213], v7 offset0:11 offset1:12
	s_waitcnt vmcnt(47) lgkmcnt(2)
	v_fma_f64 v[148:149], -v[104:105], v[0:1], v[148:149]
	s_waitcnt vmcnt(44)
	v_fma_f64 v[196:197], -v[104:105], v[2:3], v[196:197]
	ds_read2_b64 v[0:3], v7 offset0:13 offset1:14
	s_waitcnt vmcnt(41) lgkmcnt(2)
	v_fma_f64 v[146:147], -v[104:105], v[206:207], v[146:147]
	s_waitcnt vmcnt(40)
	v_fma_f64 v[194:195], -v[104:105], v[208:209], v[194:195]
	ds_read2_b64 v[206:209], v7 offset0:15 offset1:16
	s_waitcnt vmcnt(39) lgkmcnt(2)
	v_fma_f64 v[144:145], -v[104:105], v[210:211], v[144:145]
	s_waitcnt vmcnt(38)
	v_fma_f64 v[192:193], -v[104:105], v[212:213], v[192:193]
	s_waitcnt vmcnt(37) lgkmcnt(1)
	v_fma_f64 v[142:143], -v[104:105], v[0:1], v[142:143]
	ds_read2_b64 v[210:213], v7 offset0:17 offset1:18
	s_waitcnt vmcnt(36)
	v_fma_f64 v[190:191], -v[104:105], v[2:3], v[190:191]
	ds_read2_b64 v[0:3], v7 offset0:19 offset1:20
	s_waitcnt vmcnt(35) lgkmcnt(2)
	v_fma_f64 v[140:141], -v[104:105], v[206:207], v[140:141]
	s_waitcnt vmcnt(34)
	v_fma_f64 v[188:189], -v[104:105], v[208:209], v[188:189]
	s_waitcnt vmcnt(33) lgkmcnt(1)
	v_fma_f64 v[138:139], -v[104:105], v[210:211], v[138:139]
	ds_read2_b64 v[206:209], v7 offset0:21 offset1:22
	s_waitcnt vmcnt(32)
	v_fma_f64 v[186:187], -v[104:105], v[212:213], v[186:187]
	ds_read2_b64 v[210:213], v7 offset0:23 offset1:24
	s_waitcnt vmcnt(31) lgkmcnt(2)
	v_fma_f64 v[136:137], -v[104:105], v[0:1], v[136:137]
	s_waitcnt vmcnt(30)
	v_fma_f64 v[184:185], -v[104:105], v[2:3], v[184:185]
	ds_read2_b64 v[0:3], v7 offset0:25 offset1:26
	s_waitcnt vmcnt(29) lgkmcnt(2)
	v_fma_f64 v[134:135], -v[104:105], v[206:207], v[134:135]
	s_waitcnt vmcnt(28)
	v_fma_f64 v[182:183], -v[104:105], v[208:209], v[182:183]
	ds_read2_b64 v[206:209], v7 offset0:27 offset1:28
	s_waitcnt vmcnt(27) lgkmcnt(2)
	v_fma_f64 v[132:133], -v[104:105], v[210:211], v[132:133]
	s_waitcnt vmcnt(26)
	v_fma_f64 v[180:181], -v[104:105], v[212:213], v[180:181]
	s_waitcnt vmcnt(25) lgkmcnt(1)
	v_fma_f64 v[130:131], -v[104:105], v[0:1], v[130:131]
	ds_read2_b64 v[210:213], v7 offset0:29 offset1:30
	;; [unrolled: 30-line block ×3, first 2 shown]
	s_waitcnt vmcnt(12)
	v_fma_f64 v[166:167], -v[104:105], v[2:3], v[166:167]
	ds_read2_b64 v[0:3], v7 offset0:43 offset1:44
	s_waitcnt vmcnt(11) lgkmcnt(2)
	v_fma_f64 v[116:117], -v[104:105], v[206:207], v[116:117]
	s_waitcnt vmcnt(10)
	v_fma_f64 v[164:165], -v[104:105], v[208:209], v[164:165]
	s_waitcnt vmcnt(9) lgkmcnt(1)
	v_fma_f64 v[114:115], -v[104:105], v[210:211], v[114:115]
	s_waitcnt vmcnt(8)
	v_fma_f64 v[162:163], -v[104:105], v[212:213], v[162:163]
	ds_read2_b64 v[206:209], v7 offset0:45 offset1:46
	ds_read2_b64 v[210:213], v7 offset0:47 offset1:48
	s_waitcnt vmcnt(7) lgkmcnt(2)
	v_fma_f64 v[112:113], -v[104:105], v[0:1], v[112:113]
	s_waitcnt vmcnt(6)
	v_fma_f64 v[160:161], -v[104:105], v[2:3], v[160:161]
	ds_read2_b64 v[0:3], v7 offset0:49 offset1:50
	s_waitcnt vmcnt(5) lgkmcnt(2)
	v_fma_f64 v[110:111], -v[104:105], v[206:207], v[110:111]
	s_waitcnt vmcnt(4)
	v_fma_f64 v[158:159], -v[104:105], v[208:209], v[158:159]
	s_waitcnt vmcnt(3) lgkmcnt(1)
	v_fma_f64 v[108:109], -v[104:105], v[210:211], v[108:109]
	s_waitcnt vmcnt(2)
	v_fma_f64 v[156:157], -v[104:105], v[212:213], v[156:157]
	;; [unrolled: 4-line block ×3, first 2 shown]
.LBB101_6:
	s_or_b64 exec, exec, s[6:7]
	v_cmp_eq_u32_e32 vcc, 1, v8
	s_waitcnt lgkmcnt(0)
	s_barrier
	s_and_saveexec_b64 s[2:3], vcc
	s_cbranch_execz .LBB101_9
; %bb.7:
	s_waitcnt vmcnt(62)
	v_mov_b32_e32 v0, v202
	v_mov_b32_e32 v1, v203
	s_waitcnt vmcnt(59)
	v_mov_b32_e32 v2, v152
	v_mov_b32_e32 v3, v153
	ds_write_b64 v6, v[154:155]
	ds_write2_b64 v7, v[0:1], v[2:3] offset0:2 offset1:3
	s_waitcnt vmcnt(56)
	v_mov_b32_e32 v0, v200
	v_mov_b32_e32 v1, v201
	s_waitcnt vmcnt(53)
	v_mov_b32_e32 v2, v150
	v_mov_b32_e32 v3, v151
	ds_write2_b64 v7, v[0:1], v[2:3] offset0:4 offset1:5
	s_waitcnt vmcnt(50)
	v_mov_b32_e32 v0, v198
	v_mov_b32_e32 v1, v199
	s_waitcnt vmcnt(47)
	v_mov_b32_e32 v2, v148
	v_mov_b32_e32 v3, v149
	;; [unrolled: 7-line block ×23, first 2 shown]
	ds_write2_b64 v7, v[0:1], v[2:3] offset0:48 offset1:49
	s_waitcnt vmcnt(0)
	ds_write_b64 v7, v[204:205] offset:400
	ds_read_b64 v[0:1], v6
	s_waitcnt lgkmcnt(0)
	v_cmp_neq_f64_e32 vcc, 0, v[0:1]
	s_and_b64 exec, exec, vcc
	s_cbranch_execz .LBB101_9
; %bb.8:
	v_div_scale_f64 v[2:3], s[6:7], v[0:1], v[0:1], 1.0
	v_rcp_f64_e32 v[4:5], v[2:3]
	v_div_scale_f64 v[10:11], vcc, 1.0, v[0:1], 1.0
	v_fma_f64 v[12:13], -v[2:3], v[4:5], 1.0
	v_fmac_f64_e32 v[4:5], v[4:5], v[12:13]
	v_fma_f64 v[12:13], -v[2:3], v[4:5], 1.0
	v_fmac_f64_e32 v[4:5], v[4:5], v[12:13]
	v_mul_f64 v[12:13], v[10:11], v[4:5]
	v_fma_f64 v[2:3], -v[2:3], v[12:13], v[10:11]
	v_div_fmas_f64 v[2:3], v[2:3], v[4:5], v[12:13]
	v_div_fixup_f64 v[0:1], v[2:3], v[0:1], 1.0
	ds_write_b64 v6, v[0:1]
.LBB101_9:
	s_or_b64 exec, exec, s[2:3]
	s_waitcnt lgkmcnt(0)
	s_barrier
	ds_read_b64 v[250:251], v6
	v_cmp_lt_u32_e32 vcc, 1, v8
	s_and_saveexec_b64 s[2:3], vcc
	s_cbranch_execz .LBB101_11
; %bb.10:
	ds_read2_b64 v[0:3], v7 offset0:2 offset1:3
	ds_read2_b64 v[206:209], v7 offset0:4 offset1:5
	s_waitcnt lgkmcnt(2)
	v_mul_f64 v[154:155], v[250:251], v[154:155]
	ds_read2_b64 v[210:213], v7 offset0:6 offset1:7
	s_waitcnt vmcnt(62) lgkmcnt(2)
	v_fma_f64 v[202:203], -v[154:155], v[0:1], v[202:203]
	s_waitcnt vmcnt(59)
	v_fma_f64 v[152:153], -v[154:155], v[2:3], v[152:153]
	ds_read2_b64 v[0:3], v7 offset0:8 offset1:9
	s_waitcnt vmcnt(56) lgkmcnt(2)
	v_fma_f64 v[200:201], -v[154:155], v[206:207], v[200:201]
	s_waitcnt vmcnt(53)
	v_fma_f64 v[150:151], -v[154:155], v[208:209], v[150:151]
	s_waitcnt vmcnt(50) lgkmcnt(1)
	v_fma_f64 v[198:199], -v[154:155], v[210:211], v[198:199]
	ds_read2_b64 v[206:209], v7 offset0:10 offset1:11
	s_waitcnt vmcnt(47)
	v_fma_f64 v[148:149], -v[154:155], v[212:213], v[148:149]
	ds_read2_b64 v[210:213], v7 offset0:12 offset1:13
	s_waitcnt vmcnt(44) lgkmcnt(2)
	v_fma_f64 v[196:197], -v[154:155], v[0:1], v[196:197]
	s_waitcnt vmcnt(41)
	v_fma_f64 v[146:147], -v[154:155], v[2:3], v[146:147]
	ds_read2_b64 v[0:3], v7 offset0:14 offset1:15
	s_waitcnt vmcnt(40) lgkmcnt(2)
	v_fma_f64 v[194:195], -v[154:155], v[206:207], v[194:195]
	s_waitcnt vmcnt(39)
	v_fma_f64 v[144:145], -v[154:155], v[208:209], v[144:145]
	ds_read2_b64 v[206:209], v7 offset0:16 offset1:17
	s_waitcnt vmcnt(38) lgkmcnt(2)
	v_fma_f64 v[192:193], -v[154:155], v[210:211], v[192:193]
	s_waitcnt vmcnt(37)
	v_fma_f64 v[142:143], -v[154:155], v[212:213], v[142:143]
	s_waitcnt vmcnt(36) lgkmcnt(1)
	v_fma_f64 v[190:191], -v[154:155], v[0:1], v[190:191]
	ds_read2_b64 v[210:213], v7 offset0:18 offset1:19
	s_waitcnt vmcnt(35)
	v_fma_f64 v[140:141], -v[154:155], v[2:3], v[140:141]
	ds_read2_b64 v[0:3], v7 offset0:20 offset1:21
	s_waitcnt vmcnt(34) lgkmcnt(2)
	v_fma_f64 v[188:189], -v[154:155], v[206:207], v[188:189]
	s_waitcnt vmcnt(33)
	v_fma_f64 v[138:139], -v[154:155], v[208:209], v[138:139]
	s_waitcnt vmcnt(32) lgkmcnt(1)
	v_fma_f64 v[186:187], -v[154:155], v[210:211], v[186:187]
	ds_read2_b64 v[206:209], v7 offset0:22 offset1:23
	s_waitcnt vmcnt(31)
	v_fma_f64 v[136:137], -v[154:155], v[212:213], v[136:137]
	ds_read2_b64 v[210:213], v7 offset0:24 offset1:25
	s_waitcnt vmcnt(30) lgkmcnt(2)
	v_fma_f64 v[184:185], -v[154:155], v[0:1], v[184:185]
	s_waitcnt vmcnt(29)
	v_fma_f64 v[134:135], -v[154:155], v[2:3], v[134:135]
	ds_read2_b64 v[0:3], v7 offset0:26 offset1:27
	s_waitcnt vmcnt(28) lgkmcnt(2)
	v_fma_f64 v[182:183], -v[154:155], v[206:207], v[182:183]
	s_waitcnt vmcnt(27)
	v_fma_f64 v[132:133], -v[154:155], v[208:209], v[132:133]
	ds_read2_b64 v[206:209], v7 offset0:28 offset1:29
	s_waitcnt vmcnt(26) lgkmcnt(2)
	v_fma_f64 v[180:181], -v[154:155], v[210:211], v[180:181]
	s_waitcnt vmcnt(25)
	v_fma_f64 v[130:131], -v[154:155], v[212:213], v[130:131]
	s_waitcnt vmcnt(24) lgkmcnt(1)
	v_fma_f64 v[178:179], -v[154:155], v[0:1], v[178:179]
	ds_read2_b64 v[210:213], v7 offset0:30 offset1:31
	;; [unrolled: 30-line block ×3, first 2 shown]
	s_waitcnt vmcnt(11)
	v_fma_f64 v[116:117], -v[154:155], v[2:3], v[116:117]
	ds_read2_b64 v[0:3], v7 offset0:44 offset1:45
	s_waitcnt vmcnt(10) lgkmcnt(2)
	v_fma_f64 v[164:165], -v[154:155], v[206:207], v[164:165]
	s_waitcnt vmcnt(9)
	v_fma_f64 v[114:115], -v[154:155], v[208:209], v[114:115]
	s_waitcnt vmcnt(8) lgkmcnt(1)
	v_fma_f64 v[162:163], -v[154:155], v[210:211], v[162:163]
	s_waitcnt vmcnt(7)
	v_fma_f64 v[112:113], -v[154:155], v[212:213], v[112:113]
	ds_read2_b64 v[206:209], v7 offset0:46 offset1:47
	ds_read2_b64 v[210:213], v7 offset0:48 offset1:49
	s_waitcnt vmcnt(6) lgkmcnt(2)
	v_fma_f64 v[160:161], -v[154:155], v[0:1], v[160:161]
	ds_read_b64 v[0:1], v7 offset:400
	s_waitcnt vmcnt(5)
	v_fma_f64 v[110:111], -v[154:155], v[2:3], v[110:111]
	s_waitcnt vmcnt(4) lgkmcnt(2)
	v_fma_f64 v[158:159], -v[154:155], v[206:207], v[158:159]
	s_waitcnt vmcnt(3)
	v_fma_f64 v[108:109], -v[154:155], v[208:209], v[108:109]
	s_waitcnt vmcnt(2) lgkmcnt(1)
	v_fma_f64 v[156:157], -v[154:155], v[210:211], v[156:157]
	s_waitcnt vmcnt(1)
	v_fma_f64 v[106:107], -v[154:155], v[212:213], v[106:107]
	s_waitcnt vmcnt(0) lgkmcnt(0)
	v_fma_f64 v[204:205], -v[154:155], v[0:1], v[204:205]
.LBB101_11:
	s_or_b64 exec, exec, s[2:3]
	v_cmp_eq_u32_e32 vcc, 2, v8
	s_waitcnt lgkmcnt(0)
	s_barrier
	s_and_saveexec_b64 s[2:3], vcc
	s_cbranch_execz .LBB101_14
; %bb.12:
	s_waitcnt vmcnt(62)
	ds_write_b64 v6, v[202:203]
	s_waitcnt vmcnt(56)
	ds_write2_b64 v7, v[152:153], v[200:201] offset0:3 offset1:4
	s_waitcnt vmcnt(50)
	ds_write2_b64 v7, v[150:151], v[198:199] offset0:5 offset1:6
	;; [unrolled: 2-line block ×24, first 2 shown]
	ds_read_b64 v[0:1], v6
	s_waitcnt lgkmcnt(0)
	v_cmp_neq_f64_e32 vcc, 0, v[0:1]
	s_and_b64 exec, exec, vcc
	s_cbranch_execz .LBB101_14
; %bb.13:
	v_div_scale_f64 v[2:3], s[6:7], v[0:1], v[0:1], 1.0
	v_rcp_f64_e32 v[4:5], v[2:3]
	v_div_scale_f64 v[10:11], vcc, 1.0, v[0:1], 1.0
	v_fma_f64 v[12:13], -v[2:3], v[4:5], 1.0
	v_fmac_f64_e32 v[4:5], v[4:5], v[12:13]
	v_fma_f64 v[12:13], -v[2:3], v[4:5], 1.0
	v_fmac_f64_e32 v[4:5], v[4:5], v[12:13]
	v_mul_f64 v[12:13], v[10:11], v[4:5]
	v_fma_f64 v[2:3], -v[2:3], v[12:13], v[10:11]
	v_div_fmas_f64 v[2:3], v[2:3], v[4:5], v[12:13]
	v_div_fixup_f64 v[0:1], v[2:3], v[0:1], 1.0
	ds_write_b64 v6, v[0:1]
.LBB101_14:
	s_or_b64 exec, exec, s[2:3]
	s_waitcnt lgkmcnt(0)
	s_barrier
	ds_read_b64 v[252:253], v6
	v_cmp_lt_u32_e32 vcc, 2, v8
	s_and_saveexec_b64 s[2:3], vcc
	s_cbranch_execz .LBB101_16
; %bb.15:
	ds_read2_b64 v[0:3], v7 offset0:3 offset1:4
	ds_read2_b64 v[206:209], v7 offset0:5 offset1:6
	;; [unrolled: 1-line block ×3, first 2 shown]
	s_waitcnt vmcnt(62) lgkmcnt(3)
	v_mul_f64 v[202:203], v[252:253], v[202:203]
	s_waitcnt vmcnt(59) lgkmcnt(2)
	v_fma_f64 v[152:153], -v[202:203], v[0:1], v[152:153]
	s_waitcnt vmcnt(56)
	v_fma_f64 v[200:201], -v[202:203], v[2:3], v[200:201]
	ds_read2_b64 v[0:3], v7 offset0:9 offset1:10
	s_waitcnt vmcnt(53) lgkmcnt(2)
	v_fma_f64 v[150:151], -v[202:203], v[206:207], v[150:151]
	s_waitcnt vmcnt(50)
	v_fma_f64 v[198:199], -v[202:203], v[208:209], v[198:199]
	s_waitcnt vmcnt(47) lgkmcnt(1)
	v_fma_f64 v[148:149], -v[202:203], v[210:211], v[148:149]
	ds_read2_b64 v[206:209], v7 offset0:11 offset1:12
	s_waitcnt vmcnt(44)
	v_fma_f64 v[196:197], -v[202:203], v[212:213], v[196:197]
	ds_read2_b64 v[210:213], v7 offset0:13 offset1:14
	s_waitcnt vmcnt(41) lgkmcnt(2)
	v_fma_f64 v[146:147], -v[202:203], v[0:1], v[146:147]
	s_waitcnt vmcnt(40)
	v_fma_f64 v[194:195], -v[202:203], v[2:3], v[194:195]
	s_waitcnt vmcnt(39) lgkmcnt(1)
	v_fma_f64 v[144:145], -v[202:203], v[206:207], v[144:145]
	ds_read2_b64 v[0:3], v7 offset0:15 offset1:16
	s_waitcnt vmcnt(38)
	v_fma_f64 v[192:193], -v[202:203], v[208:209], v[192:193]
	ds_read2_b64 v[206:209], v7 offset0:17 offset1:18
	s_waitcnt vmcnt(37) lgkmcnt(2)
	v_fma_f64 v[142:143], -v[202:203], v[210:211], v[142:143]
	s_waitcnt vmcnt(36)
	v_fma_f64 v[190:191], -v[202:203], v[212:213], v[190:191]
	ds_read2_b64 v[210:213], v7 offset0:19 offset1:20
	s_waitcnt vmcnt(35) lgkmcnt(2)
	v_fma_f64 v[140:141], -v[202:203], v[0:1], v[140:141]
	s_waitcnt vmcnt(34)
	v_fma_f64 v[188:189], -v[202:203], v[2:3], v[188:189]
	ds_read2_b64 v[0:3], v7 offset0:21 offset1:22
	s_waitcnt vmcnt(33) lgkmcnt(2)
	v_fma_f64 v[138:139], -v[202:203], v[206:207], v[138:139]
	s_waitcnt vmcnt(32)
	v_fma_f64 v[186:187], -v[202:203], v[208:209], v[186:187]
	s_waitcnt vmcnt(31) lgkmcnt(1)
	v_fma_f64 v[136:137], -v[202:203], v[210:211], v[136:137]
	ds_read2_b64 v[206:209], v7 offset0:23 offset1:24
	s_waitcnt vmcnt(30)
	v_fma_f64 v[184:185], -v[202:203], v[212:213], v[184:185]
	ds_read2_b64 v[210:213], v7 offset0:25 offset1:26
	s_waitcnt vmcnt(29) lgkmcnt(2)
	v_fma_f64 v[134:135], -v[202:203], v[0:1], v[134:135]
	s_waitcnt vmcnt(28)
	v_fma_f64 v[182:183], -v[202:203], v[2:3], v[182:183]
	s_waitcnt vmcnt(27) lgkmcnt(1)
	v_fma_f64 v[132:133], -v[202:203], v[206:207], v[132:133]
	ds_read2_b64 v[0:3], v7 offset0:27 offset1:28
	s_waitcnt vmcnt(26)
	v_fma_f64 v[180:181], -v[202:203], v[208:209], v[180:181]
	ds_read2_b64 v[206:209], v7 offset0:29 offset1:30
	s_waitcnt vmcnt(25) lgkmcnt(2)
	v_fma_f64 v[130:131], -v[202:203], v[210:211], v[130:131]
	s_waitcnt vmcnt(24)
	v_fma_f64 v[178:179], -v[202:203], v[212:213], v[178:179]
	ds_read2_b64 v[210:213], v7 offset0:31 offset1:32
	;; [unrolled: 30-line block ×3, first 2 shown]
	s_waitcnt vmcnt(11) lgkmcnt(2)
	v_fma_f64 v[116:117], -v[202:203], v[0:1], v[116:117]
	s_waitcnt vmcnt(10)
	v_fma_f64 v[164:165], -v[202:203], v[2:3], v[164:165]
	ds_read2_b64 v[0:3], v7 offset0:45 offset1:46
	s_waitcnt vmcnt(9) lgkmcnt(2)
	v_fma_f64 v[114:115], -v[202:203], v[206:207], v[114:115]
	s_waitcnt vmcnt(8)
	v_fma_f64 v[162:163], -v[202:203], v[208:209], v[162:163]
	s_waitcnt vmcnt(7) lgkmcnt(1)
	v_fma_f64 v[112:113], -v[202:203], v[210:211], v[112:113]
	ds_read2_b64 v[206:209], v7 offset0:47 offset1:48
	s_waitcnt vmcnt(6)
	v_fma_f64 v[160:161], -v[202:203], v[212:213], v[160:161]
	ds_read2_b64 v[210:213], v7 offset0:49 offset1:50
	s_waitcnt vmcnt(5) lgkmcnt(2)
	v_fma_f64 v[110:111], -v[202:203], v[0:1], v[110:111]
	s_waitcnt vmcnt(4)
	v_fma_f64 v[158:159], -v[202:203], v[2:3], v[158:159]
	s_waitcnt vmcnt(3) lgkmcnt(1)
	v_fma_f64 v[108:109], -v[202:203], v[206:207], v[108:109]
	s_waitcnt vmcnt(2)
	v_fma_f64 v[156:157], -v[202:203], v[208:209], v[156:157]
	;; [unrolled: 4-line block ×3, first 2 shown]
.LBB101_16:
	s_or_b64 exec, exec, s[2:3]
	v_cmp_eq_u32_e32 vcc, 3, v8
	s_waitcnt lgkmcnt(0)
	s_barrier
	s_and_saveexec_b64 s[2:3], vcc
	s_cbranch_execz .LBB101_19
; %bb.17:
	s_waitcnt vmcnt(56)
	v_mov_b32_e32 v0, v200
	v_mov_b32_e32 v1, v201
	s_waitcnt vmcnt(53)
	v_mov_b32_e32 v2, v150
	v_mov_b32_e32 v3, v151
	ds_write_b64 v6, v[152:153]
	ds_write2_b64 v7, v[0:1], v[2:3] offset0:4 offset1:5
	s_waitcnt vmcnt(50)
	v_mov_b32_e32 v0, v198
	v_mov_b32_e32 v1, v199
	s_waitcnt vmcnt(47)
	v_mov_b32_e32 v2, v148
	v_mov_b32_e32 v3, v149
	ds_write2_b64 v7, v[0:1], v[2:3] offset0:6 offset1:7
	s_waitcnt vmcnt(44)
	v_mov_b32_e32 v0, v196
	v_mov_b32_e32 v1, v197
	s_waitcnt vmcnt(41)
	v_mov_b32_e32 v2, v146
	v_mov_b32_e32 v3, v147
	;; [unrolled: 7-line block ×22, first 2 shown]
	ds_write2_b64 v7, v[0:1], v[2:3] offset0:48 offset1:49
	s_waitcnt vmcnt(0)
	ds_write_b64 v7, v[204:205] offset:400
	ds_read_b64 v[0:1], v6
	s_waitcnt lgkmcnt(0)
	v_cmp_neq_f64_e32 vcc, 0, v[0:1]
	s_and_b64 exec, exec, vcc
	s_cbranch_execz .LBB101_19
; %bb.18:
	v_div_scale_f64 v[2:3], s[6:7], v[0:1], v[0:1], 1.0
	v_rcp_f64_e32 v[4:5], v[2:3]
	v_div_scale_f64 v[10:11], vcc, 1.0, v[0:1], 1.0
	v_fma_f64 v[12:13], -v[2:3], v[4:5], 1.0
	v_fmac_f64_e32 v[4:5], v[4:5], v[12:13]
	v_fma_f64 v[12:13], -v[2:3], v[4:5], 1.0
	v_fmac_f64_e32 v[4:5], v[4:5], v[12:13]
	v_mul_f64 v[12:13], v[10:11], v[4:5]
	v_fma_f64 v[2:3], -v[2:3], v[12:13], v[10:11]
	v_div_fmas_f64 v[2:3], v[2:3], v[4:5], v[12:13]
	v_div_fixup_f64 v[0:1], v[2:3], v[0:1], 1.0
	ds_write_b64 v6, v[0:1]
.LBB101_19:
	s_or_b64 exec, exec, s[2:3]
	s_waitcnt lgkmcnt(0)
	s_barrier
	ds_read_b64 v[254:255], v6
	v_cmp_lt_u32_e32 vcc, 3, v8
	s_and_saveexec_b64 s[2:3], vcc
	s_cbranch_execz .LBB101_21
; %bb.20:
	ds_read2_b64 v[0:3], v7 offset0:4 offset1:5
	ds_read2_b64 v[206:209], v7 offset0:6 offset1:7
	s_waitcnt vmcnt(59) lgkmcnt(2)
	v_mul_f64 v[152:153], v[254:255], v[152:153]
	ds_read2_b64 v[210:213], v7 offset0:8 offset1:9
	ds_read_b64 v[4:5], v7 offset:400
	s_waitcnt vmcnt(56) lgkmcnt(3)
	v_fma_f64 v[200:201], -v[152:153], v[0:1], v[200:201]
	s_waitcnt vmcnt(53)
	v_fma_f64 v[150:151], -v[152:153], v[2:3], v[150:151]
	ds_read2_b64 v[0:3], v7 offset0:10 offset1:11
	s_waitcnt vmcnt(50) lgkmcnt(3)
	v_fma_f64 v[198:199], -v[152:153], v[206:207], v[198:199]
	s_waitcnt vmcnt(47)
	v_fma_f64 v[148:149], -v[152:153], v[208:209], v[148:149]
	ds_read2_b64 v[206:209], v7 offset0:12 offset1:13
	;; [unrolled: 5-line block ×3, first 2 shown]
	s_waitcnt vmcnt(40) lgkmcnt(2)
	v_fma_f64 v[194:195], -v[152:153], v[0:1], v[194:195]
	s_waitcnt vmcnt(39)
	v_fma_f64 v[144:145], -v[152:153], v[2:3], v[144:145]
	s_waitcnt vmcnt(38) lgkmcnt(1)
	v_fma_f64 v[192:193], -v[152:153], v[206:207], v[192:193]
	ds_read2_b64 v[0:3], v7 offset0:16 offset1:17
	s_waitcnt vmcnt(37)
	v_fma_f64 v[142:143], -v[152:153], v[208:209], v[142:143]
	ds_read2_b64 v[206:209], v7 offset0:18 offset1:19
	s_waitcnt vmcnt(36) lgkmcnt(2)
	v_fma_f64 v[190:191], -v[152:153], v[210:211], v[190:191]
	s_waitcnt vmcnt(35)
	v_fma_f64 v[140:141], -v[152:153], v[212:213], v[140:141]
	s_waitcnt vmcnt(34) lgkmcnt(1)
	v_fma_f64 v[188:189], -v[152:153], v[0:1], v[188:189]
	ds_read2_b64 v[210:213], v7 offset0:20 offset1:21
	s_waitcnt vmcnt(33)
	v_fma_f64 v[138:139], -v[152:153], v[2:3], v[138:139]
	ds_read2_b64 v[0:3], v7 offset0:22 offset1:23
	s_waitcnt vmcnt(32) lgkmcnt(2)
	v_fma_f64 v[186:187], -v[152:153], v[206:207], v[186:187]
	s_waitcnt vmcnt(31)
	v_fma_f64 v[136:137], -v[152:153], v[208:209], v[136:137]
	ds_read2_b64 v[206:209], v7 offset0:24 offset1:25
	s_waitcnt vmcnt(30) lgkmcnt(2)
	v_fma_f64 v[184:185], -v[152:153], v[210:211], v[184:185]
	;; [unrolled: 5-line block ×3, first 2 shown]
	s_waitcnt vmcnt(27)
	v_fma_f64 v[132:133], -v[152:153], v[2:3], v[132:133]
	s_waitcnt vmcnt(26) lgkmcnt(1)
	v_fma_f64 v[180:181], -v[152:153], v[206:207], v[180:181]
	ds_read2_b64 v[0:3], v7 offset0:28 offset1:29
	s_waitcnt vmcnt(25)
	v_fma_f64 v[130:131], -v[152:153], v[208:209], v[130:131]
	ds_read2_b64 v[206:209], v7 offset0:30 offset1:31
	s_waitcnt vmcnt(24) lgkmcnt(2)
	v_fma_f64 v[178:179], -v[152:153], v[210:211], v[178:179]
	s_waitcnt vmcnt(23)
	v_fma_f64 v[128:129], -v[152:153], v[212:213], v[128:129]
	s_waitcnt vmcnt(22) lgkmcnt(1)
	v_fma_f64 v[176:177], -v[152:153], v[0:1], v[176:177]
	ds_read2_b64 v[210:213], v7 offset0:32 offset1:33
	s_waitcnt vmcnt(21)
	v_fma_f64 v[126:127], -v[152:153], v[2:3], v[126:127]
	ds_read2_b64 v[0:3], v7 offset0:34 offset1:35
	s_waitcnt vmcnt(20) lgkmcnt(2)
	v_fma_f64 v[174:175], -v[152:153], v[206:207], v[174:175]
	s_waitcnt vmcnt(19)
	v_fma_f64 v[124:125], -v[152:153], v[208:209], v[124:125]
	ds_read2_b64 v[206:209], v7 offset0:36 offset1:37
	s_waitcnt vmcnt(18) lgkmcnt(2)
	v_fma_f64 v[172:173], -v[152:153], v[210:211], v[172:173]
	;; [unrolled: 5-line block ×3, first 2 shown]
	s_waitcnt vmcnt(15)
	v_fma_f64 v[120:121], -v[152:153], v[2:3], v[120:121]
	s_waitcnt vmcnt(14) lgkmcnt(1)
	v_fma_f64 v[168:169], -v[152:153], v[206:207], v[168:169]
	ds_read2_b64 v[0:3], v7 offset0:40 offset1:41
	s_waitcnt vmcnt(13)
	v_fma_f64 v[118:119], -v[152:153], v[208:209], v[118:119]
	ds_read2_b64 v[206:209], v7 offset0:42 offset1:43
	s_waitcnt vmcnt(12) lgkmcnt(2)
	v_fma_f64 v[166:167], -v[152:153], v[210:211], v[166:167]
	s_waitcnt vmcnt(11)
	v_fma_f64 v[116:117], -v[152:153], v[212:213], v[116:117]
	s_waitcnt vmcnt(10) lgkmcnt(1)
	v_fma_f64 v[164:165], -v[152:153], v[0:1], v[164:165]
	ds_read2_b64 v[210:213], v7 offset0:44 offset1:45
	s_waitcnt vmcnt(9)
	v_fma_f64 v[114:115], -v[152:153], v[2:3], v[114:115]
	ds_read2_b64 v[0:3], v7 offset0:46 offset1:47
	s_waitcnt vmcnt(8) lgkmcnt(2)
	v_fma_f64 v[162:163], -v[152:153], v[206:207], v[162:163]
	s_waitcnt vmcnt(7)
	v_fma_f64 v[112:113], -v[152:153], v[208:209], v[112:113]
	ds_read2_b64 v[206:209], v7 offset0:48 offset1:49
	s_waitcnt vmcnt(6) lgkmcnt(2)
	v_fma_f64 v[160:161], -v[152:153], v[210:211], v[160:161]
	s_waitcnt vmcnt(5)
	v_fma_f64 v[110:111], -v[152:153], v[212:213], v[110:111]
	s_waitcnt vmcnt(4) lgkmcnt(1)
	v_fma_f64 v[158:159], -v[152:153], v[0:1], v[158:159]
	s_waitcnt vmcnt(3)
	v_fma_f64 v[108:109], -v[152:153], v[2:3], v[108:109]
	;; [unrolled: 4-line block ×3, first 2 shown]
	s_waitcnt vmcnt(0)
	v_fma_f64 v[204:205], -v[152:153], v[4:5], v[204:205]
.LBB101_21:
	s_or_b64 exec, exec, s[2:3]
	v_cmp_eq_u32_e32 vcc, 4, v8
	s_waitcnt lgkmcnt(0)
	s_barrier
	s_and_saveexec_b64 s[2:3], vcc
	s_cbranch_execz .LBB101_24
; %bb.22:
	s_waitcnt vmcnt(56)
	ds_write_b64 v6, v[200:201]
	s_waitcnt vmcnt(50)
	ds_write2_b64 v7, v[150:151], v[198:199] offset0:5 offset1:6
	s_waitcnt vmcnt(44)
	ds_write2_b64 v7, v[148:149], v[196:197] offset0:7 offset1:8
	;; [unrolled: 2-line block ×23, first 2 shown]
	ds_read_b64 v[0:1], v6
	s_waitcnt lgkmcnt(0)
	v_cmp_neq_f64_e32 vcc, 0, v[0:1]
	s_and_b64 exec, exec, vcc
	s_cbranch_execz .LBB101_24
; %bb.23:
	v_div_scale_f64 v[2:3], s[6:7], v[0:1], v[0:1], 1.0
	v_rcp_f64_e32 v[4:5], v[2:3]
	v_div_scale_f64 v[10:11], vcc, 1.0, v[0:1], 1.0
	v_fma_f64 v[12:13], -v[2:3], v[4:5], 1.0
	v_fmac_f64_e32 v[4:5], v[4:5], v[12:13]
	v_fma_f64 v[12:13], -v[2:3], v[4:5], 1.0
	v_fmac_f64_e32 v[4:5], v[4:5], v[12:13]
	v_mul_f64 v[12:13], v[10:11], v[4:5]
	v_fma_f64 v[2:3], -v[2:3], v[12:13], v[10:11]
	v_div_fmas_f64 v[2:3], v[2:3], v[4:5], v[12:13]
	v_div_fixup_f64 v[0:1], v[2:3], v[0:1], 1.0
	ds_write_b64 v6, v[0:1]
.LBB101_24:
	s_or_b64 exec, exec, s[2:3]
	s_waitcnt lgkmcnt(0)
	s_barrier
	ds_read_b64 v[14:15], v6
	v_cmp_lt_u32_e32 vcc, 4, v8
	s_and_saveexec_b64 s[2:3], vcc
	s_cbranch_execz .LBB101_26
; %bb.25:
	ds_read2_b64 v[0:3], v7 offset0:5 offset1:6
	ds_read2_b64 v[206:209], v7 offset0:7 offset1:8
	s_waitcnt vmcnt(56) lgkmcnt(2)
	v_mul_f64 v[200:201], v[14:15], v[200:201]
	ds_read2_b64 v[210:213], v7 offset0:9 offset1:10
	s_waitcnt vmcnt(53) lgkmcnt(2)
	v_fma_f64 v[150:151], -v[200:201], v[0:1], v[150:151]
	s_waitcnt vmcnt(50)
	v_fma_f64 v[198:199], -v[200:201], v[2:3], v[198:199]
	ds_read2_b64 v[0:3], v7 offset0:11 offset1:12
	s_waitcnt vmcnt(47) lgkmcnt(2)
	v_fma_f64 v[148:149], -v[200:201], v[206:207], v[148:149]
	s_waitcnt vmcnt(44)
	v_fma_f64 v[196:197], -v[200:201], v[208:209], v[196:197]
	;; [unrolled: 5-line block ×4, first 2 shown]
	s_waitcnt vmcnt(37) lgkmcnt(1)
	v_fma_f64 v[142:143], -v[200:201], v[206:207], v[142:143]
	ds_read2_b64 v[0:3], v7 offset0:17 offset1:18
	s_waitcnt vmcnt(36)
	v_fma_f64 v[190:191], -v[200:201], v[208:209], v[190:191]
	ds_read2_b64 v[206:209], v7 offset0:19 offset1:20
	s_waitcnt vmcnt(35) lgkmcnt(2)
	v_fma_f64 v[140:141], -v[200:201], v[210:211], v[140:141]
	s_waitcnt vmcnt(34)
	v_fma_f64 v[188:189], -v[200:201], v[212:213], v[188:189]
	s_waitcnt vmcnt(33) lgkmcnt(1)
	v_fma_f64 v[138:139], -v[200:201], v[0:1], v[138:139]
	ds_read2_b64 v[210:213], v7 offset0:21 offset1:22
	s_waitcnt vmcnt(32)
	v_fma_f64 v[186:187], -v[200:201], v[2:3], v[186:187]
	ds_read2_b64 v[0:3], v7 offset0:23 offset1:24
	s_waitcnt vmcnt(31) lgkmcnt(2)
	v_fma_f64 v[136:137], -v[200:201], v[206:207], v[136:137]
	s_waitcnt vmcnt(30)
	v_fma_f64 v[184:185], -v[200:201], v[208:209], v[184:185]
	ds_read2_b64 v[206:209], v7 offset0:25 offset1:26
	s_waitcnt vmcnt(29) lgkmcnt(2)
	v_fma_f64 v[134:135], -v[200:201], v[210:211], v[134:135]
	s_waitcnt vmcnt(28)
	v_fma_f64 v[182:183], -v[200:201], v[212:213], v[182:183]
	ds_read2_b64 v[210:213], v7 offset0:27 offset1:28
	s_waitcnt vmcnt(27) lgkmcnt(2)
	v_fma_f64 v[132:133], -v[200:201], v[0:1], v[132:133]
	s_waitcnt vmcnt(26)
	v_fma_f64 v[180:181], -v[200:201], v[2:3], v[180:181]
	s_waitcnt vmcnt(25) lgkmcnt(1)
	v_fma_f64 v[130:131], -v[200:201], v[206:207], v[130:131]
	ds_read2_b64 v[0:3], v7 offset0:29 offset1:30
	s_waitcnt vmcnt(24)
	v_fma_f64 v[178:179], -v[200:201], v[208:209], v[178:179]
	ds_read2_b64 v[206:209], v7 offset0:31 offset1:32
	s_waitcnt vmcnt(23) lgkmcnt(2)
	v_fma_f64 v[128:129], -v[200:201], v[210:211], v[128:129]
	s_waitcnt vmcnt(22)
	v_fma_f64 v[176:177], -v[200:201], v[212:213], v[176:177]
	s_waitcnt vmcnt(21) lgkmcnt(1)
	v_fma_f64 v[126:127], -v[200:201], v[0:1], v[126:127]
	ds_read2_b64 v[210:213], v7 offset0:33 offset1:34
	s_waitcnt vmcnt(20)
	v_fma_f64 v[174:175], -v[200:201], v[2:3], v[174:175]
	ds_read2_b64 v[0:3], v7 offset0:35 offset1:36
	s_waitcnt vmcnt(19) lgkmcnt(2)
	v_fma_f64 v[124:125], -v[200:201], v[206:207], v[124:125]
	s_waitcnt vmcnt(18)
	v_fma_f64 v[172:173], -v[200:201], v[208:209], v[172:173]
	ds_read2_b64 v[206:209], v7 offset0:37 offset1:38
	s_waitcnt vmcnt(17) lgkmcnt(2)
	v_fma_f64 v[122:123], -v[200:201], v[210:211], v[122:123]
	;; [unrolled: 5-line block ×3, first 2 shown]
	s_waitcnt vmcnt(14)
	v_fma_f64 v[168:169], -v[200:201], v[2:3], v[168:169]
	s_waitcnt vmcnt(13) lgkmcnt(1)
	v_fma_f64 v[118:119], -v[200:201], v[206:207], v[118:119]
	ds_read2_b64 v[0:3], v7 offset0:41 offset1:42
	s_waitcnt vmcnt(12)
	v_fma_f64 v[166:167], -v[200:201], v[208:209], v[166:167]
	ds_read2_b64 v[206:209], v7 offset0:43 offset1:44
	s_waitcnt vmcnt(11) lgkmcnt(2)
	v_fma_f64 v[116:117], -v[200:201], v[210:211], v[116:117]
	s_waitcnt vmcnt(10)
	v_fma_f64 v[164:165], -v[200:201], v[212:213], v[164:165]
	s_waitcnt vmcnt(9) lgkmcnt(1)
	v_fma_f64 v[114:115], -v[200:201], v[0:1], v[114:115]
	s_waitcnt vmcnt(8)
	v_fma_f64 v[162:163], -v[200:201], v[2:3], v[162:163]
	ds_read2_b64 v[0:3], v7 offset0:45 offset1:46
	ds_read2_b64 v[210:213], v7 offset0:47 offset1:48
	s_waitcnt vmcnt(7) lgkmcnt(2)
	v_fma_f64 v[112:113], -v[200:201], v[206:207], v[112:113]
	s_waitcnt vmcnt(6)
	v_fma_f64 v[160:161], -v[200:201], v[208:209], v[160:161]
	ds_read2_b64 v[206:209], v7 offset0:49 offset1:50
	s_waitcnt vmcnt(5) lgkmcnt(2)
	v_fma_f64 v[110:111], -v[200:201], v[0:1], v[110:111]
	s_waitcnt vmcnt(4)
	v_fma_f64 v[158:159], -v[200:201], v[2:3], v[158:159]
	s_waitcnt vmcnt(3) lgkmcnt(1)
	v_fma_f64 v[108:109], -v[200:201], v[210:211], v[108:109]
	s_waitcnt vmcnt(2)
	v_fma_f64 v[156:157], -v[200:201], v[212:213], v[156:157]
	;; [unrolled: 4-line block ×3, first 2 shown]
.LBB101_26:
	s_or_b64 exec, exec, s[2:3]
	v_cmp_eq_u32_e32 vcc, 5, v8
	s_waitcnt lgkmcnt(0)
	s_barrier
	s_and_saveexec_b64 s[2:3], vcc
	s_cbranch_execz .LBB101_29
; %bb.27:
	s_waitcnt vmcnt(50)
	v_mov_b32_e32 v0, v198
	v_mov_b32_e32 v1, v199
	s_waitcnt vmcnt(47)
	v_mov_b32_e32 v2, v148
	v_mov_b32_e32 v3, v149
	ds_write_b64 v6, v[150:151]
	ds_write2_b64 v7, v[0:1], v[2:3] offset0:6 offset1:7
	s_waitcnt vmcnt(44)
	v_mov_b32_e32 v0, v196
	v_mov_b32_e32 v1, v197
	s_waitcnt vmcnt(41)
	v_mov_b32_e32 v2, v146
	v_mov_b32_e32 v3, v147
	ds_write2_b64 v7, v[0:1], v[2:3] offset0:8 offset1:9
	s_waitcnt vmcnt(40)
	v_mov_b32_e32 v0, v194
	v_mov_b32_e32 v1, v195
	s_waitcnt vmcnt(39)
	v_mov_b32_e32 v2, v144
	v_mov_b32_e32 v3, v145
	;; [unrolled: 7-line block ×21, first 2 shown]
	ds_write2_b64 v7, v[0:1], v[2:3] offset0:48 offset1:49
	s_waitcnt vmcnt(0)
	ds_write_b64 v7, v[204:205] offset:400
	ds_read_b64 v[0:1], v6
	s_waitcnt lgkmcnt(0)
	v_cmp_neq_f64_e32 vcc, 0, v[0:1]
	s_and_b64 exec, exec, vcc
	s_cbranch_execz .LBB101_29
; %bb.28:
	v_div_scale_f64 v[2:3], s[6:7], v[0:1], v[0:1], 1.0
	v_rcp_f64_e32 v[4:5], v[2:3]
	v_div_scale_f64 v[10:11], vcc, 1.0, v[0:1], 1.0
	v_fma_f64 v[12:13], -v[2:3], v[4:5], 1.0
	v_fmac_f64_e32 v[4:5], v[4:5], v[12:13]
	v_fma_f64 v[12:13], -v[2:3], v[4:5], 1.0
	v_fmac_f64_e32 v[4:5], v[4:5], v[12:13]
	v_mul_f64 v[12:13], v[10:11], v[4:5]
	v_fma_f64 v[2:3], -v[2:3], v[12:13], v[10:11]
	v_div_fmas_f64 v[2:3], v[2:3], v[4:5], v[12:13]
	v_div_fixup_f64 v[0:1], v[2:3], v[0:1], 1.0
	ds_write_b64 v6, v[0:1]
.LBB101_29:
	s_or_b64 exec, exec, s[2:3]
	s_waitcnt lgkmcnt(0)
	s_barrier
	ds_read_b64 v[0:1], v6
	v_cmp_lt_u32_e32 vcc, 5, v8
	s_waitcnt lgkmcnt(0)
	buffer_store_dword v0, off, s[16:19], 0 offset:64 ; 4-byte Folded Spill
	s_nop 0
	buffer_store_dword v1, off, s[16:19], 0 offset:68 ; 4-byte Folded Spill
	s_and_saveexec_b64 s[2:3], vcc
	s_cbranch_execz .LBB101_31
; %bb.30:
	ds_read2_b64 v[0:3], v7 offset0:6 offset1:7
	ds_read2_b64 v[206:209], v7 offset0:8 offset1:9
	buffer_load_dword v4, off, s[16:19], 0 offset:64 ; 4-byte Folded Reload
	buffer_load_dword v5, off, s[16:19], 0 offset:68 ; 4-byte Folded Reload
	ds_read2_b64 v[210:213], v7 offset0:10 offset1:11
	s_waitcnt vmcnt(0)
	v_mul_f64 v[150:151], v[4:5], v[150:151]
	s_waitcnt lgkmcnt(2)
	v_fma_f64 v[198:199], -v[150:151], v[0:1], v[198:199]
	v_fma_f64 v[148:149], -v[150:151], v[2:3], v[148:149]
	ds_read2_b64 v[0:3], v7 offset0:12 offset1:13
	s_waitcnt lgkmcnt(2)
	v_fma_f64 v[196:197], -v[150:151], v[206:207], v[196:197]
	v_fma_f64 v[146:147], -v[150:151], v[208:209], v[146:147]
	s_waitcnt lgkmcnt(1)
	v_fma_f64 v[194:195], -v[150:151], v[210:211], v[194:195]
	ds_read2_b64 v[206:209], v7 offset0:14 offset1:15
	v_fma_f64 v[144:145], -v[150:151], v[212:213], v[144:145]
	ds_read2_b64 v[210:213], v7 offset0:16 offset1:17
	s_waitcnt lgkmcnt(2)
	v_fma_f64 v[192:193], -v[150:151], v[0:1], v[192:193]
	v_fma_f64 v[142:143], -v[150:151], v[2:3], v[142:143]
	ds_read2_b64 v[0:3], v7 offset0:18 offset1:19
	s_waitcnt lgkmcnt(2)
	v_fma_f64 v[190:191], -v[150:151], v[206:207], v[190:191]
	;; [unrolled: 4-line block ×3, first 2 shown]
	v_fma_f64 v[138:139], -v[150:151], v[212:213], v[138:139]
	s_waitcnt lgkmcnt(1)
	v_fma_f64 v[186:187], -v[150:151], v[0:1], v[186:187]
	ds_read2_b64 v[210:213], v7 offset0:22 offset1:23
	v_fma_f64 v[136:137], -v[150:151], v[2:3], v[136:137]
	ds_read2_b64 v[0:3], v7 offset0:24 offset1:25
	s_waitcnt lgkmcnt(2)
	v_fma_f64 v[184:185], -v[150:151], v[206:207], v[184:185]
	v_fma_f64 v[134:135], -v[150:151], v[208:209], v[134:135]
	s_waitcnt lgkmcnt(1)
	v_fma_f64 v[182:183], -v[150:151], v[210:211], v[182:183]
	ds_read2_b64 v[206:209], v7 offset0:26 offset1:27
	v_fma_f64 v[132:133], -v[150:151], v[212:213], v[132:133]
	ds_read2_b64 v[210:213], v7 offset0:28 offset1:29
	s_waitcnt lgkmcnt(2)
	v_fma_f64 v[180:181], -v[150:151], v[0:1], v[180:181]
	v_fma_f64 v[130:131], -v[150:151], v[2:3], v[130:131]
	ds_read2_b64 v[0:3], v7 offset0:30 offset1:31
	s_waitcnt lgkmcnt(2)
	v_fma_f64 v[178:179], -v[150:151], v[206:207], v[178:179]
	;; [unrolled: 4-line block ×3, first 2 shown]
	v_fma_f64 v[126:127], -v[150:151], v[212:213], v[126:127]
	s_waitcnt lgkmcnt(1)
	v_fma_f64 v[174:175], -v[150:151], v[0:1], v[174:175]
	ds_read2_b64 v[210:213], v7 offset0:34 offset1:35
	v_fma_f64 v[124:125], -v[150:151], v[2:3], v[124:125]
	ds_read2_b64 v[0:3], v7 offset0:36 offset1:37
	s_waitcnt lgkmcnt(2)
	v_fma_f64 v[172:173], -v[150:151], v[206:207], v[172:173]
	v_fma_f64 v[122:123], -v[150:151], v[208:209], v[122:123]
	s_waitcnt lgkmcnt(1)
	v_fma_f64 v[170:171], -v[150:151], v[210:211], v[170:171]
	ds_read2_b64 v[206:209], v7 offset0:38 offset1:39
	v_fma_f64 v[120:121], -v[150:151], v[212:213], v[120:121]
	ds_read2_b64 v[210:213], v7 offset0:40 offset1:41
	s_waitcnt lgkmcnt(2)
	v_fma_f64 v[168:169], -v[150:151], v[0:1], v[168:169]
	v_fma_f64 v[118:119], -v[150:151], v[2:3], v[118:119]
	ds_read2_b64 v[0:3], v7 offset0:42 offset1:43
	s_waitcnt lgkmcnt(2)
	v_fma_f64 v[166:167], -v[150:151], v[206:207], v[166:167]
	;; [unrolled: 4-line block ×3, first 2 shown]
	v_fma_f64 v[114:115], -v[150:151], v[212:213], v[114:115]
	s_waitcnt lgkmcnt(1)
	v_fma_f64 v[162:163], -v[150:151], v[0:1], v[162:163]
	v_fma_f64 v[112:113], -v[150:151], v[2:3], v[112:113]
	ds_read2_b64 v[0:3], v7 offset0:46 offset1:47
	ds_read2_b64 v[210:213], v7 offset0:48 offset1:49
	ds_read_b64 v[4:5], v7 offset:400
	s_waitcnt lgkmcnt(3)
	v_fma_f64 v[160:161], -v[150:151], v[206:207], v[160:161]
	v_fma_f64 v[110:111], -v[150:151], v[208:209], v[110:111]
	s_waitcnt lgkmcnt(2)
	v_fma_f64 v[158:159], -v[150:151], v[0:1], v[158:159]
	v_fma_f64 v[108:109], -v[150:151], v[2:3], v[108:109]
	;; [unrolled: 3-line block ×3, first 2 shown]
	s_waitcnt lgkmcnt(0)
	v_fma_f64 v[204:205], -v[150:151], v[4:5], v[204:205]
.LBB101_31:
	s_or_b64 exec, exec, s[2:3]
	v_cmp_eq_u32_e32 vcc, 6, v8
	s_waitcnt vmcnt(63) expcnt(7) lgkmcnt(15)
	s_barrier
	s_and_saveexec_b64 s[2:3], vcc
	s_cbranch_execz .LBB101_34
; %bb.32:
	s_waitcnt vmcnt(52)
	ds_write_b64 v6, v[198:199]
	s_waitcnt vmcnt(46)
	ds_write2_b64 v7, v[148:149], v[196:197] offset0:7 offset1:8
	s_waitcnt vmcnt(42)
	ds_write2_b64 v7, v[146:147], v[194:195] offset0:9 offset1:10
	;; [unrolled: 2-line block ×22, first 2 shown]
	ds_read_b64 v[0:1], v6
	s_waitcnt lgkmcnt(0)
	v_cmp_neq_f64_e32 vcc, 0, v[0:1]
	s_and_b64 exec, exec, vcc
	s_cbranch_execz .LBB101_34
; %bb.33:
	v_div_scale_f64 v[2:3], s[6:7], v[0:1], v[0:1], 1.0
	v_rcp_f64_e32 v[4:5], v[2:3]
	v_div_scale_f64 v[10:11], vcc, 1.0, v[0:1], 1.0
	v_fma_f64 v[12:13], -v[2:3], v[4:5], 1.0
	v_fmac_f64_e32 v[4:5], v[4:5], v[12:13]
	v_fma_f64 v[12:13], -v[2:3], v[4:5], 1.0
	v_fmac_f64_e32 v[4:5], v[4:5], v[12:13]
	v_mul_f64 v[12:13], v[10:11], v[4:5]
	v_fma_f64 v[2:3], -v[2:3], v[12:13], v[10:11]
	v_div_fmas_f64 v[2:3], v[2:3], v[4:5], v[12:13]
	v_div_fixup_f64 v[0:1], v[2:3], v[0:1], 1.0
	ds_write_b64 v6, v[0:1]
.LBB101_34:
	s_or_b64 exec, exec, s[2:3]
	s_waitcnt lgkmcnt(0)
	s_barrier
	ds_read_b64 v[0:1], v6
	v_cmp_lt_u32_e32 vcc, 6, v8
	s_waitcnt lgkmcnt(0)
	buffer_store_dword v0, off, s[16:19], 0 offset:72 ; 4-byte Folded Spill
	s_nop 0
	buffer_store_dword v1, off, s[16:19], 0 offset:76 ; 4-byte Folded Spill
	s_and_saveexec_b64 s[2:3], vcc
	s_cbranch_execz .LBB101_36
; %bb.35:
	ds_read2_b64 v[0:3], v7 offset0:7 offset1:8
	ds_read2_b64 v[206:209], v7 offset0:9 offset1:10
	buffer_load_dword v4, off, s[16:19], 0 offset:72 ; 4-byte Folded Reload
	buffer_load_dword v5, off, s[16:19], 0 offset:76 ; 4-byte Folded Reload
	ds_read2_b64 v[210:213], v7 offset0:11 offset1:12
	s_waitcnt vmcnt(0)
	v_mul_f64 v[198:199], v[4:5], v[198:199]
	s_waitcnt lgkmcnt(2)
	v_fma_f64 v[148:149], -v[198:199], v[0:1], v[148:149]
	v_fma_f64 v[196:197], -v[198:199], v[2:3], v[196:197]
	ds_read2_b64 v[0:3], v7 offset0:13 offset1:14
	s_waitcnt lgkmcnt(2)
	v_fma_f64 v[146:147], -v[198:199], v[206:207], v[146:147]
	v_fma_f64 v[194:195], -v[198:199], v[208:209], v[194:195]
	s_waitcnt lgkmcnt(1)
	v_fma_f64 v[144:145], -v[198:199], v[210:211], v[144:145]
	ds_read2_b64 v[206:209], v7 offset0:15 offset1:16
	v_fma_f64 v[192:193], -v[198:199], v[212:213], v[192:193]
	ds_read2_b64 v[210:213], v7 offset0:17 offset1:18
	s_waitcnt lgkmcnt(2)
	v_fma_f64 v[142:143], -v[198:199], v[0:1], v[142:143]
	v_fma_f64 v[190:191], -v[198:199], v[2:3], v[190:191]
	ds_read2_b64 v[0:3], v7 offset0:19 offset1:20
	s_waitcnt lgkmcnt(2)
	v_fma_f64 v[140:141], -v[198:199], v[206:207], v[140:141]
	v_fma_f64 v[188:189], -v[198:199], v[208:209], v[188:189]
	ds_read2_b64 v[206:209], v7 offset0:21 offset1:22
	s_waitcnt lgkmcnt(2)
	v_fma_f64 v[138:139], -v[198:199], v[210:211], v[138:139]
	v_fma_f64 v[186:187], -v[198:199], v[212:213], v[186:187]
	s_waitcnt lgkmcnt(1)
	v_fma_f64 v[136:137], -v[198:199], v[0:1], v[136:137]
	ds_read2_b64 v[210:213], v7 offset0:23 offset1:24
	v_fma_f64 v[184:185], -v[198:199], v[2:3], v[184:185]
	ds_read2_b64 v[0:3], v7 offset0:25 offset1:26
	s_waitcnt lgkmcnt(2)
	v_fma_f64 v[134:135], -v[198:199], v[206:207], v[134:135]
	v_fma_f64 v[182:183], -v[198:199], v[208:209], v[182:183]
	s_waitcnt lgkmcnt(1)
	v_fma_f64 v[132:133], -v[198:199], v[210:211], v[132:133]
	ds_read2_b64 v[206:209], v7 offset0:27 offset1:28
	v_fma_f64 v[180:181], -v[198:199], v[212:213], v[180:181]
	ds_read2_b64 v[210:213], v7 offset0:29 offset1:30
	s_waitcnt lgkmcnt(2)
	v_fma_f64 v[130:131], -v[198:199], v[0:1], v[130:131]
	v_fma_f64 v[178:179], -v[198:199], v[2:3], v[178:179]
	ds_read2_b64 v[0:3], v7 offset0:31 offset1:32
	s_waitcnt lgkmcnt(2)
	v_fma_f64 v[128:129], -v[198:199], v[206:207], v[128:129]
	v_fma_f64 v[176:177], -v[198:199], v[208:209], v[176:177]
	ds_read2_b64 v[206:209], v7 offset0:33 offset1:34
	s_waitcnt lgkmcnt(2)
	v_fma_f64 v[126:127], -v[198:199], v[210:211], v[126:127]
	v_fma_f64 v[174:175], -v[198:199], v[212:213], v[174:175]
	s_waitcnt lgkmcnt(1)
	v_fma_f64 v[124:125], -v[198:199], v[0:1], v[124:125]
	ds_read2_b64 v[210:213], v7 offset0:35 offset1:36
	;; [unrolled: 24-line block ×3, first 2 shown]
	v_fma_f64 v[160:161], -v[198:199], v[2:3], v[160:161]
	ds_read2_b64 v[0:3], v7 offset0:49 offset1:50
	s_waitcnt lgkmcnt(2)
	v_fma_f64 v[110:111], -v[198:199], v[206:207], v[110:111]
	v_fma_f64 v[158:159], -v[198:199], v[208:209], v[158:159]
	s_waitcnt lgkmcnt(1)
	v_fma_f64 v[108:109], -v[198:199], v[210:211], v[108:109]
	v_fma_f64 v[156:157], -v[198:199], v[212:213], v[156:157]
	;; [unrolled: 3-line block ×3, first 2 shown]
.LBB101_36:
	s_or_b64 exec, exec, s[2:3]
	v_cmp_eq_u32_e32 vcc, 7, v8
	s_waitcnt vmcnt(63) expcnt(7) lgkmcnt(15)
	s_barrier
	s_and_saveexec_b64 s[2:3], vcc
	s_cbranch_execz .LBB101_39
; %bb.37:
	s_waitcnt vmcnt(48)
	v_mov_b32_e32 v0, v196
	v_mov_b32_e32 v1, v197
	s_waitcnt vmcnt(45)
	v_mov_b32_e32 v2, v146
	v_mov_b32_e32 v3, v147
	ds_write_b64 v6, v[148:149]
	ds_write2_b64 v7, v[0:1], v[2:3] offset0:8 offset1:9
	s_waitcnt vmcnt(44)
	v_mov_b32_e32 v0, v194
	v_mov_b32_e32 v1, v195
	s_waitcnt vmcnt(43)
	v_mov_b32_e32 v2, v144
	v_mov_b32_e32 v3, v145
	ds_write2_b64 v7, v[0:1], v[2:3] offset0:10 offset1:11
	s_waitcnt vmcnt(42)
	v_mov_b32_e32 v0, v192
	v_mov_b32_e32 v1, v193
	s_waitcnt vmcnt(41)
	v_mov_b32_e32 v2, v142
	v_mov_b32_e32 v3, v143
	;; [unrolled: 7-line block ×20, first 2 shown]
	ds_write2_b64 v7, v[0:1], v[2:3] offset0:48 offset1:49
	s_waitcnt vmcnt(4)
	ds_write_b64 v7, v[204:205] offset:400
	ds_read_b64 v[0:1], v6
	s_waitcnt lgkmcnt(0)
	v_cmp_neq_f64_e32 vcc, 0, v[0:1]
	s_and_b64 exec, exec, vcc
	s_cbranch_execz .LBB101_39
; %bb.38:
	v_div_scale_f64 v[2:3], s[6:7], v[0:1], v[0:1], 1.0
	v_rcp_f64_e32 v[4:5], v[2:3]
	v_div_scale_f64 v[10:11], vcc, 1.0, v[0:1], 1.0
	v_fma_f64 v[12:13], -v[2:3], v[4:5], 1.0
	v_fmac_f64_e32 v[4:5], v[4:5], v[12:13]
	v_fma_f64 v[12:13], -v[2:3], v[4:5], 1.0
	v_fmac_f64_e32 v[4:5], v[4:5], v[12:13]
	v_mul_f64 v[12:13], v[10:11], v[4:5]
	v_fma_f64 v[2:3], -v[2:3], v[12:13], v[10:11]
	v_div_fmas_f64 v[2:3], v[2:3], v[4:5], v[12:13]
	v_div_fixup_f64 v[0:1], v[2:3], v[0:1], 1.0
	ds_write_b64 v6, v[0:1]
.LBB101_39:
	s_or_b64 exec, exec, s[2:3]
	s_waitcnt lgkmcnt(0)
	s_barrier
	ds_read_b64 v[0:1], v6
	v_cmp_lt_u32_e32 vcc, 7, v8
	s_waitcnt lgkmcnt(0)
	buffer_store_dword v0, off, s[16:19], 0 offset:80 ; 4-byte Folded Spill
	s_nop 0
	buffer_store_dword v1, off, s[16:19], 0 offset:84 ; 4-byte Folded Spill
	s_and_saveexec_b64 s[2:3], vcc
	s_cbranch_execz .LBB101_41
; %bb.40:
	ds_read2_b64 v[0:3], v7 offset0:8 offset1:9
	ds_read2_b64 v[206:209], v7 offset0:10 offset1:11
	buffer_load_dword v4, off, s[16:19], 0 offset:80 ; 4-byte Folded Reload
	buffer_load_dword v5, off, s[16:19], 0 offset:84 ; 4-byte Folded Reload
	ds_read2_b64 v[210:213], v7 offset0:12 offset1:13
	s_waitcnt vmcnt(0)
	v_mul_f64 v[148:149], v[4:5], v[148:149]
	s_waitcnt lgkmcnt(2)
	v_fma_f64 v[196:197], -v[148:149], v[0:1], v[196:197]
	v_fma_f64 v[146:147], -v[148:149], v[2:3], v[146:147]
	ds_read2_b64 v[0:3], v7 offset0:14 offset1:15
	s_waitcnt lgkmcnt(2)
	v_fma_f64 v[194:195], -v[148:149], v[206:207], v[194:195]
	v_fma_f64 v[144:145], -v[148:149], v[208:209], v[144:145]
	s_waitcnt lgkmcnt(1)
	v_fma_f64 v[192:193], -v[148:149], v[210:211], v[192:193]
	ds_read2_b64 v[206:209], v7 offset0:16 offset1:17
	v_fma_f64 v[142:143], -v[148:149], v[212:213], v[142:143]
	ds_read2_b64 v[210:213], v7 offset0:18 offset1:19
	s_waitcnt lgkmcnt(2)
	v_fma_f64 v[190:191], -v[148:149], v[0:1], v[190:191]
	v_fma_f64 v[140:141], -v[148:149], v[2:3], v[140:141]
	ds_read2_b64 v[0:3], v7 offset0:20 offset1:21
	s_waitcnt lgkmcnt(2)
	v_fma_f64 v[188:189], -v[148:149], v[206:207], v[188:189]
	v_fma_f64 v[138:139], -v[148:149], v[208:209], v[138:139]
	ds_read2_b64 v[206:209], v7 offset0:22 offset1:23
	s_waitcnt lgkmcnt(2)
	v_fma_f64 v[186:187], -v[148:149], v[210:211], v[186:187]
	v_fma_f64 v[136:137], -v[148:149], v[212:213], v[136:137]
	s_waitcnt lgkmcnt(1)
	v_fma_f64 v[184:185], -v[148:149], v[0:1], v[184:185]
	ds_read2_b64 v[210:213], v7 offset0:24 offset1:25
	v_fma_f64 v[134:135], -v[148:149], v[2:3], v[134:135]
	ds_read2_b64 v[0:3], v7 offset0:26 offset1:27
	s_waitcnt lgkmcnt(2)
	v_fma_f64 v[182:183], -v[148:149], v[206:207], v[182:183]
	v_fma_f64 v[132:133], -v[148:149], v[208:209], v[132:133]
	s_waitcnt lgkmcnt(1)
	v_fma_f64 v[180:181], -v[148:149], v[210:211], v[180:181]
	ds_read2_b64 v[206:209], v7 offset0:28 offset1:29
	v_fma_f64 v[130:131], -v[148:149], v[212:213], v[130:131]
	ds_read2_b64 v[210:213], v7 offset0:30 offset1:31
	s_waitcnt lgkmcnt(2)
	v_fma_f64 v[178:179], -v[148:149], v[0:1], v[178:179]
	v_fma_f64 v[128:129], -v[148:149], v[2:3], v[128:129]
	ds_read2_b64 v[0:3], v7 offset0:32 offset1:33
	s_waitcnt lgkmcnt(2)
	v_fma_f64 v[176:177], -v[148:149], v[206:207], v[176:177]
	v_fma_f64 v[126:127], -v[148:149], v[208:209], v[126:127]
	ds_read2_b64 v[206:209], v7 offset0:34 offset1:35
	s_waitcnt lgkmcnt(2)
	v_fma_f64 v[174:175], -v[148:149], v[210:211], v[174:175]
	v_fma_f64 v[124:125], -v[148:149], v[212:213], v[124:125]
	s_waitcnt lgkmcnt(1)
	v_fma_f64 v[172:173], -v[148:149], v[0:1], v[172:173]
	ds_read2_b64 v[210:213], v7 offset0:36 offset1:37
	;; [unrolled: 24-line block ×3, first 2 shown]
	ds_read_b64 v[0:1], v7 offset:400
	v_fma_f64 v[110:111], -v[148:149], v[2:3], v[110:111]
	s_waitcnt lgkmcnt(2)
	v_fma_f64 v[158:159], -v[148:149], v[206:207], v[158:159]
	v_fma_f64 v[108:109], -v[148:149], v[208:209], v[108:109]
	s_waitcnt lgkmcnt(1)
	v_fma_f64 v[156:157], -v[148:149], v[210:211], v[156:157]
	;; [unrolled: 3-line block ×3, first 2 shown]
.LBB101_41:
	s_or_b64 exec, exec, s[2:3]
	v_cmp_eq_u32_e32 vcc, 8, v8
	s_waitcnt vmcnt(63) expcnt(7) lgkmcnt(15)
	s_barrier
	s_and_saveexec_b64 s[2:3], vcc
	s_cbranch_execz .LBB101_44
; %bb.42:
	s_waitcnt vmcnt(50)
	ds_write_b64 v6, v[196:197]
	s_waitcnt vmcnt(46)
	ds_write2_b64 v7, v[146:147], v[194:195] offset0:9 offset1:10
	s_waitcnt vmcnt(44)
	ds_write2_b64 v7, v[144:145], v[192:193] offset0:11 offset1:12
	;; [unrolled: 2-line block ×21, first 2 shown]
	ds_read_b64 v[0:1], v6
	s_waitcnt lgkmcnt(0)
	v_cmp_neq_f64_e32 vcc, 0, v[0:1]
	s_and_b64 exec, exec, vcc
	s_cbranch_execz .LBB101_44
; %bb.43:
	v_div_scale_f64 v[2:3], s[6:7], v[0:1], v[0:1], 1.0
	v_rcp_f64_e32 v[4:5], v[2:3]
	v_div_scale_f64 v[10:11], vcc, 1.0, v[0:1], 1.0
	v_fma_f64 v[12:13], -v[2:3], v[4:5], 1.0
	v_fmac_f64_e32 v[4:5], v[4:5], v[12:13]
	v_fma_f64 v[12:13], -v[2:3], v[4:5], 1.0
	v_fmac_f64_e32 v[4:5], v[4:5], v[12:13]
	v_mul_f64 v[12:13], v[10:11], v[4:5]
	v_fma_f64 v[2:3], -v[2:3], v[12:13], v[10:11]
	v_div_fmas_f64 v[2:3], v[2:3], v[4:5], v[12:13]
	v_div_fixup_f64 v[0:1], v[2:3], v[0:1], 1.0
	ds_write_b64 v6, v[0:1]
.LBB101_44:
	s_or_b64 exec, exec, s[2:3]
	s_waitcnt lgkmcnt(0)
	s_barrier
	ds_read_b64 v[0:1], v6
	v_cmp_lt_u32_e32 vcc, 8, v8
	s_waitcnt lgkmcnt(0)
	buffer_store_dword v0, off, s[16:19], 0 offset:88 ; 4-byte Folded Spill
	s_nop 0
	buffer_store_dword v1, off, s[16:19], 0 offset:92 ; 4-byte Folded Spill
	s_and_saveexec_b64 s[2:3], vcc
	s_cbranch_execz .LBB101_46
; %bb.45:
	ds_read2_b64 v[0:3], v7 offset0:9 offset1:10
	ds_read2_b64 v[206:209], v7 offset0:11 offset1:12
	buffer_load_dword v4, off, s[16:19], 0 offset:88 ; 4-byte Folded Reload
	buffer_load_dword v5, off, s[16:19], 0 offset:92 ; 4-byte Folded Reload
	ds_read2_b64 v[210:213], v7 offset0:13 offset1:14
	s_waitcnt vmcnt(0)
	v_mul_f64 v[196:197], v[4:5], v[196:197]
	s_waitcnt lgkmcnt(2)
	v_fma_f64 v[146:147], -v[196:197], v[0:1], v[146:147]
	v_fma_f64 v[194:195], -v[196:197], v[2:3], v[194:195]
	ds_read2_b64 v[0:3], v7 offset0:15 offset1:16
	s_waitcnt lgkmcnt(2)
	v_fma_f64 v[144:145], -v[196:197], v[206:207], v[144:145]
	v_fma_f64 v[192:193], -v[196:197], v[208:209], v[192:193]
	s_waitcnt lgkmcnt(1)
	v_fma_f64 v[142:143], -v[196:197], v[210:211], v[142:143]
	ds_read2_b64 v[206:209], v7 offset0:17 offset1:18
	v_fma_f64 v[190:191], -v[196:197], v[212:213], v[190:191]
	ds_read2_b64 v[210:213], v7 offset0:19 offset1:20
	s_waitcnt lgkmcnt(2)
	v_fma_f64 v[140:141], -v[196:197], v[0:1], v[140:141]
	v_fma_f64 v[188:189], -v[196:197], v[2:3], v[188:189]
	s_waitcnt lgkmcnt(1)
	v_fma_f64 v[138:139], -v[196:197], v[206:207], v[138:139]
	ds_read2_b64 v[0:3], v7 offset0:21 offset1:22
	v_fma_f64 v[186:187], -v[196:197], v[208:209], v[186:187]
	ds_read2_b64 v[206:209], v7 offset0:23 offset1:24
	s_waitcnt lgkmcnt(2)
	v_fma_f64 v[136:137], -v[196:197], v[210:211], v[136:137]
	v_fma_f64 v[184:185], -v[196:197], v[212:213], v[184:185]
	ds_read2_b64 v[210:213], v7 offset0:25 offset1:26
	s_waitcnt lgkmcnt(2)
	v_fma_f64 v[134:135], -v[196:197], v[0:1], v[134:135]
	;; [unrolled: 4-line block ×3, first 2 shown]
	v_fma_f64 v[180:181], -v[196:197], v[208:209], v[180:181]
	s_waitcnt lgkmcnt(1)
	v_fma_f64 v[130:131], -v[196:197], v[210:211], v[130:131]
	ds_read2_b64 v[206:209], v7 offset0:29 offset1:30
	v_fma_f64 v[178:179], -v[196:197], v[212:213], v[178:179]
	ds_read2_b64 v[210:213], v7 offset0:31 offset1:32
	s_waitcnt lgkmcnt(2)
	v_fma_f64 v[128:129], -v[196:197], v[0:1], v[128:129]
	v_fma_f64 v[176:177], -v[196:197], v[2:3], v[176:177]
	s_waitcnt lgkmcnt(1)
	v_fma_f64 v[126:127], -v[196:197], v[206:207], v[126:127]
	ds_read2_b64 v[0:3], v7 offset0:33 offset1:34
	v_fma_f64 v[174:175], -v[196:197], v[208:209], v[174:175]
	ds_read2_b64 v[206:209], v7 offset0:35 offset1:36
	s_waitcnt lgkmcnt(2)
	v_fma_f64 v[124:125], -v[196:197], v[210:211], v[124:125]
	v_fma_f64 v[172:173], -v[196:197], v[212:213], v[172:173]
	ds_read2_b64 v[210:213], v7 offset0:37 offset1:38
	s_waitcnt lgkmcnt(2)
	v_fma_f64 v[122:123], -v[196:197], v[0:1], v[122:123]
	v_fma_f64 v[170:171], -v[196:197], v[2:3], v[170:171]
	ds_read2_b64 v[0:3], v7 offset0:39 offset1:40
	s_waitcnt lgkmcnt(2)
	v_fma_f64 v[120:121], -v[196:197], v[206:207], v[120:121]
	v_fma_f64 v[168:169], -v[196:197], v[208:209], v[168:169]
	s_waitcnt lgkmcnt(1)
	v_fma_f64 v[118:119], -v[196:197], v[210:211], v[118:119]
	ds_read2_b64 v[206:209], v7 offset0:41 offset1:42
	v_fma_f64 v[166:167], -v[196:197], v[212:213], v[166:167]
	ds_read2_b64 v[210:213], v7 offset0:43 offset1:44
	s_waitcnt lgkmcnt(2)
	v_fma_f64 v[116:117], -v[196:197], v[0:1], v[116:117]
	v_fma_f64 v[164:165], -v[196:197], v[2:3], v[164:165]
	s_waitcnt lgkmcnt(1)
	v_fma_f64 v[114:115], -v[196:197], v[206:207], v[114:115]
	v_fma_f64 v[162:163], -v[196:197], v[208:209], v[162:163]
	ds_read2_b64 v[0:3], v7 offset0:45 offset1:46
	ds_read2_b64 v[206:209], v7 offset0:47 offset1:48
	s_waitcnt lgkmcnt(2)
	v_fma_f64 v[112:113], -v[196:197], v[210:211], v[112:113]
	v_fma_f64 v[160:161], -v[196:197], v[212:213], v[160:161]
	ds_read2_b64 v[210:213], v7 offset0:49 offset1:50
	s_waitcnt lgkmcnt(2)
	v_fma_f64 v[110:111], -v[196:197], v[0:1], v[110:111]
	v_fma_f64 v[158:159], -v[196:197], v[2:3], v[158:159]
	s_waitcnt lgkmcnt(1)
	v_fma_f64 v[108:109], -v[196:197], v[206:207], v[108:109]
	v_fma_f64 v[156:157], -v[196:197], v[208:209], v[156:157]
	;; [unrolled: 3-line block ×3, first 2 shown]
.LBB101_46:
	s_or_b64 exec, exec, s[2:3]
	v_cmp_eq_u32_e32 vcc, 9, v8
	s_waitcnt vmcnt(63) expcnt(7) lgkmcnt(15)
	s_barrier
	s_and_saveexec_b64 s[2:3], vcc
	s_cbranch_execz .LBB101_49
; %bb.47:
	s_waitcnt vmcnt(48)
	v_mov_b32_e32 v0, v194
	v_mov_b32_e32 v1, v195
	s_waitcnt vmcnt(47)
	v_mov_b32_e32 v2, v144
	v_mov_b32_e32 v3, v145
	ds_write_b64 v6, v[146:147]
	ds_write2_b64 v7, v[0:1], v[2:3] offset0:10 offset1:11
	s_waitcnt vmcnt(46)
	v_mov_b32_e32 v0, v192
	v_mov_b32_e32 v1, v193
	s_waitcnt vmcnt(45)
	v_mov_b32_e32 v2, v142
	v_mov_b32_e32 v3, v143
	ds_write2_b64 v7, v[0:1], v[2:3] offset0:12 offset1:13
	s_waitcnt vmcnt(44)
	v_mov_b32_e32 v0, v190
	v_mov_b32_e32 v1, v191
	s_waitcnt vmcnt(43)
	v_mov_b32_e32 v2, v140
	v_mov_b32_e32 v3, v141
	;; [unrolled: 7-line block ×19, first 2 shown]
	ds_write2_b64 v7, v[0:1], v[2:3] offset0:48 offset1:49
	s_waitcnt vmcnt(8)
	ds_write_b64 v7, v[204:205] offset:400
	ds_read_b64 v[0:1], v6
	s_waitcnt lgkmcnt(0)
	v_cmp_neq_f64_e32 vcc, 0, v[0:1]
	s_and_b64 exec, exec, vcc
	s_cbranch_execz .LBB101_49
; %bb.48:
	v_div_scale_f64 v[2:3], s[6:7], v[0:1], v[0:1], 1.0
	v_rcp_f64_e32 v[4:5], v[2:3]
	v_div_scale_f64 v[10:11], vcc, 1.0, v[0:1], 1.0
	v_fma_f64 v[12:13], -v[2:3], v[4:5], 1.0
	v_fmac_f64_e32 v[4:5], v[4:5], v[12:13]
	v_fma_f64 v[12:13], -v[2:3], v[4:5], 1.0
	v_fmac_f64_e32 v[4:5], v[4:5], v[12:13]
	v_mul_f64 v[12:13], v[10:11], v[4:5]
	v_fma_f64 v[2:3], -v[2:3], v[12:13], v[10:11]
	v_div_fmas_f64 v[2:3], v[2:3], v[4:5], v[12:13]
	v_div_fixup_f64 v[0:1], v[2:3], v[0:1], 1.0
	ds_write_b64 v6, v[0:1]
.LBB101_49:
	s_or_b64 exec, exec, s[2:3]
	s_waitcnt lgkmcnt(0)
	s_barrier
	ds_read_b64 v[0:1], v6
	v_cmp_lt_u32_e32 vcc, 9, v8
	s_waitcnt lgkmcnt(0)
	buffer_store_dword v0, off, s[16:19], 0 offset:96 ; 4-byte Folded Spill
	s_nop 0
	buffer_store_dword v1, off, s[16:19], 0 offset:100 ; 4-byte Folded Spill
	s_and_saveexec_b64 s[2:3], vcc
	s_cbranch_execz .LBB101_51
; %bb.50:
	ds_read2_b64 v[0:3], v7 offset0:10 offset1:11
	ds_read2_b64 v[206:209], v7 offset0:12 offset1:13
	buffer_load_dword v4, off, s[16:19], 0 offset:96 ; 4-byte Folded Reload
	buffer_load_dword v5, off, s[16:19], 0 offset:100 ; 4-byte Folded Reload
	ds_read2_b64 v[210:213], v7 offset0:14 offset1:15
	s_waitcnt vmcnt(0)
	v_mul_f64 v[146:147], v[4:5], v[146:147]
	s_waitcnt lgkmcnt(2)
	v_fma_f64 v[194:195], -v[146:147], v[0:1], v[194:195]
	v_fma_f64 v[144:145], -v[146:147], v[2:3], v[144:145]
	ds_read2_b64 v[0:3], v7 offset0:16 offset1:17
	s_waitcnt lgkmcnt(2)
	v_fma_f64 v[192:193], -v[146:147], v[206:207], v[192:193]
	v_fma_f64 v[142:143], -v[146:147], v[208:209], v[142:143]
	ds_read2_b64 v[206:209], v7 offset0:18 offset1:19
	;; [unrolled: 4-line block ×3, first 2 shown]
	s_waitcnt lgkmcnt(2)
	v_fma_f64 v[188:189], -v[146:147], v[0:1], v[188:189]
	v_fma_f64 v[138:139], -v[146:147], v[2:3], v[138:139]
	s_waitcnt lgkmcnt(1)
	v_fma_f64 v[186:187], -v[146:147], v[206:207], v[186:187]
	ds_read2_b64 v[0:3], v7 offset0:22 offset1:23
	v_fma_f64 v[136:137], -v[146:147], v[208:209], v[136:137]
	ds_read2_b64 v[206:209], v7 offset0:24 offset1:25
	s_waitcnt lgkmcnt(2)
	v_fma_f64 v[184:185], -v[146:147], v[210:211], v[184:185]
	v_fma_f64 v[134:135], -v[146:147], v[212:213], v[134:135]
	s_waitcnt lgkmcnt(1)
	v_fma_f64 v[182:183], -v[146:147], v[0:1], v[182:183]
	ds_read2_b64 v[210:213], v7 offset0:26 offset1:27
	v_fma_f64 v[132:133], -v[146:147], v[2:3], v[132:133]
	ds_read2_b64 v[0:3], v7 offset0:28 offset1:29
	s_waitcnt lgkmcnt(2)
	v_fma_f64 v[180:181], -v[146:147], v[206:207], v[180:181]
	v_fma_f64 v[130:131], -v[146:147], v[208:209], v[130:131]
	ds_read2_b64 v[206:209], v7 offset0:30 offset1:31
	s_waitcnt lgkmcnt(2)
	v_fma_f64 v[178:179], -v[146:147], v[210:211], v[178:179]
	;; [unrolled: 4-line block ×3, first 2 shown]
	v_fma_f64 v[126:127], -v[146:147], v[2:3], v[126:127]
	s_waitcnt lgkmcnt(1)
	v_fma_f64 v[174:175], -v[146:147], v[206:207], v[174:175]
	ds_read2_b64 v[0:3], v7 offset0:34 offset1:35
	v_fma_f64 v[124:125], -v[146:147], v[208:209], v[124:125]
	ds_read2_b64 v[206:209], v7 offset0:36 offset1:37
	s_waitcnt lgkmcnt(2)
	v_fma_f64 v[172:173], -v[146:147], v[210:211], v[172:173]
	v_fma_f64 v[122:123], -v[146:147], v[212:213], v[122:123]
	s_waitcnt lgkmcnt(1)
	v_fma_f64 v[170:171], -v[146:147], v[0:1], v[170:171]
	ds_read2_b64 v[210:213], v7 offset0:38 offset1:39
	v_fma_f64 v[120:121], -v[146:147], v[2:3], v[120:121]
	ds_read2_b64 v[0:3], v7 offset0:40 offset1:41
	s_waitcnt lgkmcnt(2)
	v_fma_f64 v[168:169], -v[146:147], v[206:207], v[168:169]
	v_fma_f64 v[118:119], -v[146:147], v[208:209], v[118:119]
	ds_read2_b64 v[206:209], v7 offset0:42 offset1:43
	s_waitcnt lgkmcnt(2)
	v_fma_f64 v[166:167], -v[146:147], v[210:211], v[166:167]
	;; [unrolled: 4-line block ×3, first 2 shown]
	v_fma_f64 v[114:115], -v[146:147], v[2:3], v[114:115]
	s_waitcnt lgkmcnt(1)
	v_fma_f64 v[162:163], -v[146:147], v[206:207], v[162:163]
	v_fma_f64 v[112:113], -v[146:147], v[208:209], v[112:113]
	ds_read2_b64 v[0:3], v7 offset0:46 offset1:47
	ds_read2_b64 v[206:209], v7 offset0:48 offset1:49
	ds_read_b64 v[4:5], v7 offset:400
	s_waitcnt lgkmcnt(3)
	v_fma_f64 v[160:161], -v[146:147], v[210:211], v[160:161]
	v_fma_f64 v[110:111], -v[146:147], v[212:213], v[110:111]
	s_waitcnt lgkmcnt(2)
	v_fma_f64 v[158:159], -v[146:147], v[0:1], v[158:159]
	v_fma_f64 v[108:109], -v[146:147], v[2:3], v[108:109]
	;; [unrolled: 3-line block ×3, first 2 shown]
	s_waitcnt lgkmcnt(0)
	v_fma_f64 v[204:205], -v[146:147], v[4:5], v[204:205]
.LBB101_51:
	s_or_b64 exec, exec, s[2:3]
	v_cmp_eq_u32_e32 vcc, 10, v8
	s_waitcnt vmcnt(63) expcnt(7) lgkmcnt(15)
	s_barrier
	s_and_saveexec_b64 s[2:3], vcc
	s_cbranch_execz .LBB101_54
; %bb.52:
	s_waitcnt vmcnt(50)
	ds_write_b64 v6, v[194:195]
	s_waitcnt vmcnt(48)
	ds_write2_b64 v7, v[144:145], v[192:193] offset0:11 offset1:12
	s_waitcnt vmcnt(46)
	ds_write2_b64 v7, v[142:143], v[190:191] offset0:13 offset1:14
	;; [unrolled: 2-line block ×20, first 2 shown]
	ds_read_b64 v[0:1], v6
	s_waitcnt lgkmcnt(0)
	v_cmp_neq_f64_e32 vcc, 0, v[0:1]
	s_and_b64 exec, exec, vcc
	s_cbranch_execz .LBB101_54
; %bb.53:
	v_div_scale_f64 v[2:3], s[6:7], v[0:1], v[0:1], 1.0
	v_rcp_f64_e32 v[4:5], v[2:3]
	v_div_scale_f64 v[10:11], vcc, 1.0, v[0:1], 1.0
	v_fma_f64 v[12:13], -v[2:3], v[4:5], 1.0
	v_fmac_f64_e32 v[4:5], v[4:5], v[12:13]
	v_fma_f64 v[12:13], -v[2:3], v[4:5], 1.0
	v_fmac_f64_e32 v[4:5], v[4:5], v[12:13]
	v_mul_f64 v[12:13], v[10:11], v[4:5]
	v_fma_f64 v[2:3], -v[2:3], v[12:13], v[10:11]
	v_div_fmas_f64 v[2:3], v[2:3], v[4:5], v[12:13]
	v_div_fixup_f64 v[0:1], v[2:3], v[0:1], 1.0
	ds_write_b64 v6, v[0:1]
.LBB101_54:
	s_or_b64 exec, exec, s[2:3]
	s_waitcnt lgkmcnt(0)
	s_barrier
	ds_read_b64 v[0:1], v6
	v_cmp_lt_u32_e32 vcc, 10, v8
	s_waitcnt lgkmcnt(0)
	buffer_store_dword v0, off, s[16:19], 0 offset:104 ; 4-byte Folded Spill
	s_nop 0
	buffer_store_dword v1, off, s[16:19], 0 offset:108 ; 4-byte Folded Spill
	s_and_saveexec_b64 s[2:3], vcc
	s_cbranch_execz .LBB101_56
; %bb.55:
	ds_read2_b64 v[0:3], v7 offset0:11 offset1:12
	ds_read2_b64 v[206:209], v7 offset0:13 offset1:14
	buffer_load_dword v4, off, s[16:19], 0 offset:104 ; 4-byte Folded Reload
	buffer_load_dword v5, off, s[16:19], 0 offset:108 ; 4-byte Folded Reload
	ds_read2_b64 v[210:213], v7 offset0:15 offset1:16
	s_waitcnt vmcnt(0)
	v_mul_f64 v[194:195], v[4:5], v[194:195]
	s_waitcnt lgkmcnt(2)
	v_fma_f64 v[144:145], -v[194:195], v[0:1], v[144:145]
	v_fma_f64 v[192:193], -v[194:195], v[2:3], v[192:193]
	ds_read2_b64 v[0:3], v7 offset0:17 offset1:18
	s_waitcnt lgkmcnt(2)
	v_fma_f64 v[142:143], -v[194:195], v[206:207], v[142:143]
	v_fma_f64 v[190:191], -v[194:195], v[208:209], v[190:191]
	ds_read2_b64 v[206:209], v7 offset0:19 offset1:20
	;; [unrolled: 4-line block ×3, first 2 shown]
	s_waitcnt lgkmcnt(2)
	v_fma_f64 v[138:139], -v[194:195], v[0:1], v[138:139]
	v_fma_f64 v[186:187], -v[194:195], v[2:3], v[186:187]
	s_waitcnt lgkmcnt(1)
	v_fma_f64 v[136:137], -v[194:195], v[206:207], v[136:137]
	ds_read2_b64 v[0:3], v7 offset0:23 offset1:24
	v_fma_f64 v[184:185], -v[194:195], v[208:209], v[184:185]
	ds_read2_b64 v[206:209], v7 offset0:25 offset1:26
	s_waitcnt lgkmcnt(2)
	v_fma_f64 v[134:135], -v[194:195], v[210:211], v[134:135]
	v_fma_f64 v[182:183], -v[194:195], v[212:213], v[182:183]
	s_waitcnt lgkmcnt(1)
	v_fma_f64 v[132:133], -v[194:195], v[0:1], v[132:133]
	ds_read2_b64 v[210:213], v7 offset0:27 offset1:28
	v_fma_f64 v[180:181], -v[194:195], v[2:3], v[180:181]
	ds_read2_b64 v[0:3], v7 offset0:29 offset1:30
	s_waitcnt lgkmcnt(2)
	v_fma_f64 v[130:131], -v[194:195], v[206:207], v[130:131]
	v_fma_f64 v[178:179], -v[194:195], v[208:209], v[178:179]
	ds_read2_b64 v[206:209], v7 offset0:31 offset1:32
	s_waitcnt lgkmcnt(2)
	v_fma_f64 v[128:129], -v[194:195], v[210:211], v[128:129]
	;; [unrolled: 4-line block ×3, first 2 shown]
	v_fma_f64 v[174:175], -v[194:195], v[2:3], v[174:175]
	s_waitcnt lgkmcnt(1)
	v_fma_f64 v[124:125], -v[194:195], v[206:207], v[124:125]
	ds_read2_b64 v[0:3], v7 offset0:35 offset1:36
	v_fma_f64 v[172:173], -v[194:195], v[208:209], v[172:173]
	ds_read2_b64 v[206:209], v7 offset0:37 offset1:38
	s_waitcnt lgkmcnt(2)
	v_fma_f64 v[122:123], -v[194:195], v[210:211], v[122:123]
	v_fma_f64 v[170:171], -v[194:195], v[212:213], v[170:171]
	s_waitcnt lgkmcnt(1)
	v_fma_f64 v[120:121], -v[194:195], v[0:1], v[120:121]
	ds_read2_b64 v[210:213], v7 offset0:39 offset1:40
	v_fma_f64 v[168:169], -v[194:195], v[2:3], v[168:169]
	ds_read2_b64 v[0:3], v7 offset0:41 offset1:42
	s_waitcnt lgkmcnt(2)
	v_fma_f64 v[118:119], -v[194:195], v[206:207], v[118:119]
	v_fma_f64 v[166:167], -v[194:195], v[208:209], v[166:167]
	ds_read2_b64 v[206:209], v7 offset0:43 offset1:44
	s_waitcnt lgkmcnt(2)
	v_fma_f64 v[116:117], -v[194:195], v[210:211], v[116:117]
	v_fma_f64 v[164:165], -v[194:195], v[212:213], v[164:165]
	s_waitcnt lgkmcnt(1)
	v_fma_f64 v[114:115], -v[194:195], v[0:1], v[114:115]
	v_fma_f64 v[162:163], -v[194:195], v[2:3], v[162:163]
	ds_read2_b64 v[0:3], v7 offset0:45 offset1:46
	s_waitcnt lgkmcnt(1)
	v_fma_f64 v[112:113], -v[194:195], v[206:207], v[112:113]
	ds_read2_b64 v[210:213], v7 offset0:47 offset1:48
	v_fma_f64 v[160:161], -v[194:195], v[208:209], v[160:161]
	ds_read2_b64 v[206:209], v7 offset0:49 offset1:50
	s_waitcnt lgkmcnt(2)
	v_fma_f64 v[110:111], -v[194:195], v[0:1], v[110:111]
	v_fma_f64 v[158:159], -v[194:195], v[2:3], v[158:159]
	s_waitcnt lgkmcnt(1)
	v_fma_f64 v[108:109], -v[194:195], v[210:211], v[108:109]
	v_fma_f64 v[156:157], -v[194:195], v[212:213], v[156:157]
	;; [unrolled: 3-line block ×3, first 2 shown]
.LBB101_56:
	s_or_b64 exec, exec, s[2:3]
	v_cmp_eq_u32_e32 vcc, 11, v8
	s_waitcnt vmcnt(63) expcnt(7) lgkmcnt(15)
	s_barrier
	s_and_saveexec_b64 s[2:3], vcc
	s_cbranch_execz .LBB101_59
; %bb.57:
	s_waitcnt vmcnt(50)
	v_mov_b32_e32 v0, v192
	v_mov_b32_e32 v1, v193
	s_waitcnt vmcnt(49)
	v_mov_b32_e32 v2, v142
	v_mov_b32_e32 v3, v143
	ds_write_b64 v6, v[144:145]
	ds_write2_b64 v7, v[0:1], v[2:3] offset0:12 offset1:13
	s_waitcnt vmcnt(48)
	v_mov_b32_e32 v0, v190
	v_mov_b32_e32 v1, v191
	s_waitcnt vmcnt(47)
	v_mov_b32_e32 v2, v140
	v_mov_b32_e32 v3, v141
	ds_write2_b64 v7, v[0:1], v[2:3] offset0:14 offset1:15
	s_waitcnt vmcnt(46)
	v_mov_b32_e32 v0, v188
	v_mov_b32_e32 v1, v189
	s_waitcnt vmcnt(45)
	v_mov_b32_e32 v2, v138
	v_mov_b32_e32 v3, v139
	;; [unrolled: 7-line block ×18, first 2 shown]
	ds_write2_b64 v7, v[0:1], v[2:3] offset0:48 offset1:49
	s_waitcnt vmcnt(12)
	ds_write_b64 v7, v[204:205] offset:400
	ds_read_b64 v[0:1], v6
	s_waitcnt lgkmcnt(0)
	v_cmp_neq_f64_e32 vcc, 0, v[0:1]
	s_and_b64 exec, exec, vcc
	s_cbranch_execz .LBB101_59
; %bb.58:
	v_div_scale_f64 v[2:3], s[6:7], v[0:1], v[0:1], 1.0
	v_rcp_f64_e32 v[4:5], v[2:3]
	v_div_scale_f64 v[10:11], vcc, 1.0, v[0:1], 1.0
	v_fma_f64 v[12:13], -v[2:3], v[4:5], 1.0
	v_fmac_f64_e32 v[4:5], v[4:5], v[12:13]
	v_fma_f64 v[12:13], -v[2:3], v[4:5], 1.0
	v_fmac_f64_e32 v[4:5], v[4:5], v[12:13]
	v_mul_f64 v[12:13], v[10:11], v[4:5]
	v_fma_f64 v[2:3], -v[2:3], v[12:13], v[10:11]
	v_div_fmas_f64 v[2:3], v[2:3], v[4:5], v[12:13]
	v_div_fixup_f64 v[0:1], v[2:3], v[0:1], 1.0
	ds_write_b64 v6, v[0:1]
.LBB101_59:
	s_or_b64 exec, exec, s[2:3]
	s_waitcnt lgkmcnt(0)
	s_barrier
	ds_read_b64 v[0:1], v6
	v_cmp_lt_u32_e32 vcc, 11, v8
	s_waitcnt lgkmcnt(0)
	buffer_store_dword v0, off, s[16:19], 0 offset:112 ; 4-byte Folded Spill
	s_nop 0
	buffer_store_dword v1, off, s[16:19], 0 offset:116 ; 4-byte Folded Spill
	s_and_saveexec_b64 s[2:3], vcc
	s_cbranch_execz .LBB101_61
; %bb.60:
	ds_read2_b64 v[0:3], v7 offset0:12 offset1:13
	ds_read2_b64 v[206:209], v7 offset0:14 offset1:15
	buffer_load_dword v4, off, s[16:19], 0 offset:112 ; 4-byte Folded Reload
	buffer_load_dword v5, off, s[16:19], 0 offset:116 ; 4-byte Folded Reload
	ds_read2_b64 v[210:213], v7 offset0:16 offset1:17
	s_waitcnt vmcnt(0)
	v_mul_f64 v[144:145], v[4:5], v[144:145]
	s_waitcnt lgkmcnt(2)
	v_fma_f64 v[192:193], -v[144:145], v[0:1], v[192:193]
	v_fma_f64 v[142:143], -v[144:145], v[2:3], v[142:143]
	ds_read2_b64 v[0:3], v7 offset0:18 offset1:19
	s_waitcnt lgkmcnt(2)
	v_fma_f64 v[190:191], -v[144:145], v[206:207], v[190:191]
	v_fma_f64 v[140:141], -v[144:145], v[208:209], v[140:141]
	s_waitcnt lgkmcnt(1)
	v_fma_f64 v[188:189], -v[144:145], v[210:211], v[188:189]
	ds_read2_b64 v[206:209], v7 offset0:20 offset1:21
	v_fma_f64 v[138:139], -v[144:145], v[212:213], v[138:139]
	ds_read2_b64 v[210:213], v7 offset0:22 offset1:23
	s_waitcnt lgkmcnt(2)
	v_fma_f64 v[186:187], -v[144:145], v[0:1], v[186:187]
	v_fma_f64 v[136:137], -v[144:145], v[2:3], v[136:137]
	ds_read2_b64 v[0:3], v7 offset0:24 offset1:25
	s_waitcnt lgkmcnt(2)
	v_fma_f64 v[184:185], -v[144:145], v[206:207], v[184:185]
	;; [unrolled: 4-line block ×3, first 2 shown]
	v_fma_f64 v[132:133], -v[144:145], v[212:213], v[132:133]
	s_waitcnt lgkmcnt(1)
	v_fma_f64 v[180:181], -v[144:145], v[0:1], v[180:181]
	ds_read2_b64 v[210:213], v7 offset0:28 offset1:29
	v_fma_f64 v[130:131], -v[144:145], v[2:3], v[130:131]
	ds_read2_b64 v[0:3], v7 offset0:30 offset1:31
	s_waitcnt lgkmcnt(2)
	v_fma_f64 v[178:179], -v[144:145], v[206:207], v[178:179]
	v_fma_f64 v[128:129], -v[144:145], v[208:209], v[128:129]
	s_waitcnt lgkmcnt(1)
	v_fma_f64 v[176:177], -v[144:145], v[210:211], v[176:177]
	ds_read2_b64 v[206:209], v7 offset0:32 offset1:33
	v_fma_f64 v[126:127], -v[144:145], v[212:213], v[126:127]
	ds_read2_b64 v[210:213], v7 offset0:34 offset1:35
	s_waitcnt lgkmcnt(2)
	v_fma_f64 v[174:175], -v[144:145], v[0:1], v[174:175]
	v_fma_f64 v[124:125], -v[144:145], v[2:3], v[124:125]
	ds_read2_b64 v[0:3], v7 offset0:36 offset1:37
	s_waitcnt lgkmcnt(2)
	v_fma_f64 v[172:173], -v[144:145], v[206:207], v[172:173]
	v_fma_f64 v[122:123], -v[144:145], v[208:209], v[122:123]
	ds_read2_b64 v[206:209], v7 offset0:38 offset1:39
	s_waitcnt lgkmcnt(2)
	v_fma_f64 v[170:171], -v[144:145], v[210:211], v[170:171]
	v_fma_f64 v[120:121], -v[144:145], v[212:213], v[120:121]
	s_waitcnt lgkmcnt(1)
	v_fma_f64 v[168:169], -v[144:145], v[0:1], v[168:169]
	ds_read2_b64 v[210:213], v7 offset0:40 offset1:41
	v_fma_f64 v[118:119], -v[144:145], v[2:3], v[118:119]
	ds_read2_b64 v[0:3], v7 offset0:42 offset1:43
	s_waitcnt lgkmcnt(2)
	v_fma_f64 v[166:167], -v[144:145], v[206:207], v[166:167]
	v_fma_f64 v[116:117], -v[144:145], v[208:209], v[116:117]
	s_waitcnt lgkmcnt(1)
	v_fma_f64 v[164:165], -v[144:145], v[210:211], v[164:165]
	ds_read2_b64 v[206:209], v7 offset0:44 offset1:45
	v_fma_f64 v[114:115], -v[144:145], v[212:213], v[114:115]
	s_waitcnt lgkmcnt(1)
	v_fma_f64 v[162:163], -v[144:145], v[0:1], v[162:163]
	v_fma_f64 v[112:113], -v[144:145], v[2:3], v[112:113]
	ds_read2_b64 v[0:3], v7 offset0:46 offset1:47
	ds_read2_b64 v[210:213], v7 offset0:48 offset1:49
	ds_read_b64 v[4:5], v7 offset:400
	s_waitcnt lgkmcnt(3)
	v_fma_f64 v[160:161], -v[144:145], v[206:207], v[160:161]
	v_fma_f64 v[110:111], -v[144:145], v[208:209], v[110:111]
	s_waitcnt lgkmcnt(2)
	v_fma_f64 v[158:159], -v[144:145], v[0:1], v[158:159]
	v_fma_f64 v[108:109], -v[144:145], v[2:3], v[108:109]
	;; [unrolled: 3-line block ×3, first 2 shown]
	s_waitcnt lgkmcnt(0)
	v_fma_f64 v[204:205], -v[144:145], v[4:5], v[204:205]
.LBB101_61:
	s_or_b64 exec, exec, s[2:3]
	v_cmp_eq_u32_e32 vcc, 12, v8
	s_waitcnt vmcnt(63) expcnt(7) lgkmcnt(15)
	s_barrier
	s_and_saveexec_b64 s[2:3], vcc
	s_cbranch_execz .LBB101_64
; %bb.62:
	s_waitcnt vmcnt(52)
	ds_write_b64 v6, v[192:193]
	s_waitcnt vmcnt(50)
	ds_write2_b64 v7, v[142:143], v[190:191] offset0:13 offset1:14
	s_waitcnt vmcnt(48)
	ds_write2_b64 v7, v[140:141], v[188:189] offset0:15 offset1:16
	;; [unrolled: 2-line block ×19, first 2 shown]
	ds_read_b64 v[0:1], v6
	s_waitcnt lgkmcnt(0)
	v_cmp_neq_f64_e32 vcc, 0, v[0:1]
	s_and_b64 exec, exec, vcc
	s_cbranch_execz .LBB101_64
; %bb.63:
	v_div_scale_f64 v[2:3], s[6:7], v[0:1], v[0:1], 1.0
	v_rcp_f64_e32 v[4:5], v[2:3]
	v_div_scale_f64 v[10:11], vcc, 1.0, v[0:1], 1.0
	v_fma_f64 v[12:13], -v[2:3], v[4:5], 1.0
	v_fmac_f64_e32 v[4:5], v[4:5], v[12:13]
	v_fma_f64 v[12:13], -v[2:3], v[4:5], 1.0
	v_fmac_f64_e32 v[4:5], v[4:5], v[12:13]
	v_mul_f64 v[12:13], v[10:11], v[4:5]
	v_fma_f64 v[2:3], -v[2:3], v[12:13], v[10:11]
	v_div_fmas_f64 v[2:3], v[2:3], v[4:5], v[12:13]
	v_div_fixup_f64 v[0:1], v[2:3], v[0:1], 1.0
	ds_write_b64 v6, v[0:1]
.LBB101_64:
	s_or_b64 exec, exec, s[2:3]
	s_waitcnt lgkmcnt(0)
	s_barrier
	ds_read_b64 v[0:1], v6
	v_cmp_lt_u32_e32 vcc, 12, v8
	s_waitcnt lgkmcnt(0)
	buffer_store_dword v0, off, s[16:19], 0 offset:120 ; 4-byte Folded Spill
	s_nop 0
	buffer_store_dword v1, off, s[16:19], 0 offset:124 ; 4-byte Folded Spill
	s_and_saveexec_b64 s[2:3], vcc
	s_cbranch_execz .LBB101_66
; %bb.65:
	ds_read2_b64 v[0:3], v7 offset0:13 offset1:14
	ds_read2_b64 v[206:209], v7 offset0:15 offset1:16
	buffer_load_dword v4, off, s[16:19], 0 offset:120 ; 4-byte Folded Reload
	buffer_load_dword v5, off, s[16:19], 0 offset:124 ; 4-byte Folded Reload
	ds_read2_b64 v[210:213], v7 offset0:17 offset1:18
	s_waitcnt vmcnt(0)
	v_mul_f64 v[192:193], v[4:5], v[192:193]
	s_waitcnt lgkmcnt(2)
	v_fma_f64 v[142:143], -v[192:193], v[0:1], v[142:143]
	v_fma_f64 v[190:191], -v[192:193], v[2:3], v[190:191]
	ds_read2_b64 v[0:3], v7 offset0:19 offset1:20
	s_waitcnt lgkmcnt(2)
	v_fma_f64 v[140:141], -v[192:193], v[206:207], v[140:141]
	v_fma_f64 v[188:189], -v[192:193], v[208:209], v[188:189]
	s_waitcnt lgkmcnt(1)
	v_fma_f64 v[138:139], -v[192:193], v[210:211], v[138:139]
	ds_read2_b64 v[206:209], v7 offset0:21 offset1:22
	v_fma_f64 v[186:187], -v[192:193], v[212:213], v[186:187]
	ds_read2_b64 v[210:213], v7 offset0:23 offset1:24
	s_waitcnt lgkmcnt(2)
	v_fma_f64 v[136:137], -v[192:193], v[0:1], v[136:137]
	v_fma_f64 v[184:185], -v[192:193], v[2:3], v[184:185]
	ds_read2_b64 v[0:3], v7 offset0:25 offset1:26
	s_waitcnt lgkmcnt(2)
	v_fma_f64 v[134:135], -v[192:193], v[206:207], v[134:135]
	;; [unrolled: 4-line block ×3, first 2 shown]
	v_fma_f64 v[180:181], -v[192:193], v[212:213], v[180:181]
	s_waitcnt lgkmcnt(1)
	v_fma_f64 v[130:131], -v[192:193], v[0:1], v[130:131]
	ds_read2_b64 v[210:213], v7 offset0:29 offset1:30
	v_fma_f64 v[178:179], -v[192:193], v[2:3], v[178:179]
	ds_read2_b64 v[0:3], v7 offset0:31 offset1:32
	s_waitcnt lgkmcnt(2)
	v_fma_f64 v[128:129], -v[192:193], v[206:207], v[128:129]
	v_fma_f64 v[176:177], -v[192:193], v[208:209], v[176:177]
	s_waitcnt lgkmcnt(1)
	v_fma_f64 v[126:127], -v[192:193], v[210:211], v[126:127]
	ds_read2_b64 v[206:209], v7 offset0:33 offset1:34
	v_fma_f64 v[174:175], -v[192:193], v[212:213], v[174:175]
	ds_read2_b64 v[210:213], v7 offset0:35 offset1:36
	s_waitcnt lgkmcnt(2)
	v_fma_f64 v[124:125], -v[192:193], v[0:1], v[124:125]
	v_fma_f64 v[172:173], -v[192:193], v[2:3], v[172:173]
	ds_read2_b64 v[0:3], v7 offset0:37 offset1:38
	s_waitcnt lgkmcnt(2)
	v_fma_f64 v[122:123], -v[192:193], v[206:207], v[122:123]
	;; [unrolled: 4-line block ×3, first 2 shown]
	v_fma_f64 v[168:169], -v[192:193], v[212:213], v[168:169]
	s_waitcnt lgkmcnt(1)
	v_fma_f64 v[118:119], -v[192:193], v[0:1], v[118:119]
	ds_read2_b64 v[210:213], v7 offset0:41 offset1:42
	v_fma_f64 v[166:167], -v[192:193], v[2:3], v[166:167]
	ds_read2_b64 v[0:3], v7 offset0:43 offset1:44
	s_waitcnt lgkmcnt(2)
	v_fma_f64 v[116:117], -v[192:193], v[206:207], v[116:117]
	v_fma_f64 v[164:165], -v[192:193], v[208:209], v[164:165]
	s_waitcnt lgkmcnt(1)
	v_fma_f64 v[114:115], -v[192:193], v[210:211], v[114:115]
	v_fma_f64 v[162:163], -v[192:193], v[212:213], v[162:163]
	ds_read2_b64 v[206:209], v7 offset0:45 offset1:46
	ds_read2_b64 v[210:213], v7 offset0:47 offset1:48
	s_waitcnt lgkmcnt(2)
	v_fma_f64 v[112:113], -v[192:193], v[0:1], v[112:113]
	v_fma_f64 v[160:161], -v[192:193], v[2:3], v[160:161]
	ds_read2_b64 v[0:3], v7 offset0:49 offset1:50
	s_waitcnt lgkmcnt(2)
	v_fma_f64 v[110:111], -v[192:193], v[206:207], v[110:111]
	v_fma_f64 v[158:159], -v[192:193], v[208:209], v[158:159]
	s_waitcnt lgkmcnt(1)
	v_fma_f64 v[108:109], -v[192:193], v[210:211], v[108:109]
	v_fma_f64 v[156:157], -v[192:193], v[212:213], v[156:157]
	;; [unrolled: 3-line block ×3, first 2 shown]
.LBB101_66:
	s_or_b64 exec, exec, s[2:3]
	v_cmp_eq_u32_e32 vcc, 13, v8
	s_waitcnt vmcnt(63) expcnt(7) lgkmcnt(15)
	s_barrier
	s_and_saveexec_b64 s[2:3], vcc
	s_cbranch_execz .LBB101_69
; %bb.67:
	s_waitcnt vmcnt(52)
	v_mov_b32_e32 v0, v190
	v_mov_b32_e32 v1, v191
	s_waitcnt vmcnt(51)
	v_mov_b32_e32 v2, v140
	v_mov_b32_e32 v3, v141
	ds_write_b64 v6, v[142:143]
	ds_write2_b64 v7, v[0:1], v[2:3] offset0:14 offset1:15
	s_waitcnt vmcnt(50)
	v_mov_b32_e32 v0, v188
	v_mov_b32_e32 v1, v189
	s_waitcnt vmcnt(49)
	v_mov_b32_e32 v2, v138
	v_mov_b32_e32 v3, v139
	ds_write2_b64 v7, v[0:1], v[2:3] offset0:16 offset1:17
	s_waitcnt vmcnt(48)
	v_mov_b32_e32 v0, v186
	v_mov_b32_e32 v1, v187
	s_waitcnt vmcnt(47)
	v_mov_b32_e32 v2, v136
	v_mov_b32_e32 v3, v137
	;; [unrolled: 7-line block ×17, first 2 shown]
	ds_write2_b64 v7, v[0:1], v[2:3] offset0:48 offset1:49
	s_waitcnt vmcnt(16)
	ds_write_b64 v7, v[204:205] offset:400
	ds_read_b64 v[0:1], v6
	s_waitcnt lgkmcnt(0)
	v_cmp_neq_f64_e32 vcc, 0, v[0:1]
	s_and_b64 exec, exec, vcc
	s_cbranch_execz .LBB101_69
; %bb.68:
	v_div_scale_f64 v[2:3], s[6:7], v[0:1], v[0:1], 1.0
	v_rcp_f64_e32 v[4:5], v[2:3]
	v_div_scale_f64 v[10:11], vcc, 1.0, v[0:1], 1.0
	v_fma_f64 v[12:13], -v[2:3], v[4:5], 1.0
	v_fmac_f64_e32 v[4:5], v[4:5], v[12:13]
	v_fma_f64 v[12:13], -v[2:3], v[4:5], 1.0
	v_fmac_f64_e32 v[4:5], v[4:5], v[12:13]
	v_mul_f64 v[12:13], v[10:11], v[4:5]
	v_fma_f64 v[2:3], -v[2:3], v[12:13], v[10:11]
	v_div_fmas_f64 v[2:3], v[2:3], v[4:5], v[12:13]
	v_div_fixup_f64 v[0:1], v[2:3], v[0:1], 1.0
	ds_write_b64 v6, v[0:1]
.LBB101_69:
	s_or_b64 exec, exec, s[2:3]
	s_waitcnt lgkmcnt(0)
	s_barrier
	ds_read_b64 v[0:1], v6
	v_cmp_lt_u32_e32 vcc, 13, v8
	s_waitcnt lgkmcnt(0)
	buffer_store_dword v0, off, s[16:19], 0 offset:128 ; 4-byte Folded Spill
	s_nop 0
	buffer_store_dword v1, off, s[16:19], 0 offset:132 ; 4-byte Folded Spill
	s_and_saveexec_b64 s[2:3], vcc
	s_cbranch_execz .LBB101_71
; %bb.70:
	ds_read2_b64 v[0:3], v7 offset0:14 offset1:15
	ds_read2_b64 v[206:209], v7 offset0:16 offset1:17
	buffer_load_dword v4, off, s[16:19], 0 offset:128 ; 4-byte Folded Reload
	buffer_load_dword v5, off, s[16:19], 0 offset:132 ; 4-byte Folded Reload
	ds_read2_b64 v[210:213], v7 offset0:18 offset1:19
	s_waitcnt vmcnt(0)
	v_mul_f64 v[142:143], v[4:5], v[142:143]
	s_waitcnt lgkmcnt(2)
	v_fma_f64 v[190:191], -v[142:143], v[0:1], v[190:191]
	v_fma_f64 v[140:141], -v[142:143], v[2:3], v[140:141]
	ds_read2_b64 v[0:3], v7 offset0:20 offset1:21
	s_waitcnt lgkmcnt(2)
	v_fma_f64 v[188:189], -v[142:143], v[206:207], v[188:189]
	v_fma_f64 v[138:139], -v[142:143], v[208:209], v[138:139]
	s_waitcnt lgkmcnt(1)
	v_fma_f64 v[186:187], -v[142:143], v[210:211], v[186:187]
	ds_read2_b64 v[206:209], v7 offset0:22 offset1:23
	v_fma_f64 v[136:137], -v[142:143], v[212:213], v[136:137]
	ds_read2_b64 v[210:213], v7 offset0:24 offset1:25
	s_waitcnt lgkmcnt(2)
	v_fma_f64 v[184:185], -v[142:143], v[0:1], v[184:185]
	v_fma_f64 v[134:135], -v[142:143], v[2:3], v[134:135]
	ds_read2_b64 v[0:3], v7 offset0:26 offset1:27
	s_waitcnt lgkmcnt(2)
	v_fma_f64 v[182:183], -v[142:143], v[206:207], v[182:183]
	;; [unrolled: 4-line block ×3, first 2 shown]
	v_fma_f64 v[130:131], -v[142:143], v[212:213], v[130:131]
	s_waitcnt lgkmcnt(1)
	v_fma_f64 v[178:179], -v[142:143], v[0:1], v[178:179]
	ds_read2_b64 v[210:213], v7 offset0:30 offset1:31
	v_fma_f64 v[128:129], -v[142:143], v[2:3], v[128:129]
	ds_read2_b64 v[0:3], v7 offset0:32 offset1:33
	s_waitcnt lgkmcnt(2)
	v_fma_f64 v[176:177], -v[142:143], v[206:207], v[176:177]
	v_fma_f64 v[126:127], -v[142:143], v[208:209], v[126:127]
	s_waitcnt lgkmcnt(1)
	v_fma_f64 v[174:175], -v[142:143], v[210:211], v[174:175]
	ds_read2_b64 v[206:209], v7 offset0:34 offset1:35
	v_fma_f64 v[124:125], -v[142:143], v[212:213], v[124:125]
	ds_read2_b64 v[210:213], v7 offset0:36 offset1:37
	s_waitcnt lgkmcnt(2)
	v_fma_f64 v[172:173], -v[142:143], v[0:1], v[172:173]
	v_fma_f64 v[122:123], -v[142:143], v[2:3], v[122:123]
	ds_read2_b64 v[0:3], v7 offset0:38 offset1:39
	s_waitcnt lgkmcnt(2)
	v_fma_f64 v[170:171], -v[142:143], v[206:207], v[170:171]
	;; [unrolled: 4-line block ×3, first 2 shown]
	v_fma_f64 v[118:119], -v[142:143], v[212:213], v[118:119]
	s_waitcnt lgkmcnt(1)
	v_fma_f64 v[166:167], -v[142:143], v[0:1], v[166:167]
	ds_read2_b64 v[210:213], v7 offset0:42 offset1:43
	v_fma_f64 v[116:117], -v[142:143], v[2:3], v[116:117]
	ds_read2_b64 v[0:3], v7 offset0:44 offset1:45
	s_waitcnt lgkmcnt(2)
	v_fma_f64 v[164:165], -v[142:143], v[206:207], v[164:165]
	v_fma_f64 v[114:115], -v[142:143], v[208:209], v[114:115]
	s_waitcnt lgkmcnt(1)
	v_fma_f64 v[162:163], -v[142:143], v[210:211], v[162:163]
	v_fma_f64 v[112:113], -v[142:143], v[212:213], v[112:113]
	ds_read2_b64 v[206:209], v7 offset0:46 offset1:47
	ds_read2_b64 v[210:213], v7 offset0:48 offset1:49
	s_waitcnt lgkmcnt(2)
	v_fma_f64 v[160:161], -v[142:143], v[0:1], v[160:161]
	ds_read_b64 v[0:1], v7 offset:400
	v_fma_f64 v[110:111], -v[142:143], v[2:3], v[110:111]
	s_waitcnt lgkmcnt(2)
	v_fma_f64 v[158:159], -v[142:143], v[206:207], v[158:159]
	v_fma_f64 v[108:109], -v[142:143], v[208:209], v[108:109]
	s_waitcnt lgkmcnt(1)
	v_fma_f64 v[156:157], -v[142:143], v[210:211], v[156:157]
	;; [unrolled: 3-line block ×3, first 2 shown]
.LBB101_71:
	s_or_b64 exec, exec, s[2:3]
	v_cmp_eq_u32_e32 vcc, 14, v8
	s_waitcnt vmcnt(63) expcnt(7) lgkmcnt(15)
	s_barrier
	s_and_saveexec_b64 s[2:3], vcc
	s_cbranch_execz .LBB101_74
; %bb.72:
	s_waitcnt vmcnt(54)
	ds_write_b64 v6, v[190:191]
	s_waitcnt vmcnt(52)
	ds_write2_b64 v7, v[140:141], v[188:189] offset0:15 offset1:16
	s_waitcnt vmcnt(50)
	ds_write2_b64 v7, v[138:139], v[186:187] offset0:17 offset1:18
	;; [unrolled: 2-line block ×18, first 2 shown]
	ds_read_b64 v[0:1], v6
	s_waitcnt lgkmcnt(0)
	v_cmp_neq_f64_e32 vcc, 0, v[0:1]
	s_and_b64 exec, exec, vcc
	s_cbranch_execz .LBB101_74
; %bb.73:
	v_div_scale_f64 v[2:3], s[6:7], v[0:1], v[0:1], 1.0
	v_rcp_f64_e32 v[4:5], v[2:3]
	v_div_scale_f64 v[10:11], vcc, 1.0, v[0:1], 1.0
	v_fma_f64 v[12:13], -v[2:3], v[4:5], 1.0
	v_fmac_f64_e32 v[4:5], v[4:5], v[12:13]
	v_fma_f64 v[12:13], -v[2:3], v[4:5], 1.0
	v_fmac_f64_e32 v[4:5], v[4:5], v[12:13]
	v_mul_f64 v[12:13], v[10:11], v[4:5]
	v_fma_f64 v[2:3], -v[2:3], v[12:13], v[10:11]
	v_div_fmas_f64 v[2:3], v[2:3], v[4:5], v[12:13]
	v_div_fixup_f64 v[0:1], v[2:3], v[0:1], 1.0
	ds_write_b64 v6, v[0:1]
.LBB101_74:
	s_or_b64 exec, exec, s[2:3]
	s_waitcnt lgkmcnt(0)
	s_barrier
	ds_read_b64 v[0:1], v6
	v_cmp_lt_u32_e32 vcc, 14, v8
	s_waitcnt lgkmcnt(0)
	buffer_store_dword v0, off, s[16:19], 0 offset:136 ; 4-byte Folded Spill
	s_nop 0
	buffer_store_dword v1, off, s[16:19], 0 offset:140 ; 4-byte Folded Spill
	s_and_saveexec_b64 s[2:3], vcc
	s_cbranch_execz .LBB101_76
; %bb.75:
	ds_read2_b64 v[0:3], v7 offset0:15 offset1:16
	ds_read2_b64 v[206:209], v7 offset0:17 offset1:18
	buffer_load_dword v4, off, s[16:19], 0 offset:136 ; 4-byte Folded Reload
	buffer_load_dword v5, off, s[16:19], 0 offset:140 ; 4-byte Folded Reload
	ds_read2_b64 v[210:213], v7 offset0:19 offset1:20
	s_waitcnt vmcnt(0)
	v_mul_f64 v[190:191], v[4:5], v[190:191]
	s_waitcnt lgkmcnt(2)
	v_fma_f64 v[140:141], -v[190:191], v[0:1], v[140:141]
	v_fma_f64 v[188:189], -v[190:191], v[2:3], v[188:189]
	ds_read2_b64 v[0:3], v7 offset0:21 offset1:22
	s_waitcnt lgkmcnt(2)
	v_fma_f64 v[138:139], -v[190:191], v[206:207], v[138:139]
	v_fma_f64 v[186:187], -v[190:191], v[208:209], v[186:187]
	s_waitcnt lgkmcnt(1)
	v_fma_f64 v[136:137], -v[190:191], v[210:211], v[136:137]
	ds_read2_b64 v[206:209], v7 offset0:23 offset1:24
	v_fma_f64 v[184:185], -v[190:191], v[212:213], v[184:185]
	ds_read2_b64 v[210:213], v7 offset0:25 offset1:26
	s_waitcnt lgkmcnt(2)
	v_fma_f64 v[134:135], -v[190:191], v[0:1], v[134:135]
	v_fma_f64 v[182:183], -v[190:191], v[2:3], v[182:183]
	s_waitcnt lgkmcnt(1)
	v_fma_f64 v[132:133], -v[190:191], v[206:207], v[132:133]
	ds_read2_b64 v[0:3], v7 offset0:27 offset1:28
	v_fma_f64 v[180:181], -v[190:191], v[208:209], v[180:181]
	ds_read2_b64 v[206:209], v7 offset0:29 offset1:30
	s_waitcnt lgkmcnt(2)
	v_fma_f64 v[130:131], -v[190:191], v[210:211], v[130:131]
	v_fma_f64 v[178:179], -v[190:191], v[212:213], v[178:179]
	ds_read2_b64 v[210:213], v7 offset0:31 offset1:32
	s_waitcnt lgkmcnt(2)
	v_fma_f64 v[128:129], -v[190:191], v[0:1], v[128:129]
	;; [unrolled: 4-line block ×3, first 2 shown]
	v_fma_f64 v[174:175], -v[190:191], v[208:209], v[174:175]
	s_waitcnt lgkmcnt(1)
	v_fma_f64 v[124:125], -v[190:191], v[210:211], v[124:125]
	ds_read2_b64 v[206:209], v7 offset0:35 offset1:36
	v_fma_f64 v[172:173], -v[190:191], v[212:213], v[172:173]
	ds_read2_b64 v[210:213], v7 offset0:37 offset1:38
	s_waitcnt lgkmcnt(2)
	v_fma_f64 v[122:123], -v[190:191], v[0:1], v[122:123]
	v_fma_f64 v[170:171], -v[190:191], v[2:3], v[170:171]
	s_waitcnt lgkmcnt(1)
	v_fma_f64 v[120:121], -v[190:191], v[206:207], v[120:121]
	ds_read2_b64 v[0:3], v7 offset0:39 offset1:40
	v_fma_f64 v[168:169], -v[190:191], v[208:209], v[168:169]
	ds_read2_b64 v[206:209], v7 offset0:41 offset1:42
	s_waitcnt lgkmcnt(2)
	v_fma_f64 v[118:119], -v[190:191], v[210:211], v[118:119]
	v_fma_f64 v[166:167], -v[190:191], v[212:213], v[166:167]
	ds_read2_b64 v[210:213], v7 offset0:43 offset1:44
	s_waitcnt lgkmcnt(2)
	v_fma_f64 v[116:117], -v[190:191], v[0:1], v[116:117]
	;; [unrolled: 4-line block ×3, first 2 shown]
	v_fma_f64 v[162:163], -v[190:191], v[208:209], v[162:163]
	s_waitcnt lgkmcnt(1)
	v_fma_f64 v[112:113], -v[190:191], v[210:211], v[112:113]
	ds_read2_b64 v[206:209], v7 offset0:47 offset1:48
	v_fma_f64 v[160:161], -v[190:191], v[212:213], v[160:161]
	ds_read2_b64 v[210:213], v7 offset0:49 offset1:50
	s_waitcnt lgkmcnt(2)
	v_fma_f64 v[110:111], -v[190:191], v[0:1], v[110:111]
	v_fma_f64 v[158:159], -v[190:191], v[2:3], v[158:159]
	s_waitcnt lgkmcnt(1)
	v_fma_f64 v[108:109], -v[190:191], v[206:207], v[108:109]
	v_fma_f64 v[156:157], -v[190:191], v[208:209], v[156:157]
	s_waitcnt lgkmcnt(0)
	v_fma_f64 v[106:107], -v[190:191], v[210:211], v[106:107]
	v_fma_f64 v[204:205], -v[190:191], v[212:213], v[204:205]
.LBB101_76:
	s_or_b64 exec, exec, s[2:3]
	v_cmp_eq_u32_e32 vcc, 15, v8
	s_waitcnt vmcnt(63) expcnt(7) lgkmcnt(15)
	s_barrier
	s_and_saveexec_b64 s[2:3], vcc
	s_cbranch_execz .LBB101_79
; %bb.77:
	s_waitcnt vmcnt(54)
	v_mov_b32_e32 v0, v188
	v_mov_b32_e32 v1, v189
	s_waitcnt vmcnt(53)
	v_mov_b32_e32 v2, v138
	v_mov_b32_e32 v3, v139
	ds_write_b64 v6, v[140:141]
	ds_write2_b64 v7, v[0:1], v[2:3] offset0:16 offset1:17
	s_waitcnt vmcnt(52)
	v_mov_b32_e32 v0, v186
	v_mov_b32_e32 v1, v187
	s_waitcnt vmcnt(51)
	v_mov_b32_e32 v2, v136
	v_mov_b32_e32 v3, v137
	ds_write2_b64 v7, v[0:1], v[2:3] offset0:18 offset1:19
	s_waitcnt vmcnt(50)
	v_mov_b32_e32 v0, v184
	v_mov_b32_e32 v1, v185
	s_waitcnt vmcnt(49)
	v_mov_b32_e32 v2, v134
	v_mov_b32_e32 v3, v135
	;; [unrolled: 7-line block ×16, first 2 shown]
	ds_write2_b64 v7, v[0:1], v[2:3] offset0:48 offset1:49
	s_waitcnt vmcnt(20)
	ds_write_b64 v7, v[204:205] offset:400
	ds_read_b64 v[0:1], v6
	s_waitcnt lgkmcnt(0)
	v_cmp_neq_f64_e32 vcc, 0, v[0:1]
	s_and_b64 exec, exec, vcc
	s_cbranch_execz .LBB101_79
; %bb.78:
	v_div_scale_f64 v[2:3], s[6:7], v[0:1], v[0:1], 1.0
	v_rcp_f64_e32 v[4:5], v[2:3]
	v_div_scale_f64 v[10:11], vcc, 1.0, v[0:1], 1.0
	v_fma_f64 v[12:13], -v[2:3], v[4:5], 1.0
	v_fmac_f64_e32 v[4:5], v[4:5], v[12:13]
	v_fma_f64 v[12:13], -v[2:3], v[4:5], 1.0
	v_fmac_f64_e32 v[4:5], v[4:5], v[12:13]
	v_mul_f64 v[12:13], v[10:11], v[4:5]
	v_fma_f64 v[2:3], -v[2:3], v[12:13], v[10:11]
	v_div_fmas_f64 v[2:3], v[2:3], v[4:5], v[12:13]
	v_div_fixup_f64 v[0:1], v[2:3], v[0:1], 1.0
	ds_write_b64 v6, v[0:1]
.LBB101_79:
	s_or_b64 exec, exec, s[2:3]
	s_waitcnt lgkmcnt(0)
	s_barrier
	ds_read_b64 v[0:1], v6
	v_cmp_lt_u32_e32 vcc, 15, v8
	s_waitcnt lgkmcnt(0)
	buffer_store_dword v0, off, s[16:19], 0 offset:144 ; 4-byte Folded Spill
	s_nop 0
	buffer_store_dword v1, off, s[16:19], 0 offset:148 ; 4-byte Folded Spill
	s_and_saveexec_b64 s[2:3], vcc
	s_cbranch_execz .LBB101_81
; %bb.80:
	ds_read2_b64 v[0:3], v7 offset0:16 offset1:17
	ds_read2_b64 v[206:209], v7 offset0:18 offset1:19
	buffer_load_dword v4, off, s[16:19], 0 offset:144 ; 4-byte Folded Reload
	buffer_load_dword v5, off, s[16:19], 0 offset:148 ; 4-byte Folded Reload
	ds_read2_b64 v[210:213], v7 offset0:20 offset1:21
	s_waitcnt vmcnt(0)
	v_mul_f64 v[140:141], v[4:5], v[140:141]
	s_waitcnt lgkmcnt(2)
	v_fma_f64 v[188:189], -v[140:141], v[0:1], v[188:189]
	v_fma_f64 v[138:139], -v[140:141], v[2:3], v[138:139]
	ds_read2_b64 v[0:3], v7 offset0:22 offset1:23
	s_waitcnt lgkmcnt(2)
	v_fma_f64 v[186:187], -v[140:141], v[206:207], v[186:187]
	v_fma_f64 v[136:137], -v[140:141], v[208:209], v[136:137]
	ds_read2_b64 v[206:209], v7 offset0:24 offset1:25
	s_waitcnt lgkmcnt(2)
	v_fma_f64 v[184:185], -v[140:141], v[210:211], v[184:185]
	v_fma_f64 v[134:135], -v[140:141], v[212:213], v[134:135]
	ds_read2_b64 v[210:213], v7 offset0:26 offset1:27
	s_waitcnt lgkmcnt(2)
	v_fma_f64 v[182:183], -v[140:141], v[0:1], v[182:183]
	v_fma_f64 v[132:133], -v[140:141], v[2:3], v[132:133]
	s_waitcnt lgkmcnt(1)
	v_fma_f64 v[180:181], -v[140:141], v[206:207], v[180:181]
	ds_read2_b64 v[0:3], v7 offset0:28 offset1:29
	v_fma_f64 v[130:131], -v[140:141], v[208:209], v[130:131]
	ds_read2_b64 v[206:209], v7 offset0:30 offset1:31
	s_waitcnt lgkmcnt(2)
	v_fma_f64 v[178:179], -v[140:141], v[210:211], v[178:179]
	v_fma_f64 v[128:129], -v[140:141], v[212:213], v[128:129]
	s_waitcnt lgkmcnt(1)
	v_fma_f64 v[176:177], -v[140:141], v[0:1], v[176:177]
	ds_read2_b64 v[210:213], v7 offset0:32 offset1:33
	v_fma_f64 v[126:127], -v[140:141], v[2:3], v[126:127]
	ds_read2_b64 v[0:3], v7 offset0:34 offset1:35
	s_waitcnt lgkmcnt(2)
	v_fma_f64 v[174:175], -v[140:141], v[206:207], v[174:175]
	v_fma_f64 v[124:125], -v[140:141], v[208:209], v[124:125]
	ds_read2_b64 v[206:209], v7 offset0:36 offset1:37
	s_waitcnt lgkmcnt(2)
	v_fma_f64 v[172:173], -v[140:141], v[210:211], v[172:173]
	;; [unrolled: 4-line block ×3, first 2 shown]
	v_fma_f64 v[120:121], -v[140:141], v[2:3], v[120:121]
	s_waitcnt lgkmcnt(1)
	v_fma_f64 v[168:169], -v[140:141], v[206:207], v[168:169]
	ds_read2_b64 v[0:3], v7 offset0:40 offset1:41
	v_fma_f64 v[118:119], -v[140:141], v[208:209], v[118:119]
	ds_read2_b64 v[206:209], v7 offset0:42 offset1:43
	s_waitcnt lgkmcnt(2)
	v_fma_f64 v[166:167], -v[140:141], v[210:211], v[166:167]
	v_fma_f64 v[116:117], -v[140:141], v[212:213], v[116:117]
	s_waitcnt lgkmcnt(1)
	v_fma_f64 v[164:165], -v[140:141], v[0:1], v[164:165]
	ds_read2_b64 v[210:213], v7 offset0:44 offset1:45
	v_fma_f64 v[114:115], -v[140:141], v[2:3], v[114:115]
	ds_read2_b64 v[0:3], v7 offset0:46 offset1:47
	s_waitcnt lgkmcnt(2)
	v_fma_f64 v[162:163], -v[140:141], v[206:207], v[162:163]
	v_fma_f64 v[112:113], -v[140:141], v[208:209], v[112:113]
	ds_read2_b64 v[206:209], v7 offset0:48 offset1:49
	ds_read_b64 v[4:5], v7 offset:400
	s_waitcnt lgkmcnt(3)
	v_fma_f64 v[160:161], -v[140:141], v[210:211], v[160:161]
	v_fma_f64 v[110:111], -v[140:141], v[212:213], v[110:111]
	s_waitcnt lgkmcnt(2)
	v_fma_f64 v[158:159], -v[140:141], v[0:1], v[158:159]
	v_fma_f64 v[108:109], -v[140:141], v[2:3], v[108:109]
	;; [unrolled: 3-line block ×3, first 2 shown]
	s_waitcnt lgkmcnt(0)
	v_fma_f64 v[204:205], -v[140:141], v[4:5], v[204:205]
.LBB101_81:
	s_or_b64 exec, exec, s[2:3]
	v_cmp_eq_u32_e32 vcc, 16, v8
	s_waitcnt vmcnt(63) expcnt(7) lgkmcnt(15)
	s_barrier
	s_and_saveexec_b64 s[2:3], vcc
	s_cbranch_execz .LBB101_84
; %bb.82:
	s_waitcnt vmcnt(56)
	ds_write_b64 v6, v[188:189]
	s_waitcnt vmcnt(54)
	ds_write2_b64 v7, v[138:139], v[186:187] offset0:17 offset1:18
	s_waitcnt vmcnt(52)
	ds_write2_b64 v7, v[136:137], v[184:185] offset0:19 offset1:20
	;; [unrolled: 2-line block ×17, first 2 shown]
	ds_read_b64 v[0:1], v6
	s_waitcnt lgkmcnt(0)
	v_cmp_neq_f64_e32 vcc, 0, v[0:1]
	s_and_b64 exec, exec, vcc
	s_cbranch_execz .LBB101_84
; %bb.83:
	v_div_scale_f64 v[2:3], s[6:7], v[0:1], v[0:1], 1.0
	v_rcp_f64_e32 v[4:5], v[2:3]
	v_div_scale_f64 v[10:11], vcc, 1.0, v[0:1], 1.0
	v_fma_f64 v[12:13], -v[2:3], v[4:5], 1.0
	v_fmac_f64_e32 v[4:5], v[4:5], v[12:13]
	v_fma_f64 v[12:13], -v[2:3], v[4:5], 1.0
	v_fmac_f64_e32 v[4:5], v[4:5], v[12:13]
	v_mul_f64 v[12:13], v[10:11], v[4:5]
	v_fma_f64 v[2:3], -v[2:3], v[12:13], v[10:11]
	v_div_fmas_f64 v[2:3], v[2:3], v[4:5], v[12:13]
	v_div_fixup_f64 v[0:1], v[2:3], v[0:1], 1.0
	ds_write_b64 v6, v[0:1]
.LBB101_84:
	s_or_b64 exec, exec, s[2:3]
	s_waitcnt lgkmcnt(0)
	s_barrier
	ds_read_b64 v[0:1], v6
	v_cmp_lt_u32_e32 vcc, 16, v8
	s_waitcnt lgkmcnt(0)
	buffer_store_dword v0, off, s[16:19], 0 offset:152 ; 4-byte Folded Spill
	s_nop 0
	buffer_store_dword v1, off, s[16:19], 0 offset:156 ; 4-byte Folded Spill
	s_and_saveexec_b64 s[2:3], vcc
	s_cbranch_execz .LBB101_86
; %bb.85:
	ds_read2_b64 v[0:3], v7 offset0:17 offset1:18
	ds_read2_b64 v[206:209], v7 offset0:19 offset1:20
	buffer_load_dword v4, off, s[16:19], 0 offset:152 ; 4-byte Folded Reload
	buffer_load_dword v5, off, s[16:19], 0 offset:156 ; 4-byte Folded Reload
	ds_read2_b64 v[210:213], v7 offset0:21 offset1:22
	s_waitcnt vmcnt(0)
	v_mul_f64 v[188:189], v[4:5], v[188:189]
	s_waitcnt lgkmcnt(2)
	v_fma_f64 v[138:139], -v[188:189], v[0:1], v[138:139]
	v_fma_f64 v[186:187], -v[188:189], v[2:3], v[186:187]
	ds_read2_b64 v[0:3], v7 offset0:23 offset1:24
	s_waitcnt lgkmcnt(2)
	v_fma_f64 v[136:137], -v[188:189], v[206:207], v[136:137]
	v_fma_f64 v[184:185], -v[188:189], v[208:209], v[184:185]
	ds_read2_b64 v[206:209], v7 offset0:25 offset1:26
	;; [unrolled: 4-line block ×3, first 2 shown]
	s_waitcnt lgkmcnt(2)
	v_fma_f64 v[132:133], -v[188:189], v[0:1], v[132:133]
	v_fma_f64 v[180:181], -v[188:189], v[2:3], v[180:181]
	s_waitcnt lgkmcnt(1)
	v_fma_f64 v[130:131], -v[188:189], v[206:207], v[130:131]
	ds_read2_b64 v[0:3], v7 offset0:29 offset1:30
	v_fma_f64 v[178:179], -v[188:189], v[208:209], v[178:179]
	ds_read2_b64 v[206:209], v7 offset0:31 offset1:32
	s_waitcnt lgkmcnt(2)
	v_fma_f64 v[128:129], -v[188:189], v[210:211], v[128:129]
	v_fma_f64 v[176:177], -v[188:189], v[212:213], v[176:177]
	s_waitcnt lgkmcnt(1)
	v_fma_f64 v[126:127], -v[188:189], v[0:1], v[126:127]
	ds_read2_b64 v[210:213], v7 offset0:33 offset1:34
	v_fma_f64 v[174:175], -v[188:189], v[2:3], v[174:175]
	ds_read2_b64 v[0:3], v7 offset0:35 offset1:36
	s_waitcnt lgkmcnt(2)
	v_fma_f64 v[124:125], -v[188:189], v[206:207], v[124:125]
	v_fma_f64 v[172:173], -v[188:189], v[208:209], v[172:173]
	ds_read2_b64 v[206:209], v7 offset0:37 offset1:38
	s_waitcnt lgkmcnt(2)
	v_fma_f64 v[122:123], -v[188:189], v[210:211], v[122:123]
	;; [unrolled: 4-line block ×3, first 2 shown]
	v_fma_f64 v[168:169], -v[188:189], v[2:3], v[168:169]
	s_waitcnt lgkmcnt(1)
	v_fma_f64 v[118:119], -v[188:189], v[206:207], v[118:119]
	ds_read2_b64 v[0:3], v7 offset0:41 offset1:42
	v_fma_f64 v[166:167], -v[188:189], v[208:209], v[166:167]
	ds_read2_b64 v[206:209], v7 offset0:43 offset1:44
	s_waitcnt lgkmcnt(2)
	v_fma_f64 v[116:117], -v[188:189], v[210:211], v[116:117]
	v_fma_f64 v[164:165], -v[188:189], v[212:213], v[164:165]
	s_waitcnt lgkmcnt(1)
	v_fma_f64 v[114:115], -v[188:189], v[0:1], v[114:115]
	v_fma_f64 v[162:163], -v[188:189], v[2:3], v[162:163]
	ds_read2_b64 v[0:3], v7 offset0:45 offset1:46
	ds_read2_b64 v[210:213], v7 offset0:47 offset1:48
	s_waitcnt lgkmcnt(2)
	v_fma_f64 v[112:113], -v[188:189], v[206:207], v[112:113]
	v_fma_f64 v[160:161], -v[188:189], v[208:209], v[160:161]
	ds_read2_b64 v[206:209], v7 offset0:49 offset1:50
	s_waitcnt lgkmcnt(2)
	v_fma_f64 v[110:111], -v[188:189], v[0:1], v[110:111]
	v_fma_f64 v[158:159], -v[188:189], v[2:3], v[158:159]
	s_waitcnt lgkmcnt(1)
	v_fma_f64 v[108:109], -v[188:189], v[210:211], v[108:109]
	v_fma_f64 v[156:157], -v[188:189], v[212:213], v[156:157]
	;; [unrolled: 3-line block ×3, first 2 shown]
.LBB101_86:
	s_or_b64 exec, exec, s[2:3]
	v_cmp_eq_u32_e32 vcc, 17, v8
	s_waitcnt vmcnt(63) expcnt(7) lgkmcnt(15)
	s_barrier
	s_and_saveexec_b64 s[2:3], vcc
	s_cbranch_execz .LBB101_89
; %bb.87:
	s_waitcnt vmcnt(56)
	v_mov_b32_e32 v0, v186
	v_mov_b32_e32 v1, v187
	s_waitcnt vmcnt(55)
	v_mov_b32_e32 v2, v136
	v_mov_b32_e32 v3, v137
	ds_write_b64 v6, v[138:139]
	ds_write2_b64 v7, v[0:1], v[2:3] offset0:18 offset1:19
	s_waitcnt vmcnt(54)
	v_mov_b32_e32 v0, v184
	v_mov_b32_e32 v1, v185
	s_waitcnt vmcnt(53)
	v_mov_b32_e32 v2, v134
	v_mov_b32_e32 v3, v135
	ds_write2_b64 v7, v[0:1], v[2:3] offset0:20 offset1:21
	s_waitcnt vmcnt(52)
	v_mov_b32_e32 v0, v182
	v_mov_b32_e32 v1, v183
	s_waitcnt vmcnt(51)
	v_mov_b32_e32 v2, v132
	v_mov_b32_e32 v3, v133
	;; [unrolled: 7-line block ×15, first 2 shown]
	ds_write2_b64 v7, v[0:1], v[2:3] offset0:48 offset1:49
	s_waitcnt vmcnt(24)
	ds_write_b64 v7, v[204:205] offset:400
	ds_read_b64 v[0:1], v6
	s_waitcnt lgkmcnt(0)
	v_cmp_neq_f64_e32 vcc, 0, v[0:1]
	s_and_b64 exec, exec, vcc
	s_cbranch_execz .LBB101_89
; %bb.88:
	v_div_scale_f64 v[2:3], s[6:7], v[0:1], v[0:1], 1.0
	v_rcp_f64_e32 v[4:5], v[2:3]
	v_div_scale_f64 v[10:11], vcc, 1.0, v[0:1], 1.0
	v_fma_f64 v[12:13], -v[2:3], v[4:5], 1.0
	v_fmac_f64_e32 v[4:5], v[4:5], v[12:13]
	v_fma_f64 v[12:13], -v[2:3], v[4:5], 1.0
	v_fmac_f64_e32 v[4:5], v[4:5], v[12:13]
	v_mul_f64 v[12:13], v[10:11], v[4:5]
	v_fma_f64 v[2:3], -v[2:3], v[12:13], v[10:11]
	v_div_fmas_f64 v[2:3], v[2:3], v[4:5], v[12:13]
	v_div_fixup_f64 v[0:1], v[2:3], v[0:1], 1.0
	ds_write_b64 v6, v[0:1]
.LBB101_89:
	s_or_b64 exec, exec, s[2:3]
	s_waitcnt lgkmcnt(0)
	s_barrier
	ds_read_b64 v[0:1], v6
	v_cmp_lt_u32_e32 vcc, 17, v8
	s_waitcnt lgkmcnt(0)
	buffer_store_dword v0, off, s[16:19], 0 offset:160 ; 4-byte Folded Spill
	s_nop 0
	buffer_store_dword v1, off, s[16:19], 0 offset:164 ; 4-byte Folded Spill
	s_and_saveexec_b64 s[2:3], vcc
	s_cbranch_execz .LBB101_91
; %bb.90:
	ds_read2_b64 v[0:3], v7 offset0:18 offset1:19
	ds_read2_b64 v[206:209], v7 offset0:20 offset1:21
	buffer_load_dword v4, off, s[16:19], 0 offset:160 ; 4-byte Folded Reload
	buffer_load_dword v5, off, s[16:19], 0 offset:164 ; 4-byte Folded Reload
	ds_read2_b64 v[210:213], v7 offset0:22 offset1:23
	s_waitcnt vmcnt(0)
	v_mul_f64 v[138:139], v[4:5], v[138:139]
	s_waitcnt lgkmcnt(2)
	v_fma_f64 v[186:187], -v[138:139], v[0:1], v[186:187]
	v_fma_f64 v[136:137], -v[138:139], v[2:3], v[136:137]
	ds_read2_b64 v[0:3], v7 offset0:24 offset1:25
	s_waitcnt lgkmcnt(2)
	v_fma_f64 v[184:185], -v[138:139], v[206:207], v[184:185]
	v_fma_f64 v[134:135], -v[138:139], v[208:209], v[134:135]
	s_waitcnt lgkmcnt(1)
	v_fma_f64 v[182:183], -v[138:139], v[210:211], v[182:183]
	ds_read2_b64 v[206:209], v7 offset0:26 offset1:27
	v_fma_f64 v[132:133], -v[138:139], v[212:213], v[132:133]
	ds_read2_b64 v[210:213], v7 offset0:28 offset1:29
	s_waitcnt lgkmcnt(2)
	v_fma_f64 v[180:181], -v[138:139], v[0:1], v[180:181]
	v_fma_f64 v[130:131], -v[138:139], v[2:3], v[130:131]
	ds_read2_b64 v[0:3], v7 offset0:30 offset1:31
	s_waitcnt lgkmcnt(2)
	v_fma_f64 v[178:179], -v[138:139], v[206:207], v[178:179]
	;; [unrolled: 4-line block ×3, first 2 shown]
	v_fma_f64 v[126:127], -v[138:139], v[212:213], v[126:127]
	s_waitcnt lgkmcnt(1)
	v_fma_f64 v[174:175], -v[138:139], v[0:1], v[174:175]
	ds_read2_b64 v[210:213], v7 offset0:34 offset1:35
	v_fma_f64 v[124:125], -v[138:139], v[2:3], v[124:125]
	ds_read2_b64 v[0:3], v7 offset0:36 offset1:37
	s_waitcnt lgkmcnt(2)
	v_fma_f64 v[172:173], -v[138:139], v[206:207], v[172:173]
	v_fma_f64 v[122:123], -v[138:139], v[208:209], v[122:123]
	s_waitcnt lgkmcnt(1)
	v_fma_f64 v[170:171], -v[138:139], v[210:211], v[170:171]
	ds_read2_b64 v[206:209], v7 offset0:38 offset1:39
	v_fma_f64 v[120:121], -v[138:139], v[212:213], v[120:121]
	ds_read2_b64 v[210:213], v7 offset0:40 offset1:41
	s_waitcnt lgkmcnt(2)
	v_fma_f64 v[168:169], -v[138:139], v[0:1], v[168:169]
	v_fma_f64 v[118:119], -v[138:139], v[2:3], v[118:119]
	ds_read2_b64 v[0:3], v7 offset0:42 offset1:43
	s_waitcnt lgkmcnt(2)
	v_fma_f64 v[166:167], -v[138:139], v[206:207], v[166:167]
	;; [unrolled: 4-line block ×3, first 2 shown]
	v_fma_f64 v[114:115], -v[138:139], v[212:213], v[114:115]
	s_waitcnt lgkmcnt(1)
	v_fma_f64 v[162:163], -v[138:139], v[0:1], v[162:163]
	v_fma_f64 v[112:113], -v[138:139], v[2:3], v[112:113]
	ds_read2_b64 v[0:3], v7 offset0:46 offset1:47
	ds_read2_b64 v[210:213], v7 offset0:48 offset1:49
	ds_read_b64 v[4:5], v7 offset:400
	s_waitcnt lgkmcnt(3)
	v_fma_f64 v[160:161], -v[138:139], v[206:207], v[160:161]
	v_fma_f64 v[110:111], -v[138:139], v[208:209], v[110:111]
	s_waitcnt lgkmcnt(2)
	v_fma_f64 v[158:159], -v[138:139], v[0:1], v[158:159]
	v_fma_f64 v[108:109], -v[138:139], v[2:3], v[108:109]
	s_waitcnt lgkmcnt(1)
	v_fma_f64 v[156:157], -v[138:139], v[210:211], v[156:157]
	v_fma_f64 v[106:107], -v[138:139], v[212:213], v[106:107]
	s_waitcnt lgkmcnt(0)
	v_fma_f64 v[204:205], -v[138:139], v[4:5], v[204:205]
.LBB101_91:
	s_or_b64 exec, exec, s[2:3]
	v_cmp_eq_u32_e32 vcc, 18, v8
	s_waitcnt vmcnt(63) expcnt(7) lgkmcnt(15)
	s_barrier
	s_and_saveexec_b64 s[2:3], vcc
	s_cbranch_execz .LBB101_94
; %bb.92:
	s_waitcnt vmcnt(58)
	ds_write_b64 v6, v[186:187]
	s_waitcnt vmcnt(56)
	ds_write2_b64 v7, v[136:137], v[184:185] offset0:19 offset1:20
	s_waitcnt vmcnt(54)
	ds_write2_b64 v7, v[134:135], v[182:183] offset0:21 offset1:22
	;; [unrolled: 2-line block ×16, first 2 shown]
	ds_read_b64 v[0:1], v6
	s_waitcnt lgkmcnt(0)
	v_cmp_neq_f64_e32 vcc, 0, v[0:1]
	s_and_b64 exec, exec, vcc
	s_cbranch_execz .LBB101_94
; %bb.93:
	v_div_scale_f64 v[2:3], s[6:7], v[0:1], v[0:1], 1.0
	v_rcp_f64_e32 v[4:5], v[2:3]
	v_div_scale_f64 v[10:11], vcc, 1.0, v[0:1], 1.0
	v_fma_f64 v[12:13], -v[2:3], v[4:5], 1.0
	v_fmac_f64_e32 v[4:5], v[4:5], v[12:13]
	v_fma_f64 v[12:13], -v[2:3], v[4:5], 1.0
	v_fmac_f64_e32 v[4:5], v[4:5], v[12:13]
	v_mul_f64 v[12:13], v[10:11], v[4:5]
	v_fma_f64 v[2:3], -v[2:3], v[12:13], v[10:11]
	v_div_fmas_f64 v[2:3], v[2:3], v[4:5], v[12:13]
	v_div_fixup_f64 v[0:1], v[2:3], v[0:1], 1.0
	ds_write_b64 v6, v[0:1]
.LBB101_94:
	s_or_b64 exec, exec, s[2:3]
	s_waitcnt lgkmcnt(0)
	s_barrier
	ds_read_b64 v[208:209], v6
	v_cmp_lt_u32_e32 vcc, 18, v8
	s_and_saveexec_b64 s[2:3], vcc
	s_cbranch_execz .LBB101_96
; %bb.95:
	ds_read2_b64 v[0:3], v7 offset0:19 offset1:20
	s_waitcnt vmcnt(58) lgkmcnt(1)
	v_mul_f64 v[186:187], v[208:209], v[186:187]
	s_waitcnt vmcnt(57) lgkmcnt(0)
	v_fma_f64 v[136:137], -v[186:187], v[0:1], v[136:137]
	s_waitcnt vmcnt(56)
	v_fma_f64 v[184:185], -v[186:187], v[2:3], v[184:185]
	ds_read2_b64 v[0:3], v7 offset0:21 offset1:22
	s_waitcnt vmcnt(55) lgkmcnt(0)
	v_fma_f64 v[134:135], -v[186:187], v[0:1], v[134:135]
	s_waitcnt vmcnt(54)
	v_fma_f64 v[182:183], -v[186:187], v[2:3], v[182:183]
	ds_read2_b64 v[0:3], v7 offset0:23 offset1:24
	;; [unrolled: 5-line block ×15, first 2 shown]
	s_waitcnt vmcnt(27) lgkmcnt(0)
	v_fma_f64 v[106:107], -v[186:187], v[0:1], v[106:107]
	s_waitcnt vmcnt(26)
	v_fma_f64 v[204:205], -v[186:187], v[2:3], v[204:205]
.LBB101_96:
	s_or_b64 exec, exec, s[2:3]
	v_cmp_eq_u32_e32 vcc, 19, v8
	s_waitcnt lgkmcnt(0)
	s_barrier
	s_and_saveexec_b64 s[2:3], vcc
	s_cbranch_execz .LBB101_99
; %bb.97:
	s_waitcnt vmcnt(56)
	v_mov_b32_e32 v0, v184
	v_mov_b32_e32 v1, v185
	s_waitcnt vmcnt(55)
	v_mov_b32_e32 v2, v134
	v_mov_b32_e32 v3, v135
	ds_write_b64 v6, v[136:137]
	ds_write2_b64 v7, v[0:1], v[2:3] offset0:20 offset1:21
	s_waitcnt vmcnt(54)
	v_mov_b32_e32 v0, v182
	v_mov_b32_e32 v1, v183
	s_waitcnt vmcnt(53)
	v_mov_b32_e32 v2, v132
	v_mov_b32_e32 v3, v133
	ds_write2_b64 v7, v[0:1], v[2:3] offset0:22 offset1:23
	s_waitcnt vmcnt(52)
	v_mov_b32_e32 v0, v180
	v_mov_b32_e32 v1, v181
	s_waitcnt vmcnt(51)
	v_mov_b32_e32 v2, v130
	v_mov_b32_e32 v3, v131
	;; [unrolled: 7-line block ×14, first 2 shown]
	ds_write2_b64 v7, v[0:1], v[2:3] offset0:48 offset1:49
	s_waitcnt vmcnt(26)
	ds_write_b64 v7, v[204:205] offset:400
	ds_read_b64 v[0:1], v6
	s_waitcnt lgkmcnt(0)
	v_cmp_neq_f64_e32 vcc, 0, v[0:1]
	s_and_b64 exec, exec, vcc
	s_cbranch_execz .LBB101_99
; %bb.98:
	v_div_scale_f64 v[2:3], s[6:7], v[0:1], v[0:1], 1.0
	v_rcp_f64_e32 v[4:5], v[2:3]
	v_div_scale_f64 v[10:11], vcc, 1.0, v[0:1], 1.0
	v_fma_f64 v[12:13], -v[2:3], v[4:5], 1.0
	v_fmac_f64_e32 v[4:5], v[4:5], v[12:13]
	v_fma_f64 v[12:13], -v[2:3], v[4:5], 1.0
	v_fmac_f64_e32 v[4:5], v[4:5], v[12:13]
	v_mul_f64 v[12:13], v[10:11], v[4:5]
	v_fma_f64 v[2:3], -v[2:3], v[12:13], v[10:11]
	v_div_fmas_f64 v[2:3], v[2:3], v[4:5], v[12:13]
	v_div_fixup_f64 v[0:1], v[2:3], v[0:1], 1.0
	ds_write_b64 v6, v[0:1]
.LBB101_99:
	s_or_b64 exec, exec, s[2:3]
	s_waitcnt lgkmcnt(0)
	s_barrier
	ds_read_b64 v[210:211], v6
	v_cmp_lt_u32_e32 vcc, 19, v8
	s_and_saveexec_b64 s[2:3], vcc
	s_cbranch_execz .LBB101_101
; %bb.100:
	ds_read2_b64 v[0:3], v7 offset0:20 offset1:21
	s_waitcnt vmcnt(57) lgkmcnt(1)
	v_mul_f64 v[136:137], v[210:211], v[136:137]
	s_waitcnt vmcnt(56) lgkmcnt(0)
	v_fma_f64 v[184:185], -v[136:137], v[0:1], v[184:185]
	s_waitcnt vmcnt(55)
	v_fma_f64 v[134:135], -v[136:137], v[2:3], v[134:135]
	ds_read2_b64 v[0:3], v7 offset0:22 offset1:23
	s_waitcnt vmcnt(54) lgkmcnt(0)
	v_fma_f64 v[182:183], -v[136:137], v[0:1], v[182:183]
	s_waitcnt vmcnt(53)
	v_fma_f64 v[132:133], -v[136:137], v[2:3], v[132:133]
	ds_read2_b64 v[0:3], v7 offset0:24 offset1:25
	;; [unrolled: 5-line block ×14, first 2 shown]
	s_waitcnt vmcnt(28) lgkmcnt(0)
	v_fma_f64 v[156:157], -v[136:137], v[0:1], v[156:157]
	ds_read_b64 v[0:1], v7 offset:400
	s_waitcnt vmcnt(27)
	v_fma_f64 v[106:107], -v[136:137], v[2:3], v[106:107]
	s_waitcnt vmcnt(26) lgkmcnt(0)
	v_fma_f64 v[204:205], -v[136:137], v[0:1], v[204:205]
.LBB101_101:
	s_or_b64 exec, exec, s[2:3]
	v_cmp_eq_u32_e32 vcc, 20, v8
	s_waitcnt lgkmcnt(0)
	s_barrier
	s_and_saveexec_b64 s[2:3], vcc
	s_cbranch_execz .LBB101_104
; %bb.102:
	s_waitcnt vmcnt(56)
	ds_write_b64 v6, v[184:185]
	s_waitcnt vmcnt(54)
	ds_write2_b64 v7, v[134:135], v[182:183] offset0:21 offset1:22
	s_waitcnt vmcnt(52)
	ds_write2_b64 v7, v[132:133], v[180:181] offset0:23 offset1:24
	;; [unrolled: 2-line block ×15, first 2 shown]
	ds_read_b64 v[0:1], v6
	s_waitcnt lgkmcnt(0)
	v_cmp_neq_f64_e32 vcc, 0, v[0:1]
	s_and_b64 exec, exec, vcc
	s_cbranch_execz .LBB101_104
; %bb.103:
	v_div_scale_f64 v[2:3], s[6:7], v[0:1], v[0:1], 1.0
	v_rcp_f64_e32 v[4:5], v[2:3]
	v_div_scale_f64 v[10:11], vcc, 1.0, v[0:1], 1.0
	v_fma_f64 v[12:13], -v[2:3], v[4:5], 1.0
	v_fmac_f64_e32 v[4:5], v[4:5], v[12:13]
	v_fma_f64 v[12:13], -v[2:3], v[4:5], 1.0
	v_fmac_f64_e32 v[4:5], v[4:5], v[12:13]
	v_mul_f64 v[12:13], v[10:11], v[4:5]
	v_fma_f64 v[2:3], -v[2:3], v[12:13], v[10:11]
	v_div_fmas_f64 v[2:3], v[2:3], v[4:5], v[12:13]
	v_div_fixup_f64 v[0:1], v[2:3], v[0:1], 1.0
	ds_write_b64 v6, v[0:1]
.LBB101_104:
	s_or_b64 exec, exec, s[2:3]
	s_waitcnt lgkmcnt(0)
	s_barrier
	ds_read_b64 v[212:213], v6
	v_cmp_lt_u32_e32 vcc, 20, v8
	s_and_saveexec_b64 s[2:3], vcc
	s_cbranch_execz .LBB101_106
; %bb.105:
	ds_read2_b64 v[0:3], v7 offset0:21 offset1:22
	s_waitcnt vmcnt(56) lgkmcnt(1)
	v_mul_f64 v[184:185], v[212:213], v[184:185]
	s_waitcnt vmcnt(55) lgkmcnt(0)
	v_fma_f64 v[134:135], -v[184:185], v[0:1], v[134:135]
	s_waitcnt vmcnt(54)
	v_fma_f64 v[182:183], -v[184:185], v[2:3], v[182:183]
	ds_read2_b64 v[0:3], v7 offset0:23 offset1:24
	s_waitcnt vmcnt(53) lgkmcnt(0)
	v_fma_f64 v[132:133], -v[184:185], v[0:1], v[132:133]
	s_waitcnt vmcnt(52)
	v_fma_f64 v[180:181], -v[184:185], v[2:3], v[180:181]
	ds_read2_b64 v[0:3], v7 offset0:25 offset1:26
	;; [unrolled: 5-line block ×14, first 2 shown]
	s_waitcnt vmcnt(27) lgkmcnt(0)
	v_fma_f64 v[106:107], -v[184:185], v[0:1], v[106:107]
	s_waitcnt vmcnt(26)
	v_fma_f64 v[204:205], -v[184:185], v[2:3], v[204:205]
.LBB101_106:
	s_or_b64 exec, exec, s[2:3]
	v_cmp_eq_u32_e32 vcc, 21, v8
	s_waitcnt lgkmcnt(0)
	s_barrier
	s_and_saveexec_b64 s[2:3], vcc
	s_cbranch_execz .LBB101_109
; %bb.107:
	s_waitcnt vmcnt(54)
	v_mov_b32_e32 v0, v182
	v_mov_b32_e32 v1, v183
	s_waitcnt vmcnt(53)
	v_mov_b32_e32 v2, v132
	v_mov_b32_e32 v3, v133
	ds_write_b64 v6, v[134:135]
	ds_write2_b64 v7, v[0:1], v[2:3] offset0:22 offset1:23
	s_waitcnt vmcnt(52)
	v_mov_b32_e32 v0, v180
	v_mov_b32_e32 v1, v181
	s_waitcnt vmcnt(51)
	v_mov_b32_e32 v2, v130
	v_mov_b32_e32 v3, v131
	ds_write2_b64 v7, v[0:1], v[2:3] offset0:24 offset1:25
	s_waitcnt vmcnt(50)
	v_mov_b32_e32 v0, v178
	v_mov_b32_e32 v1, v179
	s_waitcnt vmcnt(49)
	v_mov_b32_e32 v2, v128
	v_mov_b32_e32 v3, v129
	;; [unrolled: 7-line block ×13, first 2 shown]
	ds_write2_b64 v7, v[0:1], v[2:3] offset0:48 offset1:49
	s_waitcnt vmcnt(26)
	ds_write_b64 v7, v[204:205] offset:400
	ds_read_b64 v[0:1], v6
	s_waitcnt lgkmcnt(0)
	v_cmp_neq_f64_e32 vcc, 0, v[0:1]
	s_and_b64 exec, exec, vcc
	s_cbranch_execz .LBB101_109
; %bb.108:
	v_div_scale_f64 v[2:3], s[6:7], v[0:1], v[0:1], 1.0
	v_rcp_f64_e32 v[4:5], v[2:3]
	v_div_scale_f64 v[10:11], vcc, 1.0, v[0:1], 1.0
	v_fma_f64 v[12:13], -v[2:3], v[4:5], 1.0
	v_fmac_f64_e32 v[4:5], v[4:5], v[12:13]
	v_fma_f64 v[12:13], -v[2:3], v[4:5], 1.0
	v_fmac_f64_e32 v[4:5], v[4:5], v[12:13]
	v_mul_f64 v[12:13], v[10:11], v[4:5]
	v_fma_f64 v[2:3], -v[2:3], v[12:13], v[10:11]
	v_div_fmas_f64 v[2:3], v[2:3], v[4:5], v[12:13]
	v_div_fixup_f64 v[0:1], v[2:3], v[0:1], 1.0
	ds_write_b64 v6, v[0:1]
.LBB101_109:
	s_or_b64 exec, exec, s[2:3]
	s_waitcnt lgkmcnt(0)
	s_barrier
	ds_read_b64 v[214:215], v6
	v_cmp_lt_u32_e32 vcc, 21, v8
	s_and_saveexec_b64 s[2:3], vcc
	s_cbranch_execz .LBB101_111
; %bb.110:
	ds_read2_b64 v[0:3], v7 offset0:22 offset1:23
	s_waitcnt vmcnt(55) lgkmcnt(1)
	v_mul_f64 v[134:135], v[214:215], v[134:135]
	s_waitcnt vmcnt(54) lgkmcnt(0)
	v_fma_f64 v[182:183], -v[134:135], v[0:1], v[182:183]
	s_waitcnt vmcnt(53)
	v_fma_f64 v[132:133], -v[134:135], v[2:3], v[132:133]
	ds_read2_b64 v[0:3], v7 offset0:24 offset1:25
	s_waitcnt vmcnt(52) lgkmcnt(0)
	v_fma_f64 v[180:181], -v[134:135], v[0:1], v[180:181]
	s_waitcnt vmcnt(51)
	v_fma_f64 v[130:131], -v[134:135], v[2:3], v[130:131]
	ds_read2_b64 v[0:3], v7 offset0:26 offset1:27
	s_waitcnt vmcnt(50) lgkmcnt(0)
	v_fma_f64 v[178:179], -v[134:135], v[0:1], v[178:179]
	s_waitcnt vmcnt(49)
	v_fma_f64 v[128:129], -v[134:135], v[2:3], v[128:129]
	ds_read2_b64 v[0:3], v7 offset0:28 offset1:29
	s_waitcnt vmcnt(48) lgkmcnt(0)
	v_fma_f64 v[176:177], -v[134:135], v[0:1], v[176:177]
	s_waitcnt vmcnt(47)
	v_fma_f64 v[126:127], -v[134:135], v[2:3], v[126:127]
	ds_read2_b64 v[0:3], v7 offset0:30 offset1:31
	s_waitcnt vmcnt(46) lgkmcnt(0)
	v_fma_f64 v[174:175], -v[134:135], v[0:1], v[174:175]
	s_waitcnt vmcnt(45)
	v_fma_f64 v[124:125], -v[134:135], v[2:3], v[124:125]
	ds_read2_b64 v[0:3], v7 offset0:32 offset1:33
	s_waitcnt vmcnt(44) lgkmcnt(0)
	v_fma_f64 v[172:173], -v[134:135], v[0:1], v[172:173]
	s_waitcnt vmcnt(43)
	v_fma_f64 v[122:123], -v[134:135], v[2:3], v[122:123]
	ds_read2_b64 v[0:3], v7 offset0:34 offset1:35
	s_waitcnt vmcnt(42) lgkmcnt(0)
	v_fma_f64 v[170:171], -v[134:135], v[0:1], v[170:171]
	s_waitcnt vmcnt(41)
	v_fma_f64 v[120:121], -v[134:135], v[2:3], v[120:121]
	ds_read2_b64 v[0:3], v7 offset0:36 offset1:37
	s_waitcnt vmcnt(40) lgkmcnt(0)
	v_fma_f64 v[168:169], -v[134:135], v[0:1], v[168:169]
	s_waitcnt vmcnt(39)
	v_fma_f64 v[118:119], -v[134:135], v[2:3], v[118:119]
	ds_read2_b64 v[0:3], v7 offset0:38 offset1:39
	s_waitcnt vmcnt(38) lgkmcnt(0)
	v_fma_f64 v[166:167], -v[134:135], v[0:1], v[166:167]
	s_waitcnt vmcnt(37)
	v_fma_f64 v[116:117], -v[134:135], v[2:3], v[116:117]
	ds_read2_b64 v[0:3], v7 offset0:40 offset1:41
	s_waitcnt vmcnt(36) lgkmcnt(0)
	v_fma_f64 v[164:165], -v[134:135], v[0:1], v[164:165]
	s_waitcnt vmcnt(35)
	v_fma_f64 v[114:115], -v[134:135], v[2:3], v[114:115]
	ds_read2_b64 v[0:3], v7 offset0:42 offset1:43
	s_waitcnt vmcnt(34) lgkmcnt(0)
	v_fma_f64 v[162:163], -v[134:135], v[0:1], v[162:163]
	s_waitcnt vmcnt(33)
	v_fma_f64 v[112:113], -v[134:135], v[2:3], v[112:113]
	ds_read2_b64 v[0:3], v7 offset0:44 offset1:45
	s_waitcnt vmcnt(32) lgkmcnt(0)
	v_fma_f64 v[160:161], -v[134:135], v[0:1], v[160:161]
	s_waitcnt vmcnt(31)
	v_fma_f64 v[110:111], -v[134:135], v[2:3], v[110:111]
	ds_read2_b64 v[0:3], v7 offset0:46 offset1:47
	s_waitcnt vmcnt(30) lgkmcnt(0)
	v_fma_f64 v[158:159], -v[134:135], v[0:1], v[158:159]
	s_waitcnt vmcnt(29)
	v_fma_f64 v[108:109], -v[134:135], v[2:3], v[108:109]
	ds_read2_b64 v[0:3], v7 offset0:48 offset1:49
	s_waitcnt vmcnt(28) lgkmcnt(0)
	v_fma_f64 v[156:157], -v[134:135], v[0:1], v[156:157]
	ds_read_b64 v[0:1], v7 offset:400
	s_waitcnt vmcnt(27)
	v_fma_f64 v[106:107], -v[134:135], v[2:3], v[106:107]
	s_waitcnt vmcnt(26) lgkmcnt(0)
	v_fma_f64 v[204:205], -v[134:135], v[0:1], v[204:205]
.LBB101_111:
	s_or_b64 exec, exec, s[2:3]
	v_cmp_eq_u32_e32 vcc, 22, v8
	s_waitcnt lgkmcnt(0)
	s_barrier
	s_and_saveexec_b64 s[2:3], vcc
	s_cbranch_execz .LBB101_114
; %bb.112:
	s_waitcnt vmcnt(54)
	ds_write_b64 v6, v[182:183]
	s_waitcnt vmcnt(52)
	ds_write2_b64 v7, v[132:133], v[180:181] offset0:23 offset1:24
	s_waitcnt vmcnt(50)
	ds_write2_b64 v7, v[130:131], v[178:179] offset0:25 offset1:26
	;; [unrolled: 2-line block ×14, first 2 shown]
	ds_read_b64 v[0:1], v6
	s_waitcnt lgkmcnt(0)
	v_cmp_neq_f64_e32 vcc, 0, v[0:1]
	s_and_b64 exec, exec, vcc
	s_cbranch_execz .LBB101_114
; %bb.113:
	v_div_scale_f64 v[2:3], s[6:7], v[0:1], v[0:1], 1.0
	v_rcp_f64_e32 v[4:5], v[2:3]
	v_div_scale_f64 v[10:11], vcc, 1.0, v[0:1], 1.0
	v_fma_f64 v[12:13], -v[2:3], v[4:5], 1.0
	v_fmac_f64_e32 v[4:5], v[4:5], v[12:13]
	v_fma_f64 v[12:13], -v[2:3], v[4:5], 1.0
	v_fmac_f64_e32 v[4:5], v[4:5], v[12:13]
	v_mul_f64 v[12:13], v[10:11], v[4:5]
	v_fma_f64 v[2:3], -v[2:3], v[12:13], v[10:11]
	v_div_fmas_f64 v[2:3], v[2:3], v[4:5], v[12:13]
	v_div_fixup_f64 v[0:1], v[2:3], v[0:1], 1.0
	ds_write_b64 v6, v[0:1]
.LBB101_114:
	s_or_b64 exec, exec, s[2:3]
	s_waitcnt lgkmcnt(0)
	s_barrier
	ds_read_b64 v[216:217], v6
	v_cmp_lt_u32_e32 vcc, 22, v8
	s_and_saveexec_b64 s[2:3], vcc
	s_cbranch_execz .LBB101_116
; %bb.115:
	ds_read2_b64 v[0:3], v7 offset0:23 offset1:24
	s_waitcnt vmcnt(54) lgkmcnt(1)
	v_mul_f64 v[182:183], v[216:217], v[182:183]
	s_waitcnt vmcnt(53) lgkmcnt(0)
	v_fma_f64 v[132:133], -v[182:183], v[0:1], v[132:133]
	s_waitcnt vmcnt(52)
	v_fma_f64 v[180:181], -v[182:183], v[2:3], v[180:181]
	ds_read2_b64 v[0:3], v7 offset0:25 offset1:26
	s_waitcnt vmcnt(51) lgkmcnt(0)
	v_fma_f64 v[130:131], -v[182:183], v[0:1], v[130:131]
	s_waitcnt vmcnt(50)
	v_fma_f64 v[178:179], -v[182:183], v[2:3], v[178:179]
	ds_read2_b64 v[0:3], v7 offset0:27 offset1:28
	;; [unrolled: 5-line block ×13, first 2 shown]
	s_waitcnt vmcnt(27) lgkmcnt(0)
	v_fma_f64 v[106:107], -v[182:183], v[0:1], v[106:107]
	s_waitcnt vmcnt(26)
	v_fma_f64 v[204:205], -v[182:183], v[2:3], v[204:205]
.LBB101_116:
	s_or_b64 exec, exec, s[2:3]
	v_cmp_eq_u32_e32 vcc, 23, v8
	s_waitcnt lgkmcnt(0)
	s_barrier
	s_and_saveexec_b64 s[2:3], vcc
	s_cbranch_execz .LBB101_119
; %bb.117:
	s_waitcnt vmcnt(52)
	v_mov_b32_e32 v0, v180
	v_mov_b32_e32 v1, v181
	s_waitcnt vmcnt(51)
	v_mov_b32_e32 v2, v130
	v_mov_b32_e32 v3, v131
	ds_write_b64 v6, v[132:133]
	ds_write2_b64 v7, v[0:1], v[2:3] offset0:24 offset1:25
	s_waitcnt vmcnt(50)
	v_mov_b32_e32 v0, v178
	v_mov_b32_e32 v1, v179
	s_waitcnt vmcnt(49)
	v_mov_b32_e32 v2, v128
	v_mov_b32_e32 v3, v129
	ds_write2_b64 v7, v[0:1], v[2:3] offset0:26 offset1:27
	s_waitcnt vmcnt(48)
	v_mov_b32_e32 v0, v176
	v_mov_b32_e32 v1, v177
	s_waitcnt vmcnt(47)
	v_mov_b32_e32 v2, v126
	v_mov_b32_e32 v3, v127
	;; [unrolled: 7-line block ×12, first 2 shown]
	ds_write2_b64 v7, v[0:1], v[2:3] offset0:48 offset1:49
	s_waitcnt vmcnt(26)
	ds_write_b64 v7, v[204:205] offset:400
	ds_read_b64 v[0:1], v6
	s_waitcnt lgkmcnt(0)
	v_cmp_neq_f64_e32 vcc, 0, v[0:1]
	s_and_b64 exec, exec, vcc
	s_cbranch_execz .LBB101_119
; %bb.118:
	v_div_scale_f64 v[2:3], s[6:7], v[0:1], v[0:1], 1.0
	v_rcp_f64_e32 v[4:5], v[2:3]
	v_div_scale_f64 v[10:11], vcc, 1.0, v[0:1], 1.0
	v_fma_f64 v[12:13], -v[2:3], v[4:5], 1.0
	v_fmac_f64_e32 v[4:5], v[4:5], v[12:13]
	v_fma_f64 v[12:13], -v[2:3], v[4:5], 1.0
	v_fmac_f64_e32 v[4:5], v[4:5], v[12:13]
	v_mul_f64 v[12:13], v[10:11], v[4:5]
	v_fma_f64 v[2:3], -v[2:3], v[12:13], v[10:11]
	v_div_fmas_f64 v[2:3], v[2:3], v[4:5], v[12:13]
	v_div_fixup_f64 v[0:1], v[2:3], v[0:1], 1.0
	ds_write_b64 v6, v[0:1]
.LBB101_119:
	s_or_b64 exec, exec, s[2:3]
	s_waitcnt lgkmcnt(0)
	s_barrier
	ds_read_b64 v[218:219], v6
	v_cmp_lt_u32_e32 vcc, 23, v8
	s_and_saveexec_b64 s[2:3], vcc
	s_cbranch_execz .LBB101_121
; %bb.120:
	ds_read2_b64 v[0:3], v7 offset0:24 offset1:25
	s_waitcnt vmcnt(53) lgkmcnt(1)
	v_mul_f64 v[132:133], v[218:219], v[132:133]
	s_waitcnt vmcnt(52) lgkmcnt(0)
	v_fma_f64 v[180:181], -v[132:133], v[0:1], v[180:181]
	s_waitcnt vmcnt(51)
	v_fma_f64 v[130:131], -v[132:133], v[2:3], v[130:131]
	ds_read2_b64 v[0:3], v7 offset0:26 offset1:27
	s_waitcnt vmcnt(50) lgkmcnt(0)
	v_fma_f64 v[178:179], -v[132:133], v[0:1], v[178:179]
	s_waitcnt vmcnt(49)
	v_fma_f64 v[128:129], -v[132:133], v[2:3], v[128:129]
	ds_read2_b64 v[0:3], v7 offset0:28 offset1:29
	;; [unrolled: 5-line block ×12, first 2 shown]
	s_waitcnt vmcnt(28) lgkmcnt(0)
	v_fma_f64 v[156:157], -v[132:133], v[0:1], v[156:157]
	ds_read_b64 v[0:1], v7 offset:400
	s_waitcnt vmcnt(27)
	v_fma_f64 v[106:107], -v[132:133], v[2:3], v[106:107]
	s_waitcnt vmcnt(26) lgkmcnt(0)
	v_fma_f64 v[204:205], -v[132:133], v[0:1], v[204:205]
.LBB101_121:
	s_or_b64 exec, exec, s[2:3]
	v_cmp_eq_u32_e32 vcc, 24, v8
	s_waitcnt lgkmcnt(0)
	s_barrier
	s_and_saveexec_b64 s[2:3], vcc
	s_cbranch_execz .LBB101_124
; %bb.122:
	s_waitcnt vmcnt(52)
	ds_write_b64 v6, v[180:181]
	s_waitcnt vmcnt(50)
	ds_write2_b64 v7, v[130:131], v[178:179] offset0:25 offset1:26
	s_waitcnt vmcnt(48)
	ds_write2_b64 v7, v[128:129], v[176:177] offset0:27 offset1:28
	;; [unrolled: 2-line block ×13, first 2 shown]
	ds_read_b64 v[0:1], v6
	s_waitcnt lgkmcnt(0)
	v_cmp_neq_f64_e32 vcc, 0, v[0:1]
	s_and_b64 exec, exec, vcc
	s_cbranch_execz .LBB101_124
; %bb.123:
	v_div_scale_f64 v[2:3], s[6:7], v[0:1], v[0:1], 1.0
	v_rcp_f64_e32 v[4:5], v[2:3]
	v_div_scale_f64 v[10:11], vcc, 1.0, v[0:1], 1.0
	v_fma_f64 v[12:13], -v[2:3], v[4:5], 1.0
	v_fmac_f64_e32 v[4:5], v[4:5], v[12:13]
	v_fma_f64 v[12:13], -v[2:3], v[4:5], 1.0
	v_fmac_f64_e32 v[4:5], v[4:5], v[12:13]
	v_mul_f64 v[12:13], v[10:11], v[4:5]
	v_fma_f64 v[2:3], -v[2:3], v[12:13], v[10:11]
	v_div_fmas_f64 v[2:3], v[2:3], v[4:5], v[12:13]
	v_div_fixup_f64 v[0:1], v[2:3], v[0:1], 1.0
	ds_write_b64 v6, v[0:1]
.LBB101_124:
	s_or_b64 exec, exec, s[2:3]
	s_waitcnt lgkmcnt(0)
	s_barrier
	ds_read_b64 v[220:221], v6
	v_cmp_lt_u32_e32 vcc, 24, v8
	s_and_saveexec_b64 s[2:3], vcc
	s_cbranch_execz .LBB101_126
; %bb.125:
	ds_read2_b64 v[0:3], v7 offset0:25 offset1:26
	s_waitcnt vmcnt(52) lgkmcnt(1)
	v_mul_f64 v[180:181], v[220:221], v[180:181]
	s_waitcnt vmcnt(51) lgkmcnt(0)
	v_fma_f64 v[130:131], -v[180:181], v[0:1], v[130:131]
	s_waitcnt vmcnt(50)
	v_fma_f64 v[178:179], -v[180:181], v[2:3], v[178:179]
	ds_read2_b64 v[0:3], v7 offset0:27 offset1:28
	s_waitcnt vmcnt(49) lgkmcnt(0)
	v_fma_f64 v[128:129], -v[180:181], v[0:1], v[128:129]
	s_waitcnt vmcnt(48)
	v_fma_f64 v[176:177], -v[180:181], v[2:3], v[176:177]
	ds_read2_b64 v[0:3], v7 offset0:29 offset1:30
	s_waitcnt vmcnt(47) lgkmcnt(0)
	v_fma_f64 v[126:127], -v[180:181], v[0:1], v[126:127]
	s_waitcnt vmcnt(46)
	v_fma_f64 v[174:175], -v[180:181], v[2:3], v[174:175]
	ds_read2_b64 v[0:3], v7 offset0:31 offset1:32
	s_waitcnt vmcnt(45) lgkmcnt(0)
	v_fma_f64 v[124:125], -v[180:181], v[0:1], v[124:125]
	s_waitcnt vmcnt(44)
	v_fma_f64 v[172:173], -v[180:181], v[2:3], v[172:173]
	ds_read2_b64 v[0:3], v7 offset0:33 offset1:34
	s_waitcnt vmcnt(43) lgkmcnt(0)
	v_fma_f64 v[122:123], -v[180:181], v[0:1], v[122:123]
	s_waitcnt vmcnt(42)
	v_fma_f64 v[170:171], -v[180:181], v[2:3], v[170:171]
	ds_read2_b64 v[0:3], v7 offset0:35 offset1:36
	s_waitcnt vmcnt(41) lgkmcnt(0)
	v_fma_f64 v[120:121], -v[180:181], v[0:1], v[120:121]
	s_waitcnt vmcnt(40)
	v_fma_f64 v[168:169], -v[180:181], v[2:3], v[168:169]
	ds_read2_b64 v[0:3], v7 offset0:37 offset1:38
	s_waitcnt vmcnt(39) lgkmcnt(0)
	v_fma_f64 v[118:119], -v[180:181], v[0:1], v[118:119]
	s_waitcnt vmcnt(38)
	v_fma_f64 v[166:167], -v[180:181], v[2:3], v[166:167]
	ds_read2_b64 v[0:3], v7 offset0:39 offset1:40
	s_waitcnt vmcnt(37) lgkmcnt(0)
	v_fma_f64 v[116:117], -v[180:181], v[0:1], v[116:117]
	s_waitcnt vmcnt(36)
	v_fma_f64 v[164:165], -v[180:181], v[2:3], v[164:165]
	ds_read2_b64 v[0:3], v7 offset0:41 offset1:42
	s_waitcnt vmcnt(35) lgkmcnt(0)
	v_fma_f64 v[114:115], -v[180:181], v[0:1], v[114:115]
	s_waitcnt vmcnt(34)
	v_fma_f64 v[162:163], -v[180:181], v[2:3], v[162:163]
	ds_read2_b64 v[0:3], v7 offset0:43 offset1:44
	s_waitcnt vmcnt(33) lgkmcnt(0)
	v_fma_f64 v[112:113], -v[180:181], v[0:1], v[112:113]
	s_waitcnt vmcnt(32)
	v_fma_f64 v[160:161], -v[180:181], v[2:3], v[160:161]
	ds_read2_b64 v[0:3], v7 offset0:45 offset1:46
	s_waitcnt vmcnt(31) lgkmcnt(0)
	v_fma_f64 v[110:111], -v[180:181], v[0:1], v[110:111]
	s_waitcnt vmcnt(30)
	v_fma_f64 v[158:159], -v[180:181], v[2:3], v[158:159]
	ds_read2_b64 v[0:3], v7 offset0:47 offset1:48
	s_waitcnt vmcnt(29) lgkmcnt(0)
	v_fma_f64 v[108:109], -v[180:181], v[0:1], v[108:109]
	s_waitcnt vmcnt(28)
	v_fma_f64 v[156:157], -v[180:181], v[2:3], v[156:157]
	ds_read2_b64 v[0:3], v7 offset0:49 offset1:50
	s_waitcnt vmcnt(27) lgkmcnt(0)
	v_fma_f64 v[106:107], -v[180:181], v[0:1], v[106:107]
	s_waitcnt vmcnt(26)
	v_fma_f64 v[204:205], -v[180:181], v[2:3], v[204:205]
.LBB101_126:
	s_or_b64 exec, exec, s[2:3]
	v_cmp_eq_u32_e32 vcc, 25, v8
	s_waitcnt lgkmcnt(0)
	s_barrier
	s_and_saveexec_b64 s[2:3], vcc
	s_cbranch_execz .LBB101_129
; %bb.127:
	s_waitcnt vmcnt(50)
	v_mov_b32_e32 v0, v178
	v_mov_b32_e32 v1, v179
	s_waitcnt vmcnt(49)
	v_mov_b32_e32 v2, v128
	v_mov_b32_e32 v3, v129
	ds_write_b64 v6, v[130:131]
	ds_write2_b64 v7, v[0:1], v[2:3] offset0:26 offset1:27
	s_waitcnt vmcnt(48)
	v_mov_b32_e32 v0, v176
	v_mov_b32_e32 v1, v177
	s_waitcnt vmcnt(47)
	v_mov_b32_e32 v2, v126
	v_mov_b32_e32 v3, v127
	ds_write2_b64 v7, v[0:1], v[2:3] offset0:28 offset1:29
	s_waitcnt vmcnt(46)
	v_mov_b32_e32 v0, v174
	v_mov_b32_e32 v1, v175
	s_waitcnt vmcnt(45)
	v_mov_b32_e32 v2, v124
	v_mov_b32_e32 v3, v125
	;; [unrolled: 7-line block ×11, first 2 shown]
	ds_write2_b64 v7, v[0:1], v[2:3] offset0:48 offset1:49
	s_waitcnt vmcnt(26)
	ds_write_b64 v7, v[204:205] offset:400
	ds_read_b64 v[0:1], v6
	s_waitcnt lgkmcnt(0)
	v_cmp_neq_f64_e32 vcc, 0, v[0:1]
	s_and_b64 exec, exec, vcc
	s_cbranch_execz .LBB101_129
; %bb.128:
	v_div_scale_f64 v[2:3], s[6:7], v[0:1], v[0:1], 1.0
	v_rcp_f64_e32 v[4:5], v[2:3]
	v_div_scale_f64 v[10:11], vcc, 1.0, v[0:1], 1.0
	v_fma_f64 v[12:13], -v[2:3], v[4:5], 1.0
	v_fmac_f64_e32 v[4:5], v[4:5], v[12:13]
	v_fma_f64 v[12:13], -v[2:3], v[4:5], 1.0
	v_fmac_f64_e32 v[4:5], v[4:5], v[12:13]
	v_mul_f64 v[12:13], v[10:11], v[4:5]
	v_fma_f64 v[2:3], -v[2:3], v[12:13], v[10:11]
	v_div_fmas_f64 v[2:3], v[2:3], v[4:5], v[12:13]
	v_div_fixup_f64 v[0:1], v[2:3], v[0:1], 1.0
	ds_write_b64 v6, v[0:1]
.LBB101_129:
	s_or_b64 exec, exec, s[2:3]
	s_waitcnt lgkmcnt(0)
	s_barrier
	ds_read_b64 v[222:223], v6
	v_cmp_lt_u32_e32 vcc, 25, v8
	s_and_saveexec_b64 s[2:3], vcc
	s_cbranch_execz .LBB101_131
; %bb.130:
	ds_read2_b64 v[0:3], v7 offset0:26 offset1:27
	s_waitcnt vmcnt(51) lgkmcnt(1)
	v_mul_f64 v[130:131], v[222:223], v[130:131]
	s_waitcnt vmcnt(50) lgkmcnt(0)
	v_fma_f64 v[178:179], -v[130:131], v[0:1], v[178:179]
	s_waitcnt vmcnt(49)
	v_fma_f64 v[128:129], -v[130:131], v[2:3], v[128:129]
	ds_read2_b64 v[0:3], v7 offset0:28 offset1:29
	s_waitcnt vmcnt(48) lgkmcnt(0)
	v_fma_f64 v[176:177], -v[130:131], v[0:1], v[176:177]
	s_waitcnt vmcnt(47)
	v_fma_f64 v[126:127], -v[130:131], v[2:3], v[126:127]
	ds_read2_b64 v[0:3], v7 offset0:30 offset1:31
	;; [unrolled: 5-line block ×11, first 2 shown]
	s_waitcnt vmcnt(28) lgkmcnt(0)
	v_fma_f64 v[156:157], -v[130:131], v[0:1], v[156:157]
	ds_read_b64 v[0:1], v7 offset:400
	s_waitcnt vmcnt(27)
	v_fma_f64 v[106:107], -v[130:131], v[2:3], v[106:107]
	s_waitcnt vmcnt(26) lgkmcnt(0)
	v_fma_f64 v[204:205], -v[130:131], v[0:1], v[204:205]
.LBB101_131:
	s_or_b64 exec, exec, s[2:3]
	v_cmp_eq_u32_e32 vcc, 26, v8
	s_waitcnt lgkmcnt(0)
	s_barrier
	s_and_saveexec_b64 s[2:3], vcc
	s_cbranch_execz .LBB101_134
; %bb.132:
	s_waitcnt vmcnt(50)
	ds_write_b64 v6, v[178:179]
	s_waitcnt vmcnt(48)
	ds_write2_b64 v7, v[128:129], v[176:177] offset0:27 offset1:28
	s_waitcnt vmcnt(46)
	ds_write2_b64 v7, v[126:127], v[174:175] offset0:29 offset1:30
	;; [unrolled: 2-line block ×12, first 2 shown]
	ds_read_b64 v[0:1], v6
	s_waitcnt lgkmcnt(0)
	v_cmp_neq_f64_e32 vcc, 0, v[0:1]
	s_and_b64 exec, exec, vcc
	s_cbranch_execz .LBB101_134
; %bb.133:
	v_div_scale_f64 v[2:3], s[6:7], v[0:1], v[0:1], 1.0
	v_rcp_f64_e32 v[4:5], v[2:3]
	v_div_scale_f64 v[10:11], vcc, 1.0, v[0:1], 1.0
	v_fma_f64 v[12:13], -v[2:3], v[4:5], 1.0
	v_fmac_f64_e32 v[4:5], v[4:5], v[12:13]
	v_fma_f64 v[12:13], -v[2:3], v[4:5], 1.0
	v_fmac_f64_e32 v[4:5], v[4:5], v[12:13]
	v_mul_f64 v[12:13], v[10:11], v[4:5]
	v_fma_f64 v[2:3], -v[2:3], v[12:13], v[10:11]
	v_div_fmas_f64 v[2:3], v[2:3], v[4:5], v[12:13]
	v_div_fixup_f64 v[0:1], v[2:3], v[0:1], 1.0
	ds_write_b64 v6, v[0:1]
.LBB101_134:
	s_or_b64 exec, exec, s[2:3]
	s_waitcnt lgkmcnt(0)
	s_barrier
	ds_read_b64 v[224:225], v6
	v_cmp_lt_u32_e32 vcc, 26, v8
	s_and_saveexec_b64 s[2:3], vcc
	s_cbranch_execz .LBB101_136
; %bb.135:
	ds_read2_b64 v[0:3], v7 offset0:27 offset1:28
	s_waitcnt vmcnt(50) lgkmcnt(1)
	v_mul_f64 v[178:179], v[224:225], v[178:179]
	s_waitcnt vmcnt(49) lgkmcnt(0)
	v_fma_f64 v[128:129], -v[178:179], v[0:1], v[128:129]
	s_waitcnt vmcnt(48)
	v_fma_f64 v[176:177], -v[178:179], v[2:3], v[176:177]
	ds_read2_b64 v[0:3], v7 offset0:29 offset1:30
	s_waitcnt vmcnt(47) lgkmcnt(0)
	v_fma_f64 v[126:127], -v[178:179], v[0:1], v[126:127]
	s_waitcnt vmcnt(46)
	v_fma_f64 v[174:175], -v[178:179], v[2:3], v[174:175]
	ds_read2_b64 v[0:3], v7 offset0:31 offset1:32
	;; [unrolled: 5-line block ×11, first 2 shown]
	s_waitcnt vmcnt(27) lgkmcnt(0)
	v_fma_f64 v[106:107], -v[178:179], v[0:1], v[106:107]
	s_waitcnt vmcnt(26)
	v_fma_f64 v[204:205], -v[178:179], v[2:3], v[204:205]
.LBB101_136:
	s_or_b64 exec, exec, s[2:3]
	v_cmp_eq_u32_e32 vcc, 27, v8
	s_waitcnt lgkmcnt(0)
	s_barrier
	s_and_saveexec_b64 s[2:3], vcc
	s_cbranch_execz .LBB101_139
; %bb.137:
	s_waitcnt vmcnt(48)
	v_mov_b32_e32 v0, v176
	v_mov_b32_e32 v1, v177
	s_waitcnt vmcnt(47)
	v_mov_b32_e32 v2, v126
	v_mov_b32_e32 v3, v127
	ds_write_b64 v6, v[128:129]
	ds_write2_b64 v7, v[0:1], v[2:3] offset0:28 offset1:29
	s_waitcnt vmcnt(46)
	v_mov_b32_e32 v0, v174
	v_mov_b32_e32 v1, v175
	s_waitcnt vmcnt(45)
	v_mov_b32_e32 v2, v124
	v_mov_b32_e32 v3, v125
	ds_write2_b64 v7, v[0:1], v[2:3] offset0:30 offset1:31
	s_waitcnt vmcnt(44)
	v_mov_b32_e32 v0, v172
	v_mov_b32_e32 v1, v173
	s_waitcnt vmcnt(43)
	v_mov_b32_e32 v2, v122
	v_mov_b32_e32 v3, v123
	;; [unrolled: 7-line block ×10, first 2 shown]
	ds_write2_b64 v7, v[0:1], v[2:3] offset0:48 offset1:49
	s_waitcnt vmcnt(26)
	ds_write_b64 v7, v[204:205] offset:400
	ds_read_b64 v[0:1], v6
	s_waitcnt lgkmcnt(0)
	v_cmp_neq_f64_e32 vcc, 0, v[0:1]
	s_and_b64 exec, exec, vcc
	s_cbranch_execz .LBB101_139
; %bb.138:
	v_div_scale_f64 v[2:3], s[6:7], v[0:1], v[0:1], 1.0
	v_rcp_f64_e32 v[4:5], v[2:3]
	v_div_scale_f64 v[10:11], vcc, 1.0, v[0:1], 1.0
	v_fma_f64 v[12:13], -v[2:3], v[4:5], 1.0
	v_fmac_f64_e32 v[4:5], v[4:5], v[12:13]
	v_fma_f64 v[12:13], -v[2:3], v[4:5], 1.0
	v_fmac_f64_e32 v[4:5], v[4:5], v[12:13]
	v_mul_f64 v[12:13], v[10:11], v[4:5]
	v_fma_f64 v[2:3], -v[2:3], v[12:13], v[10:11]
	v_div_fmas_f64 v[2:3], v[2:3], v[4:5], v[12:13]
	v_div_fixup_f64 v[0:1], v[2:3], v[0:1], 1.0
	ds_write_b64 v6, v[0:1]
.LBB101_139:
	s_or_b64 exec, exec, s[2:3]
	s_waitcnt lgkmcnt(0)
	s_barrier
	ds_read_b64 v[226:227], v6
	v_cmp_lt_u32_e32 vcc, 27, v8
	s_and_saveexec_b64 s[2:3], vcc
	s_cbranch_execz .LBB101_141
; %bb.140:
	ds_read2_b64 v[0:3], v7 offset0:28 offset1:29
	s_waitcnt vmcnt(49) lgkmcnt(1)
	v_mul_f64 v[128:129], v[226:227], v[128:129]
	s_waitcnt vmcnt(48) lgkmcnt(0)
	v_fma_f64 v[176:177], -v[128:129], v[0:1], v[176:177]
	s_waitcnt vmcnt(47)
	v_fma_f64 v[126:127], -v[128:129], v[2:3], v[126:127]
	ds_read2_b64 v[0:3], v7 offset0:30 offset1:31
	s_waitcnt vmcnt(46) lgkmcnt(0)
	v_fma_f64 v[174:175], -v[128:129], v[0:1], v[174:175]
	s_waitcnt vmcnt(45)
	v_fma_f64 v[124:125], -v[128:129], v[2:3], v[124:125]
	ds_read2_b64 v[0:3], v7 offset0:32 offset1:33
	;; [unrolled: 5-line block ×10, first 2 shown]
	s_waitcnt vmcnt(28) lgkmcnt(0)
	v_fma_f64 v[156:157], -v[128:129], v[0:1], v[156:157]
	ds_read_b64 v[0:1], v7 offset:400
	s_waitcnt vmcnt(27)
	v_fma_f64 v[106:107], -v[128:129], v[2:3], v[106:107]
	s_waitcnt vmcnt(26) lgkmcnt(0)
	v_fma_f64 v[204:205], -v[128:129], v[0:1], v[204:205]
.LBB101_141:
	s_or_b64 exec, exec, s[2:3]
	v_cmp_eq_u32_e32 vcc, 28, v8
	s_waitcnt lgkmcnt(0)
	s_barrier
	s_and_saveexec_b64 s[2:3], vcc
	s_cbranch_execz .LBB101_144
; %bb.142:
	s_waitcnt vmcnt(48)
	ds_write_b64 v6, v[176:177]
	s_waitcnt vmcnt(46)
	ds_write2_b64 v7, v[126:127], v[174:175] offset0:29 offset1:30
	s_waitcnt vmcnt(44)
	ds_write2_b64 v7, v[124:125], v[172:173] offset0:31 offset1:32
	;; [unrolled: 2-line block ×11, first 2 shown]
	ds_read_b64 v[0:1], v6
	s_waitcnt lgkmcnt(0)
	v_cmp_neq_f64_e32 vcc, 0, v[0:1]
	s_and_b64 exec, exec, vcc
	s_cbranch_execz .LBB101_144
; %bb.143:
	v_div_scale_f64 v[2:3], s[6:7], v[0:1], v[0:1], 1.0
	v_rcp_f64_e32 v[4:5], v[2:3]
	v_div_scale_f64 v[10:11], vcc, 1.0, v[0:1], 1.0
	v_fma_f64 v[12:13], -v[2:3], v[4:5], 1.0
	v_fmac_f64_e32 v[4:5], v[4:5], v[12:13]
	v_fma_f64 v[12:13], -v[2:3], v[4:5], 1.0
	v_fmac_f64_e32 v[4:5], v[4:5], v[12:13]
	v_mul_f64 v[12:13], v[10:11], v[4:5]
	v_fma_f64 v[2:3], -v[2:3], v[12:13], v[10:11]
	v_div_fmas_f64 v[2:3], v[2:3], v[4:5], v[12:13]
	v_div_fixup_f64 v[0:1], v[2:3], v[0:1], 1.0
	ds_write_b64 v6, v[0:1]
.LBB101_144:
	s_or_b64 exec, exec, s[2:3]
	s_waitcnt lgkmcnt(0)
	s_barrier
	ds_read_b64 v[228:229], v6
	v_cmp_lt_u32_e32 vcc, 28, v8
	s_and_saveexec_b64 s[2:3], vcc
	s_cbranch_execz .LBB101_146
; %bb.145:
	ds_read2_b64 v[0:3], v7 offset0:29 offset1:30
	s_waitcnt vmcnt(48) lgkmcnt(1)
	v_mul_f64 v[176:177], v[228:229], v[176:177]
	s_waitcnt vmcnt(47) lgkmcnt(0)
	v_fma_f64 v[126:127], -v[176:177], v[0:1], v[126:127]
	s_waitcnt vmcnt(46)
	v_fma_f64 v[174:175], -v[176:177], v[2:3], v[174:175]
	ds_read2_b64 v[0:3], v7 offset0:31 offset1:32
	s_waitcnt vmcnt(45) lgkmcnt(0)
	v_fma_f64 v[124:125], -v[176:177], v[0:1], v[124:125]
	s_waitcnt vmcnt(44)
	v_fma_f64 v[172:173], -v[176:177], v[2:3], v[172:173]
	ds_read2_b64 v[0:3], v7 offset0:33 offset1:34
	;; [unrolled: 5-line block ×10, first 2 shown]
	s_waitcnt vmcnt(27) lgkmcnt(0)
	v_fma_f64 v[106:107], -v[176:177], v[0:1], v[106:107]
	s_waitcnt vmcnt(26)
	v_fma_f64 v[204:205], -v[176:177], v[2:3], v[204:205]
.LBB101_146:
	s_or_b64 exec, exec, s[2:3]
	v_cmp_eq_u32_e32 vcc, 29, v8
	s_waitcnt lgkmcnt(0)
	s_barrier
	s_and_saveexec_b64 s[2:3], vcc
	s_cbranch_execz .LBB101_149
; %bb.147:
	s_waitcnt vmcnt(46)
	v_mov_b32_e32 v0, v174
	v_mov_b32_e32 v1, v175
	s_waitcnt vmcnt(45)
	v_mov_b32_e32 v2, v124
	v_mov_b32_e32 v3, v125
	ds_write_b64 v6, v[126:127]
	ds_write2_b64 v7, v[0:1], v[2:3] offset0:30 offset1:31
	s_waitcnt vmcnt(44)
	v_mov_b32_e32 v0, v172
	v_mov_b32_e32 v1, v173
	s_waitcnt vmcnt(43)
	v_mov_b32_e32 v2, v122
	v_mov_b32_e32 v3, v123
	ds_write2_b64 v7, v[0:1], v[2:3] offset0:32 offset1:33
	s_waitcnt vmcnt(42)
	v_mov_b32_e32 v0, v170
	v_mov_b32_e32 v1, v171
	s_waitcnt vmcnt(41)
	v_mov_b32_e32 v2, v120
	v_mov_b32_e32 v3, v121
	;; [unrolled: 7-line block ×9, first 2 shown]
	ds_write2_b64 v7, v[0:1], v[2:3] offset0:48 offset1:49
	s_waitcnt vmcnt(26)
	ds_write_b64 v7, v[204:205] offset:400
	ds_read_b64 v[0:1], v6
	s_waitcnt lgkmcnt(0)
	v_cmp_neq_f64_e32 vcc, 0, v[0:1]
	s_and_b64 exec, exec, vcc
	s_cbranch_execz .LBB101_149
; %bb.148:
	v_div_scale_f64 v[2:3], s[6:7], v[0:1], v[0:1], 1.0
	v_rcp_f64_e32 v[4:5], v[2:3]
	v_div_scale_f64 v[10:11], vcc, 1.0, v[0:1], 1.0
	v_fma_f64 v[12:13], -v[2:3], v[4:5], 1.0
	v_fmac_f64_e32 v[4:5], v[4:5], v[12:13]
	v_fma_f64 v[12:13], -v[2:3], v[4:5], 1.0
	v_fmac_f64_e32 v[4:5], v[4:5], v[12:13]
	v_mul_f64 v[12:13], v[10:11], v[4:5]
	v_fma_f64 v[2:3], -v[2:3], v[12:13], v[10:11]
	v_div_fmas_f64 v[2:3], v[2:3], v[4:5], v[12:13]
	v_div_fixup_f64 v[0:1], v[2:3], v[0:1], 1.0
	ds_write_b64 v6, v[0:1]
.LBB101_149:
	s_or_b64 exec, exec, s[2:3]
	s_waitcnt lgkmcnt(0)
	s_barrier
	ds_read_b64 v[230:231], v6
	v_cmp_lt_u32_e32 vcc, 29, v8
	s_and_saveexec_b64 s[2:3], vcc
	s_cbranch_execz .LBB101_151
; %bb.150:
	ds_read2_b64 v[0:3], v7 offset0:30 offset1:31
	s_waitcnt vmcnt(47) lgkmcnt(1)
	v_mul_f64 v[126:127], v[230:231], v[126:127]
	s_waitcnt vmcnt(46) lgkmcnt(0)
	v_fma_f64 v[174:175], -v[126:127], v[0:1], v[174:175]
	s_waitcnt vmcnt(45)
	v_fma_f64 v[124:125], -v[126:127], v[2:3], v[124:125]
	ds_read2_b64 v[0:3], v7 offset0:32 offset1:33
	s_waitcnt vmcnt(44) lgkmcnt(0)
	v_fma_f64 v[172:173], -v[126:127], v[0:1], v[172:173]
	s_waitcnt vmcnt(43)
	v_fma_f64 v[122:123], -v[126:127], v[2:3], v[122:123]
	ds_read2_b64 v[0:3], v7 offset0:34 offset1:35
	;; [unrolled: 5-line block ×9, first 2 shown]
	s_waitcnt vmcnt(28) lgkmcnt(0)
	v_fma_f64 v[156:157], -v[126:127], v[0:1], v[156:157]
	ds_read_b64 v[0:1], v7 offset:400
	s_waitcnt vmcnt(27)
	v_fma_f64 v[106:107], -v[126:127], v[2:3], v[106:107]
	s_waitcnt vmcnt(26) lgkmcnt(0)
	v_fma_f64 v[204:205], -v[126:127], v[0:1], v[204:205]
.LBB101_151:
	s_or_b64 exec, exec, s[2:3]
	v_cmp_eq_u32_e32 vcc, 30, v8
	s_waitcnt lgkmcnt(0)
	s_barrier
	s_and_saveexec_b64 s[2:3], vcc
	s_cbranch_execz .LBB101_154
; %bb.152:
	s_waitcnt vmcnt(46)
	ds_write_b64 v6, v[174:175]
	s_waitcnt vmcnt(44)
	ds_write2_b64 v7, v[124:125], v[172:173] offset0:31 offset1:32
	s_waitcnt vmcnt(42)
	ds_write2_b64 v7, v[122:123], v[170:171] offset0:33 offset1:34
	;; [unrolled: 2-line block ×10, first 2 shown]
	ds_read_b64 v[0:1], v6
	s_waitcnt lgkmcnt(0)
	v_cmp_neq_f64_e32 vcc, 0, v[0:1]
	s_and_b64 exec, exec, vcc
	s_cbranch_execz .LBB101_154
; %bb.153:
	v_div_scale_f64 v[2:3], s[6:7], v[0:1], v[0:1], 1.0
	v_rcp_f64_e32 v[4:5], v[2:3]
	v_div_scale_f64 v[10:11], vcc, 1.0, v[0:1], 1.0
	v_fma_f64 v[12:13], -v[2:3], v[4:5], 1.0
	v_fmac_f64_e32 v[4:5], v[4:5], v[12:13]
	v_fma_f64 v[12:13], -v[2:3], v[4:5], 1.0
	v_fmac_f64_e32 v[4:5], v[4:5], v[12:13]
	v_mul_f64 v[12:13], v[10:11], v[4:5]
	v_fma_f64 v[2:3], -v[2:3], v[12:13], v[10:11]
	v_div_fmas_f64 v[2:3], v[2:3], v[4:5], v[12:13]
	v_div_fixup_f64 v[0:1], v[2:3], v[0:1], 1.0
	ds_write_b64 v6, v[0:1]
.LBB101_154:
	s_or_b64 exec, exec, s[2:3]
	s_waitcnt lgkmcnt(0)
	s_barrier
	ds_read_b64 v[232:233], v6
	v_cmp_lt_u32_e32 vcc, 30, v8
	s_and_saveexec_b64 s[2:3], vcc
	s_cbranch_execz .LBB101_156
; %bb.155:
	ds_read2_b64 v[0:3], v7 offset0:31 offset1:32
	s_waitcnt vmcnt(46) lgkmcnt(1)
	v_mul_f64 v[174:175], v[232:233], v[174:175]
	s_waitcnt vmcnt(45) lgkmcnt(0)
	v_fma_f64 v[124:125], -v[174:175], v[0:1], v[124:125]
	s_waitcnt vmcnt(44)
	v_fma_f64 v[172:173], -v[174:175], v[2:3], v[172:173]
	ds_read2_b64 v[0:3], v7 offset0:33 offset1:34
	s_waitcnt vmcnt(43) lgkmcnt(0)
	v_fma_f64 v[122:123], -v[174:175], v[0:1], v[122:123]
	s_waitcnt vmcnt(42)
	v_fma_f64 v[170:171], -v[174:175], v[2:3], v[170:171]
	ds_read2_b64 v[0:3], v7 offset0:35 offset1:36
	;; [unrolled: 5-line block ×9, first 2 shown]
	s_waitcnt vmcnt(27) lgkmcnt(0)
	v_fma_f64 v[106:107], -v[174:175], v[0:1], v[106:107]
	s_waitcnt vmcnt(26)
	v_fma_f64 v[204:205], -v[174:175], v[2:3], v[204:205]
.LBB101_156:
	s_or_b64 exec, exec, s[2:3]
	v_cmp_eq_u32_e32 vcc, 31, v8
	s_waitcnt lgkmcnt(0)
	s_barrier
	s_and_saveexec_b64 s[2:3], vcc
	s_cbranch_execz .LBB101_159
; %bb.157:
	s_waitcnt vmcnt(44)
	v_mov_b32_e32 v0, v172
	v_mov_b32_e32 v1, v173
	s_waitcnt vmcnt(43)
	v_mov_b32_e32 v2, v122
	v_mov_b32_e32 v3, v123
	ds_write_b64 v6, v[124:125]
	ds_write2_b64 v7, v[0:1], v[2:3] offset0:32 offset1:33
	s_waitcnt vmcnt(42)
	v_mov_b32_e32 v0, v170
	v_mov_b32_e32 v1, v171
	s_waitcnt vmcnt(41)
	v_mov_b32_e32 v2, v120
	v_mov_b32_e32 v3, v121
	ds_write2_b64 v7, v[0:1], v[2:3] offset0:34 offset1:35
	s_waitcnt vmcnt(40)
	v_mov_b32_e32 v0, v168
	v_mov_b32_e32 v1, v169
	s_waitcnt vmcnt(39)
	v_mov_b32_e32 v2, v118
	v_mov_b32_e32 v3, v119
	;; [unrolled: 7-line block ×8, first 2 shown]
	ds_write2_b64 v7, v[0:1], v[2:3] offset0:48 offset1:49
	s_waitcnt vmcnt(26)
	ds_write_b64 v7, v[204:205] offset:400
	ds_read_b64 v[0:1], v6
	s_waitcnt lgkmcnt(0)
	v_cmp_neq_f64_e32 vcc, 0, v[0:1]
	s_and_b64 exec, exec, vcc
	s_cbranch_execz .LBB101_159
; %bb.158:
	v_div_scale_f64 v[2:3], s[6:7], v[0:1], v[0:1], 1.0
	v_rcp_f64_e32 v[4:5], v[2:3]
	v_div_scale_f64 v[10:11], vcc, 1.0, v[0:1], 1.0
	v_fma_f64 v[12:13], -v[2:3], v[4:5], 1.0
	v_fmac_f64_e32 v[4:5], v[4:5], v[12:13]
	v_fma_f64 v[12:13], -v[2:3], v[4:5], 1.0
	v_fmac_f64_e32 v[4:5], v[4:5], v[12:13]
	v_mul_f64 v[12:13], v[10:11], v[4:5]
	v_fma_f64 v[2:3], -v[2:3], v[12:13], v[10:11]
	v_div_fmas_f64 v[2:3], v[2:3], v[4:5], v[12:13]
	v_div_fixup_f64 v[0:1], v[2:3], v[0:1], 1.0
	ds_write_b64 v6, v[0:1]
.LBB101_159:
	s_or_b64 exec, exec, s[2:3]
	s_waitcnt lgkmcnt(0)
	s_barrier
	ds_read_b64 v[234:235], v6
	v_cmp_lt_u32_e32 vcc, 31, v8
	s_and_saveexec_b64 s[2:3], vcc
	s_cbranch_execz .LBB101_161
; %bb.160:
	ds_read2_b64 v[0:3], v7 offset0:32 offset1:33
	s_waitcnt vmcnt(45) lgkmcnt(1)
	v_mul_f64 v[124:125], v[234:235], v[124:125]
	s_waitcnt vmcnt(44) lgkmcnt(0)
	v_fma_f64 v[172:173], -v[124:125], v[0:1], v[172:173]
	s_waitcnt vmcnt(43)
	v_fma_f64 v[122:123], -v[124:125], v[2:3], v[122:123]
	ds_read2_b64 v[0:3], v7 offset0:34 offset1:35
	s_waitcnt vmcnt(42) lgkmcnt(0)
	v_fma_f64 v[170:171], -v[124:125], v[0:1], v[170:171]
	s_waitcnt vmcnt(41)
	v_fma_f64 v[120:121], -v[124:125], v[2:3], v[120:121]
	ds_read2_b64 v[0:3], v7 offset0:36 offset1:37
	;; [unrolled: 5-line block ×8, first 2 shown]
	s_waitcnt vmcnt(28) lgkmcnt(0)
	v_fma_f64 v[156:157], -v[124:125], v[0:1], v[156:157]
	ds_read_b64 v[0:1], v7 offset:400
	s_waitcnt vmcnt(27)
	v_fma_f64 v[106:107], -v[124:125], v[2:3], v[106:107]
	s_waitcnt vmcnt(26) lgkmcnt(0)
	v_fma_f64 v[204:205], -v[124:125], v[0:1], v[204:205]
.LBB101_161:
	s_or_b64 exec, exec, s[2:3]
	v_cmp_eq_u32_e32 vcc, 32, v8
	s_waitcnt lgkmcnt(0)
	s_barrier
	s_and_saveexec_b64 s[2:3], vcc
	s_cbranch_execz .LBB101_164
; %bb.162:
	s_waitcnt vmcnt(44)
	ds_write_b64 v6, v[172:173]
	s_waitcnt vmcnt(42)
	ds_write2_b64 v7, v[122:123], v[170:171] offset0:33 offset1:34
	s_waitcnt vmcnt(40)
	ds_write2_b64 v7, v[120:121], v[168:169] offset0:35 offset1:36
	;; [unrolled: 2-line block ×9, first 2 shown]
	ds_read_b64 v[0:1], v6
	s_waitcnt lgkmcnt(0)
	v_cmp_neq_f64_e32 vcc, 0, v[0:1]
	s_and_b64 exec, exec, vcc
	s_cbranch_execz .LBB101_164
; %bb.163:
	v_div_scale_f64 v[2:3], s[6:7], v[0:1], v[0:1], 1.0
	v_rcp_f64_e32 v[4:5], v[2:3]
	v_div_scale_f64 v[10:11], vcc, 1.0, v[0:1], 1.0
	v_fma_f64 v[12:13], -v[2:3], v[4:5], 1.0
	v_fmac_f64_e32 v[4:5], v[4:5], v[12:13]
	v_fma_f64 v[12:13], -v[2:3], v[4:5], 1.0
	v_fmac_f64_e32 v[4:5], v[4:5], v[12:13]
	v_mul_f64 v[12:13], v[10:11], v[4:5]
	v_fma_f64 v[2:3], -v[2:3], v[12:13], v[10:11]
	v_div_fmas_f64 v[2:3], v[2:3], v[4:5], v[12:13]
	v_div_fixup_f64 v[0:1], v[2:3], v[0:1], 1.0
	ds_write_b64 v6, v[0:1]
.LBB101_164:
	s_or_b64 exec, exec, s[2:3]
	s_waitcnt lgkmcnt(0)
	s_barrier
	ds_read_b64 v[236:237], v6
	v_cmp_lt_u32_e32 vcc, 32, v8
	s_and_saveexec_b64 s[2:3], vcc
	s_cbranch_execz .LBB101_166
; %bb.165:
	ds_read2_b64 v[0:3], v7 offset0:33 offset1:34
	s_waitcnt vmcnt(44) lgkmcnt(1)
	v_mul_f64 v[172:173], v[236:237], v[172:173]
	s_waitcnt vmcnt(43) lgkmcnt(0)
	v_fma_f64 v[122:123], -v[172:173], v[0:1], v[122:123]
	s_waitcnt vmcnt(42)
	v_fma_f64 v[170:171], -v[172:173], v[2:3], v[170:171]
	ds_read2_b64 v[0:3], v7 offset0:35 offset1:36
	s_waitcnt vmcnt(41) lgkmcnt(0)
	v_fma_f64 v[120:121], -v[172:173], v[0:1], v[120:121]
	s_waitcnt vmcnt(40)
	v_fma_f64 v[168:169], -v[172:173], v[2:3], v[168:169]
	ds_read2_b64 v[0:3], v7 offset0:37 offset1:38
	;; [unrolled: 5-line block ×8, first 2 shown]
	s_waitcnt vmcnt(27) lgkmcnt(0)
	v_fma_f64 v[106:107], -v[172:173], v[0:1], v[106:107]
	s_waitcnt vmcnt(26)
	v_fma_f64 v[204:205], -v[172:173], v[2:3], v[204:205]
.LBB101_166:
	s_or_b64 exec, exec, s[2:3]
	v_cmp_eq_u32_e32 vcc, 33, v8
	s_waitcnt lgkmcnt(0)
	s_barrier
	s_and_saveexec_b64 s[2:3], vcc
	s_cbranch_execz .LBB101_169
; %bb.167:
	s_waitcnt vmcnt(42)
	v_mov_b32_e32 v0, v170
	v_mov_b32_e32 v1, v171
	s_waitcnt vmcnt(41)
	v_mov_b32_e32 v2, v120
	v_mov_b32_e32 v3, v121
	ds_write_b64 v6, v[122:123]
	ds_write2_b64 v7, v[0:1], v[2:3] offset0:34 offset1:35
	s_waitcnt vmcnt(40)
	v_mov_b32_e32 v0, v168
	v_mov_b32_e32 v1, v169
	s_waitcnt vmcnt(39)
	v_mov_b32_e32 v2, v118
	v_mov_b32_e32 v3, v119
	ds_write2_b64 v7, v[0:1], v[2:3] offset0:36 offset1:37
	s_waitcnt vmcnt(38)
	v_mov_b32_e32 v0, v166
	v_mov_b32_e32 v1, v167
	s_waitcnt vmcnt(37)
	v_mov_b32_e32 v2, v116
	v_mov_b32_e32 v3, v117
	;; [unrolled: 7-line block ×7, first 2 shown]
	ds_write2_b64 v7, v[0:1], v[2:3] offset0:48 offset1:49
	s_waitcnt vmcnt(26)
	ds_write_b64 v7, v[204:205] offset:400
	ds_read_b64 v[0:1], v6
	s_waitcnt lgkmcnt(0)
	v_cmp_neq_f64_e32 vcc, 0, v[0:1]
	s_and_b64 exec, exec, vcc
	s_cbranch_execz .LBB101_169
; %bb.168:
	v_div_scale_f64 v[2:3], s[6:7], v[0:1], v[0:1], 1.0
	v_rcp_f64_e32 v[4:5], v[2:3]
	v_div_scale_f64 v[10:11], vcc, 1.0, v[0:1], 1.0
	v_fma_f64 v[12:13], -v[2:3], v[4:5], 1.0
	v_fmac_f64_e32 v[4:5], v[4:5], v[12:13]
	v_fma_f64 v[12:13], -v[2:3], v[4:5], 1.0
	v_fmac_f64_e32 v[4:5], v[4:5], v[12:13]
	v_mul_f64 v[12:13], v[10:11], v[4:5]
	v_fma_f64 v[2:3], -v[2:3], v[12:13], v[10:11]
	v_div_fmas_f64 v[2:3], v[2:3], v[4:5], v[12:13]
	v_div_fixup_f64 v[0:1], v[2:3], v[0:1], 1.0
	ds_write_b64 v6, v[0:1]
.LBB101_169:
	s_or_b64 exec, exec, s[2:3]
	s_waitcnt lgkmcnt(0)
	s_barrier
	ds_read_b64 v[0:1], v6
	v_cmp_lt_u32_e32 vcc, 33, v8
	s_waitcnt lgkmcnt(0)
	buffer_store_dword v0, off, s[16:19], 0 offset:168 ; 4-byte Folded Spill
	s_nop 0
	buffer_store_dword v1, off, s[16:19], 0 offset:172 ; 4-byte Folded Spill
	s_and_saveexec_b64 s[2:3], vcc
	s_cbranch_execz .LBB101_171
; %bb.170:
	buffer_load_dword v0, off, s[16:19], 0 offset:168 ; 4-byte Folded Reload
	buffer_load_dword v1, off, s[16:19], 0 offset:172 ; 4-byte Folded Reload
	s_waitcnt vmcnt(0)
	v_mul_f64 v[122:123], v[0:1], v[122:123]
	ds_read2_b64 v[0:3], v7 offset0:34 offset1:35
	s_waitcnt lgkmcnt(0)
	v_fma_f64 v[170:171], -v[122:123], v[0:1], v[170:171]
	v_fma_f64 v[120:121], -v[122:123], v[2:3], v[120:121]
	ds_read2_b64 v[0:3], v7 offset0:36 offset1:37
	s_waitcnt lgkmcnt(0)
	v_fma_f64 v[168:169], -v[122:123], v[0:1], v[168:169]
	v_fma_f64 v[118:119], -v[122:123], v[2:3], v[118:119]
	;; [unrolled: 4-line block ×7, first 2 shown]
	ds_read2_b64 v[0:3], v7 offset0:48 offset1:49
	s_waitcnt lgkmcnt(0)
	v_fma_f64 v[156:157], -v[122:123], v[0:1], v[156:157]
	ds_read_b64 v[0:1], v7 offset:400
	v_fma_f64 v[106:107], -v[122:123], v[2:3], v[106:107]
	s_waitcnt lgkmcnt(0)
	v_fma_f64 v[204:205], -v[122:123], v[0:1], v[204:205]
.LBB101_171:
	s_or_b64 exec, exec, s[2:3]
	v_cmp_eq_u32_e32 vcc, 34, v8
	s_waitcnt vmcnt(63) expcnt(7) lgkmcnt(15)
	s_barrier
	s_and_saveexec_b64 s[2:3], vcc
	s_cbranch_execz .LBB101_174
; %bb.172:
	s_waitcnt vmcnt(44)
	ds_write_b64 v6, v[170:171]
	s_waitcnt vmcnt(42)
	ds_write2_b64 v7, v[120:121], v[168:169] offset0:35 offset1:36
	s_waitcnt vmcnt(40)
	ds_write2_b64 v7, v[118:119], v[166:167] offset0:37 offset1:38
	;; [unrolled: 2-line block ×8, first 2 shown]
	ds_read_b64 v[0:1], v6
	s_waitcnt lgkmcnt(0)
	v_cmp_neq_f64_e32 vcc, 0, v[0:1]
	s_and_b64 exec, exec, vcc
	s_cbranch_execz .LBB101_174
; %bb.173:
	v_div_scale_f64 v[2:3], s[6:7], v[0:1], v[0:1], 1.0
	v_rcp_f64_e32 v[4:5], v[2:3]
	v_div_scale_f64 v[10:11], vcc, 1.0, v[0:1], 1.0
	v_fma_f64 v[12:13], -v[2:3], v[4:5], 1.0
	v_fmac_f64_e32 v[4:5], v[4:5], v[12:13]
	v_fma_f64 v[12:13], -v[2:3], v[4:5], 1.0
	v_fmac_f64_e32 v[4:5], v[4:5], v[12:13]
	v_mul_f64 v[12:13], v[10:11], v[4:5]
	v_fma_f64 v[2:3], -v[2:3], v[12:13], v[10:11]
	v_div_fmas_f64 v[2:3], v[2:3], v[4:5], v[12:13]
	v_div_fixup_f64 v[0:1], v[2:3], v[0:1], 1.0
	ds_write_b64 v6, v[0:1]
.LBB101_174:
	s_or_b64 exec, exec, s[2:3]
	s_waitcnt lgkmcnt(0)
	s_barrier
	ds_read_b64 v[0:1], v6
	v_cmp_lt_u32_e32 vcc, 34, v8
	s_waitcnt lgkmcnt(0)
	buffer_store_dword v0, off, s[16:19], 0 offset:176 ; 4-byte Folded Spill
	s_nop 0
	buffer_store_dword v1, off, s[16:19], 0 offset:180 ; 4-byte Folded Spill
	s_and_saveexec_b64 s[2:3], vcc
	s_cbranch_execz .LBB101_176
; %bb.175:
	buffer_load_dword v0, off, s[16:19], 0 offset:176 ; 4-byte Folded Reload
	buffer_load_dword v1, off, s[16:19], 0 offset:180 ; 4-byte Folded Reload
	s_waitcnt vmcnt(0)
	v_mul_f64 v[170:171], v[0:1], v[170:171]
	ds_read2_b64 v[0:3], v7 offset0:35 offset1:36
	s_waitcnt lgkmcnt(0)
	v_fma_f64 v[120:121], -v[170:171], v[0:1], v[120:121]
	v_fma_f64 v[168:169], -v[170:171], v[2:3], v[168:169]
	ds_read2_b64 v[0:3], v7 offset0:37 offset1:38
	s_waitcnt lgkmcnt(0)
	v_fma_f64 v[118:119], -v[170:171], v[0:1], v[118:119]
	v_fma_f64 v[166:167], -v[170:171], v[2:3], v[166:167]
	;; [unrolled: 4-line block ×8, first 2 shown]
.LBB101_176:
	s_or_b64 exec, exec, s[2:3]
	v_cmp_eq_u32_e32 vcc, 35, v8
	s_waitcnt vmcnt(63) expcnt(7) lgkmcnt(15)
	s_barrier
	s_and_saveexec_b64 s[2:3], vcc
	s_cbranch_execz .LBB101_179
; %bb.177:
	s_waitcnt vmcnt(44)
	v_mov_b32_e32 v0, v168
	v_mov_b32_e32 v1, v169
	s_waitcnt vmcnt(43)
	v_mov_b32_e32 v2, v118
	v_mov_b32_e32 v3, v119
	ds_write_b64 v6, v[120:121]
	ds_write2_b64 v7, v[0:1], v[2:3] offset0:36 offset1:37
	s_waitcnt vmcnt(42)
	v_mov_b32_e32 v0, v166
	v_mov_b32_e32 v1, v167
	s_waitcnt vmcnt(41)
	v_mov_b32_e32 v2, v116
	v_mov_b32_e32 v3, v117
	ds_write2_b64 v7, v[0:1], v[2:3] offset0:38 offset1:39
	s_waitcnt vmcnt(40)
	v_mov_b32_e32 v0, v164
	v_mov_b32_e32 v1, v165
	s_waitcnt vmcnt(39)
	v_mov_b32_e32 v2, v114
	v_mov_b32_e32 v3, v115
	;; [unrolled: 7-line block ×6, first 2 shown]
	ds_write2_b64 v7, v[0:1], v[2:3] offset0:48 offset1:49
	s_waitcnt vmcnt(30)
	ds_write_b64 v7, v[204:205] offset:400
	ds_read_b64 v[0:1], v6
	s_waitcnt lgkmcnt(0)
	v_cmp_neq_f64_e32 vcc, 0, v[0:1]
	s_and_b64 exec, exec, vcc
	s_cbranch_execz .LBB101_179
; %bb.178:
	v_div_scale_f64 v[2:3], s[6:7], v[0:1], v[0:1], 1.0
	v_rcp_f64_e32 v[4:5], v[2:3]
	v_div_scale_f64 v[10:11], vcc, 1.0, v[0:1], 1.0
	v_fma_f64 v[12:13], -v[2:3], v[4:5], 1.0
	v_fmac_f64_e32 v[4:5], v[4:5], v[12:13]
	v_fma_f64 v[12:13], -v[2:3], v[4:5], 1.0
	v_fmac_f64_e32 v[4:5], v[4:5], v[12:13]
	v_mul_f64 v[12:13], v[10:11], v[4:5]
	v_fma_f64 v[2:3], -v[2:3], v[12:13], v[10:11]
	v_div_fmas_f64 v[2:3], v[2:3], v[4:5], v[12:13]
	v_div_fixup_f64 v[0:1], v[2:3], v[0:1], 1.0
	ds_write_b64 v6, v[0:1]
.LBB101_179:
	s_or_b64 exec, exec, s[2:3]
	s_waitcnt lgkmcnt(0)
	s_barrier
	ds_read_b64 v[0:1], v6
	v_cmp_lt_u32_e32 vcc, 35, v8
	s_waitcnt lgkmcnt(0)
	buffer_store_dword v0, off, s[16:19], 0 offset:184 ; 4-byte Folded Spill
	s_nop 0
	buffer_store_dword v1, off, s[16:19], 0 offset:188 ; 4-byte Folded Spill
	s_and_saveexec_b64 s[2:3], vcc
	s_cbranch_execz .LBB101_181
; %bb.180:
	buffer_load_dword v0, off, s[16:19], 0 offset:184 ; 4-byte Folded Reload
	buffer_load_dword v1, off, s[16:19], 0 offset:188 ; 4-byte Folded Reload
	s_waitcnt vmcnt(0)
	v_mul_f64 v[120:121], v[0:1], v[120:121]
	ds_read2_b64 v[0:3], v7 offset0:36 offset1:37
	s_waitcnt lgkmcnt(0)
	v_fma_f64 v[168:169], -v[120:121], v[0:1], v[168:169]
	v_fma_f64 v[118:119], -v[120:121], v[2:3], v[118:119]
	ds_read2_b64 v[0:3], v7 offset0:38 offset1:39
	s_waitcnt lgkmcnt(0)
	v_fma_f64 v[166:167], -v[120:121], v[0:1], v[166:167]
	v_fma_f64 v[116:117], -v[120:121], v[2:3], v[116:117]
	;; [unrolled: 4-line block ×6, first 2 shown]
	ds_read2_b64 v[0:3], v7 offset0:48 offset1:49
	s_waitcnt lgkmcnt(0)
	v_fma_f64 v[156:157], -v[120:121], v[0:1], v[156:157]
	ds_read_b64 v[0:1], v7 offset:400
	v_fma_f64 v[106:107], -v[120:121], v[2:3], v[106:107]
	s_waitcnt lgkmcnt(0)
	v_fma_f64 v[204:205], -v[120:121], v[0:1], v[204:205]
.LBB101_181:
	s_or_b64 exec, exec, s[2:3]
	v_cmp_eq_u32_e32 vcc, 36, v8
	s_waitcnt vmcnt(63) expcnt(7) lgkmcnt(15)
	s_barrier
	s_and_saveexec_b64 s[2:3], vcc
	s_cbranch_execz .LBB101_184
; %bb.182:
	s_waitcnt vmcnt(46)
	ds_write_b64 v6, v[168:169]
	s_waitcnt vmcnt(44)
	ds_write2_b64 v7, v[118:119], v[166:167] offset0:37 offset1:38
	s_waitcnt vmcnt(42)
	ds_write2_b64 v7, v[116:117], v[164:165] offset0:39 offset1:40
	;; [unrolled: 2-line block ×7, first 2 shown]
	ds_read_b64 v[0:1], v6
	s_waitcnt lgkmcnt(0)
	v_cmp_neq_f64_e32 vcc, 0, v[0:1]
	s_and_b64 exec, exec, vcc
	s_cbranch_execz .LBB101_184
; %bb.183:
	v_div_scale_f64 v[2:3], s[6:7], v[0:1], v[0:1], 1.0
	v_rcp_f64_e32 v[4:5], v[2:3]
	v_div_scale_f64 v[10:11], vcc, 1.0, v[0:1], 1.0
	v_fma_f64 v[12:13], -v[2:3], v[4:5], 1.0
	v_fmac_f64_e32 v[4:5], v[4:5], v[12:13]
	v_fma_f64 v[12:13], -v[2:3], v[4:5], 1.0
	v_fmac_f64_e32 v[4:5], v[4:5], v[12:13]
	v_mul_f64 v[12:13], v[10:11], v[4:5]
	v_fma_f64 v[2:3], -v[2:3], v[12:13], v[10:11]
	v_div_fmas_f64 v[2:3], v[2:3], v[4:5], v[12:13]
	v_div_fixup_f64 v[0:1], v[2:3], v[0:1], 1.0
	ds_write_b64 v6, v[0:1]
.LBB101_184:
	s_or_b64 exec, exec, s[2:3]
	s_waitcnt lgkmcnt(0)
	s_barrier
	ds_read_b64 v[0:1], v6
	v_cmp_lt_u32_e32 vcc, 36, v8
	s_waitcnt lgkmcnt(0)
	buffer_store_dword v0, off, s[16:19], 0 offset:192 ; 4-byte Folded Spill
	s_nop 0
	buffer_store_dword v1, off, s[16:19], 0 offset:196 ; 4-byte Folded Spill
	s_and_saveexec_b64 s[2:3], vcc
	s_cbranch_execz .LBB101_186
; %bb.185:
	buffer_load_dword v0, off, s[16:19], 0 offset:192 ; 4-byte Folded Reload
	buffer_load_dword v1, off, s[16:19], 0 offset:196 ; 4-byte Folded Reload
	s_waitcnt vmcnt(0)
	v_mul_f64 v[168:169], v[0:1], v[168:169]
	ds_read2_b64 v[0:3], v7 offset0:37 offset1:38
	s_waitcnt lgkmcnt(0)
	v_fma_f64 v[118:119], -v[168:169], v[0:1], v[118:119]
	v_fma_f64 v[166:167], -v[168:169], v[2:3], v[166:167]
	ds_read2_b64 v[0:3], v7 offset0:39 offset1:40
	s_waitcnt lgkmcnt(0)
	v_fma_f64 v[116:117], -v[168:169], v[0:1], v[116:117]
	v_fma_f64 v[164:165], -v[168:169], v[2:3], v[164:165]
	;; [unrolled: 4-line block ×7, first 2 shown]
.LBB101_186:
	s_or_b64 exec, exec, s[2:3]
	v_cmp_eq_u32_e32 vcc, 37, v8
	s_waitcnt vmcnt(63) expcnt(7) lgkmcnt(15)
	s_barrier
	s_and_saveexec_b64 s[2:3], vcc
	s_cbranch_execz .LBB101_189
; %bb.187:
	s_waitcnt vmcnt(46)
	v_mov_b32_e32 v0, v166
	v_mov_b32_e32 v1, v167
	s_waitcnt vmcnt(45)
	v_mov_b32_e32 v2, v116
	v_mov_b32_e32 v3, v117
	ds_write_b64 v6, v[118:119]
	ds_write2_b64 v7, v[0:1], v[2:3] offset0:38 offset1:39
	s_waitcnt vmcnt(44)
	v_mov_b32_e32 v0, v164
	v_mov_b32_e32 v1, v165
	s_waitcnt vmcnt(43)
	v_mov_b32_e32 v2, v114
	v_mov_b32_e32 v3, v115
	ds_write2_b64 v7, v[0:1], v[2:3] offset0:40 offset1:41
	s_waitcnt vmcnt(42)
	v_mov_b32_e32 v0, v162
	v_mov_b32_e32 v1, v163
	s_waitcnt vmcnt(41)
	v_mov_b32_e32 v2, v112
	v_mov_b32_e32 v3, v113
	;; [unrolled: 7-line block ×5, first 2 shown]
	ds_write2_b64 v7, v[0:1], v[2:3] offset0:48 offset1:49
	s_waitcnt vmcnt(34)
	ds_write_b64 v7, v[204:205] offset:400
	ds_read_b64 v[0:1], v6
	s_waitcnt lgkmcnt(0)
	v_cmp_neq_f64_e32 vcc, 0, v[0:1]
	s_and_b64 exec, exec, vcc
	s_cbranch_execz .LBB101_189
; %bb.188:
	v_div_scale_f64 v[2:3], s[6:7], v[0:1], v[0:1], 1.0
	v_rcp_f64_e32 v[4:5], v[2:3]
	v_div_scale_f64 v[10:11], vcc, 1.0, v[0:1], 1.0
	v_fma_f64 v[12:13], -v[2:3], v[4:5], 1.0
	v_fmac_f64_e32 v[4:5], v[4:5], v[12:13]
	v_fma_f64 v[12:13], -v[2:3], v[4:5], 1.0
	v_fmac_f64_e32 v[4:5], v[4:5], v[12:13]
	v_mul_f64 v[12:13], v[10:11], v[4:5]
	v_fma_f64 v[2:3], -v[2:3], v[12:13], v[10:11]
	v_div_fmas_f64 v[2:3], v[2:3], v[4:5], v[12:13]
	v_div_fixup_f64 v[0:1], v[2:3], v[0:1], 1.0
	ds_write_b64 v6, v[0:1]
.LBB101_189:
	s_or_b64 exec, exec, s[2:3]
	s_waitcnt lgkmcnt(0)
	s_barrier
	ds_read_b64 v[0:1], v6
	v_cmp_lt_u32_e32 vcc, 37, v8
	s_waitcnt lgkmcnt(0)
	buffer_store_dword v0, off, s[16:19], 0 offset:200 ; 4-byte Folded Spill
	s_nop 0
	buffer_store_dword v1, off, s[16:19], 0 offset:204 ; 4-byte Folded Spill
	s_and_saveexec_b64 s[2:3], vcc
	s_cbranch_execz .LBB101_191
; %bb.190:
	buffer_load_dword v0, off, s[16:19], 0 offset:200 ; 4-byte Folded Reload
	buffer_load_dword v1, off, s[16:19], 0 offset:204 ; 4-byte Folded Reload
	s_waitcnt vmcnt(0)
	v_mul_f64 v[118:119], v[0:1], v[118:119]
	ds_read2_b64 v[0:3], v7 offset0:38 offset1:39
	s_waitcnt lgkmcnt(0)
	v_fma_f64 v[166:167], -v[118:119], v[0:1], v[166:167]
	v_fma_f64 v[116:117], -v[118:119], v[2:3], v[116:117]
	ds_read2_b64 v[0:3], v7 offset0:40 offset1:41
	s_waitcnt lgkmcnt(0)
	v_fma_f64 v[164:165], -v[118:119], v[0:1], v[164:165]
	v_fma_f64 v[114:115], -v[118:119], v[2:3], v[114:115]
	;; [unrolled: 4-line block ×5, first 2 shown]
	ds_read2_b64 v[0:3], v7 offset0:48 offset1:49
	s_waitcnt lgkmcnt(0)
	v_fma_f64 v[156:157], -v[118:119], v[0:1], v[156:157]
	ds_read_b64 v[0:1], v7 offset:400
	v_fma_f64 v[106:107], -v[118:119], v[2:3], v[106:107]
	s_waitcnt lgkmcnt(0)
	v_fma_f64 v[204:205], -v[118:119], v[0:1], v[204:205]
.LBB101_191:
	s_or_b64 exec, exec, s[2:3]
	v_cmp_eq_u32_e32 vcc, 38, v8
	s_waitcnt vmcnt(63) expcnt(7) lgkmcnt(15)
	s_barrier
	s_and_saveexec_b64 s[2:3], vcc
	s_cbranch_execz .LBB101_194
; %bb.192:
	s_waitcnt vmcnt(48)
	ds_write_b64 v6, v[166:167]
	s_waitcnt vmcnt(46)
	ds_write2_b64 v7, v[116:117], v[164:165] offset0:39 offset1:40
	s_waitcnt vmcnt(44)
	ds_write2_b64 v7, v[114:115], v[162:163] offset0:41 offset1:42
	;; [unrolled: 2-line block ×6, first 2 shown]
	ds_read_b64 v[0:1], v6
	s_waitcnt lgkmcnt(0)
	v_cmp_neq_f64_e32 vcc, 0, v[0:1]
	s_and_b64 exec, exec, vcc
	s_cbranch_execz .LBB101_194
; %bb.193:
	v_div_scale_f64 v[2:3], s[6:7], v[0:1], v[0:1], 1.0
	v_rcp_f64_e32 v[4:5], v[2:3]
	v_div_scale_f64 v[10:11], vcc, 1.0, v[0:1], 1.0
	v_fma_f64 v[12:13], -v[2:3], v[4:5], 1.0
	v_fmac_f64_e32 v[4:5], v[4:5], v[12:13]
	v_fma_f64 v[12:13], -v[2:3], v[4:5], 1.0
	v_fmac_f64_e32 v[4:5], v[4:5], v[12:13]
	v_mul_f64 v[12:13], v[10:11], v[4:5]
	v_fma_f64 v[2:3], -v[2:3], v[12:13], v[10:11]
	v_div_fmas_f64 v[2:3], v[2:3], v[4:5], v[12:13]
	v_div_fixup_f64 v[0:1], v[2:3], v[0:1], 1.0
	ds_write_b64 v6, v[0:1]
.LBB101_194:
	s_or_b64 exec, exec, s[2:3]
	s_waitcnt lgkmcnt(0)
	s_barrier
	ds_read_b64 v[0:1], v6
	v_cmp_lt_u32_e32 vcc, 38, v8
	s_waitcnt lgkmcnt(0)
	buffer_store_dword v0, off, s[16:19], 0 offset:208 ; 4-byte Folded Spill
	s_nop 0
	buffer_store_dword v1, off, s[16:19], 0 offset:212 ; 4-byte Folded Spill
	s_and_saveexec_b64 s[2:3], vcc
	s_cbranch_execz .LBB101_196
; %bb.195:
	buffer_load_dword v0, off, s[16:19], 0 offset:208 ; 4-byte Folded Reload
	buffer_load_dword v1, off, s[16:19], 0 offset:212 ; 4-byte Folded Reload
	s_waitcnt vmcnt(0)
	v_mul_f64 v[166:167], v[0:1], v[166:167]
	ds_read2_b64 v[0:3], v7 offset0:39 offset1:40
	s_waitcnt lgkmcnt(0)
	v_fma_f64 v[116:117], -v[166:167], v[0:1], v[116:117]
	v_fma_f64 v[164:165], -v[166:167], v[2:3], v[164:165]
	ds_read2_b64 v[0:3], v7 offset0:41 offset1:42
	s_waitcnt lgkmcnt(0)
	v_fma_f64 v[114:115], -v[166:167], v[0:1], v[114:115]
	v_fma_f64 v[162:163], -v[166:167], v[2:3], v[162:163]
	;; [unrolled: 4-line block ×6, first 2 shown]
.LBB101_196:
	s_or_b64 exec, exec, s[2:3]
	v_cmp_eq_u32_e32 vcc, 39, v8
	s_waitcnt vmcnt(63) expcnt(7) lgkmcnt(15)
	s_barrier
	s_and_saveexec_b64 s[2:3], vcc
	s_cbranch_execz .LBB101_199
; %bb.197:
	s_waitcnt vmcnt(48)
	v_mov_b32_e32 v0, v164
	v_mov_b32_e32 v1, v165
	s_waitcnt vmcnt(47)
	v_mov_b32_e32 v2, v114
	v_mov_b32_e32 v3, v115
	ds_write_b64 v6, v[116:117]
	ds_write2_b64 v7, v[0:1], v[2:3] offset0:40 offset1:41
	s_waitcnt vmcnt(46)
	v_mov_b32_e32 v0, v162
	v_mov_b32_e32 v1, v163
	s_waitcnt vmcnt(45)
	v_mov_b32_e32 v2, v112
	v_mov_b32_e32 v3, v113
	ds_write2_b64 v7, v[0:1], v[2:3] offset0:42 offset1:43
	s_waitcnt vmcnt(44)
	v_mov_b32_e32 v0, v160
	v_mov_b32_e32 v1, v161
	s_waitcnt vmcnt(43)
	v_mov_b32_e32 v2, v110
	v_mov_b32_e32 v3, v111
	;; [unrolled: 7-line block ×4, first 2 shown]
	ds_write2_b64 v7, v[0:1], v[2:3] offset0:48 offset1:49
	s_waitcnt vmcnt(38)
	ds_write_b64 v7, v[204:205] offset:400
	ds_read_b64 v[0:1], v6
	s_waitcnt lgkmcnt(0)
	v_cmp_neq_f64_e32 vcc, 0, v[0:1]
	s_and_b64 exec, exec, vcc
	s_cbranch_execz .LBB101_199
; %bb.198:
	v_div_scale_f64 v[2:3], s[6:7], v[0:1], v[0:1], 1.0
	v_rcp_f64_e32 v[4:5], v[2:3]
	v_div_scale_f64 v[10:11], vcc, 1.0, v[0:1], 1.0
	v_fma_f64 v[12:13], -v[2:3], v[4:5], 1.0
	v_fmac_f64_e32 v[4:5], v[4:5], v[12:13]
	v_fma_f64 v[12:13], -v[2:3], v[4:5], 1.0
	v_fmac_f64_e32 v[4:5], v[4:5], v[12:13]
	v_mul_f64 v[12:13], v[10:11], v[4:5]
	v_fma_f64 v[2:3], -v[2:3], v[12:13], v[10:11]
	v_div_fmas_f64 v[2:3], v[2:3], v[4:5], v[12:13]
	v_div_fixup_f64 v[0:1], v[2:3], v[0:1], 1.0
	ds_write_b64 v6, v[0:1]
.LBB101_199:
	s_or_b64 exec, exec, s[2:3]
	s_waitcnt lgkmcnt(0)
	s_barrier
	ds_read_b64 v[0:1], v6
	v_cmp_lt_u32_e32 vcc, 39, v8
	s_waitcnt lgkmcnt(0)
	buffer_store_dword v0, off, s[16:19], 0 offset:216 ; 4-byte Folded Spill
	s_nop 0
	buffer_store_dword v1, off, s[16:19], 0 offset:220 ; 4-byte Folded Spill
	s_and_saveexec_b64 s[2:3], vcc
	s_cbranch_execz .LBB101_201
; %bb.200:
	buffer_load_dword v0, off, s[16:19], 0 offset:216 ; 4-byte Folded Reload
	buffer_load_dword v1, off, s[16:19], 0 offset:220 ; 4-byte Folded Reload
	s_waitcnt vmcnt(0)
	v_mul_f64 v[116:117], v[0:1], v[116:117]
	ds_read2_b64 v[0:3], v7 offset0:40 offset1:41
	s_waitcnt lgkmcnt(0)
	v_fma_f64 v[164:165], -v[116:117], v[0:1], v[164:165]
	v_fma_f64 v[114:115], -v[116:117], v[2:3], v[114:115]
	ds_read2_b64 v[0:3], v7 offset0:42 offset1:43
	s_waitcnt lgkmcnt(0)
	v_fma_f64 v[162:163], -v[116:117], v[0:1], v[162:163]
	v_fma_f64 v[112:113], -v[116:117], v[2:3], v[112:113]
	;; [unrolled: 4-line block ×4, first 2 shown]
	ds_read2_b64 v[0:3], v7 offset0:48 offset1:49
	s_waitcnt lgkmcnt(0)
	v_fma_f64 v[156:157], -v[116:117], v[0:1], v[156:157]
	ds_read_b64 v[0:1], v7 offset:400
	v_fma_f64 v[106:107], -v[116:117], v[2:3], v[106:107]
	s_waitcnt lgkmcnt(0)
	v_fma_f64 v[204:205], -v[116:117], v[0:1], v[204:205]
.LBB101_201:
	s_or_b64 exec, exec, s[2:3]
	v_cmp_eq_u32_e32 vcc, 40, v8
	s_waitcnt vmcnt(63) expcnt(7) lgkmcnt(15)
	s_barrier
	s_and_saveexec_b64 s[2:3], vcc
	s_cbranch_execz .LBB101_204
; %bb.202:
	s_waitcnt vmcnt(50)
	ds_write_b64 v6, v[164:165]
	s_waitcnt vmcnt(48)
	ds_write2_b64 v7, v[114:115], v[162:163] offset0:41 offset1:42
	s_waitcnt vmcnt(46)
	ds_write2_b64 v7, v[112:113], v[160:161] offset0:43 offset1:44
	;; [unrolled: 2-line block ×5, first 2 shown]
	ds_read_b64 v[0:1], v6
	s_waitcnt lgkmcnt(0)
	v_cmp_neq_f64_e32 vcc, 0, v[0:1]
	s_and_b64 exec, exec, vcc
	s_cbranch_execz .LBB101_204
; %bb.203:
	v_div_scale_f64 v[2:3], s[6:7], v[0:1], v[0:1], 1.0
	v_rcp_f64_e32 v[4:5], v[2:3]
	v_div_scale_f64 v[10:11], vcc, 1.0, v[0:1], 1.0
	v_fma_f64 v[12:13], -v[2:3], v[4:5], 1.0
	v_fmac_f64_e32 v[4:5], v[4:5], v[12:13]
	v_fma_f64 v[12:13], -v[2:3], v[4:5], 1.0
	v_fmac_f64_e32 v[4:5], v[4:5], v[12:13]
	v_mul_f64 v[12:13], v[10:11], v[4:5]
	v_fma_f64 v[2:3], -v[2:3], v[12:13], v[10:11]
	v_div_fmas_f64 v[2:3], v[2:3], v[4:5], v[12:13]
	v_div_fixup_f64 v[0:1], v[2:3], v[0:1], 1.0
	ds_write_b64 v6, v[0:1]
.LBB101_204:
	s_or_b64 exec, exec, s[2:3]
	s_waitcnt lgkmcnt(0)
	s_barrier
	ds_read_b64 v[0:1], v6
	v_cmp_lt_u32_e32 vcc, 40, v8
	s_waitcnt lgkmcnt(0)
	buffer_store_dword v0, off, s[16:19], 0 offset:224 ; 4-byte Folded Spill
	s_nop 0
	buffer_store_dword v1, off, s[16:19], 0 offset:228 ; 4-byte Folded Spill
	s_and_saveexec_b64 s[2:3], vcc
	s_cbranch_execz .LBB101_206
; %bb.205:
	buffer_load_dword v0, off, s[16:19], 0 offset:224 ; 4-byte Folded Reload
	buffer_load_dword v1, off, s[16:19], 0 offset:228 ; 4-byte Folded Reload
	s_waitcnt vmcnt(0)
	v_mul_f64 v[164:165], v[0:1], v[164:165]
	ds_read2_b64 v[0:3], v7 offset0:41 offset1:42
	s_waitcnt lgkmcnt(0)
	v_fma_f64 v[114:115], -v[164:165], v[0:1], v[114:115]
	v_fma_f64 v[162:163], -v[164:165], v[2:3], v[162:163]
	ds_read2_b64 v[0:3], v7 offset0:43 offset1:44
	s_waitcnt lgkmcnt(0)
	v_fma_f64 v[112:113], -v[164:165], v[0:1], v[112:113]
	v_fma_f64 v[160:161], -v[164:165], v[2:3], v[160:161]
	ds_read2_b64 v[0:3], v7 offset0:45 offset1:46
	s_waitcnt lgkmcnt(0)
	v_fma_f64 v[110:111], -v[164:165], v[0:1], v[110:111]
	v_fma_f64 v[158:159], -v[164:165], v[2:3], v[158:159]
	ds_read2_b64 v[0:3], v7 offset0:47 offset1:48
	s_waitcnt lgkmcnt(0)
	v_fma_f64 v[108:109], -v[164:165], v[0:1], v[108:109]
	v_fma_f64 v[156:157], -v[164:165], v[2:3], v[156:157]
	ds_read2_b64 v[0:3], v7 offset0:49 offset1:50
	s_waitcnt lgkmcnt(0)
	v_fma_f64 v[106:107], -v[164:165], v[0:1], v[106:107]
	v_fma_f64 v[204:205], -v[164:165], v[2:3], v[204:205]
.LBB101_206:
	s_or_b64 exec, exec, s[2:3]
	v_cmp_eq_u32_e32 vcc, 41, v8
	s_waitcnt vmcnt(63) expcnt(7) lgkmcnt(15)
	s_barrier
	s_and_saveexec_b64 s[2:3], vcc
	s_cbranch_execz .LBB101_209
; %bb.207:
	s_waitcnt vmcnt(50)
	v_mov_b32_e32 v0, v162
	v_mov_b32_e32 v1, v163
	s_waitcnt vmcnt(49)
	v_mov_b32_e32 v2, v112
	v_mov_b32_e32 v3, v113
	ds_write_b64 v6, v[114:115]
	ds_write2_b64 v7, v[0:1], v[2:3] offset0:42 offset1:43
	s_waitcnt vmcnt(48)
	v_mov_b32_e32 v0, v160
	v_mov_b32_e32 v1, v161
	s_waitcnt vmcnt(47)
	v_mov_b32_e32 v2, v110
	v_mov_b32_e32 v3, v111
	ds_write2_b64 v7, v[0:1], v[2:3] offset0:44 offset1:45
	s_waitcnt vmcnt(46)
	v_mov_b32_e32 v0, v158
	v_mov_b32_e32 v1, v159
	s_waitcnt vmcnt(45)
	v_mov_b32_e32 v2, v108
	v_mov_b32_e32 v3, v109
	;; [unrolled: 7-line block ×3, first 2 shown]
	ds_write2_b64 v7, v[0:1], v[2:3] offset0:48 offset1:49
	s_waitcnt vmcnt(42)
	ds_write_b64 v7, v[204:205] offset:400
	ds_read_b64 v[0:1], v6
	s_waitcnt lgkmcnt(0)
	v_cmp_neq_f64_e32 vcc, 0, v[0:1]
	s_and_b64 exec, exec, vcc
	s_cbranch_execz .LBB101_209
; %bb.208:
	v_div_scale_f64 v[2:3], s[6:7], v[0:1], v[0:1], 1.0
	v_rcp_f64_e32 v[4:5], v[2:3]
	v_div_scale_f64 v[10:11], vcc, 1.0, v[0:1], 1.0
	v_fma_f64 v[12:13], -v[2:3], v[4:5], 1.0
	v_fmac_f64_e32 v[4:5], v[4:5], v[12:13]
	v_fma_f64 v[12:13], -v[2:3], v[4:5], 1.0
	v_fmac_f64_e32 v[4:5], v[4:5], v[12:13]
	v_mul_f64 v[12:13], v[10:11], v[4:5]
	v_fma_f64 v[2:3], -v[2:3], v[12:13], v[10:11]
	v_div_fmas_f64 v[2:3], v[2:3], v[4:5], v[12:13]
	v_div_fixup_f64 v[0:1], v[2:3], v[0:1], 1.0
	ds_write_b64 v6, v[0:1]
.LBB101_209:
	s_or_b64 exec, exec, s[2:3]
	s_waitcnt lgkmcnt(0)
	s_barrier
	ds_read_b64 v[0:1], v6
	v_cmp_lt_u32_e32 vcc, 41, v8
	s_waitcnt lgkmcnt(0)
	buffer_store_dword v0, off, s[16:19], 0 offset:232 ; 4-byte Folded Spill
	s_nop 0
	buffer_store_dword v1, off, s[16:19], 0 offset:236 ; 4-byte Folded Spill
	s_and_saveexec_b64 s[2:3], vcc
	s_cbranch_execz .LBB101_211
; %bb.210:
	buffer_load_dword v0, off, s[16:19], 0 offset:232 ; 4-byte Folded Reload
	buffer_load_dword v1, off, s[16:19], 0 offset:236 ; 4-byte Folded Reload
	ds_read2_b64 v[238:241], v7 offset0:42 offset1:43
	s_waitcnt vmcnt(0)
	v_mul_f64 v[114:115], v[0:1], v[114:115]
	ds_read_b64 v[0:1], v7 offset:400
	s_waitcnt lgkmcnt(1)
	v_fma_f64 v[162:163], -v[114:115], v[238:239], v[162:163]
	v_fma_f64 v[112:113], -v[114:115], v[240:241], v[112:113]
	ds_read2_b64 v[238:241], v7 offset0:44 offset1:45
	s_waitcnt lgkmcnt(1)
	v_fma_f64 v[204:205], -v[114:115], v[0:1], v[204:205]
	s_waitcnt lgkmcnt(0)
	v_fma_f64 v[160:161], -v[114:115], v[238:239], v[160:161]
	v_fma_f64 v[110:111], -v[114:115], v[240:241], v[110:111]
	ds_read2_b64 v[238:241], v7 offset0:46 offset1:47
	s_waitcnt lgkmcnt(0)
	v_fma_f64 v[158:159], -v[114:115], v[238:239], v[158:159]
	v_fma_f64 v[108:109], -v[114:115], v[240:241], v[108:109]
	ds_read2_b64 v[238:241], v7 offset0:48 offset1:49
	s_waitcnt lgkmcnt(0)
	v_fma_f64 v[156:157], -v[114:115], v[238:239], v[156:157]
	v_fma_f64 v[106:107], -v[114:115], v[240:241], v[106:107]
.LBB101_211:
	s_or_b64 exec, exec, s[2:3]
	v_cmp_eq_u32_e32 vcc, 42, v8
	s_waitcnt vmcnt(63) expcnt(7) lgkmcnt(15)
	s_barrier
	s_and_saveexec_b64 s[2:3], vcc
	s_cbranch_execz .LBB101_214
; %bb.212:
	s_waitcnt vmcnt(52)
	ds_write_b64 v6, v[162:163]
	s_waitcnt vmcnt(50)
	ds_write2_b64 v7, v[112:113], v[160:161] offset0:43 offset1:44
	s_waitcnt vmcnt(48)
	ds_write2_b64 v7, v[110:111], v[158:159] offset0:45 offset1:46
	;; [unrolled: 2-line block ×4, first 2 shown]
	ds_read_b64 v[0:1], v6
	s_waitcnt lgkmcnt(0)
	v_cmp_neq_f64_e32 vcc, 0, v[0:1]
	s_and_b64 exec, exec, vcc
	s_cbranch_execz .LBB101_214
; %bb.213:
	v_div_scale_f64 v[4:5], s[6:7], v[0:1], v[0:1], 1.0
	v_rcp_f64_e32 v[10:11], v[4:5]
	v_div_scale_f64 v[12:13], vcc, 1.0, v[0:1], 1.0
	v_fma_f64 v[238:239], -v[4:5], v[10:11], 1.0
	v_fmac_f64_e32 v[10:11], v[10:11], v[238:239]
	v_fma_f64 v[238:239], -v[4:5], v[10:11], 1.0
	v_fmac_f64_e32 v[10:11], v[10:11], v[238:239]
	v_mul_f64 v[238:239], v[12:13], v[10:11]
	v_fma_f64 v[4:5], -v[4:5], v[238:239], v[12:13]
	v_div_fmas_f64 v[4:5], v[4:5], v[10:11], v[238:239]
	v_div_fixup_f64 v[0:1], v[4:5], v[0:1], 1.0
	ds_write_b64 v6, v[0:1]
.LBB101_214:
	s_or_b64 exec, exec, s[2:3]
	s_waitcnt lgkmcnt(0)
	s_barrier
	ds_read_b64 v[238:239], v6
	v_cmp_lt_u32_e32 vcc, 42, v8
	s_and_saveexec_b64 s[2:3], vcc
	s_cbranch_execz .LBB101_216
; %bb.215:
	ds_read2_b64 v[240:243], v7 offset0:43 offset1:44
	s_waitcnt vmcnt(52) lgkmcnt(1)
	v_mul_f64 v[162:163], v[238:239], v[162:163]
	s_waitcnt vmcnt(51) lgkmcnt(0)
	v_fma_f64 v[112:113], -v[162:163], v[240:241], v[112:113]
	s_waitcnt vmcnt(50)
	v_fma_f64 v[160:161], -v[162:163], v[242:243], v[160:161]
	ds_read2_b64 v[240:243], v7 offset0:45 offset1:46
	s_waitcnt vmcnt(49) lgkmcnt(0)
	v_fma_f64 v[110:111], -v[162:163], v[240:241], v[110:111]
	s_waitcnt vmcnt(48)
	v_fma_f64 v[158:159], -v[162:163], v[242:243], v[158:159]
	ds_read2_b64 v[240:243], v7 offset0:47 offset1:48
	;; [unrolled: 5-line block ×3, first 2 shown]
	s_waitcnt vmcnt(45) lgkmcnt(0)
	v_fma_f64 v[106:107], -v[162:163], v[240:241], v[106:107]
	s_waitcnt vmcnt(44)
	v_fma_f64 v[204:205], -v[162:163], v[242:243], v[204:205]
.LBB101_216:
	s_or_b64 exec, exec, s[2:3]
	v_cmp_eq_u32_e32 vcc, 43, v8
	s_waitcnt lgkmcnt(0)
	s_barrier
	s_and_saveexec_b64 s[2:3], vcc
	s_cbranch_execz .LBB101_219
; %bb.217:
	s_waitcnt vmcnt(50)
	v_mov_b32_e32 v0, v160
	v_mov_b32_e32 v1, v161
	s_waitcnt vmcnt(49)
	v_mov_b32_e32 v4, v110
	v_mov_b32_e32 v5, v111
	ds_write_b64 v6, v[112:113]
	ds_write2_b64 v7, v[0:1], v[4:5] offset0:44 offset1:45
	s_waitcnt vmcnt(48)
	v_mov_b32_e32 v0, v158
	v_mov_b32_e32 v1, v159
	s_waitcnt vmcnt(47)
	v_mov_b32_e32 v4, v108
	v_mov_b32_e32 v5, v109
	ds_write2_b64 v7, v[0:1], v[4:5] offset0:46 offset1:47
	s_waitcnt vmcnt(46)
	v_mov_b32_e32 v0, v156
	v_mov_b32_e32 v1, v157
	s_waitcnt vmcnt(45)
	v_mov_b32_e32 v4, v106
	v_mov_b32_e32 v5, v107
	ds_write2_b64 v7, v[0:1], v[4:5] offset0:48 offset1:49
	s_waitcnt vmcnt(44)
	ds_write_b64 v7, v[204:205] offset:400
	ds_read_b64 v[0:1], v6
	s_waitcnt lgkmcnt(0)
	v_cmp_neq_f64_e32 vcc, 0, v[0:1]
	s_and_b64 exec, exec, vcc
	s_cbranch_execz .LBB101_219
; %bb.218:
	v_div_scale_f64 v[4:5], s[6:7], v[0:1], v[0:1], 1.0
	v_rcp_f64_e32 v[10:11], v[4:5]
	v_div_scale_f64 v[12:13], vcc, 1.0, v[0:1], 1.0
	v_fma_f64 v[240:241], -v[4:5], v[10:11], 1.0
	v_fmac_f64_e32 v[10:11], v[10:11], v[240:241]
	v_fma_f64 v[240:241], -v[4:5], v[10:11], 1.0
	v_fmac_f64_e32 v[10:11], v[10:11], v[240:241]
	v_mul_f64 v[240:241], v[12:13], v[10:11]
	v_fma_f64 v[4:5], -v[4:5], v[240:241], v[12:13]
	v_div_fmas_f64 v[4:5], v[4:5], v[10:11], v[240:241]
	v_div_fixup_f64 v[0:1], v[4:5], v[0:1], 1.0
	ds_write_b64 v6, v[0:1]
.LBB101_219:
	s_or_b64 exec, exec, s[2:3]
	s_waitcnt lgkmcnt(0)
	s_barrier
	ds_read_b64 v[240:241], v6
	v_cmp_lt_u32_e32 vcc, 43, v8
	s_and_saveexec_b64 s[2:3], vcc
	s_cbranch_execz .LBB101_221
; %bb.220:
	ds_read2_b64 v[242:245], v7 offset0:44 offset1:45
	ds_read_b64 v[0:1], v7 offset:400
	s_waitcnt vmcnt(51) lgkmcnt(2)
	v_mul_f64 v[112:113], v[240:241], v[112:113]
	s_waitcnt vmcnt(50) lgkmcnt(1)
	v_fma_f64 v[160:161], -v[112:113], v[242:243], v[160:161]
	s_waitcnt vmcnt(49)
	v_fma_f64 v[110:111], -v[112:113], v[244:245], v[110:111]
	ds_read2_b64 v[242:245], v7 offset0:46 offset1:47
	s_waitcnt vmcnt(44) lgkmcnt(1)
	v_fma_f64 v[204:205], -v[112:113], v[0:1], v[204:205]
	s_waitcnt lgkmcnt(0)
	v_fma_f64 v[158:159], -v[112:113], v[242:243], v[158:159]
	v_fma_f64 v[108:109], -v[112:113], v[244:245], v[108:109]
	ds_read2_b64 v[242:245], v7 offset0:48 offset1:49
	s_waitcnt lgkmcnt(0)
	v_fma_f64 v[156:157], -v[112:113], v[242:243], v[156:157]
	v_fma_f64 v[106:107], -v[112:113], v[244:245], v[106:107]
.LBB101_221:
	s_or_b64 exec, exec, s[2:3]
	v_cmp_eq_u32_e32 vcc, 44, v8
	s_waitcnt lgkmcnt(0)
	s_barrier
	s_and_saveexec_b64 s[2:3], vcc
	s_cbranch_execz .LBB101_224
; %bb.222:
	s_waitcnt vmcnt(50)
	ds_write_b64 v6, v[160:161]
	s_waitcnt vmcnt(48)
	ds_write2_b64 v7, v[110:111], v[158:159] offset0:45 offset1:46
	s_waitcnt vmcnt(46)
	ds_write2_b64 v7, v[108:109], v[156:157] offset0:47 offset1:48
	;; [unrolled: 2-line block ×3, first 2 shown]
	ds_read_b64 v[0:1], v6
	s_waitcnt lgkmcnt(0)
	v_cmp_neq_f64_e32 vcc, 0, v[0:1]
	s_and_b64 exec, exec, vcc
	s_cbranch_execz .LBB101_224
; %bb.223:
	v_div_scale_f64 v[4:5], s[6:7], v[0:1], v[0:1], 1.0
	v_rcp_f64_e32 v[10:11], v[4:5]
	v_div_scale_f64 v[12:13], vcc, 1.0, v[0:1], 1.0
	v_fma_f64 v[242:243], -v[4:5], v[10:11], 1.0
	v_fmac_f64_e32 v[10:11], v[10:11], v[242:243]
	v_fma_f64 v[242:243], -v[4:5], v[10:11], 1.0
	v_fmac_f64_e32 v[10:11], v[10:11], v[242:243]
	v_mul_f64 v[242:243], v[12:13], v[10:11]
	v_fma_f64 v[4:5], -v[4:5], v[242:243], v[12:13]
	v_div_fmas_f64 v[4:5], v[4:5], v[10:11], v[242:243]
	v_div_fixup_f64 v[0:1], v[4:5], v[0:1], 1.0
	ds_write_b64 v6, v[0:1]
.LBB101_224:
	s_or_b64 exec, exec, s[2:3]
	s_waitcnt lgkmcnt(0)
	s_barrier
	ds_read_b64 v[242:243], v6
	v_cmp_lt_u32_e32 vcc, 44, v8
	s_and_saveexec_b64 s[2:3], vcc
	s_cbranch_execz .LBB101_226
; %bb.225:
	ds_read2_b64 v[244:247], v7 offset0:45 offset1:46
	s_waitcnt vmcnt(50) lgkmcnt(1)
	v_mul_f64 v[160:161], v[242:243], v[160:161]
	s_waitcnt vmcnt(49) lgkmcnt(0)
	v_fma_f64 v[110:111], -v[160:161], v[244:245], v[110:111]
	s_waitcnt vmcnt(48)
	v_fma_f64 v[158:159], -v[160:161], v[246:247], v[158:159]
	ds_read2_b64 v[244:247], v7 offset0:47 offset1:48
	s_waitcnt vmcnt(47) lgkmcnt(0)
	v_fma_f64 v[108:109], -v[160:161], v[244:245], v[108:109]
	s_waitcnt vmcnt(46)
	v_fma_f64 v[156:157], -v[160:161], v[246:247], v[156:157]
	ds_read2_b64 v[244:247], v7 offset0:49 offset1:50
	s_waitcnt vmcnt(45) lgkmcnt(0)
	v_fma_f64 v[106:107], -v[160:161], v[244:245], v[106:107]
	s_waitcnt vmcnt(44)
	v_fma_f64 v[204:205], -v[160:161], v[246:247], v[204:205]
.LBB101_226:
	s_or_b64 exec, exec, s[2:3]
	v_cmp_eq_u32_e32 vcc, 45, v8
	s_waitcnt lgkmcnt(0)
	s_barrier
	s_and_saveexec_b64 s[2:3], vcc
	s_cbranch_execz .LBB101_229
; %bb.227:
	s_waitcnt vmcnt(48)
	v_mov_b32_e32 v0, v158
	v_mov_b32_e32 v1, v159
	s_waitcnt vmcnt(47)
	v_mov_b32_e32 v4, v108
	v_mov_b32_e32 v5, v109
	ds_write_b64 v6, v[110:111]
	ds_write2_b64 v7, v[0:1], v[4:5] offset0:46 offset1:47
	s_waitcnt vmcnt(46)
	v_mov_b32_e32 v0, v156
	v_mov_b32_e32 v1, v157
	s_waitcnt vmcnt(45)
	v_mov_b32_e32 v4, v106
	v_mov_b32_e32 v5, v107
	ds_write2_b64 v7, v[0:1], v[4:5] offset0:48 offset1:49
	s_waitcnt vmcnt(44)
	ds_write_b64 v7, v[204:205] offset:400
	ds_read_b64 v[0:1], v6
	s_waitcnt lgkmcnt(0)
	v_cmp_neq_f64_e32 vcc, 0, v[0:1]
	s_and_b64 exec, exec, vcc
	s_cbranch_execz .LBB101_229
; %bb.228:
	v_div_scale_f64 v[4:5], s[6:7], v[0:1], v[0:1], 1.0
	v_rcp_f64_e32 v[10:11], v[4:5]
	v_div_scale_f64 v[12:13], vcc, 1.0, v[0:1], 1.0
	v_fma_f64 v[244:245], -v[4:5], v[10:11], 1.0
	v_fmac_f64_e32 v[10:11], v[10:11], v[244:245]
	v_fma_f64 v[244:245], -v[4:5], v[10:11], 1.0
	v_fmac_f64_e32 v[10:11], v[10:11], v[244:245]
	v_mul_f64 v[244:245], v[12:13], v[10:11]
	v_fma_f64 v[4:5], -v[4:5], v[244:245], v[12:13]
	v_div_fmas_f64 v[4:5], v[4:5], v[10:11], v[244:245]
	v_div_fixup_f64 v[0:1], v[4:5], v[0:1], 1.0
	ds_write_b64 v6, v[0:1]
.LBB101_229:
	s_or_b64 exec, exec, s[2:3]
	s_waitcnt lgkmcnt(0)
	s_barrier
	ds_read_b64 v[244:245], v6
	v_cmp_lt_u32_e32 vcc, 45, v8
	s_and_saveexec_b64 s[2:3], vcc
	s_cbranch_execz .LBB101_231
; %bb.230:
	ds_read2_b64 v[246:249], v7 offset0:46 offset1:47
	ds_read_b64 v[0:1], v7 offset:400
	s_waitcnt vmcnt(49) lgkmcnt(2)
	v_mul_f64 v[110:111], v[244:245], v[110:111]
	s_waitcnt vmcnt(48) lgkmcnt(1)
	v_fma_f64 v[158:159], -v[110:111], v[246:247], v[158:159]
	s_waitcnt vmcnt(47)
	v_fma_f64 v[108:109], -v[110:111], v[248:249], v[108:109]
	ds_read2_b64 v[246:249], v7 offset0:48 offset1:49
	s_waitcnt vmcnt(44) lgkmcnt(1)
	v_fma_f64 v[204:205], -v[110:111], v[0:1], v[204:205]
	s_waitcnt lgkmcnt(0)
	v_fma_f64 v[156:157], -v[110:111], v[246:247], v[156:157]
	v_fma_f64 v[106:107], -v[110:111], v[248:249], v[106:107]
.LBB101_231:
	s_or_b64 exec, exec, s[2:3]
	v_cmp_eq_u32_e32 vcc, 46, v8
	s_waitcnt lgkmcnt(0)
	s_barrier
	s_and_saveexec_b64 s[2:3], vcc
	s_cbranch_execz .LBB101_234
; %bb.232:
	s_waitcnt vmcnt(48)
	ds_write_b64 v6, v[158:159]
	s_waitcnt vmcnt(46)
	ds_write2_b64 v7, v[108:109], v[156:157] offset0:47 offset1:48
	s_waitcnt vmcnt(44)
	ds_write2_b64 v7, v[106:107], v[204:205] offset0:49 offset1:50
	ds_read_b64 v[0:1], v6
	s_waitcnt lgkmcnt(0)
	v_cmp_neq_f64_e32 vcc, 0, v[0:1]
	s_and_b64 exec, exec, vcc
	s_cbranch_execz .LBB101_234
; %bb.233:
	v_div_scale_f64 v[4:5], s[6:7], v[0:1], v[0:1], 1.0
	v_rcp_f64_e32 v[10:11], v[4:5]
	v_div_scale_f64 v[12:13], vcc, 1.0, v[0:1], 1.0
	v_fma_f64 v[246:247], -v[4:5], v[10:11], 1.0
	v_fmac_f64_e32 v[10:11], v[10:11], v[246:247]
	v_fma_f64 v[246:247], -v[4:5], v[10:11], 1.0
	v_fmac_f64_e32 v[10:11], v[10:11], v[246:247]
	v_mul_f64 v[246:247], v[12:13], v[10:11]
	v_fma_f64 v[4:5], -v[4:5], v[246:247], v[12:13]
	v_div_fmas_f64 v[4:5], v[4:5], v[10:11], v[246:247]
	v_div_fixup_f64 v[0:1], v[4:5], v[0:1], 1.0
	ds_write_b64 v6, v[0:1]
.LBB101_234:
	s_or_b64 exec, exec, s[2:3]
	s_waitcnt lgkmcnt(0)
	s_barrier
	ds_read_b64 v[246:247], v6
	v_cmp_lt_u32_e32 vcc, 46, v8
	s_and_saveexec_b64 s[2:3], vcc
	s_cbranch_execz .LBB101_236
; %bb.235:
	ds_read2_b64 v[10:13], v7 offset0:47 offset1:48
	s_waitcnt vmcnt(48) lgkmcnt(1)
	v_mul_f64 v[158:159], v[246:247], v[158:159]
	s_waitcnt vmcnt(47) lgkmcnt(0)
	v_fma_f64 v[108:109], -v[158:159], v[10:11], v[108:109]
	s_waitcnt vmcnt(46)
	v_fma_f64 v[156:157], -v[158:159], v[12:13], v[156:157]
	ds_read2_b64 v[10:13], v7 offset0:49 offset1:50
	s_waitcnt vmcnt(45) lgkmcnt(0)
	v_fma_f64 v[106:107], -v[158:159], v[10:11], v[106:107]
	s_waitcnt vmcnt(44)
	v_fma_f64 v[204:205], -v[158:159], v[12:13], v[204:205]
.LBB101_236:
	s_or_b64 exec, exec, s[2:3]
	v_cmp_eq_u32_e32 vcc, 47, v8
	s_waitcnt lgkmcnt(0)
	s_barrier
	s_and_saveexec_b64 s[2:3], vcc
	s_cbranch_execz .LBB101_239
; %bb.237:
	s_waitcnt vmcnt(46)
	v_mov_b32_e32 v0, v156
	v_mov_b32_e32 v1, v157
	s_waitcnt vmcnt(45)
	v_mov_b32_e32 v4, v106
	v_mov_b32_e32 v5, v107
	ds_write_b64 v6, v[108:109]
	ds_write2_b64 v7, v[0:1], v[4:5] offset0:48 offset1:49
	s_waitcnt vmcnt(44)
	ds_write_b64 v7, v[204:205] offset:400
	ds_read_b64 v[0:1], v6
	s_waitcnt lgkmcnt(0)
	v_cmp_neq_f64_e32 vcc, 0, v[0:1]
	s_and_b64 exec, exec, vcc
	s_cbranch_execz .LBB101_239
; %bb.238:
	v_div_scale_f64 v[4:5], s[6:7], v[0:1], v[0:1], 1.0
	v_rcp_f64_e32 v[10:11], v[4:5]
	v_div_scale_f64 v[12:13], vcc, 1.0, v[0:1], 1.0
	v_fma_f64 v[248:249], -v[4:5], v[10:11], 1.0
	v_fmac_f64_e32 v[10:11], v[10:11], v[248:249]
	v_fma_f64 v[248:249], -v[4:5], v[10:11], 1.0
	v_fmac_f64_e32 v[10:11], v[10:11], v[248:249]
	v_mul_f64 v[248:249], v[12:13], v[10:11]
	v_fma_f64 v[4:5], -v[4:5], v[248:249], v[12:13]
	v_div_fmas_f64 v[4:5], v[4:5], v[10:11], v[248:249]
	v_div_fixup_f64 v[0:1], v[4:5], v[0:1], 1.0
	ds_write_b64 v6, v[0:1]
.LBB101_239:
	s_or_b64 exec, exec, s[2:3]
	s_waitcnt lgkmcnt(0)
	s_barrier
	ds_read_b64 v[248:249], v6
	v_cmp_lt_u32_e32 vcc, 47, v8
	s_and_saveexec_b64 s[2:3], vcc
	s_cbranch_execz .LBB101_241
; %bb.240:
	ds_read2_b64 v[10:13], v7 offset0:48 offset1:49
	ds_read_b64 v[0:1], v7 offset:400
	s_waitcnt vmcnt(47) lgkmcnt(2)
	v_mul_f64 v[108:109], v[248:249], v[108:109]
	s_waitcnt vmcnt(46) lgkmcnt(1)
	v_fma_f64 v[156:157], -v[108:109], v[10:11], v[156:157]
	s_waitcnt vmcnt(45)
	v_fma_f64 v[106:107], -v[108:109], v[12:13], v[106:107]
	s_waitcnt vmcnt(44) lgkmcnt(0)
	v_fma_f64 v[204:205], -v[108:109], v[0:1], v[204:205]
.LBB101_241:
	s_or_b64 exec, exec, s[2:3]
	v_cmp_eq_u32_e32 vcc, 48, v8
	s_waitcnt lgkmcnt(0)
	s_barrier
	s_and_saveexec_b64 s[2:3], vcc
	s_cbranch_execz .LBB101_244
; %bb.242:
	s_waitcnt vmcnt(46)
	ds_write_b64 v6, v[156:157]
	s_waitcnt vmcnt(44)
	ds_write2_b64 v7, v[106:107], v[204:205] offset0:49 offset1:50
	ds_read_b64 v[0:1], v6
	s_waitcnt lgkmcnt(0)
	v_cmp_neq_f64_e32 vcc, 0, v[0:1]
	s_and_b64 exec, exec, vcc
	s_cbranch_execz .LBB101_244
; %bb.243:
	v_div_scale_f64 v[4:5], s[6:7], v[0:1], v[0:1], 1.0
	v_rcp_f64_e32 v[10:11], v[4:5]
	v_pk_mov_b32 v[206:207], v[14:15], v[14:15] op_sel:[0,1]
	v_div_scale_f64 v[12:13], vcc, 1.0, v[0:1], 1.0
	v_fma_f64 v[14:15], -v[4:5], v[10:11], 1.0
	v_fmac_f64_e32 v[10:11], v[10:11], v[14:15]
	v_fma_f64 v[14:15], -v[4:5], v[10:11], 1.0
	v_fmac_f64_e32 v[10:11], v[10:11], v[14:15]
	v_mul_f64 v[14:15], v[12:13], v[10:11]
	v_fma_f64 v[4:5], -v[4:5], v[14:15], v[12:13]
	v_div_fmas_f64 v[4:5], v[4:5], v[10:11], v[14:15]
	v_pk_mov_b32 v[14:15], v[206:207], v[206:207] op_sel:[0,1]
	v_div_fixup_f64 v[0:1], v[4:5], v[0:1], 1.0
	ds_write_b64 v6, v[0:1]
.LBB101_244:
	s_or_b64 exec, exec, s[2:3]
	s_waitcnt lgkmcnt(0)
	s_barrier
	ds_read_b64 v[0:1], v6
	v_cmp_lt_u32_e32 vcc, 48, v8
	s_and_saveexec_b64 s[2:3], vcc
	s_cbranch_execz .LBB101_246
; %bb.245:
	ds_read2_b64 v[10:13], v7 offset0:49 offset1:50
	s_waitcnt vmcnt(46) lgkmcnt(1)
	v_mul_f64 v[156:157], v[0:1], v[156:157]
	s_waitcnt vmcnt(45) lgkmcnt(0)
	v_fma_f64 v[106:107], -v[156:157], v[10:11], v[106:107]
	s_waitcnt vmcnt(44)
	v_fma_f64 v[204:205], -v[156:157], v[12:13], v[204:205]
.LBB101_246:
	s_or_b64 exec, exec, s[2:3]
	v_cmp_eq_u32_e32 vcc, 49, v8
	s_waitcnt lgkmcnt(0)
	s_barrier
	s_and_saveexec_b64 s[2:3], vcc
	s_cbranch_execz .LBB101_249
; %bb.247:
	s_waitcnt vmcnt(45)
	ds_write_b64 v6, v[106:107]
	s_waitcnt vmcnt(44)
	ds_write_b64 v7, v[204:205] offset:400
	ds_read_b64 v[4:5], v6
	s_waitcnt lgkmcnt(0)
	v_cmp_neq_f64_e32 vcc, 0, v[4:5]
	s_and_b64 exec, exec, vcc
	s_cbranch_execz .LBB101_249
; %bb.248:
	v_div_scale_f64 v[10:11], s[6:7], v[4:5], v[4:5], 1.0
	v_rcp_f64_e32 v[12:13], v[10:11]
	v_pk_mov_b32 v[206:207], v[254:255], v[254:255] op_sel:[0,1]
	v_pk_mov_b32 v[254:255], v[252:253], v[252:253] op_sel:[0,1]
	;; [unrolled: 1-line block ×46, first 2 shown]
	v_fma_f64 v[16:17], -v[10:11], v[12:13], 1.0
	v_fmac_f64_e32 v[12:13], v[12:13], v[16:17]
	v_fma_f64 v[16:17], -v[10:11], v[12:13], 1.0
	v_pk_mov_b32 v[2:3], v[154:155], v[154:155] op_sel:[0,1]
	v_pk_mov_b32 v[154:155], v[104:105], v[104:105] op_sel:[0,1]
	;; [unrolled: 1-line block ×19, first 2 shown]
	v_div_scale_f64 v[14:15], vcc, 1.0, v[4:5], 1.0
	v_fmac_f64_e32 v[12:13], v[12:13], v[16:17]
	v_mul_f64 v[16:17], v[14:15], v[12:13]
	v_fma_f64 v[10:11], -v[10:11], v[16:17], v[14:15]
	s_nop 0
	v_div_fmas_f64 v[10:11], v[10:11], v[12:13], v[16:17]
	v_pk_mov_b32 v[14:15], v[208:209], v[208:209] op_sel:[0,1]
	v_pk_mov_b32 v[208:209], v[100:101], v[100:101] op_sel:[0,1]
	;; [unrolled: 1-line block ×65, first 2 shown]
	v_div_fixup_f64 v[4:5], v[10:11], v[4:5], 1.0
	ds_write_b64 v6, v[4:5]
.LBB101_249:
	s_or_b64 exec, exec, s[2:3]
	s_waitcnt lgkmcnt(0)
	s_barrier
	ds_read_b64 v[4:5], v6
	v_cmp_lt_u32_e32 vcc, 49, v8
	s_and_saveexec_b64 s[2:3], vcc
	s_cbranch_execz .LBB101_251
; %bb.250:
	ds_read_b64 v[10:11], v7 offset:400
	s_waitcnt vmcnt(45) lgkmcnt(1)
	v_mul_f64 v[106:107], v[4:5], v[106:107]
	s_waitcnt vmcnt(44) lgkmcnt(0)
	v_fma_f64 v[204:205], -v[106:107], v[10:11], v[204:205]
.LBB101_251:
	s_or_b64 exec, exec, s[2:3]
	v_cmp_eq_u32_e32 vcc, 50, v8
	s_waitcnt lgkmcnt(0)
	s_barrier
	s_and_saveexec_b64 s[2:3], vcc
	s_cbranch_execz .LBB101_254
; %bb.252:
	s_waitcnt vmcnt(44)
	v_cmp_neq_f64_e32 vcc, 0, v[204:205]
	ds_write_b64 v6, v[204:205]
	s_and_b64 exec, exec, vcc
	s_cbranch_execz .LBB101_254
; %bb.253:
	v_div_scale_f64 v[10:11], s[6:7], v[204:205], v[204:205], 1.0
	v_rcp_f64_e32 v[12:13], v[10:11]
	v_pk_mov_b32 v[206:207], v[254:255], v[254:255] op_sel:[0,1]
	v_pk_mov_b32 v[254:255], v[252:253], v[252:253] op_sel:[0,1]
	v_pk_mov_b32 v[252:253], v[250:251], v[250:251] op_sel:[0,1]
	v_pk_mov_b32 v[250:251], v[102:103], v[102:103] op_sel:[0,1]
	v_pk_mov_b32 v[102:103], v[98:99], v[98:99] op_sel:[0,1]
	v_pk_mov_b32 v[98:99], v[96:97], v[96:97] op_sel:[0,1]
	v_pk_mov_b32 v[96:97], v[94:95], v[94:95] op_sel:[0,1]
	v_pk_mov_b32 v[94:95], v[92:93], v[92:93] op_sel:[0,1]
	v_pk_mov_b32 v[92:93], v[90:91], v[90:91] op_sel:[0,1]
	v_pk_mov_b32 v[90:91], v[88:89], v[88:89] op_sel:[0,1]
	v_pk_mov_b32 v[88:89], v[86:87], v[86:87] op_sel:[0,1]
	v_pk_mov_b32 v[86:87], v[84:85], v[84:85] op_sel:[0,1]
	v_pk_mov_b32 v[84:85], v[82:83], v[82:83] op_sel:[0,1]
	v_pk_mov_b32 v[82:83], v[80:81], v[80:81] op_sel:[0,1]
	v_pk_mov_b32 v[80:81], v[78:79], v[78:79] op_sel:[0,1]
	v_pk_mov_b32 v[78:79], v[76:77], v[76:77] op_sel:[0,1]
	v_pk_mov_b32 v[76:77], v[74:75], v[74:75] op_sel:[0,1]
	v_pk_mov_b32 v[74:75], v[72:73], v[72:73] op_sel:[0,1]
	v_pk_mov_b32 v[72:73], v[70:71], v[70:71] op_sel:[0,1]
	v_pk_mov_b32 v[70:71], v[68:69], v[68:69] op_sel:[0,1]
	v_pk_mov_b32 v[68:69], v[66:67], v[66:67] op_sel:[0,1]
	v_pk_mov_b32 v[66:67], v[64:65], v[64:65] op_sel:[0,1]
	v_pk_mov_b32 v[64:65], v[62:63], v[62:63] op_sel:[0,1]
	v_pk_mov_b32 v[62:63], v[60:61], v[60:61] op_sel:[0,1]
	v_pk_mov_b32 v[60:61], v[58:59], v[58:59] op_sel:[0,1]
	v_pk_mov_b32 v[58:59], v[56:57], v[56:57] op_sel:[0,1]
	v_pk_mov_b32 v[56:57], v[54:55], v[54:55] op_sel:[0,1]
	v_pk_mov_b32 v[54:55], v[52:53], v[52:53] op_sel:[0,1]
	v_pk_mov_b32 v[52:53], v[50:51], v[50:51] op_sel:[0,1]
	v_pk_mov_b32 v[50:51], v[48:49], v[48:49] op_sel:[0,1]
	v_pk_mov_b32 v[48:49], v[46:47], v[46:47] op_sel:[0,1]
	v_pk_mov_b32 v[46:47], v[44:45], v[44:45] op_sel:[0,1]
	v_pk_mov_b32 v[44:45], v[42:43], v[42:43] op_sel:[0,1]
	v_pk_mov_b32 v[42:43], v[40:41], v[40:41] op_sel:[0,1]
	v_pk_mov_b32 v[40:41], v[38:39], v[38:39] op_sel:[0,1]
	v_pk_mov_b32 v[38:39], v[36:37], v[36:37] op_sel:[0,1]
	v_pk_mov_b32 v[36:37], v[34:35], v[34:35] op_sel:[0,1]
	v_pk_mov_b32 v[34:35], v[32:33], v[32:33] op_sel:[0,1]
	v_pk_mov_b32 v[32:33], v[30:31], v[30:31] op_sel:[0,1]
	v_pk_mov_b32 v[30:31], v[28:29], v[28:29] op_sel:[0,1]
	v_pk_mov_b32 v[28:29], v[26:27], v[26:27] op_sel:[0,1]
	v_pk_mov_b32 v[26:27], v[24:25], v[24:25] op_sel:[0,1]
	v_pk_mov_b32 v[24:25], v[22:23], v[22:23] op_sel:[0,1]
	v_pk_mov_b32 v[22:23], v[20:21], v[20:21] op_sel:[0,1]
	v_pk_mov_b32 v[20:21], v[18:19], v[18:19] op_sel:[0,1]
	v_pk_mov_b32 v[18:19], v[16:17], v[16:17] op_sel:[0,1]
	v_fma_f64 v[16:17], -v[10:11], v[12:13], 1.0
	v_fmac_f64_e32 v[12:13], v[12:13], v[16:17]
	v_fma_f64 v[16:17], -v[10:11], v[12:13], 1.0
	v_pk_mov_b32 v[2:3], v[154:155], v[154:155] op_sel:[0,1]
	v_pk_mov_b32 v[154:155], v[104:105], v[104:105] op_sel:[0,1]
	;; [unrolled: 1-line block ×19, first 2 shown]
	v_div_scale_f64 v[14:15], vcc, 1.0, v[204:205], 1.0
	v_fmac_f64_e32 v[12:13], v[12:13], v[16:17]
	v_mul_f64 v[16:17], v[14:15], v[12:13]
	v_fma_f64 v[10:11], -v[10:11], v[16:17], v[14:15]
	s_nop 0
	v_div_fmas_f64 v[10:11], v[10:11], v[12:13], v[16:17]
	v_pk_mov_b32 v[14:15], v[208:209], v[208:209] op_sel:[0,1]
	v_pk_mov_b32 v[208:209], v[100:101], v[100:101] op_sel:[0,1]
	;; [unrolled: 1-line block ×65, first 2 shown]
	v_div_fixup_f64 v[10:11], v[10:11], v[204:205], 1.0
	ds_write_b64 v6, v[10:11]
.LBB101_254:
	s_or_b64 exec, exec, s[2:3]
	s_waitcnt lgkmcnt(0)
	s_barrier
	ds_read_b64 v[6:7], v6
	s_waitcnt lgkmcnt(0)
	s_barrier
	s_and_saveexec_b64 s[2:3], s[0:1]
	s_cbranch_execz .LBB101_257
; %bb.255:
	buffer_load_dword v10, off, s[16:19], 0 offset:64 ; 4-byte Folded Reload
	buffer_load_dword v11, off, s[16:19], 0 offset:68 ; 4-byte Folded Reload
	v_cmp_eq_f64_e32 vcc, 0, v[16:17]
	v_cmp_neq_f64_e64 s[0:1], 0, v[250:251]
	v_cndmask_b32_e64 v9, 0, 1, vcc
	s_or_b64 vcc, s[0:1], vcc
	v_cndmask_b32_e32 v9, 2, v9, vcc
	v_cmp_eq_f64_e32 vcc, 0, v[252:253]
	v_cmp_eq_u32_e64 s[0:1], 0, v9
	s_and_b64 s[0:1], vcc, s[0:1]
	v_cndmask_b32_e64 v9, v9, 3, s[0:1]
	v_cmp_eq_f64_e32 vcc, 0, v[254:255]
	v_cmp_eq_u32_e64 s[0:1], 0, v9
	s_and_b64 s[0:1], vcc, s[0:1]
	v_cndmask_b32_e64 v9, v9, 4, s[0:1]
	;; [unrolled: 4-line block ×3, first 2 shown]
	v_cmp_eq_u32_e64 s[0:1], 0, v9
	s_load_dwordx2 s[4:5], s[4:5], 0x28
	s_waitcnt lgkmcnt(0)
	v_mov_b32_e32 v12, s5
	s_waitcnt vmcnt(0)
	v_cmp_eq_f64_e32 vcc, 0, v[10:11]
	buffer_load_dword v10, off, s[16:19], 0 offset:72 ; 4-byte Folded Reload
	buffer_load_dword v11, off, s[16:19], 0 offset:76 ; 4-byte Folded Reload
	s_and_b64 s[0:1], vcc, s[0:1]
	v_cndmask_b32_e64 v9, v9, 6, s[0:1]
	v_cmp_eq_u32_e64 s[0:1], 0, v9
	s_waitcnt vmcnt(0)
	v_cmp_eq_f64_e32 vcc, 0, v[10:11]
	buffer_load_dword v10, off, s[16:19], 0 offset:80 ; 4-byte Folded Reload
	buffer_load_dword v11, off, s[16:19], 0 offset:84 ; 4-byte Folded Reload
	s_and_b64 s[0:1], vcc, s[0:1]
	v_cndmask_b32_e64 v9, v9, 7, s[0:1]
	v_cmp_eq_u32_e64 s[0:1], 0, v9
	;; [unrolled: 7-line block ×12, first 2 shown]
	s_waitcnt vmcnt(0)
	v_cmp_eq_f64_e32 vcc, 0, v[10:11]
	buffer_load_dword v10, off, s[16:19], 0 offset:240 ; 4-byte Folded Reload
	buffer_load_dword v11, off, s[16:19], 0 offset:244 ; 4-byte Folded Reload
	s_and_b64 s[0:1], vcc, s[0:1]
	v_cndmask_b32_e64 v9, v9, 18, s[0:1]
	v_cmp_eq_f64_e32 vcc, 0, v[208:209]
	v_cmp_eq_u32_e64 s[0:1], 0, v9
	s_and_b64 s[0:1], vcc, s[0:1]
	v_cndmask_b32_e64 v9, v9, 19, s[0:1]
	v_cmp_eq_f64_e32 vcc, 0, v[210:211]
	v_cmp_eq_u32_e64 s[0:1], 0, v9
	;; [unrolled: 4-line block ×13, first 2 shown]
	s_and_b64 s[0:1], vcc, s[0:1]
	v_cndmask_b32_e64 v9, v9, 31, s[0:1]
	v_cmp_eq_f64_e32 vcc, 0, v[234:235]
	s_waitcnt vmcnt(0)
	v_lshlrev_b64 v[10:11], 2, v[10:11]
	v_add_co_u32_e64 v206, s[0:1], s4, v10
	v_addc_co_u32_e64 v207, s[0:1], v12, v11, s[0:1]
	global_load_dword v10, v[206:207], off
	buffer_load_dword v2, off, s[16:19], 0 offset:168 ; 4-byte Folded Reload
	buffer_load_dword v3, off, s[16:19], 0 offset:172 ; 4-byte Folded Reload
	v_cmp_eq_u32_e64 s[0:1], 0, v9
	s_and_b64 s[0:1], vcc, s[0:1]
	v_cndmask_b32_e64 v9, v9, 32, s[0:1]
	v_cmp_eq_f64_e32 vcc, 0, v[236:237]
	v_cmp_eq_u32_e64 s[0:1], 0, v9
	s_and_b64 s[0:1], vcc, s[0:1]
	v_cndmask_b32_e64 v9, v9, 33, s[0:1]
	v_cmp_eq_u32_e64 s[0:1], 0, v9
	s_waitcnt vmcnt(0)
	v_cmp_eq_f64_e32 vcc, 0, v[2:3]
	buffer_load_dword v2, off, s[16:19], 0 offset:176 ; 4-byte Folded Reload
	buffer_load_dword v3, off, s[16:19], 0 offset:180 ; 4-byte Folded Reload
	s_and_b64 s[0:1], vcc, s[0:1]
	v_cndmask_b32_e64 v9, v9, 34, s[0:1]
	v_cmp_eq_u32_e64 s[0:1], 0, v9
	s_waitcnt vmcnt(0)
	v_cmp_eq_f64_e32 vcc, 0, v[2:3]
	buffer_load_dword v2, off, s[16:19], 0 offset:184 ; 4-byte Folded Reload
	buffer_load_dword v3, off, s[16:19], 0 offset:188 ; 4-byte Folded Reload
	;; [unrolled: 7-line block ×8, first 2 shown]
	s_and_b64 s[0:1], vcc, s[0:1]
	v_cndmask_b32_e64 v9, v9, 41, s[0:1]
	v_cmp_eq_u32_e64 s[0:1], 0, v9
	s_waitcnt vmcnt(0)
	v_cmp_eq_f64_e32 vcc, 0, v[2:3]
	s_and_b64 s[0:1], vcc, s[0:1]
	v_cndmask_b32_e64 v2, v9, 42, s[0:1]
	v_cmp_eq_f64_e32 vcc, 0, v[238:239]
	v_cmp_eq_u32_e64 s[0:1], 0, v2
	s_and_b64 s[0:1], vcc, s[0:1]
	v_cndmask_b32_e64 v2, v2, 43, s[0:1]
	v_cmp_eq_f64_e32 vcc, 0, v[240:241]
	v_cmp_eq_u32_e64 s[0:1], 0, v2
	;; [unrolled: 4-line block ×9, first 2 shown]
	s_and_b64 s[0:1], vcc, s[0:1]
	v_cndmask_b32_e64 v0, v0, 51, s[0:1]
	v_cmp_eq_u32_e32 vcc, 0, v10
	v_cmp_ne_u32_e64 s[0:1], 0, v0
	s_and_b64 s[0:1], vcc, s[0:1]
	s_and_b64 exec, exec, s[0:1]
	s_cbranch_execz .LBB101_257
; %bb.256:
	v_add_u32_e32 v0, s9, v0
	global_store_dword v[206:207], v0, off
.LBB101_257:
	s_or_b64 exec, exec, s[2:3]
	global_store_dwordx2 v[100:101], v[104:105], off
	global_store_dwordx2 v[102:103], v[154:155], off
	buffer_load_dword v2, off, s[16:19], 0  ; 4-byte Folded Reload
	buffer_load_dword v3, off, s[16:19], 0 offset:4 ; 4-byte Folded Reload
	s_waitcnt vmcnt(48)
	v_mul_f64 v[0:1], v[6:7], v[204:205]
	v_cmp_lt_u32_e32 vcc, 50, v8
	v_cndmask_b32_e32 v1, v205, v1, vcc
	v_cndmask_b32_e32 v0, v204, v0, vcc
	s_waitcnt vmcnt(0)
	global_store_dwordx2 v[2:3], v[202:203], off
	buffer_load_dword v2, off, s[16:19], 0 offset:8 ; 4-byte Folded Reload
	s_nop 0
	buffer_load_dword v3, off, s[16:19], 0 offset:12 ; 4-byte Folded Reload
	s_waitcnt vmcnt(0)
	global_store_dwordx2 v[2:3], v[152:153], off
	buffer_load_dword v2, off, s[16:19], 0 offset:16 ; 4-byte Folded Reload
	s_nop 0
	buffer_load_dword v3, off, s[16:19], 0 offset:20 ; 4-byte Folded Reload
	;; [unrolled: 5-line block ×7, first 2 shown]
	s_waitcnt vmcnt(0)
	global_store_dwordx2 v[2:3], v[146:147], off
	global_store_dwordx2 v[18:19], v[194:195], off
	global_store_dwordx2 v[20:21], v[144:145], off
	global_store_dwordx2 v[22:23], v[192:193], off
	global_store_dwordx2 v[24:25], v[142:143], off
	global_store_dwordx2 v[26:27], v[190:191], off
	global_store_dwordx2 v[28:29], v[140:141], off
	global_store_dwordx2 v[30:31], v[188:189], off
	global_store_dwordx2 v[32:33], v[138:139], off
	global_store_dwordx2 v[34:35], v[186:187], off
	global_store_dwordx2 v[36:37], v[136:137], off
	global_store_dwordx2 v[38:39], v[184:185], off
	global_store_dwordx2 v[40:41], v[134:135], off
	global_store_dwordx2 v[42:43], v[182:183], off
	global_store_dwordx2 v[44:45], v[132:133], off
	global_store_dwordx2 v[46:47], v[180:181], off
	global_store_dwordx2 v[48:49], v[130:131], off
	global_store_dwordx2 v[50:51], v[178:179], off
	global_store_dwordx2 v[52:53], v[128:129], off
	global_store_dwordx2 v[54:55], v[176:177], off
	global_store_dwordx2 v[56:57], v[126:127], off
	global_store_dwordx2 v[58:59], v[174:175], off
	global_store_dwordx2 v[60:61], v[124:125], off
	global_store_dwordx2 v[62:63], v[172:173], off
	global_store_dwordx2 v[64:65], v[122:123], off
	global_store_dwordx2 v[66:67], v[170:171], off
	global_store_dwordx2 v[68:69], v[120:121], off
	global_store_dwordx2 v[70:71], v[168:169], off
	global_store_dwordx2 v[72:73], v[118:119], off
	global_store_dwordx2 v[74:75], v[166:167], off
	global_store_dwordx2 v[76:77], v[116:117], off
	global_store_dwordx2 v[78:79], v[164:165], off
	global_store_dwordx2 v[80:81], v[114:115], off
	global_store_dwordx2 v[82:83], v[162:163], off
	global_store_dwordx2 v[84:85], v[112:113], off
	global_store_dwordx2 v[86:87], v[160:161], off
	global_store_dwordx2 v[88:89], v[110:111], off
	global_store_dwordx2 v[90:91], v[158:159], off
	global_store_dwordx2 v[92:93], v[108:109], off
	global_store_dwordx2 v[94:95], v[156:157], off
	global_store_dwordx2 v[96:97], v[106:107], off
	global_store_dwordx2 v[98:99], v[0:1], off
.LBB101_258:
	s_endpgm
	.section	.rodata,"a",@progbits
	.p2align	6, 0x0
	.amdhsa_kernel _ZN9rocsolver6v33100L23getf2_npvt_small_kernelILi51EdiiPKPdEEvT1_T3_lS5_lPT2_S5_S5_
		.amdhsa_group_segment_fixed_size 0
		.amdhsa_private_segment_fixed_size 252
		.amdhsa_kernarg_size 312
		.amdhsa_user_sgpr_count 6
		.amdhsa_user_sgpr_private_segment_buffer 1
		.amdhsa_user_sgpr_dispatch_ptr 0
		.amdhsa_user_sgpr_queue_ptr 0
		.amdhsa_user_sgpr_kernarg_segment_ptr 1
		.amdhsa_user_sgpr_dispatch_id 0
		.amdhsa_user_sgpr_flat_scratch_init 0
		.amdhsa_user_sgpr_kernarg_preload_length 0
		.amdhsa_user_sgpr_kernarg_preload_offset 0
		.amdhsa_user_sgpr_private_segment_size 0
		.amdhsa_uses_dynamic_stack 0
		.amdhsa_system_sgpr_private_segment_wavefront_offset 1
		.amdhsa_system_sgpr_workgroup_id_x 1
		.amdhsa_system_sgpr_workgroup_id_y 1
		.amdhsa_system_sgpr_workgroup_id_z 0
		.amdhsa_system_sgpr_workgroup_info 0
		.amdhsa_system_vgpr_workitem_id 1
		.amdhsa_next_free_vgpr 256
		.amdhsa_next_free_sgpr 20
		.amdhsa_accum_offset 256
		.amdhsa_reserve_vcc 1
		.amdhsa_reserve_flat_scratch 0
		.amdhsa_float_round_mode_32 0
		.amdhsa_float_round_mode_16_64 0
		.amdhsa_float_denorm_mode_32 3
		.amdhsa_float_denorm_mode_16_64 3
		.amdhsa_dx10_clamp 1
		.amdhsa_ieee_mode 1
		.amdhsa_fp16_overflow 0
		.amdhsa_tg_split 0
		.amdhsa_exception_fp_ieee_invalid_op 0
		.amdhsa_exception_fp_denorm_src 0
		.amdhsa_exception_fp_ieee_div_zero 0
		.amdhsa_exception_fp_ieee_overflow 0
		.amdhsa_exception_fp_ieee_underflow 0
		.amdhsa_exception_fp_ieee_inexact 0
		.amdhsa_exception_int_div_zero 0
	.end_amdhsa_kernel
	.section	.text._ZN9rocsolver6v33100L23getf2_npvt_small_kernelILi51EdiiPKPdEEvT1_T3_lS5_lPT2_S5_S5_,"axG",@progbits,_ZN9rocsolver6v33100L23getf2_npvt_small_kernelILi51EdiiPKPdEEvT1_T3_lS5_lPT2_S5_S5_,comdat
.Lfunc_end101:
	.size	_ZN9rocsolver6v33100L23getf2_npvt_small_kernelILi51EdiiPKPdEEvT1_T3_lS5_lPT2_S5_S5_, .Lfunc_end101-_ZN9rocsolver6v33100L23getf2_npvt_small_kernelILi51EdiiPKPdEEvT1_T3_lS5_lPT2_S5_S5_
                                        ; -- End function
	.section	.AMDGPU.csdata,"",@progbits
; Kernel info:
; codeLenInByte = 49896
; NumSgprs: 24
; NumVgprs: 256
; NumAgprs: 0
; TotalNumVgprs: 256
; ScratchSize: 252
; MemoryBound: 0
; FloatMode: 240
; IeeeMode: 1
; LDSByteSize: 0 bytes/workgroup (compile time only)
; SGPRBlocks: 2
; VGPRBlocks: 31
; NumSGPRsForWavesPerEU: 24
; NumVGPRsForWavesPerEU: 256
; AccumOffset: 256
; Occupancy: 2
; WaveLimiterHint : 1
; COMPUTE_PGM_RSRC2:SCRATCH_EN: 1
; COMPUTE_PGM_RSRC2:USER_SGPR: 6
; COMPUTE_PGM_RSRC2:TRAP_HANDLER: 0
; COMPUTE_PGM_RSRC2:TGID_X_EN: 1
; COMPUTE_PGM_RSRC2:TGID_Y_EN: 1
; COMPUTE_PGM_RSRC2:TGID_Z_EN: 0
; COMPUTE_PGM_RSRC2:TIDIG_COMP_CNT: 1
; COMPUTE_PGM_RSRC3_GFX90A:ACCUM_OFFSET: 63
; COMPUTE_PGM_RSRC3_GFX90A:TG_SPLIT: 0
	.section	.text._ZN9rocsolver6v33100L18getf2_small_kernelILi52EdiiPKPdEEvT1_T3_lS5_lPS5_llPT2_S5_S5_S7_l,"axG",@progbits,_ZN9rocsolver6v33100L18getf2_small_kernelILi52EdiiPKPdEEvT1_T3_lS5_lPS5_llPT2_S5_S5_S7_l,comdat
	.globl	_ZN9rocsolver6v33100L18getf2_small_kernelILi52EdiiPKPdEEvT1_T3_lS5_lPS5_llPT2_S5_S5_S7_l ; -- Begin function _ZN9rocsolver6v33100L18getf2_small_kernelILi52EdiiPKPdEEvT1_T3_lS5_lPS5_llPT2_S5_S5_S7_l
	.p2align	8
	.type	_ZN9rocsolver6v33100L18getf2_small_kernelILi52EdiiPKPdEEvT1_T3_lS5_lPS5_llPT2_S5_S5_S7_l,@function
_ZN9rocsolver6v33100L18getf2_small_kernelILi52EdiiPKPdEEvT1_T3_lS5_lPS5_llPT2_S5_S5_S7_l: ; @_ZN9rocsolver6v33100L18getf2_small_kernelILi52EdiiPKPdEEvT1_T3_lS5_lPS5_llPT2_S5_S5_S7_l
; %bb.0:
	s_load_dword s0, s[4:5], 0x6c
	s_load_dwordx2 s[12:13], s[4:5], 0x48
	v_bfe_u32 v108, v0, 10, 10
	s_waitcnt lgkmcnt(0)
	s_lshr_b32 s0, s0, 16
	s_mul_i32 s7, s7, s0
	v_add_u32_e32 v2, s7, v108
	v_cmp_gt_i32_e32 vcc, s12, v2
	s_and_saveexec_b64 s[0:1], vcc
	s_cbranch_execz .LBB102_881
; %bb.1:
	s_load_dwordx4 s[0:3], s[4:5], 0x8
	s_load_dwordx4 s[8:11], s[4:5], 0x50
	v_ashrrev_i32_e32 v3, 31, v2
	v_lshlrev_b64 v[4:5], 3, v[2:3]
	s_waitcnt lgkmcnt(0)
	v_mov_b32_e32 v1, s1
	v_add_co_u32_e32 v4, vcc, s0, v4
	v_addc_co_u32_e32 v5, vcc, v1, v5, vcc
	global_load_dwordx2 v[6:7], v[4:5], off
	s_cmp_eq_u64 s[8:9], 0
	s_cselect_b64 s[6:7], -1, 0
	s_and_b64 vcc, exec, s[6:7]
	v_pk_mov_b32 v[4:5], 0, 0
	s_cbranch_vccnz .LBB102_3
; %bb.2:
	v_mul_lo_u32 v1, v3, s10
	v_mul_lo_u32 v8, v2, s11
	v_mad_u64_u32 v[4:5], s[0:1], v2, s10, 0
	v_add3_u32 v5, v5, v8, v1
	v_lshlrev_b64 v[4:5], 2, v[4:5]
	v_mov_b32_e32 v1, s9
	v_add_co_u32_e32 v4, vcc, s8, v4
	v_addc_co_u32_e32 v5, vcc, v1, v5, vcc
.LBB102_3:
	s_load_dword s8, s[4:5], 0x18
	s_load_dword s18, s[4:5], 0x0
	s_lshl_b64 s[0:1], s[2:3], 3
	v_and_b32_e32 v116, 0x3ff, v0
	v_mov_b32_e32 v1, s1
	s_waitcnt lgkmcnt(0)
	s_add_i32 s12, s8, s8
	s_waitcnt vmcnt(0)
	v_add_co_u32_e32 v114, vcc, s0, v6
	v_add_u32_e32 v6, s12, v116
	v_addc_co_u32_e32 v115, vcc, v7, v1, vcc
	v_ashrrev_i32_e32 v7, 31, v6
	v_lshlrev_b64 v[0:1], 3, v[6:7]
	v_add_u32_e32 v8, s8, v6
	v_add_co_u32_e32 v0, vcc, v114, v0
	v_ashrrev_i32_e32 v9, 31, v8
	v_addc_co_u32_e32 v1, vcc, v115, v1, vcc
	v_lshlrev_b64 v[6:7], 3, v[8:9]
	v_add_u32_e32 v10, s8, v8
	v_add_co_u32_e32 v6, vcc, v114, v6
	v_ashrrev_i32_e32 v11, 31, v10
	v_addc_co_u32_e32 v7, vcc, v115, v7, vcc
	;; [unrolled: 5-line block ×4, first 2 shown]
	v_lshlrev_b64 v[12:13], 3, v[10:11]
	v_add_co_u32_e32 v16, vcc, v114, v12
	v_add_u32_e32 v12, s8, v10
	v_addc_co_u32_e32 v17, vcc, v115, v13, vcc
	v_ashrrev_i32_e32 v13, 31, v12
	v_lshlrev_b64 v[10:11], 3, v[12:13]
	v_add_u32_e32 v18, s8, v12
	v_add_co_u32_e32 v10, vcc, v114, v10
	v_ashrrev_i32_e32 v19, 31, v18
	v_addc_co_u32_e32 v11, vcc, v115, v11, vcc
	v_lshlrev_b64 v[12:13], 3, v[18:19]
	v_add_u32_e32 v18, s8, v18
	v_add_co_u32_e32 v12, vcc, v114, v12
	v_ashrrev_i32_e32 v19, 31, v18
	v_addc_co_u32_e32 v13, vcc, v115, v13, vcc
	;; [unrolled: 5-line block ×44, first 2 shown]
	v_lshlrev_b64 v[18:19], 3, v[18:19]
	v_add_co_u32_e32 v166, vcc, v114, v18
	v_addc_co_u32_e32 v167, vcc, v115, v19, vcc
	v_lshlrev_b32_e32 v109, 3, v116
	v_add_co_u32_e32 v18, vcc, v114, v109
	s_ashr_i32 s9, s8, 31
	v_addc_co_u32_e32 v19, vcc, 0, v115, vcc
	s_lshl_b64 s[10:11], s[8:9], 3
	v_mov_b32_e32 v51, s11
	v_add_co_u32_e32 v50, vcc, s10, v18
	v_addc_co_u32_e32 v51, vcc, v19, v51, vcc
	s_max_i32 s0, s18, 52
	global_load_dwordx2 v[102:103], v[18:19], off
	global_load_dwordx2 v[104:105], v[50:51], off
	;; [unrolled: 1-line block ×7, first 2 shown]
                                        ; kill: killed $vgpr6 killed $vgpr7
                                        ; kill: killed $vgpr14 killed $vgpr15
                                        ; kill: killed $vgpr18 killed $vgpr19
                                        ; kill: killed $vgpr0 killed $vgpr1
                                        ; kill: killed $vgpr50 killed $vgpr51
                                        ; kill: killed $vgpr8 killed $vgpr9
                                        ; kill: killed $vgpr16 killed $vgpr17
	global_load_dwordx2 v[90:91], v[10:11], off
	global_load_dwordx2 v[88:89], v[12:13], off
	;; [unrolled: 1-line block ×7, first 2 shown]
                                        ; kill: killed $vgpr10 killed $vgpr11
                                        ; kill: killed $vgpr20 killed $vgpr21
                                        ; kill: killed $vgpr24 killed $vgpr25
                                        ; kill: killed $vgpr28 killed $vgpr29
                                        ; kill: killed $vgpr12 killed $vgpr13
                                        ; kill: killed $vgpr22 killed $vgpr23
                                        ; kill: killed $vgpr26 killed $vgpr27
	global_load_dwordx2 v[76:77], v[30:31], off
	global_load_dwordx2 v[74:75], v[32:33], off
	;; [unrolled: 1-line block ×7, first 2 shown]
                                        ; kill: killed $vgpr34 killed $vgpr35
                                        ; kill: killed $vgpr38 killed $vgpr39
                                        ; kill: killed $vgpr42 killed $vgpr43
                                        ; kill: killed $vgpr32 killed $vgpr33
                                        ; kill: killed $vgpr36 killed $vgpr37
                                        ; kill: killed $vgpr40 killed $vgpr41
                                        ; kill: killed $vgpr30 killed $vgpr31
	global_load_dwordx2 v[62:63], v[44:45], off
	global_load_dwordx2 v[60:61], v[46:47], off
	;; [unrolled: 1-line block ×7, first 2 shown]
                                        ; kill: killed $vgpr46 killed $vgpr47
                                        ; kill: killed $vgpr106 killed $vgpr107
                                        ; kill: killed $vgpr112 killed $vgpr113
                                        ; kill: killed $vgpr44 killed $vgpr45
                                        ; kill: killed $vgpr48 killed $vgpr49
                                        ; kill: killed $vgpr110 killed $vgpr111
                                        ; kill: killed $vgpr118 killed $vgpr119
	s_nop 0
	global_load_dwordx2 v[48:49], v[120:121], off
	global_load_dwordx2 v[46:47], v[122:123], off
	global_load_dwordx2 v[44:45], v[124:125], off
	global_load_dwordx2 v[42:43], v[126:127], off
	global_load_dwordx2 v[40:41], v[128:129], off
	global_load_dwordx2 v[38:39], v[130:131], off
	global_load_dwordx2 v[36:37], v[132:133], off
                                        ; kill: killed $vgpr126 killed $vgpr127
                                        ; kill: killed $vgpr130 killed $vgpr131
                                        ; kill: killed $vgpr120 killed $vgpr121
                                        ; kill: killed $vgpr124 killed $vgpr125
                                        ; kill: killed $vgpr128 killed $vgpr129
                                        ; kill: killed $vgpr132 killed $vgpr133
                                        ; kill: killed $vgpr122 killed $vgpr123
	global_load_dwordx2 v[34:35], v[134:135], off
	global_load_dwordx2 v[32:33], v[136:137], off
	;; [unrolled: 1-line block ×7, first 2 shown]
                                        ; kill: killed $vgpr134 killed $vgpr135
                                        ; kill: killed $vgpr138 killed $vgpr139
                                        ; kill: killed $vgpr142 killed $vgpr143
                                        ; kill: killed $vgpr146 killed $vgpr147
                                        ; kill: killed $vgpr136 killed $vgpr137
                                        ; kill: killed $vgpr140 killed $vgpr141
                                        ; kill: killed $vgpr144 killed $vgpr145
	global_load_dwordx2 v[20:21], v[148:149], off
	global_load_dwordx2 v[18:19], v[150:151], off
	;; [unrolled: 1-line block ×7, first 2 shown]
                                        ; kill: killed $vgpr160 killed $vgpr161
                                        ; kill: killed $vgpr150 killed $vgpr151
                                        ; kill: killed $vgpr154 killed $vgpr155
                                        ; kill: killed $vgpr158 killed $vgpr159
                                        ; kill: killed $vgpr148 killed $vgpr149
                                        ; kill: killed $vgpr152 killed $vgpr153
                                        ; kill: killed $vgpr156 killed $vgpr157
	global_load_dwordx2 v[6:7], v[162:163], off
	global_load_dwordx2 v[0:1], v[164:165], off
	;; [unrolled: 1-line block ×3, first 2 shown]
	v_mul_lo_u32 v110, s0, v108
	v_lshl_add_u32 v112, v110, 3, 0
	v_add_u32_e32 v108, v112, v109
	s_waitcnt vmcnt(51)
	ds_write_b64 v108, v[102:103]
	s_waitcnt lgkmcnt(0)
	s_barrier
	ds_read_b64 v[108:109], v112
	s_cmp_lt_i32 s18, 2
	v_lshlrev_b32_e32 v117, 3, v110
	v_mov_b32_e32 v110, 0
	s_cbranch_scc1 .LBB102_6
; %bb.4:
	v_add3_u32 v111, v117, 0, 8
	s_mov_b32 s0, 1
	v_mov_b32_e32 v110, 0
.LBB102_5:                              ; =>This Inner Loop Header: Depth=1
	ds_read_b64 v[118:119], v111
	v_mov_b32_e32 v113, s0
	s_add_i32 s0, s0, 1
	v_add_u32_e32 v111, 8, v111
	s_cmp_eq_u32 s18, s0
	s_waitcnt lgkmcnt(0)
	v_cmp_lt_f64_e64 vcc, |v[108:109]|, |v[118:119]|
	v_cndmask_b32_e32 v109, v109, v119, vcc
	v_cndmask_b32_e32 v108, v108, v118, vcc
	;; [unrolled: 1-line block ×3, first 2 shown]
	s_cbranch_scc0 .LBB102_5
.LBB102_6:
	v_cmp_ne_u32_e32 vcc, v116, v110
                                        ; implicit-def: $vgpr113
	s_and_saveexec_b64 s[0:1], vcc
	s_xor_b64 s[0:1], exec, s[0:1]
	s_cbranch_execz .LBB102_12
; %bb.7:
	v_cmp_eq_u32_e32 vcc, 0, v116
	s_and_saveexec_b64 s[2:3], vcc
	s_cbranch_execz .LBB102_11
; %bb.8:
	v_cmp_ne_u32_e32 vcc, 0, v110
	s_xor_b64 s[14:15], s[6:7], -1
	s_and_b64 s[16:17], s[14:15], vcc
	s_and_saveexec_b64 s[14:15], s[16:17]
	s_cbranch_execz .LBB102_10
; %bb.9:
	v_ashrrev_i32_e32 v111, 31, v110
	v_lshlrev_b64 v[118:119], 2, v[110:111]
	v_add_co_u32_e32 v118, vcc, v4, v118
	v_addc_co_u32_e32 v119, vcc, v5, v119, vcc
	flat_load_dword v111, v[118:119]
	flat_load_dword v113, v[4:5]
	s_waitcnt vmcnt(0) lgkmcnt(0)
	flat_store_dword v[4:5], v111
	flat_store_dword v[118:119], v113
.LBB102_10:
	s_or_b64 exec, exec, s[14:15]
	v_mov_b32_e32 v116, v110
.LBB102_11:
	s_or_b64 exec, exec, s[2:3]
	v_mov_b32_e32 v113, v116
                                        ; implicit-def: $vgpr116
.LBB102_12:
	s_or_saveexec_b64 s[0:1], s[0:1]
	v_mov_b32_e32 v111, v113
	s_xor_b64 exec, exec, s[0:1]
	s_cbranch_execz .LBB102_14
; %bb.13:
	v_mov_b32_e32 v113, 0
	v_mov_b32_e32 v111, v116
	s_waitcnt vmcnt(0)
	ds_write2_b64 v112, v[104:105], v[100:101] offset0:1 offset1:2
	ds_write2_b64 v112, v[98:99], v[96:97] offset0:3 offset1:4
	;; [unrolled: 1-line block ×25, first 2 shown]
	ds_write_b64 v112, v[106:107] offset:408
.LBB102_14:
	s_or_b64 exec, exec, s[0:1]
	s_waitcnt lgkmcnt(0)
	v_cmp_eq_f64_e64 s[0:1], 0, v[108:109]
	v_cmp_lt_i32_e32 vcc, 0, v113
	s_barrier
	s_and_saveexec_b64 s[2:3], vcc
	s_cbranch_execz .LBB102_16
; %bb.15:
	v_div_scale_f64 v[118:119], s[14:15], v[108:109], v[108:109], 1.0
	v_rcp_f64_e32 v[120:121], v[118:119]
	v_div_scale_f64 v[122:123], vcc, 1.0, v[108:109], 1.0
	ds_read2_b64 v[126:129], v112 offset0:5 offset1:6
	v_fma_f64 v[124:125], -v[118:119], v[120:121], 1.0
	v_fmac_f64_e32 v[120:121], v[120:121], v[124:125]
	v_fma_f64 v[124:125], -v[118:119], v[120:121], 1.0
	v_fmac_f64_e32 v[120:121], v[120:121], v[124:125]
	v_mul_f64 v[124:125], v[122:123], v[120:121]
	v_fma_f64 v[118:119], -v[118:119], v[124:125], v[122:123]
	v_div_fmas_f64 v[118:119], v[118:119], v[120:121], v[124:125]
	v_div_fixup_f64 v[122:123], v[118:119], v[108:109], 1.0
	ds_read2_b64 v[118:121], v112 offset0:1 offset1:2
	v_cndmask_b32_e64 v109, v123, v109, s[0:1]
	v_cndmask_b32_e64 v108, v122, v108, s[0:1]
	ds_read2_b64 v[122:125], v112 offset0:3 offset1:4
	v_mul_f64 v[102:103], v[108:109], v[102:103]
	s_waitcnt vmcnt(0) lgkmcnt(0)
	v_fma_f64 v[104:105], -v[102:103], v[118:119], v[104:105]
	v_fma_f64 v[100:101], -v[102:103], v[120:121], v[100:101]
	ds_read2_b64 v[118:121], v112 offset0:7 offset1:8
	v_fma_f64 v[98:99], -v[102:103], v[122:123], v[98:99]
	v_fma_f64 v[96:97], -v[102:103], v[124:125], v[96:97]
	;; [unrolled: 1-line block ×3, first 2 shown]
	ds_read2_b64 v[122:125], v112 offset0:9 offset1:10
	v_fma_f64 v[92:93], -v[102:103], v[128:129], v[92:93]
	ds_read2_b64 v[126:129], v112 offset0:11 offset1:12
	s_waitcnt lgkmcnt(2)
	v_fma_f64 v[90:91], -v[102:103], v[118:119], v[90:91]
	v_fma_f64 v[88:89], -v[102:103], v[120:121], v[88:89]
	ds_read2_b64 v[118:121], v112 offset0:13 offset1:14
	s_waitcnt lgkmcnt(2)
	v_fma_f64 v[86:87], -v[102:103], v[122:123], v[86:87]
	v_fma_f64 v[84:85], -v[102:103], v[124:125], v[84:85]
	ds_read2_b64 v[122:125], v112 offset0:15 offset1:16
	s_waitcnt lgkmcnt(2)
	v_fma_f64 v[82:83], -v[102:103], v[126:127], v[82:83]
	v_fma_f64 v[80:81], -v[102:103], v[128:129], v[80:81]
	s_waitcnt lgkmcnt(1)
	v_fma_f64 v[78:79], -v[102:103], v[118:119], v[78:79]
	ds_read2_b64 v[126:129], v112 offset0:17 offset1:18
	v_fma_f64 v[76:77], -v[102:103], v[120:121], v[76:77]
	ds_read2_b64 v[118:121], v112 offset0:19 offset1:20
	s_waitcnt lgkmcnt(2)
	v_fma_f64 v[74:75], -v[102:103], v[122:123], v[74:75]
	v_fma_f64 v[72:73], -v[102:103], v[124:125], v[72:73]
	s_waitcnt lgkmcnt(1)
	v_fma_f64 v[70:71], -v[102:103], v[126:127], v[70:71]
	ds_read2_b64 v[122:125], v112 offset0:21 offset1:22
	v_fma_f64 v[68:69], -v[102:103], v[128:129], v[68:69]
	ds_read2_b64 v[126:129], v112 offset0:23 offset1:24
	s_waitcnt lgkmcnt(2)
	v_fma_f64 v[66:67], -v[102:103], v[118:119], v[66:67]
	v_fma_f64 v[64:65], -v[102:103], v[120:121], v[64:65]
	ds_read2_b64 v[118:121], v112 offset0:25 offset1:26
	s_waitcnt lgkmcnt(2)
	v_fma_f64 v[62:63], -v[102:103], v[122:123], v[62:63]
	v_fma_f64 v[60:61], -v[102:103], v[124:125], v[60:61]
	ds_read2_b64 v[122:125], v112 offset0:27 offset1:28
	s_waitcnt lgkmcnt(2)
	v_fma_f64 v[58:59], -v[102:103], v[126:127], v[58:59]
	v_fma_f64 v[56:57], -v[102:103], v[128:129], v[56:57]
	s_waitcnt lgkmcnt(1)
	v_fma_f64 v[54:55], -v[102:103], v[118:119], v[54:55]
	ds_read2_b64 v[126:129], v112 offset0:29 offset1:30
	v_fma_f64 v[52:53], -v[102:103], v[120:121], v[52:53]
	ds_read2_b64 v[118:121], v112 offset0:31 offset1:32
	s_waitcnt lgkmcnt(2)
	v_fma_f64 v[50:51], -v[102:103], v[122:123], v[50:51]
	v_fma_f64 v[48:49], -v[102:103], v[124:125], v[48:49]
	s_waitcnt lgkmcnt(1)
	v_fma_f64 v[46:47], -v[102:103], v[126:127], v[46:47]
	;; [unrolled: 24-line block ×3, first 2 shown]
	ds_read2_b64 v[122:125], v112 offset0:45 offset1:46
	v_fma_f64 v[20:21], -v[102:103], v[128:129], v[20:21]
	s_waitcnt lgkmcnt(1)
	v_fma_f64 v[18:19], -v[102:103], v[118:119], v[18:19]
	v_fma_f64 v[16:17], -v[102:103], v[120:121], v[16:17]
	ds_read2_b64 v[118:121], v112 offset0:47 offset1:48
	ds_read2_b64 v[126:129], v112 offset0:49 offset1:50
	ds_read_b64 v[108:109], v112 offset:408
	s_waitcnt lgkmcnt(3)
	v_fma_f64 v[14:15], -v[102:103], v[122:123], v[14:15]
	v_fma_f64 v[12:13], -v[102:103], v[124:125], v[12:13]
	s_waitcnt lgkmcnt(2)
	v_fma_f64 v[10:11], -v[102:103], v[118:119], v[10:11]
	v_fma_f64 v[8:9], -v[102:103], v[120:121], v[8:9]
	;; [unrolled: 3-line block ×3, first 2 shown]
	s_waitcnt lgkmcnt(0)
	v_fma_f64 v[106:107], -v[102:103], v[108:109], v[106:107]
.LBB102_16:
	s_or_b64 exec, exec, s[2:3]
	v_lshl_add_u32 v108, v113, 3, v112
	s_barrier
	s_waitcnt vmcnt(0)
	ds_write_b64 v108, v[104:105]
	s_waitcnt lgkmcnt(0)
	s_barrier
	ds_read_b64 v[108:109], v112 offset:8
	s_cmp_lt_i32 s18, 3
	v_mov_b32_e32 v110, 1
	s_cbranch_scc1 .LBB102_19
; %bb.17:
	v_add3_u32 v116, v117, 0, 16
	s_mov_b32 s2, 2
	v_mov_b32_e32 v110, 1
.LBB102_18:                             ; =>This Inner Loop Header: Depth=1
	ds_read_b64 v[118:119], v116
	v_mov_b32_e32 v120, s2
	s_add_i32 s2, s2, 1
	v_add_u32_e32 v116, 8, v116
	s_cmp_lg_u32 s18, s2
	s_waitcnt lgkmcnt(0)
	v_cmp_lt_f64_e64 vcc, |v[108:109]|, |v[118:119]|
	v_cndmask_b32_e32 v109, v109, v119, vcc
	v_cndmask_b32_e32 v108, v108, v118, vcc
	;; [unrolled: 1-line block ×3, first 2 shown]
	s_cbranch_scc1 .LBB102_18
.LBB102_19:
	v_cmp_ne_u32_e32 vcc, v113, v110
	s_and_saveexec_b64 s[2:3], vcc
	s_xor_b64 s[2:3], exec, s[2:3]
	s_cbranch_execz .LBB102_25
; %bb.20:
	v_cmp_eq_u32_e32 vcc, 1, v113
	s_and_saveexec_b64 s[14:15], vcc
	s_cbranch_execz .LBB102_24
; %bb.21:
	v_cmp_ne_u32_e32 vcc, 1, v110
	s_xor_b64 s[16:17], s[6:7], -1
	s_and_b64 s[20:21], s[16:17], vcc
	s_and_saveexec_b64 s[16:17], s[20:21]
	s_cbranch_execz .LBB102_23
; %bb.22:
	v_ashrrev_i32_e32 v111, 31, v110
	v_lshlrev_b64 v[118:119], 2, v[110:111]
	v_add_co_u32_e32 v118, vcc, v4, v118
	v_addc_co_u32_e32 v119, vcc, v5, v119, vcc
	flat_load_dword v111, v[118:119]
	flat_load_dword v113, v[4:5] offset:4
	s_waitcnt vmcnt(0) lgkmcnt(0)
	flat_store_dword v[4:5], v111 offset:4
	flat_store_dword v[118:119], v113
.LBB102_23:
	s_or_b64 exec, exec, s[16:17]
	v_mov_b32_e32 v111, v110
	v_mov_b32_e32 v113, v110
.LBB102_24:
	s_or_b64 exec, exec, s[14:15]
.LBB102_25:
	s_andn2_saveexec_b64 s[2:3], s[2:3]
	s_cbranch_execz .LBB102_27
; %bb.26:
	v_mov_b32_e32 v118, v100
	v_mov_b32_e32 v119, v101
	v_mov_b32_e32 v120, v98
	v_mov_b32_e32 v121, v99
	ds_write2_b64 v112, v[118:119], v[120:121] offset0:2 offset1:3
	v_mov_b32_e32 v118, v96
	v_mov_b32_e32 v119, v97
	v_mov_b32_e32 v120, v94
	v_mov_b32_e32 v121, v95
	ds_write2_b64 v112, v[118:119], v[120:121] offset0:4 offset1:5
	;; [unrolled: 5-line block ×24, first 2 shown]
	v_mov_b32_e32 v118, v0
	v_mov_b32_e32 v119, v1
	;; [unrolled: 1-line block ×3, first 2 shown]
	ds_write2_b64 v112, v[118:119], v[106:107] offset0:50 offset1:51
.LBB102_27:
	s_or_b64 exec, exec, s[2:3]
	s_waitcnt lgkmcnt(0)
	v_cmp_neq_f64_e64 s[2:3], 0, v[108:109]
	v_cmp_lt_i32_e32 vcc, 1, v113
	s_barrier
	s_and_saveexec_b64 s[14:15], vcc
	s_cbranch_execz .LBB102_29
; %bb.28:
	v_div_scale_f64 v[118:119], s[16:17], v[108:109], v[108:109], 1.0
	v_rcp_f64_e32 v[120:121], v[118:119]
	v_div_scale_f64 v[122:123], vcc, 1.0, v[108:109], 1.0
	ds_read2_b64 v[126:129], v112 offset0:6 offset1:7
	v_fma_f64 v[124:125], -v[118:119], v[120:121], 1.0
	v_fmac_f64_e32 v[120:121], v[120:121], v[124:125]
	v_fma_f64 v[124:125], -v[118:119], v[120:121], 1.0
	v_fmac_f64_e32 v[120:121], v[120:121], v[124:125]
	v_mul_f64 v[124:125], v[122:123], v[120:121]
	v_fma_f64 v[118:119], -v[118:119], v[124:125], v[122:123]
	v_div_fmas_f64 v[118:119], v[118:119], v[120:121], v[124:125]
	v_div_fixup_f64 v[122:123], v[118:119], v[108:109], 1.0
	ds_read2_b64 v[118:121], v112 offset0:2 offset1:3
	v_cndmask_b32_e64 v109, v109, v123, s[2:3]
	v_cndmask_b32_e64 v108, v108, v122, s[2:3]
	ds_read2_b64 v[122:125], v112 offset0:4 offset1:5
	v_mul_f64 v[104:105], v[108:109], v[104:105]
	s_waitcnt lgkmcnt(0)
	v_fma_f64 v[100:101], -v[104:105], v[118:119], v[100:101]
	v_fma_f64 v[98:99], -v[104:105], v[120:121], v[98:99]
	ds_read2_b64 v[118:121], v112 offset0:8 offset1:9
	v_fma_f64 v[96:97], -v[104:105], v[122:123], v[96:97]
	v_fma_f64 v[94:95], -v[104:105], v[124:125], v[94:95]
	;; [unrolled: 1-line block ×3, first 2 shown]
	ds_read2_b64 v[122:125], v112 offset0:10 offset1:11
	v_fma_f64 v[90:91], -v[104:105], v[128:129], v[90:91]
	ds_read2_b64 v[126:129], v112 offset0:12 offset1:13
	s_waitcnt lgkmcnt(0)
	v_fma_f64 v[88:89], -v[104:105], v[118:119], v[88:89]
	v_fma_f64 v[86:87], -v[104:105], v[120:121], v[86:87]
	ds_read2_b64 v[118:121], v112 offset0:14 offset1:15
	v_fma_f64 v[84:85], -v[104:105], v[122:123], v[84:85]
	v_fma_f64 v[82:83], -v[104:105], v[124:125], v[82:83]
	ds_read2_b64 v[122:125], v112 offset0:16 offset1:17
	v_fma_f64 v[80:81], -v[104:105], v[126:127], v[80:81]
	v_fma_f64 v[78:79], -v[104:105], v[128:129], v[78:79]
	s_waitcnt lgkmcnt(0)
	v_fma_f64 v[76:77], -v[104:105], v[118:119], v[76:77]
	ds_read2_b64 v[126:129], v112 offset0:18 offset1:19
	v_fma_f64 v[74:75], -v[104:105], v[120:121], v[74:75]
	ds_read2_b64 v[118:121], v112 offset0:20 offset1:21
	v_fma_f64 v[72:73], -v[104:105], v[122:123], v[72:73]
	v_fma_f64 v[70:71], -v[104:105], v[124:125], v[70:71]
	s_waitcnt lgkmcnt(0)
	v_fma_f64 v[68:69], -v[104:105], v[126:127], v[68:69]
	ds_read2_b64 v[122:125], v112 offset0:22 offset1:23
	v_fma_f64 v[66:67], -v[104:105], v[128:129], v[66:67]
	ds_read2_b64 v[126:129], v112 offset0:24 offset1:25
	v_fma_f64 v[64:65], -v[104:105], v[118:119], v[64:65]
	v_fma_f64 v[62:63], -v[104:105], v[120:121], v[62:63]
	ds_read2_b64 v[118:121], v112 offset0:26 offset1:27
	s_waitcnt lgkmcnt(0)
	v_fma_f64 v[60:61], -v[104:105], v[122:123], v[60:61]
	v_fma_f64 v[58:59], -v[104:105], v[124:125], v[58:59]
	ds_read2_b64 v[122:125], v112 offset0:28 offset1:29
	v_fma_f64 v[56:57], -v[104:105], v[126:127], v[56:57]
	v_fma_f64 v[54:55], -v[104:105], v[128:129], v[54:55]
	;; [unrolled: 1-line block ×3, first 2 shown]
	ds_read2_b64 v[126:129], v112 offset0:30 offset1:31
	v_fma_f64 v[50:51], -v[104:105], v[120:121], v[50:51]
	ds_read2_b64 v[118:121], v112 offset0:32 offset1:33
	s_waitcnt lgkmcnt(0)
	v_fma_f64 v[48:49], -v[104:105], v[122:123], v[48:49]
	v_fma_f64 v[46:47], -v[104:105], v[124:125], v[46:47]
	;; [unrolled: 1-line block ×3, first 2 shown]
	ds_read2_b64 v[122:125], v112 offset0:34 offset1:35
	v_fma_f64 v[42:43], -v[104:105], v[128:129], v[42:43]
	ds_read2_b64 v[126:129], v112 offset0:36 offset1:37
	v_fma_f64 v[40:41], -v[104:105], v[118:119], v[40:41]
	v_fma_f64 v[38:39], -v[104:105], v[120:121], v[38:39]
	ds_read2_b64 v[118:121], v112 offset0:38 offset1:39
	s_waitcnt lgkmcnt(0)
	v_fma_f64 v[36:37], -v[104:105], v[122:123], v[36:37]
	v_fma_f64 v[34:35], -v[104:105], v[124:125], v[34:35]
	ds_read2_b64 v[122:125], v112 offset0:40 offset1:41
	v_fma_f64 v[32:33], -v[104:105], v[126:127], v[32:33]
	v_fma_f64 v[30:31], -v[104:105], v[128:129], v[30:31]
	;; [unrolled: 1-line block ×3, first 2 shown]
	ds_read2_b64 v[126:129], v112 offset0:42 offset1:43
	v_fma_f64 v[26:27], -v[104:105], v[120:121], v[26:27]
	ds_read2_b64 v[118:121], v112 offset0:44 offset1:45
	s_waitcnt lgkmcnt(0)
	v_fma_f64 v[24:25], -v[104:105], v[122:123], v[24:25]
	v_fma_f64 v[22:23], -v[104:105], v[124:125], v[22:23]
	;; [unrolled: 1-line block ×4, first 2 shown]
	ds_read2_b64 v[122:125], v112 offset0:46 offset1:47
	ds_read2_b64 v[126:129], v112 offset0:48 offset1:49
	v_fma_f64 v[16:17], -v[104:105], v[118:119], v[16:17]
	v_fma_f64 v[14:15], -v[104:105], v[120:121], v[14:15]
	ds_read2_b64 v[118:121], v112 offset0:50 offset1:51
	s_waitcnt lgkmcnt(0)
	v_fma_f64 v[12:13], -v[104:105], v[122:123], v[12:13]
	v_fma_f64 v[10:11], -v[104:105], v[124:125], v[10:11]
	;; [unrolled: 1-line block ×6, first 2 shown]
.LBB102_29:
	s_or_b64 exec, exec, s[14:15]
	v_lshl_add_u32 v108, v113, 3, v112
	s_barrier
	ds_write_b64 v108, v[100:101]
	s_waitcnt lgkmcnt(0)
	s_barrier
	ds_read_b64 v[108:109], v112 offset:16
	s_mov_b32 s9, 3
	s_cmp_lt_i32 s18, 4
	v_mov_b32_e32 v110, 2
	s_cbranch_scc1 .LBB102_32
; %bb.30:
	v_add3_u32 v116, v117, 0, 24
	v_mov_b32_e32 v110, 2
.LBB102_31:                             ; =>This Inner Loop Header: Depth=1
	ds_read_b64 v[118:119], v116
	v_mov_b32_e32 v120, s9
	s_add_i32 s9, s9, 1
	v_add_u32_e32 v116, 8, v116
	s_cmp_lg_u32 s18, s9
	s_waitcnt lgkmcnt(0)
	v_cmp_lt_f64_e64 vcc, |v[108:109]|, |v[118:119]|
	v_cndmask_b32_e32 v109, v109, v119, vcc
	v_cndmask_b32_e32 v108, v108, v118, vcc
	;; [unrolled: 1-line block ×3, first 2 shown]
	s_cbranch_scc1 .LBB102_31
.LBB102_32:
	v_cndmask_b32_e64 v116, 2, 1, s[0:1]
	v_cndmask_b32_e64 v118, 0, 1, s[0:1]
	;; [unrolled: 1-line block ×3, first 2 shown]
	s_waitcnt lgkmcnt(0)
	v_cmp_eq_f64_e32 vcc, 0, v[108:109]
	s_and_saveexec_b64 s[0:1], vcc
	s_xor_b64 s[0:1], exec, s[0:1]
; %bb.33:
	v_cmp_ne_u32_e32 vcc, 0, v116
	v_cndmask_b32_e32 v116, 3, v116, vcc
; %bb.34:
	s_andn2_saveexec_b64 s[0:1], s[0:1]
; %bb.35:
	v_div_scale_f64 v[118:119], s[2:3], v[108:109], v[108:109], 1.0
	v_rcp_f64_e32 v[120:121], v[118:119]
	v_div_scale_f64 v[122:123], vcc, 1.0, v[108:109], 1.0
	v_fma_f64 v[124:125], -v[118:119], v[120:121], 1.0
	v_fmac_f64_e32 v[120:121], v[120:121], v[124:125]
	v_fma_f64 v[124:125], -v[118:119], v[120:121], 1.0
	v_fmac_f64_e32 v[120:121], v[120:121], v[124:125]
	v_mul_f64 v[124:125], v[122:123], v[120:121]
	v_fma_f64 v[118:119], -v[118:119], v[124:125], v[122:123]
	v_div_fmas_f64 v[118:119], v[118:119], v[120:121], v[124:125]
	v_div_fixup_f64 v[108:109], v[118:119], v[108:109], 1.0
; %bb.36:
	s_or_b64 exec, exec, s[0:1]
	v_cmp_ne_u32_e32 vcc, v113, v110
	s_and_saveexec_b64 s[0:1], vcc
	s_xor_b64 s[0:1], exec, s[0:1]
	s_cbranch_execz .LBB102_42
; %bb.37:
	v_cmp_eq_u32_e32 vcc, 2, v113
	s_and_saveexec_b64 s[2:3], vcc
	s_cbranch_execz .LBB102_41
; %bb.38:
	v_cmp_ne_u32_e32 vcc, 2, v110
	s_xor_b64 s[14:15], s[6:7], -1
	s_and_b64 s[16:17], s[14:15], vcc
	s_and_saveexec_b64 s[14:15], s[16:17]
	s_cbranch_execz .LBB102_40
; %bb.39:
	v_ashrrev_i32_e32 v111, 31, v110
	v_lshlrev_b64 v[118:119], 2, v[110:111]
	v_add_co_u32_e32 v118, vcc, v4, v118
	v_addc_co_u32_e32 v119, vcc, v5, v119, vcc
	flat_load_dword v111, v[118:119]
	flat_load_dword v113, v[4:5] offset:8
	s_waitcnt vmcnt(0) lgkmcnt(0)
	flat_store_dword v[4:5], v111 offset:8
	flat_store_dword v[118:119], v113
.LBB102_40:
	s_or_b64 exec, exec, s[14:15]
	v_mov_b32_e32 v111, v110
	v_mov_b32_e32 v113, v110
.LBB102_41:
	s_or_b64 exec, exec, s[2:3]
.LBB102_42:
	s_andn2_saveexec_b64 s[0:1], s[0:1]
	s_cbranch_execz .LBB102_44
; %bb.43:
	v_mov_b32_e32 v113, 2
	ds_write2_b64 v112, v[98:99], v[96:97] offset0:3 offset1:4
	ds_write2_b64 v112, v[94:95], v[92:93] offset0:5 offset1:6
	;; [unrolled: 1-line block ×24, first 2 shown]
	ds_write_b64 v112, v[106:107] offset:408
.LBB102_44:
	s_or_b64 exec, exec, s[0:1]
	v_cmp_lt_i32_e32 vcc, 2, v113
	s_waitcnt lgkmcnt(0)
	s_barrier
	s_and_saveexec_b64 s[0:1], vcc
	s_cbranch_execz .LBB102_46
; %bb.45:
	ds_read2_b64 v[118:121], v112 offset0:3 offset1:4
	ds_read2_b64 v[122:125], v112 offset0:5 offset1:6
	;; [unrolled: 1-line block ×3, first 2 shown]
	v_mul_f64 v[100:101], v[108:109], v[100:101]
	ds_read_b64 v[108:109], v112 offset:408
	s_waitcnt lgkmcnt(0)
	v_fma_f64 v[98:99], -v[100:101], v[118:119], v[98:99]
	v_fma_f64 v[96:97], -v[100:101], v[120:121], v[96:97]
	ds_read2_b64 v[118:121], v112 offset0:9 offset1:10
	v_fma_f64 v[94:95], -v[100:101], v[122:123], v[94:95]
	v_fma_f64 v[92:93], -v[100:101], v[124:125], v[92:93]
	v_fma_f64 v[90:91], -v[100:101], v[126:127], v[90:91]
	ds_read2_b64 v[122:125], v112 offset0:11 offset1:12
	v_fma_f64 v[88:89], -v[100:101], v[128:129], v[88:89]
	ds_read2_b64 v[126:129], v112 offset0:13 offset1:14
	s_waitcnt lgkmcnt(0)
	v_fma_f64 v[86:87], -v[100:101], v[118:119], v[86:87]
	v_fma_f64 v[84:85], -v[100:101], v[120:121], v[84:85]
	v_fma_f64 v[82:83], -v[100:101], v[122:123], v[82:83]
	ds_read2_b64 v[118:121], v112 offset0:15 offset1:16
	v_fma_f64 v[80:81], -v[100:101], v[124:125], v[80:81]
	ds_read2_b64 v[122:125], v112 offset0:17 offset1:18
	v_fma_f64 v[78:79], -v[100:101], v[126:127], v[78:79]
	v_fma_f64 v[76:77], -v[100:101], v[128:129], v[76:77]
	ds_read2_b64 v[126:129], v112 offset0:19 offset1:20
	s_waitcnt lgkmcnt(0)
	v_fma_f64 v[74:75], -v[100:101], v[118:119], v[74:75]
	v_fma_f64 v[72:73], -v[100:101], v[120:121], v[72:73]
	ds_read2_b64 v[118:121], v112 offset0:21 offset1:22
	v_fma_f64 v[70:71], -v[100:101], v[122:123], v[70:71]
	v_fma_f64 v[68:69], -v[100:101], v[124:125], v[68:69]
	v_fma_f64 v[66:67], -v[100:101], v[126:127], v[66:67]
	ds_read2_b64 v[122:125], v112 offset0:23 offset1:24
	v_fma_f64 v[64:65], -v[100:101], v[128:129], v[64:65]
	ds_read2_b64 v[126:129], v112 offset0:25 offset1:26
	s_waitcnt lgkmcnt(0)
	v_fma_f64 v[62:63], -v[100:101], v[118:119], v[62:63]
	v_fma_f64 v[60:61], -v[100:101], v[120:121], v[60:61]
	v_fma_f64 v[58:59], -v[100:101], v[122:123], v[58:59]
	ds_read2_b64 v[118:121], v112 offset0:27 offset1:28
	v_fma_f64 v[56:57], -v[100:101], v[124:125], v[56:57]
	ds_read2_b64 v[122:125], v112 offset0:29 offset1:30
	v_fma_f64 v[54:55], -v[100:101], v[126:127], v[54:55]
	v_fma_f64 v[52:53], -v[100:101], v[128:129], v[52:53]
	ds_read2_b64 v[126:129], v112 offset0:31 offset1:32
	;; [unrolled: 20-line block ×3, first 2 shown]
	s_waitcnt lgkmcnt(0)
	v_fma_f64 v[26:27], -v[100:101], v[118:119], v[26:27]
	v_fma_f64 v[24:25], -v[100:101], v[120:121], v[24:25]
	ds_read2_b64 v[118:121], v112 offset0:45 offset1:46
	v_fma_f64 v[22:23], -v[100:101], v[122:123], v[22:23]
	v_fma_f64 v[20:21], -v[100:101], v[124:125], v[20:21]
	;; [unrolled: 1-line block ×4, first 2 shown]
	ds_read2_b64 v[122:125], v112 offset0:47 offset1:48
	ds_read2_b64 v[126:129], v112 offset0:49 offset1:50
	s_waitcnt lgkmcnt(0)
	v_fma_f64 v[14:15], -v[100:101], v[118:119], v[14:15]
	v_fma_f64 v[12:13], -v[100:101], v[120:121], v[12:13]
	;; [unrolled: 1-line block ×7, first 2 shown]
.LBB102_46:
	s_or_b64 exec, exec, s[0:1]
	v_lshl_add_u32 v108, v113, 3, v112
	s_barrier
	ds_write_b64 v108, v[98:99]
	s_waitcnt lgkmcnt(0)
	s_barrier
	ds_read_b64 v[108:109], v112 offset:24
	s_cmp_lt_i32 s18, 5
	v_mov_b32_e32 v110, 3
	s_cbranch_scc1 .LBB102_49
; %bb.47:
	v_add3_u32 v118, v117, 0, 32
	s_mov_b32 s0, 4
	v_mov_b32_e32 v110, 3
.LBB102_48:                             ; =>This Inner Loop Header: Depth=1
	ds_read_b64 v[120:121], v118
	v_mov_b32_e32 v119, s0
	s_add_i32 s0, s0, 1
	v_add_u32_e32 v118, 8, v118
	s_cmp_lg_u32 s18, s0
	s_waitcnt lgkmcnt(0)
	v_cmp_lt_f64_e64 vcc, |v[108:109]|, |v[120:121]|
	v_cndmask_b32_e32 v109, v109, v121, vcc
	v_cndmask_b32_e32 v108, v108, v120, vcc
	;; [unrolled: 1-line block ×3, first 2 shown]
	s_cbranch_scc1 .LBB102_48
.LBB102_49:
	s_waitcnt lgkmcnt(0)
	v_cmp_eq_f64_e32 vcc, 0, v[108:109]
	s_and_saveexec_b64 s[0:1], vcc
	s_xor_b64 s[0:1], exec, s[0:1]
; %bb.50:
	v_cmp_ne_u32_e32 vcc, 0, v116
	v_cndmask_b32_e32 v116, 4, v116, vcc
; %bb.51:
	s_andn2_saveexec_b64 s[0:1], s[0:1]
; %bb.52:
	v_div_scale_f64 v[118:119], s[2:3], v[108:109], v[108:109], 1.0
	v_rcp_f64_e32 v[120:121], v[118:119]
	v_div_scale_f64 v[122:123], vcc, 1.0, v[108:109], 1.0
	v_fma_f64 v[124:125], -v[118:119], v[120:121], 1.0
	v_fmac_f64_e32 v[120:121], v[120:121], v[124:125]
	v_fma_f64 v[124:125], -v[118:119], v[120:121], 1.0
	v_fmac_f64_e32 v[120:121], v[120:121], v[124:125]
	v_mul_f64 v[124:125], v[122:123], v[120:121]
	v_fma_f64 v[118:119], -v[118:119], v[124:125], v[122:123]
	v_div_fmas_f64 v[118:119], v[118:119], v[120:121], v[124:125]
	v_div_fixup_f64 v[108:109], v[118:119], v[108:109], 1.0
; %bb.53:
	s_or_b64 exec, exec, s[0:1]
	v_cmp_ne_u32_e32 vcc, v113, v110
	s_and_saveexec_b64 s[0:1], vcc
	s_xor_b64 s[0:1], exec, s[0:1]
	s_cbranch_execz .LBB102_59
; %bb.54:
	v_cmp_eq_u32_e32 vcc, 3, v113
	s_and_saveexec_b64 s[2:3], vcc
	s_cbranch_execz .LBB102_58
; %bb.55:
	v_cmp_ne_u32_e32 vcc, 3, v110
	s_xor_b64 s[14:15], s[6:7], -1
	s_and_b64 s[16:17], s[14:15], vcc
	s_and_saveexec_b64 s[14:15], s[16:17]
	s_cbranch_execz .LBB102_57
; %bb.56:
	v_ashrrev_i32_e32 v111, 31, v110
	v_lshlrev_b64 v[118:119], 2, v[110:111]
	v_add_co_u32_e32 v118, vcc, v4, v118
	v_addc_co_u32_e32 v119, vcc, v5, v119, vcc
	flat_load_dword v111, v[118:119]
	flat_load_dword v113, v[4:5] offset:12
	s_waitcnt vmcnt(0) lgkmcnt(0)
	flat_store_dword v[4:5], v111 offset:12
	flat_store_dword v[118:119], v113
.LBB102_57:
	s_or_b64 exec, exec, s[14:15]
	v_mov_b32_e32 v111, v110
	v_mov_b32_e32 v113, v110
.LBB102_58:
	s_or_b64 exec, exec, s[2:3]
.LBB102_59:
	s_andn2_saveexec_b64 s[0:1], s[0:1]
	s_cbranch_execz .LBB102_61
; %bb.60:
	v_mov_b32_e32 v118, v96
	v_mov_b32_e32 v119, v97
	v_mov_b32_e32 v120, v94
	v_mov_b32_e32 v121, v95
	ds_write2_b64 v112, v[118:119], v[120:121] offset0:4 offset1:5
	v_mov_b32_e32 v118, v92
	v_mov_b32_e32 v119, v93
	v_mov_b32_e32 v120, v90
	v_mov_b32_e32 v121, v91
	ds_write2_b64 v112, v[118:119], v[120:121] offset0:6 offset1:7
	;; [unrolled: 5-line block ×23, first 2 shown]
	v_mov_b32_e32 v118, v0
	v_mov_b32_e32 v119, v1
	;; [unrolled: 1-line block ×3, first 2 shown]
	ds_write2_b64 v112, v[118:119], v[106:107] offset0:50 offset1:51
.LBB102_61:
	s_or_b64 exec, exec, s[0:1]
	v_cmp_lt_i32_e32 vcc, 3, v113
	s_waitcnt lgkmcnt(0)
	s_barrier
	s_and_saveexec_b64 s[0:1], vcc
	s_cbranch_execz .LBB102_63
; %bb.62:
	ds_read2_b64 v[118:121], v112 offset0:4 offset1:5
	ds_read2_b64 v[122:125], v112 offset0:6 offset1:7
	;; [unrolled: 1-line block ×3, first 2 shown]
	v_mul_f64 v[98:99], v[108:109], v[98:99]
	s_waitcnt lgkmcnt(0)
	v_fma_f64 v[96:97], -v[98:99], v[118:119], v[96:97]
	v_fma_f64 v[94:95], -v[98:99], v[120:121], v[94:95]
	ds_read2_b64 v[118:121], v112 offset0:10 offset1:11
	v_fma_f64 v[92:93], -v[98:99], v[122:123], v[92:93]
	v_fma_f64 v[90:91], -v[98:99], v[124:125], v[90:91]
	v_fma_f64 v[88:89], -v[98:99], v[126:127], v[88:89]
	ds_read2_b64 v[122:125], v112 offset0:12 offset1:13
	v_fma_f64 v[86:87], -v[98:99], v[128:129], v[86:87]
	ds_read2_b64 v[126:129], v112 offset0:14 offset1:15
	s_waitcnt lgkmcnt(0)
	v_fma_f64 v[84:85], -v[98:99], v[118:119], v[84:85]
	v_fma_f64 v[82:83], -v[98:99], v[120:121], v[82:83]
	v_fma_f64 v[80:81], -v[98:99], v[122:123], v[80:81]
	ds_read2_b64 v[118:121], v112 offset0:16 offset1:17
	v_fma_f64 v[78:79], -v[98:99], v[124:125], v[78:79]
	ds_read2_b64 v[122:125], v112 offset0:18 offset1:19
	v_fma_f64 v[76:77], -v[98:99], v[126:127], v[76:77]
	v_fma_f64 v[74:75], -v[98:99], v[128:129], v[74:75]
	ds_read2_b64 v[126:129], v112 offset0:20 offset1:21
	s_waitcnt lgkmcnt(0)
	v_fma_f64 v[72:73], -v[98:99], v[118:119], v[72:73]
	v_fma_f64 v[70:71], -v[98:99], v[120:121], v[70:71]
	ds_read2_b64 v[118:121], v112 offset0:22 offset1:23
	v_fma_f64 v[68:69], -v[98:99], v[122:123], v[68:69]
	v_fma_f64 v[66:67], -v[98:99], v[124:125], v[66:67]
	v_fma_f64 v[64:65], -v[98:99], v[126:127], v[64:65]
	ds_read2_b64 v[122:125], v112 offset0:24 offset1:25
	v_fma_f64 v[62:63], -v[98:99], v[128:129], v[62:63]
	ds_read2_b64 v[126:129], v112 offset0:26 offset1:27
	s_waitcnt lgkmcnt(0)
	v_fma_f64 v[60:61], -v[98:99], v[118:119], v[60:61]
	v_fma_f64 v[58:59], -v[98:99], v[120:121], v[58:59]
	v_fma_f64 v[56:57], -v[98:99], v[122:123], v[56:57]
	ds_read2_b64 v[118:121], v112 offset0:28 offset1:29
	v_fma_f64 v[54:55], -v[98:99], v[124:125], v[54:55]
	ds_read2_b64 v[122:125], v112 offset0:30 offset1:31
	v_fma_f64 v[52:53], -v[98:99], v[126:127], v[52:53]
	v_fma_f64 v[50:51], -v[98:99], v[128:129], v[50:51]
	ds_read2_b64 v[126:129], v112 offset0:32 offset1:33
	s_waitcnt lgkmcnt(0)
	v_fma_f64 v[48:49], -v[98:99], v[118:119], v[48:49]
	v_fma_f64 v[46:47], -v[98:99], v[120:121], v[46:47]
	ds_read2_b64 v[118:121], v112 offset0:34 offset1:35
	v_fma_f64 v[44:45], -v[98:99], v[122:123], v[44:45]
	v_fma_f64 v[42:43], -v[98:99], v[124:125], v[42:43]
	v_fma_f64 v[40:41], -v[98:99], v[126:127], v[40:41]
	ds_read2_b64 v[122:125], v112 offset0:36 offset1:37
	v_fma_f64 v[38:39], -v[98:99], v[128:129], v[38:39]
	ds_read2_b64 v[126:129], v112 offset0:38 offset1:39
	s_waitcnt lgkmcnt(0)
	v_fma_f64 v[36:37], -v[98:99], v[118:119], v[36:37]
	v_fma_f64 v[34:35], -v[98:99], v[120:121], v[34:35]
	v_fma_f64 v[32:33], -v[98:99], v[122:123], v[32:33]
	ds_read2_b64 v[118:121], v112 offset0:40 offset1:41
	v_fma_f64 v[30:31], -v[98:99], v[124:125], v[30:31]
	ds_read2_b64 v[122:125], v112 offset0:42 offset1:43
	v_fma_f64 v[28:29], -v[98:99], v[126:127], v[28:29]
	v_fma_f64 v[26:27], -v[98:99], v[128:129], v[26:27]
	ds_read2_b64 v[126:129], v112 offset0:44 offset1:45
	s_waitcnt lgkmcnt(0)
	v_fma_f64 v[24:25], -v[98:99], v[118:119], v[24:25]
	v_fma_f64 v[22:23], -v[98:99], v[120:121], v[22:23]
	ds_read2_b64 v[118:121], v112 offset0:46 offset1:47
	v_fma_f64 v[20:21], -v[98:99], v[122:123], v[20:21]
	v_fma_f64 v[18:19], -v[98:99], v[124:125], v[18:19]
	;; [unrolled: 1-line block ×3, first 2 shown]
	ds_read2_b64 v[122:125], v112 offset0:48 offset1:49
	v_fma_f64 v[14:15], -v[98:99], v[128:129], v[14:15]
	ds_read2_b64 v[126:129], v112 offset0:50 offset1:51
	s_waitcnt lgkmcnt(0)
	v_fma_f64 v[12:13], -v[98:99], v[118:119], v[12:13]
	v_fma_f64 v[10:11], -v[98:99], v[120:121], v[10:11]
	;; [unrolled: 1-line block ×6, first 2 shown]
.LBB102_63:
	s_or_b64 exec, exec, s[0:1]
	v_lshl_add_u32 v108, v113, 3, v112
	s_barrier
	ds_write_b64 v108, v[96:97]
	s_waitcnt lgkmcnt(0)
	s_barrier
	ds_read_b64 v[108:109], v112 offset:32
	s_cmp_lt_i32 s18, 6
	v_mov_b32_e32 v110, 4
	s_cbranch_scc1 .LBB102_66
; %bb.64:
	v_add3_u32 v118, v117, 0, 40
	s_mov_b32 s0, 5
	v_mov_b32_e32 v110, 4
.LBB102_65:                             ; =>This Inner Loop Header: Depth=1
	ds_read_b64 v[120:121], v118
	v_mov_b32_e32 v119, s0
	s_add_i32 s0, s0, 1
	v_add_u32_e32 v118, 8, v118
	s_cmp_lg_u32 s18, s0
	s_waitcnt lgkmcnt(0)
	v_cmp_lt_f64_e64 vcc, |v[108:109]|, |v[120:121]|
	v_cndmask_b32_e32 v109, v109, v121, vcc
	v_cndmask_b32_e32 v108, v108, v120, vcc
	;; [unrolled: 1-line block ×3, first 2 shown]
	s_cbranch_scc1 .LBB102_65
.LBB102_66:
	s_waitcnt lgkmcnt(0)
	v_cmp_eq_f64_e32 vcc, 0, v[108:109]
	s_and_saveexec_b64 s[0:1], vcc
	s_xor_b64 s[0:1], exec, s[0:1]
; %bb.67:
	v_cmp_ne_u32_e32 vcc, 0, v116
	v_cndmask_b32_e32 v116, 5, v116, vcc
; %bb.68:
	s_andn2_saveexec_b64 s[0:1], s[0:1]
; %bb.69:
	v_div_scale_f64 v[118:119], s[2:3], v[108:109], v[108:109], 1.0
	v_rcp_f64_e32 v[120:121], v[118:119]
	v_div_scale_f64 v[122:123], vcc, 1.0, v[108:109], 1.0
	v_fma_f64 v[124:125], -v[118:119], v[120:121], 1.0
	v_fmac_f64_e32 v[120:121], v[120:121], v[124:125]
	v_fma_f64 v[124:125], -v[118:119], v[120:121], 1.0
	v_fmac_f64_e32 v[120:121], v[120:121], v[124:125]
	v_mul_f64 v[124:125], v[122:123], v[120:121]
	v_fma_f64 v[118:119], -v[118:119], v[124:125], v[122:123]
	v_div_fmas_f64 v[118:119], v[118:119], v[120:121], v[124:125]
	v_div_fixup_f64 v[108:109], v[118:119], v[108:109], 1.0
; %bb.70:
	s_or_b64 exec, exec, s[0:1]
	v_cmp_ne_u32_e32 vcc, v113, v110
	s_and_saveexec_b64 s[0:1], vcc
	s_xor_b64 s[0:1], exec, s[0:1]
	s_cbranch_execz .LBB102_76
; %bb.71:
	v_cmp_eq_u32_e32 vcc, 4, v113
	s_and_saveexec_b64 s[2:3], vcc
	s_cbranch_execz .LBB102_75
; %bb.72:
	v_cmp_ne_u32_e32 vcc, 4, v110
	s_xor_b64 s[14:15], s[6:7], -1
	s_and_b64 s[16:17], s[14:15], vcc
	s_and_saveexec_b64 s[14:15], s[16:17]
	s_cbranch_execz .LBB102_74
; %bb.73:
	v_ashrrev_i32_e32 v111, 31, v110
	v_lshlrev_b64 v[118:119], 2, v[110:111]
	v_add_co_u32_e32 v118, vcc, v4, v118
	v_addc_co_u32_e32 v119, vcc, v5, v119, vcc
	flat_load_dword v111, v[118:119]
	flat_load_dword v113, v[4:5] offset:16
	s_waitcnt vmcnt(0) lgkmcnt(0)
	flat_store_dword v[4:5], v111 offset:16
	flat_store_dword v[118:119], v113
.LBB102_74:
	s_or_b64 exec, exec, s[14:15]
	v_mov_b32_e32 v111, v110
	v_mov_b32_e32 v113, v110
.LBB102_75:
	s_or_b64 exec, exec, s[2:3]
.LBB102_76:
	s_andn2_saveexec_b64 s[0:1], s[0:1]
	s_cbranch_execz .LBB102_78
; %bb.77:
	v_mov_b32_e32 v113, 4
	ds_write2_b64 v112, v[94:95], v[92:93] offset0:5 offset1:6
	ds_write2_b64 v112, v[90:91], v[88:89] offset0:7 offset1:8
	ds_write2_b64 v112, v[86:87], v[84:85] offset0:9 offset1:10
	ds_write2_b64 v112, v[82:83], v[80:81] offset0:11 offset1:12
	ds_write2_b64 v112, v[78:79], v[76:77] offset0:13 offset1:14
	ds_write2_b64 v112, v[74:75], v[72:73] offset0:15 offset1:16
	ds_write2_b64 v112, v[70:71], v[68:69] offset0:17 offset1:18
	ds_write2_b64 v112, v[66:67], v[64:65] offset0:19 offset1:20
	ds_write2_b64 v112, v[62:63], v[60:61] offset0:21 offset1:22
	ds_write2_b64 v112, v[58:59], v[56:57] offset0:23 offset1:24
	ds_write2_b64 v112, v[54:55], v[52:53] offset0:25 offset1:26
	ds_write2_b64 v112, v[50:51], v[48:49] offset0:27 offset1:28
	ds_write2_b64 v112, v[46:47], v[44:45] offset0:29 offset1:30
	ds_write2_b64 v112, v[42:43], v[40:41] offset0:31 offset1:32
	ds_write2_b64 v112, v[38:39], v[36:37] offset0:33 offset1:34
	ds_write2_b64 v112, v[34:35], v[32:33] offset0:35 offset1:36
	ds_write2_b64 v112, v[30:31], v[28:29] offset0:37 offset1:38
	ds_write2_b64 v112, v[26:27], v[24:25] offset0:39 offset1:40
	ds_write2_b64 v112, v[22:23], v[20:21] offset0:41 offset1:42
	ds_write2_b64 v112, v[18:19], v[16:17] offset0:43 offset1:44
	ds_write2_b64 v112, v[14:15], v[12:13] offset0:45 offset1:46
	ds_write2_b64 v112, v[10:11], v[8:9] offset0:47 offset1:48
	ds_write2_b64 v112, v[6:7], v[0:1] offset0:49 offset1:50
	ds_write_b64 v112, v[106:107] offset:408
.LBB102_78:
	s_or_b64 exec, exec, s[0:1]
	v_cmp_lt_i32_e32 vcc, 4, v113
	s_waitcnt lgkmcnt(0)
	s_barrier
	s_and_saveexec_b64 s[0:1], vcc
	s_cbranch_execz .LBB102_80
; %bb.79:
	ds_read2_b64 v[118:121], v112 offset0:5 offset1:6
	ds_read2_b64 v[122:125], v112 offset0:7 offset1:8
	v_mul_f64 v[96:97], v[108:109], v[96:97]
	ds_read2_b64 v[126:129], v112 offset0:9 offset1:10
	ds_read_b64 v[108:109], v112 offset:408
	s_waitcnt lgkmcnt(0)
	v_fma_f64 v[94:95], -v[96:97], v[118:119], v[94:95]
	v_fma_f64 v[92:93], -v[96:97], v[120:121], v[92:93]
	ds_read2_b64 v[118:121], v112 offset0:11 offset1:12
	v_fma_f64 v[90:91], -v[96:97], v[122:123], v[90:91]
	v_fma_f64 v[88:89], -v[96:97], v[124:125], v[88:89]
	ds_read2_b64 v[122:125], v112 offset0:13 offset1:14
	;; [unrolled: 3-line block ×3, first 2 shown]
	s_waitcnt lgkmcnt(0)
	v_fma_f64 v[82:83], -v[96:97], v[118:119], v[82:83]
	v_fma_f64 v[80:81], -v[96:97], v[120:121], v[80:81]
	;; [unrolled: 1-line block ×3, first 2 shown]
	ds_read2_b64 v[118:121], v112 offset0:17 offset1:18
	v_fma_f64 v[76:77], -v[96:97], v[124:125], v[76:77]
	ds_read2_b64 v[122:125], v112 offset0:19 offset1:20
	v_fma_f64 v[74:75], -v[96:97], v[126:127], v[74:75]
	v_fma_f64 v[72:73], -v[96:97], v[128:129], v[72:73]
	s_waitcnt lgkmcnt(0)
	v_fma_f64 v[70:71], -v[96:97], v[118:119], v[70:71]
	ds_read2_b64 v[126:129], v112 offset0:21 offset1:22
	v_fma_f64 v[68:69], -v[96:97], v[120:121], v[68:69]
	ds_read2_b64 v[118:121], v112 offset0:23 offset1:24
	v_fma_f64 v[66:67], -v[96:97], v[122:123], v[66:67]
	v_fma_f64 v[64:65], -v[96:97], v[124:125], v[64:65]
	ds_read2_b64 v[122:125], v112 offset0:25 offset1:26
	s_waitcnt lgkmcnt(0)
	v_fma_f64 v[62:63], -v[96:97], v[126:127], v[62:63]
	v_fma_f64 v[60:61], -v[96:97], v[128:129], v[60:61]
	ds_read2_b64 v[126:129], v112 offset0:27 offset1:28
	v_fma_f64 v[58:59], -v[96:97], v[118:119], v[58:59]
	v_fma_f64 v[56:57], -v[96:97], v[120:121], v[56:57]
	;; [unrolled: 1-line block ×3, first 2 shown]
	ds_read2_b64 v[118:121], v112 offset0:29 offset1:30
	v_fma_f64 v[52:53], -v[96:97], v[124:125], v[52:53]
	ds_read2_b64 v[122:125], v112 offset0:31 offset1:32
	s_waitcnt lgkmcnt(0)
	v_fma_f64 v[50:51], -v[96:97], v[126:127], v[50:51]
	v_fma_f64 v[48:49], -v[96:97], v[128:129], v[48:49]
	;; [unrolled: 1-line block ×3, first 2 shown]
	ds_read2_b64 v[126:129], v112 offset0:33 offset1:34
	v_fma_f64 v[44:45], -v[96:97], v[120:121], v[44:45]
	ds_read2_b64 v[118:121], v112 offset0:35 offset1:36
	v_fma_f64 v[42:43], -v[96:97], v[122:123], v[42:43]
	v_fma_f64 v[40:41], -v[96:97], v[124:125], v[40:41]
	ds_read2_b64 v[122:125], v112 offset0:37 offset1:38
	s_waitcnt lgkmcnt(0)
	v_fma_f64 v[38:39], -v[96:97], v[126:127], v[38:39]
	v_fma_f64 v[36:37], -v[96:97], v[128:129], v[36:37]
	ds_read2_b64 v[126:129], v112 offset0:39 offset1:40
	v_fma_f64 v[34:35], -v[96:97], v[118:119], v[34:35]
	v_fma_f64 v[32:33], -v[96:97], v[120:121], v[32:33]
	;; [unrolled: 1-line block ×3, first 2 shown]
	ds_read2_b64 v[118:121], v112 offset0:41 offset1:42
	v_fma_f64 v[28:29], -v[96:97], v[124:125], v[28:29]
	ds_read2_b64 v[122:125], v112 offset0:43 offset1:44
	s_waitcnt lgkmcnt(0)
	v_fma_f64 v[26:27], -v[96:97], v[126:127], v[26:27]
	v_fma_f64 v[24:25], -v[96:97], v[128:129], v[24:25]
	;; [unrolled: 1-line block ×3, first 2 shown]
	ds_read2_b64 v[126:129], v112 offset0:45 offset1:46
	v_fma_f64 v[20:21], -v[96:97], v[120:121], v[20:21]
	ds_read2_b64 v[118:121], v112 offset0:47 offset1:48
	v_fma_f64 v[18:19], -v[96:97], v[122:123], v[18:19]
	v_fma_f64 v[16:17], -v[96:97], v[124:125], v[16:17]
	ds_read2_b64 v[122:125], v112 offset0:49 offset1:50
	s_waitcnt lgkmcnt(0)
	v_fma_f64 v[14:15], -v[96:97], v[126:127], v[14:15]
	v_fma_f64 v[12:13], -v[96:97], v[128:129], v[12:13]
	;; [unrolled: 1-line block ×7, first 2 shown]
.LBB102_80:
	s_or_b64 exec, exec, s[0:1]
	v_lshl_add_u32 v108, v113, 3, v112
	s_barrier
	ds_write_b64 v108, v[94:95]
	s_waitcnt lgkmcnt(0)
	s_barrier
	ds_read_b64 v[108:109], v112 offset:40
	s_cmp_lt_i32 s18, 7
	v_mov_b32_e32 v110, 5
	s_cbranch_scc1 .LBB102_83
; %bb.81:
	v_add3_u32 v118, v117, 0, 48
	s_mov_b32 s0, 6
	v_mov_b32_e32 v110, 5
.LBB102_82:                             ; =>This Inner Loop Header: Depth=1
	ds_read_b64 v[120:121], v118
	v_mov_b32_e32 v119, s0
	s_add_i32 s0, s0, 1
	v_add_u32_e32 v118, 8, v118
	s_cmp_lg_u32 s18, s0
	s_waitcnt lgkmcnt(0)
	v_cmp_lt_f64_e64 vcc, |v[108:109]|, |v[120:121]|
	v_cndmask_b32_e32 v109, v109, v121, vcc
	v_cndmask_b32_e32 v108, v108, v120, vcc
	v_cndmask_b32_e32 v110, v110, v119, vcc
	s_cbranch_scc1 .LBB102_82
.LBB102_83:
	s_waitcnt lgkmcnt(0)
	v_cmp_eq_f64_e32 vcc, 0, v[108:109]
	s_and_saveexec_b64 s[0:1], vcc
	s_xor_b64 s[0:1], exec, s[0:1]
; %bb.84:
	v_cmp_ne_u32_e32 vcc, 0, v116
	v_cndmask_b32_e32 v116, 6, v116, vcc
; %bb.85:
	s_andn2_saveexec_b64 s[0:1], s[0:1]
; %bb.86:
	v_div_scale_f64 v[118:119], s[2:3], v[108:109], v[108:109], 1.0
	v_rcp_f64_e32 v[120:121], v[118:119]
	v_div_scale_f64 v[122:123], vcc, 1.0, v[108:109], 1.0
	v_fma_f64 v[124:125], -v[118:119], v[120:121], 1.0
	v_fmac_f64_e32 v[120:121], v[120:121], v[124:125]
	v_fma_f64 v[124:125], -v[118:119], v[120:121], 1.0
	v_fmac_f64_e32 v[120:121], v[120:121], v[124:125]
	v_mul_f64 v[124:125], v[122:123], v[120:121]
	v_fma_f64 v[118:119], -v[118:119], v[124:125], v[122:123]
	v_div_fmas_f64 v[118:119], v[118:119], v[120:121], v[124:125]
	v_div_fixup_f64 v[108:109], v[118:119], v[108:109], 1.0
; %bb.87:
	s_or_b64 exec, exec, s[0:1]
	v_cmp_ne_u32_e32 vcc, v113, v110
	s_and_saveexec_b64 s[0:1], vcc
	s_xor_b64 s[0:1], exec, s[0:1]
	s_cbranch_execz .LBB102_93
; %bb.88:
	v_cmp_eq_u32_e32 vcc, 5, v113
	s_and_saveexec_b64 s[2:3], vcc
	s_cbranch_execz .LBB102_92
; %bb.89:
	v_cmp_ne_u32_e32 vcc, 5, v110
	s_xor_b64 s[14:15], s[6:7], -1
	s_and_b64 s[16:17], s[14:15], vcc
	s_and_saveexec_b64 s[14:15], s[16:17]
	s_cbranch_execz .LBB102_91
; %bb.90:
	v_ashrrev_i32_e32 v111, 31, v110
	v_lshlrev_b64 v[118:119], 2, v[110:111]
	v_add_co_u32_e32 v118, vcc, v4, v118
	v_addc_co_u32_e32 v119, vcc, v5, v119, vcc
	flat_load_dword v111, v[118:119]
	flat_load_dword v113, v[4:5] offset:20
	s_waitcnt vmcnt(0) lgkmcnt(0)
	flat_store_dword v[4:5], v111 offset:20
	flat_store_dword v[118:119], v113
.LBB102_91:
	s_or_b64 exec, exec, s[14:15]
	v_mov_b32_e32 v111, v110
	v_mov_b32_e32 v113, v110
.LBB102_92:
	s_or_b64 exec, exec, s[2:3]
.LBB102_93:
	s_andn2_saveexec_b64 s[0:1], s[0:1]
	s_cbranch_execz .LBB102_95
; %bb.94:
	v_mov_b32_e32 v118, v92
	v_mov_b32_e32 v119, v93
	v_mov_b32_e32 v120, v90
	v_mov_b32_e32 v121, v91
	ds_write2_b64 v112, v[118:119], v[120:121] offset0:6 offset1:7
	v_mov_b32_e32 v118, v88
	v_mov_b32_e32 v119, v89
	v_mov_b32_e32 v120, v86
	v_mov_b32_e32 v121, v87
	ds_write2_b64 v112, v[118:119], v[120:121] offset0:8 offset1:9
	;; [unrolled: 5-line block ×22, first 2 shown]
	v_mov_b32_e32 v118, v0
	v_mov_b32_e32 v119, v1
	;; [unrolled: 1-line block ×3, first 2 shown]
	ds_write2_b64 v112, v[118:119], v[106:107] offset0:50 offset1:51
.LBB102_95:
	s_or_b64 exec, exec, s[0:1]
	v_cmp_lt_i32_e32 vcc, 5, v113
	s_waitcnt lgkmcnt(0)
	s_barrier
	s_and_saveexec_b64 s[0:1], vcc
	s_cbranch_execz .LBB102_97
; %bb.96:
	ds_read2_b64 v[118:121], v112 offset0:6 offset1:7
	ds_read2_b64 v[122:125], v112 offset0:8 offset1:9
	v_mul_f64 v[94:95], v[108:109], v[94:95]
	ds_read2_b64 v[126:129], v112 offset0:10 offset1:11
	s_waitcnt lgkmcnt(0)
	v_fma_f64 v[92:93], -v[94:95], v[118:119], v[92:93]
	v_fma_f64 v[90:91], -v[94:95], v[120:121], v[90:91]
	ds_read2_b64 v[118:121], v112 offset0:12 offset1:13
	v_fma_f64 v[88:89], -v[94:95], v[122:123], v[88:89]
	v_fma_f64 v[86:87], -v[94:95], v[124:125], v[86:87]
	ds_read2_b64 v[122:125], v112 offset0:14 offset1:15
	;; [unrolled: 3-line block ×3, first 2 shown]
	s_waitcnt lgkmcnt(0)
	v_fma_f64 v[80:81], -v[94:95], v[118:119], v[80:81]
	v_fma_f64 v[78:79], -v[94:95], v[120:121], v[78:79]
	v_fma_f64 v[76:77], -v[94:95], v[122:123], v[76:77]
	ds_read2_b64 v[118:121], v112 offset0:18 offset1:19
	v_fma_f64 v[74:75], -v[94:95], v[124:125], v[74:75]
	ds_read2_b64 v[122:125], v112 offset0:20 offset1:21
	v_fma_f64 v[72:73], -v[94:95], v[126:127], v[72:73]
	v_fma_f64 v[70:71], -v[94:95], v[128:129], v[70:71]
	s_waitcnt lgkmcnt(0)
	v_fma_f64 v[68:69], -v[94:95], v[118:119], v[68:69]
	ds_read2_b64 v[126:129], v112 offset0:22 offset1:23
	v_fma_f64 v[66:67], -v[94:95], v[120:121], v[66:67]
	ds_read2_b64 v[118:121], v112 offset0:24 offset1:25
	v_fma_f64 v[64:65], -v[94:95], v[122:123], v[64:65]
	v_fma_f64 v[62:63], -v[94:95], v[124:125], v[62:63]
	ds_read2_b64 v[122:125], v112 offset0:26 offset1:27
	s_waitcnt lgkmcnt(0)
	v_fma_f64 v[60:61], -v[94:95], v[126:127], v[60:61]
	v_fma_f64 v[58:59], -v[94:95], v[128:129], v[58:59]
	ds_read2_b64 v[126:129], v112 offset0:28 offset1:29
	v_fma_f64 v[56:57], -v[94:95], v[118:119], v[56:57]
	v_fma_f64 v[54:55], -v[94:95], v[120:121], v[54:55]
	;; [unrolled: 1-line block ×3, first 2 shown]
	ds_read2_b64 v[118:121], v112 offset0:30 offset1:31
	v_fma_f64 v[50:51], -v[94:95], v[124:125], v[50:51]
	ds_read2_b64 v[122:125], v112 offset0:32 offset1:33
	s_waitcnt lgkmcnt(0)
	v_fma_f64 v[48:49], -v[94:95], v[126:127], v[48:49]
	v_fma_f64 v[46:47], -v[94:95], v[128:129], v[46:47]
	;; [unrolled: 1-line block ×3, first 2 shown]
	ds_read2_b64 v[126:129], v112 offset0:34 offset1:35
	v_fma_f64 v[42:43], -v[94:95], v[120:121], v[42:43]
	ds_read2_b64 v[118:121], v112 offset0:36 offset1:37
	v_fma_f64 v[40:41], -v[94:95], v[122:123], v[40:41]
	v_fma_f64 v[38:39], -v[94:95], v[124:125], v[38:39]
	ds_read2_b64 v[122:125], v112 offset0:38 offset1:39
	s_waitcnt lgkmcnt(0)
	v_fma_f64 v[36:37], -v[94:95], v[126:127], v[36:37]
	v_fma_f64 v[34:35], -v[94:95], v[128:129], v[34:35]
	ds_read2_b64 v[126:129], v112 offset0:40 offset1:41
	v_fma_f64 v[32:33], -v[94:95], v[118:119], v[32:33]
	v_fma_f64 v[30:31], -v[94:95], v[120:121], v[30:31]
	;; [unrolled: 1-line block ×3, first 2 shown]
	ds_read2_b64 v[118:121], v112 offset0:42 offset1:43
	v_fma_f64 v[26:27], -v[94:95], v[124:125], v[26:27]
	ds_read2_b64 v[122:125], v112 offset0:44 offset1:45
	s_waitcnt lgkmcnt(0)
	v_fma_f64 v[24:25], -v[94:95], v[126:127], v[24:25]
	v_fma_f64 v[22:23], -v[94:95], v[128:129], v[22:23]
	;; [unrolled: 1-line block ×4, first 2 shown]
	ds_read2_b64 v[118:121], v112 offset0:46 offset1:47
	ds_read2_b64 v[126:129], v112 offset0:48 offset1:49
	v_fma_f64 v[16:17], -v[94:95], v[122:123], v[16:17]
	v_fma_f64 v[14:15], -v[94:95], v[124:125], v[14:15]
	ds_read2_b64 v[122:125], v112 offset0:50 offset1:51
	s_waitcnt lgkmcnt(0)
	v_fma_f64 v[12:13], -v[94:95], v[118:119], v[12:13]
	v_fma_f64 v[10:11], -v[94:95], v[120:121], v[10:11]
	v_fma_f64 v[8:9], -v[94:95], v[126:127], v[8:9]
	v_fma_f64 v[6:7], -v[94:95], v[128:129], v[6:7]
	v_fma_f64 v[0:1], -v[94:95], v[122:123], v[0:1]
	v_fma_f64 v[106:107], -v[94:95], v[124:125], v[106:107]
.LBB102_97:
	s_or_b64 exec, exec, s[0:1]
	v_lshl_add_u32 v108, v113, 3, v112
	s_barrier
	ds_write_b64 v108, v[92:93]
	s_waitcnt lgkmcnt(0)
	s_barrier
	ds_read_b64 v[108:109], v112 offset:48
	s_cmp_lt_i32 s18, 8
	v_mov_b32_e32 v110, 6
	s_cbranch_scc1 .LBB102_100
; %bb.98:
	v_add3_u32 v118, v117, 0, 56
	s_mov_b32 s0, 7
	v_mov_b32_e32 v110, 6
.LBB102_99:                             ; =>This Inner Loop Header: Depth=1
	ds_read_b64 v[120:121], v118
	v_mov_b32_e32 v119, s0
	s_add_i32 s0, s0, 1
	v_add_u32_e32 v118, 8, v118
	s_cmp_lg_u32 s18, s0
	s_waitcnt lgkmcnt(0)
	v_cmp_lt_f64_e64 vcc, |v[108:109]|, |v[120:121]|
	v_cndmask_b32_e32 v109, v109, v121, vcc
	v_cndmask_b32_e32 v108, v108, v120, vcc
	;; [unrolled: 1-line block ×3, first 2 shown]
	s_cbranch_scc1 .LBB102_99
.LBB102_100:
	s_waitcnt lgkmcnt(0)
	v_cmp_eq_f64_e32 vcc, 0, v[108:109]
	s_and_saveexec_b64 s[0:1], vcc
	s_xor_b64 s[0:1], exec, s[0:1]
; %bb.101:
	v_cmp_ne_u32_e32 vcc, 0, v116
	v_cndmask_b32_e32 v116, 7, v116, vcc
; %bb.102:
	s_andn2_saveexec_b64 s[0:1], s[0:1]
; %bb.103:
	v_div_scale_f64 v[118:119], s[2:3], v[108:109], v[108:109], 1.0
	v_rcp_f64_e32 v[120:121], v[118:119]
	v_div_scale_f64 v[122:123], vcc, 1.0, v[108:109], 1.0
	v_fma_f64 v[124:125], -v[118:119], v[120:121], 1.0
	v_fmac_f64_e32 v[120:121], v[120:121], v[124:125]
	v_fma_f64 v[124:125], -v[118:119], v[120:121], 1.0
	v_fmac_f64_e32 v[120:121], v[120:121], v[124:125]
	v_mul_f64 v[124:125], v[122:123], v[120:121]
	v_fma_f64 v[118:119], -v[118:119], v[124:125], v[122:123]
	v_div_fmas_f64 v[118:119], v[118:119], v[120:121], v[124:125]
	v_div_fixup_f64 v[108:109], v[118:119], v[108:109], 1.0
; %bb.104:
	s_or_b64 exec, exec, s[0:1]
	v_cmp_ne_u32_e32 vcc, v113, v110
	s_and_saveexec_b64 s[0:1], vcc
	s_xor_b64 s[0:1], exec, s[0:1]
	s_cbranch_execz .LBB102_110
; %bb.105:
	v_cmp_eq_u32_e32 vcc, 6, v113
	s_and_saveexec_b64 s[2:3], vcc
	s_cbranch_execz .LBB102_109
; %bb.106:
	v_cmp_ne_u32_e32 vcc, 6, v110
	s_xor_b64 s[14:15], s[6:7], -1
	s_and_b64 s[16:17], s[14:15], vcc
	s_and_saveexec_b64 s[14:15], s[16:17]
	s_cbranch_execz .LBB102_108
; %bb.107:
	v_ashrrev_i32_e32 v111, 31, v110
	v_lshlrev_b64 v[118:119], 2, v[110:111]
	v_add_co_u32_e32 v118, vcc, v4, v118
	v_addc_co_u32_e32 v119, vcc, v5, v119, vcc
	flat_load_dword v111, v[118:119]
	flat_load_dword v113, v[4:5] offset:24
	s_waitcnt vmcnt(0) lgkmcnt(0)
	flat_store_dword v[4:5], v111 offset:24
	flat_store_dword v[118:119], v113
.LBB102_108:
	s_or_b64 exec, exec, s[14:15]
	v_mov_b32_e32 v111, v110
	v_mov_b32_e32 v113, v110
.LBB102_109:
	s_or_b64 exec, exec, s[2:3]
.LBB102_110:
	s_andn2_saveexec_b64 s[0:1], s[0:1]
	s_cbranch_execz .LBB102_112
; %bb.111:
	v_mov_b32_e32 v113, 6
	ds_write2_b64 v112, v[90:91], v[88:89] offset0:7 offset1:8
	ds_write2_b64 v112, v[86:87], v[84:85] offset0:9 offset1:10
	;; [unrolled: 1-line block ×22, first 2 shown]
	ds_write_b64 v112, v[106:107] offset:408
.LBB102_112:
	s_or_b64 exec, exec, s[0:1]
	v_cmp_lt_i32_e32 vcc, 6, v113
	s_waitcnt lgkmcnt(0)
	s_barrier
	s_and_saveexec_b64 s[0:1], vcc
	s_cbranch_execz .LBB102_114
; %bb.113:
	ds_read2_b64 v[118:121], v112 offset0:7 offset1:8
	ds_read2_b64 v[122:125], v112 offset0:9 offset1:10
	v_mul_f64 v[92:93], v[108:109], v[92:93]
	ds_read2_b64 v[126:129], v112 offset0:11 offset1:12
	ds_read_b64 v[108:109], v112 offset:408
	s_waitcnt lgkmcnt(0)
	v_fma_f64 v[90:91], -v[92:93], v[118:119], v[90:91]
	v_fma_f64 v[88:89], -v[92:93], v[120:121], v[88:89]
	ds_read2_b64 v[118:121], v112 offset0:13 offset1:14
	v_fma_f64 v[86:87], -v[92:93], v[122:123], v[86:87]
	v_fma_f64 v[84:85], -v[92:93], v[124:125], v[84:85]
	;; [unrolled: 1-line block ×3, first 2 shown]
	ds_read2_b64 v[122:125], v112 offset0:15 offset1:16
	v_fma_f64 v[80:81], -v[92:93], v[128:129], v[80:81]
	ds_read2_b64 v[126:129], v112 offset0:17 offset1:18
	s_waitcnt lgkmcnt(0)
	v_fma_f64 v[78:79], -v[92:93], v[118:119], v[78:79]
	v_fma_f64 v[76:77], -v[92:93], v[120:121], v[76:77]
	ds_read2_b64 v[118:121], v112 offset0:19 offset1:20
	v_fma_f64 v[74:75], -v[92:93], v[122:123], v[74:75]
	v_fma_f64 v[72:73], -v[92:93], v[124:125], v[72:73]
	ds_read2_b64 v[122:125], v112 offset0:21 offset1:22
	v_fma_f64 v[70:71], -v[92:93], v[126:127], v[70:71]
	v_fma_f64 v[68:69], -v[92:93], v[128:129], v[68:69]
	s_waitcnt lgkmcnt(0)
	v_fma_f64 v[66:67], -v[92:93], v[118:119], v[66:67]
	ds_read2_b64 v[126:129], v112 offset0:23 offset1:24
	v_fma_f64 v[64:65], -v[92:93], v[120:121], v[64:65]
	ds_read2_b64 v[118:121], v112 offset0:25 offset1:26
	v_fma_f64 v[62:63], -v[92:93], v[122:123], v[62:63]
	v_fma_f64 v[60:61], -v[92:93], v[124:125], v[60:61]
	s_waitcnt lgkmcnt(0)
	v_fma_f64 v[58:59], -v[92:93], v[126:127], v[58:59]
	ds_read2_b64 v[122:125], v112 offset0:27 offset1:28
	v_fma_f64 v[56:57], -v[92:93], v[128:129], v[56:57]
	ds_read2_b64 v[126:129], v112 offset0:29 offset1:30
	v_fma_f64 v[54:55], -v[92:93], v[118:119], v[54:55]
	v_fma_f64 v[52:53], -v[92:93], v[120:121], v[52:53]
	ds_read2_b64 v[118:121], v112 offset0:31 offset1:32
	s_waitcnt lgkmcnt(0)
	v_fma_f64 v[50:51], -v[92:93], v[122:123], v[50:51]
	v_fma_f64 v[48:49], -v[92:93], v[124:125], v[48:49]
	ds_read2_b64 v[122:125], v112 offset0:33 offset1:34
	v_fma_f64 v[46:47], -v[92:93], v[126:127], v[46:47]
	v_fma_f64 v[44:45], -v[92:93], v[128:129], v[44:45]
	;; [unrolled: 1-line block ×3, first 2 shown]
	ds_read2_b64 v[126:129], v112 offset0:35 offset1:36
	v_fma_f64 v[40:41], -v[92:93], v[120:121], v[40:41]
	ds_read2_b64 v[118:121], v112 offset0:37 offset1:38
	s_waitcnt lgkmcnt(0)
	v_fma_f64 v[38:39], -v[92:93], v[122:123], v[38:39]
	v_fma_f64 v[36:37], -v[92:93], v[124:125], v[36:37]
	;; [unrolled: 1-line block ×3, first 2 shown]
	ds_read2_b64 v[122:125], v112 offset0:39 offset1:40
	v_fma_f64 v[32:33], -v[92:93], v[128:129], v[32:33]
	ds_read2_b64 v[126:129], v112 offset0:41 offset1:42
	v_fma_f64 v[30:31], -v[92:93], v[118:119], v[30:31]
	v_fma_f64 v[28:29], -v[92:93], v[120:121], v[28:29]
	ds_read2_b64 v[118:121], v112 offset0:43 offset1:44
	s_waitcnt lgkmcnt(0)
	v_fma_f64 v[26:27], -v[92:93], v[122:123], v[26:27]
	v_fma_f64 v[24:25], -v[92:93], v[124:125], v[24:25]
	ds_read2_b64 v[122:125], v112 offset0:45 offset1:46
	v_fma_f64 v[22:23], -v[92:93], v[126:127], v[22:23]
	v_fma_f64 v[20:21], -v[92:93], v[128:129], v[20:21]
	v_fma_f64 v[18:19], -v[92:93], v[118:119], v[18:19]
	v_fma_f64 v[16:17], -v[92:93], v[120:121], v[16:17]
	ds_read2_b64 v[118:121], v112 offset0:47 offset1:48
	ds_read2_b64 v[126:129], v112 offset0:49 offset1:50
	s_waitcnt lgkmcnt(0)
	v_fma_f64 v[14:15], -v[92:93], v[122:123], v[14:15]
	v_fma_f64 v[12:13], -v[92:93], v[124:125], v[12:13]
	v_fma_f64 v[106:107], -v[92:93], v[108:109], v[106:107]
	v_fma_f64 v[10:11], -v[92:93], v[118:119], v[10:11]
	v_fma_f64 v[8:9], -v[92:93], v[120:121], v[8:9]
	v_fma_f64 v[6:7], -v[92:93], v[126:127], v[6:7]
	v_fma_f64 v[0:1], -v[92:93], v[128:129], v[0:1]
.LBB102_114:
	s_or_b64 exec, exec, s[0:1]
	v_lshl_add_u32 v108, v113, 3, v112
	s_barrier
	ds_write_b64 v108, v[90:91]
	s_waitcnt lgkmcnt(0)
	s_barrier
	ds_read_b64 v[108:109], v112 offset:56
	s_cmp_lt_i32 s18, 9
	v_mov_b32_e32 v110, 7
	s_cbranch_scc1 .LBB102_117
; %bb.115:
	v_add3_u32 v117, v117, 0, 64
	s_mov_b32 s0, 8
	v_mov_b32_e32 v110, 7
.LBB102_116:                            ; =>This Inner Loop Header: Depth=1
	ds_read_b64 v[118:119], v117
	v_mov_b32_e32 v120, s0
	s_add_i32 s0, s0, 1
	v_add_u32_e32 v117, 8, v117
	s_cmp_lg_u32 s18, s0
	s_waitcnt lgkmcnt(0)
	v_cmp_lt_f64_e64 vcc, |v[108:109]|, |v[118:119]|
	v_cndmask_b32_e32 v109, v109, v119, vcc
	v_cndmask_b32_e32 v108, v108, v118, vcc
	;; [unrolled: 1-line block ×3, first 2 shown]
	s_cbranch_scc1 .LBB102_116
.LBB102_117:
	s_waitcnt lgkmcnt(0)
	v_cmp_eq_f64_e32 vcc, 0, v[108:109]
	s_and_saveexec_b64 s[0:1], vcc
	s_xor_b64 s[0:1], exec, s[0:1]
; %bb.118:
	v_cmp_ne_u32_e32 vcc, 0, v116
	v_cndmask_b32_e32 v116, 8, v116, vcc
; %bb.119:
	s_andn2_saveexec_b64 s[0:1], s[0:1]
; %bb.120:
	v_div_scale_f64 v[118:119], s[2:3], v[108:109], v[108:109], 1.0
	v_rcp_f64_e32 v[120:121], v[118:119]
	v_div_scale_f64 v[122:123], vcc, 1.0, v[108:109], 1.0
	v_fma_f64 v[124:125], -v[118:119], v[120:121], 1.0
	v_fmac_f64_e32 v[120:121], v[120:121], v[124:125]
	v_fma_f64 v[124:125], -v[118:119], v[120:121], 1.0
	v_fmac_f64_e32 v[120:121], v[120:121], v[124:125]
	v_mul_f64 v[124:125], v[122:123], v[120:121]
	v_fma_f64 v[118:119], -v[118:119], v[124:125], v[122:123]
	v_div_fmas_f64 v[118:119], v[118:119], v[120:121], v[124:125]
	v_div_fixup_f64 v[108:109], v[118:119], v[108:109], 1.0
; %bb.121:
	s_or_b64 exec, exec, s[0:1]
	v_cmp_ne_u32_e32 vcc, v113, v110
	s_and_saveexec_b64 s[0:1], vcc
	s_xor_b64 s[0:1], exec, s[0:1]
	s_cbranch_execz .LBB102_127
; %bb.122:
	v_cmp_eq_u32_e32 vcc, 7, v113
	s_and_saveexec_b64 s[2:3], vcc
	s_cbranch_execz .LBB102_126
; %bb.123:
	v_cmp_ne_u32_e32 vcc, 7, v110
	s_xor_b64 s[14:15], s[6:7], -1
	s_and_b64 s[16:17], s[14:15], vcc
	s_and_saveexec_b64 s[14:15], s[16:17]
	s_cbranch_execz .LBB102_125
; %bb.124:
	v_ashrrev_i32_e32 v111, 31, v110
	v_lshlrev_b64 v[118:119], 2, v[110:111]
	v_add_co_u32_e32 v118, vcc, v4, v118
	v_addc_co_u32_e32 v119, vcc, v5, v119, vcc
	flat_load_dword v111, v[118:119]
	flat_load_dword v113, v[4:5] offset:28
	s_waitcnt vmcnt(0) lgkmcnt(0)
	flat_store_dword v[4:5], v111 offset:28
	flat_store_dword v[118:119], v113
.LBB102_125:
	s_or_b64 exec, exec, s[14:15]
	v_mov_b32_e32 v111, v110
	v_mov_b32_e32 v113, v110
.LBB102_126:
	s_or_b64 exec, exec, s[2:3]
.LBB102_127:
	s_andn2_saveexec_b64 s[0:1], s[0:1]
	s_cbranch_execz .LBB102_129
; %bb.128:
	v_mov_b32_e32 v118, v88
	v_mov_b32_e32 v119, v89
	v_mov_b32_e32 v120, v86
	v_mov_b32_e32 v121, v87
	ds_write2_b64 v112, v[118:119], v[120:121] offset0:8 offset1:9
	v_mov_b32_e32 v118, v84
	v_mov_b32_e32 v119, v85
	v_mov_b32_e32 v120, v82
	v_mov_b32_e32 v121, v83
	ds_write2_b64 v112, v[118:119], v[120:121] offset0:10 offset1:11
	v_mov_b32_e32 v118, v80
	v_mov_b32_e32 v119, v81
	v_mov_b32_e32 v120, v78
	v_mov_b32_e32 v121, v79
	ds_write2_b64 v112, v[118:119], v[120:121] offset0:12 offset1:13
	v_mov_b32_e32 v118, v76
	v_mov_b32_e32 v119, v77
	v_mov_b32_e32 v120, v74
	v_mov_b32_e32 v121, v75
	ds_write2_b64 v112, v[118:119], v[120:121] offset0:14 offset1:15
	v_mov_b32_e32 v118, v72
	v_mov_b32_e32 v119, v73
	v_mov_b32_e32 v120, v70
	v_mov_b32_e32 v121, v71
	ds_write2_b64 v112, v[118:119], v[120:121] offset0:16 offset1:17
	v_mov_b32_e32 v118, v68
	v_mov_b32_e32 v119, v69
	v_mov_b32_e32 v120, v66
	v_mov_b32_e32 v121, v67
	ds_write2_b64 v112, v[118:119], v[120:121] offset0:18 offset1:19
	v_mov_b32_e32 v118, v64
	v_mov_b32_e32 v119, v65
	v_mov_b32_e32 v120, v62
	v_mov_b32_e32 v121, v63
	ds_write2_b64 v112, v[118:119], v[120:121] offset0:20 offset1:21
	v_mov_b32_e32 v118, v60
	v_mov_b32_e32 v119, v61
	v_mov_b32_e32 v120, v58
	v_mov_b32_e32 v121, v59
	ds_write2_b64 v112, v[118:119], v[120:121] offset0:22 offset1:23
	v_mov_b32_e32 v118, v56
	v_mov_b32_e32 v119, v57
	v_mov_b32_e32 v120, v54
	v_mov_b32_e32 v121, v55
	ds_write2_b64 v112, v[118:119], v[120:121] offset0:24 offset1:25
	v_mov_b32_e32 v118, v52
	v_mov_b32_e32 v119, v53
	v_mov_b32_e32 v120, v50
	v_mov_b32_e32 v121, v51
	ds_write2_b64 v112, v[118:119], v[120:121] offset0:26 offset1:27
	v_mov_b32_e32 v118, v48
	v_mov_b32_e32 v119, v49
	v_mov_b32_e32 v120, v46
	v_mov_b32_e32 v121, v47
	ds_write2_b64 v112, v[118:119], v[120:121] offset0:28 offset1:29
	v_mov_b32_e32 v118, v44
	v_mov_b32_e32 v119, v45
	v_mov_b32_e32 v120, v42
	v_mov_b32_e32 v121, v43
	ds_write2_b64 v112, v[118:119], v[120:121] offset0:30 offset1:31
	v_mov_b32_e32 v118, v40
	v_mov_b32_e32 v119, v41
	v_mov_b32_e32 v120, v38
	v_mov_b32_e32 v121, v39
	ds_write2_b64 v112, v[118:119], v[120:121] offset0:32 offset1:33
	v_mov_b32_e32 v118, v36
	v_mov_b32_e32 v119, v37
	v_mov_b32_e32 v120, v34
	v_mov_b32_e32 v121, v35
	ds_write2_b64 v112, v[118:119], v[120:121] offset0:34 offset1:35
	v_mov_b32_e32 v118, v32
	v_mov_b32_e32 v119, v33
	v_mov_b32_e32 v120, v30
	v_mov_b32_e32 v121, v31
	ds_write2_b64 v112, v[118:119], v[120:121] offset0:36 offset1:37
	v_mov_b32_e32 v118, v28
	v_mov_b32_e32 v119, v29
	v_mov_b32_e32 v120, v26
	v_mov_b32_e32 v121, v27
	ds_write2_b64 v112, v[118:119], v[120:121] offset0:38 offset1:39
	v_mov_b32_e32 v118, v24
	v_mov_b32_e32 v119, v25
	v_mov_b32_e32 v120, v22
	v_mov_b32_e32 v121, v23
	ds_write2_b64 v112, v[118:119], v[120:121] offset0:40 offset1:41
	v_mov_b32_e32 v118, v20
	v_mov_b32_e32 v119, v21
	v_mov_b32_e32 v120, v18
	v_mov_b32_e32 v121, v19
	ds_write2_b64 v112, v[118:119], v[120:121] offset0:42 offset1:43
	v_mov_b32_e32 v118, v16
	v_mov_b32_e32 v119, v17
	v_mov_b32_e32 v120, v14
	v_mov_b32_e32 v121, v15
	ds_write2_b64 v112, v[118:119], v[120:121] offset0:44 offset1:45
	v_mov_b32_e32 v118, v12
	v_mov_b32_e32 v119, v13
	v_mov_b32_e32 v120, v10
	v_mov_b32_e32 v121, v11
	ds_write2_b64 v112, v[118:119], v[120:121] offset0:46 offset1:47
	v_mov_b32_e32 v118, v8
	v_mov_b32_e32 v119, v9
	v_mov_b32_e32 v120, v6
	v_mov_b32_e32 v121, v7
	ds_write2_b64 v112, v[118:119], v[120:121] offset0:48 offset1:49
	v_mov_b32_e32 v118, v0
	v_mov_b32_e32 v119, v1
	;; [unrolled: 1-line block ×3, first 2 shown]
	ds_write2_b64 v112, v[118:119], v[106:107] offset0:50 offset1:51
.LBB102_129:
	s_or_b64 exec, exec, s[0:1]
	v_cmp_lt_i32_e32 vcc, 7, v113
	s_waitcnt lgkmcnt(0)
	s_barrier
	s_and_saveexec_b64 s[0:1], vcc
	s_cbranch_execz .LBB102_131
; %bb.130:
	ds_read2_b64 v[118:121], v112 offset0:8 offset1:9
	ds_read2_b64 v[122:125], v112 offset0:10 offset1:11
	v_mul_f64 v[90:91], v[108:109], v[90:91]
	ds_read2_b64 v[126:129], v112 offset0:12 offset1:13
	s_waitcnt lgkmcnt(0)
	v_fma_f64 v[88:89], -v[90:91], v[118:119], v[88:89]
	v_fma_f64 v[86:87], -v[90:91], v[120:121], v[86:87]
	ds_read2_b64 v[118:121], v112 offset0:14 offset1:15
	v_fma_f64 v[84:85], -v[90:91], v[122:123], v[84:85]
	v_fma_f64 v[82:83], -v[90:91], v[124:125], v[82:83]
	;; [unrolled: 1-line block ×3, first 2 shown]
	ds_read2_b64 v[122:125], v112 offset0:16 offset1:17
	v_fma_f64 v[78:79], -v[90:91], v[128:129], v[78:79]
	ds_read2_b64 v[126:129], v112 offset0:18 offset1:19
	s_waitcnt lgkmcnt(0)
	v_fma_f64 v[76:77], -v[90:91], v[118:119], v[76:77]
	v_fma_f64 v[74:75], -v[90:91], v[120:121], v[74:75]
	ds_read2_b64 v[118:121], v112 offset0:20 offset1:21
	v_fma_f64 v[72:73], -v[90:91], v[122:123], v[72:73]
	v_fma_f64 v[70:71], -v[90:91], v[124:125], v[70:71]
	ds_read2_b64 v[122:125], v112 offset0:22 offset1:23
	v_fma_f64 v[68:69], -v[90:91], v[126:127], v[68:69]
	v_fma_f64 v[66:67], -v[90:91], v[128:129], v[66:67]
	s_waitcnt lgkmcnt(0)
	v_fma_f64 v[64:65], -v[90:91], v[118:119], v[64:65]
	ds_read2_b64 v[126:129], v112 offset0:24 offset1:25
	v_fma_f64 v[62:63], -v[90:91], v[120:121], v[62:63]
	ds_read2_b64 v[118:121], v112 offset0:26 offset1:27
	v_fma_f64 v[60:61], -v[90:91], v[122:123], v[60:61]
	v_fma_f64 v[58:59], -v[90:91], v[124:125], v[58:59]
	s_waitcnt lgkmcnt(0)
	v_fma_f64 v[56:57], -v[90:91], v[126:127], v[56:57]
	ds_read2_b64 v[122:125], v112 offset0:28 offset1:29
	v_fma_f64 v[54:55], -v[90:91], v[128:129], v[54:55]
	ds_read2_b64 v[126:129], v112 offset0:30 offset1:31
	v_fma_f64 v[52:53], -v[90:91], v[118:119], v[52:53]
	v_fma_f64 v[50:51], -v[90:91], v[120:121], v[50:51]
	ds_read2_b64 v[118:121], v112 offset0:32 offset1:33
	s_waitcnt lgkmcnt(0)
	v_fma_f64 v[48:49], -v[90:91], v[122:123], v[48:49]
	v_fma_f64 v[46:47], -v[90:91], v[124:125], v[46:47]
	ds_read2_b64 v[122:125], v112 offset0:34 offset1:35
	v_fma_f64 v[44:45], -v[90:91], v[126:127], v[44:45]
	v_fma_f64 v[42:43], -v[90:91], v[128:129], v[42:43]
	;; [unrolled: 1-line block ×3, first 2 shown]
	ds_read2_b64 v[126:129], v112 offset0:36 offset1:37
	v_fma_f64 v[38:39], -v[90:91], v[120:121], v[38:39]
	ds_read2_b64 v[118:121], v112 offset0:38 offset1:39
	s_waitcnt lgkmcnt(0)
	v_fma_f64 v[36:37], -v[90:91], v[122:123], v[36:37]
	v_fma_f64 v[34:35], -v[90:91], v[124:125], v[34:35]
	;; [unrolled: 1-line block ×3, first 2 shown]
	ds_read2_b64 v[122:125], v112 offset0:40 offset1:41
	v_fma_f64 v[30:31], -v[90:91], v[128:129], v[30:31]
	ds_read2_b64 v[126:129], v112 offset0:42 offset1:43
	v_fma_f64 v[28:29], -v[90:91], v[118:119], v[28:29]
	v_fma_f64 v[26:27], -v[90:91], v[120:121], v[26:27]
	ds_read2_b64 v[118:121], v112 offset0:44 offset1:45
	s_waitcnt lgkmcnt(0)
	v_fma_f64 v[24:25], -v[90:91], v[122:123], v[24:25]
	v_fma_f64 v[22:23], -v[90:91], v[124:125], v[22:23]
	ds_read2_b64 v[122:125], v112 offset0:46 offset1:47
	v_fma_f64 v[20:21], -v[90:91], v[126:127], v[20:21]
	v_fma_f64 v[18:19], -v[90:91], v[128:129], v[18:19]
	;; [unrolled: 1-line block ×3, first 2 shown]
	ds_read2_b64 v[126:129], v112 offset0:48 offset1:49
	v_fma_f64 v[14:15], -v[90:91], v[120:121], v[14:15]
	ds_read2_b64 v[118:121], v112 offset0:50 offset1:51
	s_waitcnt lgkmcnt(0)
	v_fma_f64 v[12:13], -v[90:91], v[122:123], v[12:13]
	v_fma_f64 v[10:11], -v[90:91], v[124:125], v[10:11]
	;; [unrolled: 1-line block ×6, first 2 shown]
.LBB102_131:
	s_or_b64 exec, exec, s[0:1]
	v_lshl_add_u32 v108, v113, 3, v112
	s_barrier
	ds_write_b64 v108, v[88:89]
	s_waitcnt lgkmcnt(0)
	s_barrier
	ds_read_b64 v[108:109], v112 offset:64
	s_cmp_lt_i32 s18, 10
	v_mov_b32_e32 v110, 8
	s_cbranch_scc1 .LBB102_134
; %bb.132:
	v_add_u32_e32 v117, 0x48, v112
	s_mov_b32 s0, 9
	v_mov_b32_e32 v110, 8
.LBB102_133:                            ; =>This Inner Loop Header: Depth=1
	ds_read_b64 v[118:119], v117
	v_mov_b32_e32 v120, s0
	s_add_i32 s0, s0, 1
	v_add_u32_e32 v117, 8, v117
	s_cmp_lg_u32 s18, s0
	s_waitcnt lgkmcnt(0)
	v_cmp_lt_f64_e64 vcc, |v[108:109]|, |v[118:119]|
	v_cndmask_b32_e32 v109, v109, v119, vcc
	v_cndmask_b32_e32 v108, v108, v118, vcc
	;; [unrolled: 1-line block ×3, first 2 shown]
	s_cbranch_scc1 .LBB102_133
.LBB102_134:
	s_waitcnt lgkmcnt(0)
	v_cmp_eq_f64_e32 vcc, 0, v[108:109]
	s_and_saveexec_b64 s[0:1], vcc
	s_xor_b64 s[0:1], exec, s[0:1]
; %bb.135:
	v_cmp_ne_u32_e32 vcc, 0, v116
	v_cndmask_b32_e32 v116, 9, v116, vcc
; %bb.136:
	s_andn2_saveexec_b64 s[0:1], s[0:1]
; %bb.137:
	v_div_scale_f64 v[118:119], s[2:3], v[108:109], v[108:109], 1.0
	v_rcp_f64_e32 v[120:121], v[118:119]
	v_div_scale_f64 v[122:123], vcc, 1.0, v[108:109], 1.0
	v_fma_f64 v[124:125], -v[118:119], v[120:121], 1.0
	v_fmac_f64_e32 v[120:121], v[120:121], v[124:125]
	v_fma_f64 v[124:125], -v[118:119], v[120:121], 1.0
	v_fmac_f64_e32 v[120:121], v[120:121], v[124:125]
	v_mul_f64 v[124:125], v[122:123], v[120:121]
	v_fma_f64 v[118:119], -v[118:119], v[124:125], v[122:123]
	v_div_fmas_f64 v[118:119], v[118:119], v[120:121], v[124:125]
	v_div_fixup_f64 v[108:109], v[118:119], v[108:109], 1.0
; %bb.138:
	s_or_b64 exec, exec, s[0:1]
	v_cmp_ne_u32_e32 vcc, v113, v110
	s_and_saveexec_b64 s[0:1], vcc
	s_xor_b64 s[0:1], exec, s[0:1]
	s_cbranch_execz .LBB102_144
; %bb.139:
	v_cmp_eq_u32_e32 vcc, 8, v113
	s_and_saveexec_b64 s[2:3], vcc
	s_cbranch_execz .LBB102_143
; %bb.140:
	v_cmp_ne_u32_e32 vcc, 8, v110
	s_xor_b64 s[14:15], s[6:7], -1
	s_and_b64 s[16:17], s[14:15], vcc
	s_and_saveexec_b64 s[14:15], s[16:17]
	s_cbranch_execz .LBB102_142
; %bb.141:
	v_ashrrev_i32_e32 v111, 31, v110
	v_lshlrev_b64 v[118:119], 2, v[110:111]
	v_add_co_u32_e32 v118, vcc, v4, v118
	v_addc_co_u32_e32 v119, vcc, v5, v119, vcc
	flat_load_dword v111, v[118:119]
	flat_load_dword v113, v[4:5] offset:32
	s_waitcnt vmcnt(0) lgkmcnt(0)
	flat_store_dword v[4:5], v111 offset:32
	flat_store_dword v[118:119], v113
.LBB102_142:
	s_or_b64 exec, exec, s[14:15]
	v_mov_b32_e32 v111, v110
	v_mov_b32_e32 v113, v110
.LBB102_143:
	s_or_b64 exec, exec, s[2:3]
.LBB102_144:
	s_andn2_saveexec_b64 s[0:1], s[0:1]
	s_cbranch_execz .LBB102_146
; %bb.145:
	v_mov_b32_e32 v113, 8
	ds_write2_b64 v112, v[86:87], v[84:85] offset0:9 offset1:10
	ds_write2_b64 v112, v[82:83], v[80:81] offset0:11 offset1:12
	;; [unrolled: 1-line block ×21, first 2 shown]
	ds_write_b64 v112, v[106:107] offset:408
.LBB102_146:
	s_or_b64 exec, exec, s[0:1]
	v_cmp_lt_i32_e32 vcc, 8, v113
	s_waitcnt lgkmcnt(0)
	s_barrier
	s_and_saveexec_b64 s[0:1], vcc
	s_cbranch_execz .LBB102_148
; %bb.147:
	ds_read2_b64 v[118:121], v112 offset0:9 offset1:10
	ds_read2_b64 v[122:125], v112 offset0:11 offset1:12
	;; [unrolled: 1-line block ×3, first 2 shown]
	v_mul_f64 v[88:89], v[108:109], v[88:89]
	ds_read_b64 v[108:109], v112 offset:408
	s_waitcnt lgkmcnt(0)
	v_fma_f64 v[86:87], -v[88:89], v[118:119], v[86:87]
	v_fma_f64 v[84:85], -v[88:89], v[120:121], v[84:85]
	ds_read2_b64 v[118:121], v112 offset0:15 offset1:16
	v_fma_f64 v[82:83], -v[88:89], v[122:123], v[82:83]
	v_fma_f64 v[80:81], -v[88:89], v[124:125], v[80:81]
	v_fma_f64 v[78:79], -v[88:89], v[126:127], v[78:79]
	ds_read2_b64 v[122:125], v112 offset0:17 offset1:18
	v_fma_f64 v[76:77], -v[88:89], v[128:129], v[76:77]
	ds_read2_b64 v[126:129], v112 offset0:19 offset1:20
	s_waitcnt lgkmcnt(0)
	v_fma_f64 v[74:75], -v[88:89], v[118:119], v[74:75]
	v_fma_f64 v[72:73], -v[88:89], v[120:121], v[72:73]
	v_fma_f64 v[70:71], -v[88:89], v[122:123], v[70:71]
	ds_read2_b64 v[118:121], v112 offset0:21 offset1:22
	v_fma_f64 v[68:69], -v[88:89], v[124:125], v[68:69]
	ds_read2_b64 v[122:125], v112 offset0:23 offset1:24
	v_fma_f64 v[66:67], -v[88:89], v[126:127], v[66:67]
	v_fma_f64 v[64:65], -v[88:89], v[128:129], v[64:65]
	ds_read2_b64 v[126:129], v112 offset0:25 offset1:26
	s_waitcnt lgkmcnt(0)
	v_fma_f64 v[62:63], -v[88:89], v[118:119], v[62:63]
	v_fma_f64 v[60:61], -v[88:89], v[120:121], v[60:61]
	ds_read2_b64 v[118:121], v112 offset0:27 offset1:28
	v_fma_f64 v[58:59], -v[88:89], v[122:123], v[58:59]
	v_fma_f64 v[56:57], -v[88:89], v[124:125], v[56:57]
	v_fma_f64 v[54:55], -v[88:89], v[126:127], v[54:55]
	ds_read2_b64 v[122:125], v112 offset0:29 offset1:30
	v_fma_f64 v[52:53], -v[88:89], v[128:129], v[52:53]
	ds_read2_b64 v[126:129], v112 offset0:31 offset1:32
	s_waitcnt lgkmcnt(0)
	v_fma_f64 v[50:51], -v[88:89], v[118:119], v[50:51]
	v_fma_f64 v[48:49], -v[88:89], v[120:121], v[48:49]
	v_fma_f64 v[46:47], -v[88:89], v[122:123], v[46:47]
	ds_read2_b64 v[118:121], v112 offset0:33 offset1:34
	v_fma_f64 v[44:45], -v[88:89], v[124:125], v[44:45]
	ds_read2_b64 v[122:125], v112 offset0:35 offset1:36
	v_fma_f64 v[42:43], -v[88:89], v[126:127], v[42:43]
	v_fma_f64 v[40:41], -v[88:89], v[128:129], v[40:41]
	ds_read2_b64 v[126:129], v112 offset0:37 offset1:38
	;; [unrolled: 20-line block ×3, first 2 shown]
	s_waitcnt lgkmcnt(0)
	v_fma_f64 v[14:15], -v[88:89], v[118:119], v[14:15]
	v_fma_f64 v[12:13], -v[88:89], v[120:121], v[12:13]
	;; [unrolled: 1-line block ×7, first 2 shown]
.LBB102_148:
	s_or_b64 exec, exec, s[0:1]
	v_lshl_add_u32 v108, v113, 3, v112
	s_barrier
	ds_write_b64 v108, v[86:87]
	s_waitcnt lgkmcnt(0)
	s_barrier
	ds_read_b64 v[108:109], v112 offset:72
	s_cmp_lt_i32 s18, 11
	v_mov_b32_e32 v110, 9
	s_cbranch_scc1 .LBB102_151
; %bb.149:
	v_add_u32_e32 v117, 0x50, v112
	s_mov_b32 s0, 10
	v_mov_b32_e32 v110, 9
.LBB102_150:                            ; =>This Inner Loop Header: Depth=1
	ds_read_b64 v[118:119], v117
	v_mov_b32_e32 v120, s0
	s_add_i32 s0, s0, 1
	v_add_u32_e32 v117, 8, v117
	s_cmp_lg_u32 s18, s0
	s_waitcnt lgkmcnt(0)
	v_cmp_lt_f64_e64 vcc, |v[108:109]|, |v[118:119]|
	v_cndmask_b32_e32 v109, v109, v119, vcc
	v_cndmask_b32_e32 v108, v108, v118, vcc
	;; [unrolled: 1-line block ×3, first 2 shown]
	s_cbranch_scc1 .LBB102_150
.LBB102_151:
	s_waitcnt lgkmcnt(0)
	v_cmp_eq_f64_e32 vcc, 0, v[108:109]
	s_and_saveexec_b64 s[0:1], vcc
	s_xor_b64 s[0:1], exec, s[0:1]
; %bb.152:
	v_cmp_ne_u32_e32 vcc, 0, v116
	v_cndmask_b32_e32 v116, 10, v116, vcc
; %bb.153:
	s_andn2_saveexec_b64 s[0:1], s[0:1]
; %bb.154:
	v_div_scale_f64 v[118:119], s[2:3], v[108:109], v[108:109], 1.0
	v_rcp_f64_e32 v[120:121], v[118:119]
	v_div_scale_f64 v[122:123], vcc, 1.0, v[108:109], 1.0
	v_fma_f64 v[124:125], -v[118:119], v[120:121], 1.0
	v_fmac_f64_e32 v[120:121], v[120:121], v[124:125]
	v_fma_f64 v[124:125], -v[118:119], v[120:121], 1.0
	v_fmac_f64_e32 v[120:121], v[120:121], v[124:125]
	v_mul_f64 v[124:125], v[122:123], v[120:121]
	v_fma_f64 v[118:119], -v[118:119], v[124:125], v[122:123]
	v_div_fmas_f64 v[118:119], v[118:119], v[120:121], v[124:125]
	v_div_fixup_f64 v[108:109], v[118:119], v[108:109], 1.0
; %bb.155:
	s_or_b64 exec, exec, s[0:1]
	v_cmp_ne_u32_e32 vcc, v113, v110
	s_and_saveexec_b64 s[0:1], vcc
	s_xor_b64 s[0:1], exec, s[0:1]
	s_cbranch_execz .LBB102_161
; %bb.156:
	v_cmp_eq_u32_e32 vcc, 9, v113
	s_and_saveexec_b64 s[2:3], vcc
	s_cbranch_execz .LBB102_160
; %bb.157:
	v_cmp_ne_u32_e32 vcc, 9, v110
	s_xor_b64 s[14:15], s[6:7], -1
	s_and_b64 s[16:17], s[14:15], vcc
	s_and_saveexec_b64 s[14:15], s[16:17]
	s_cbranch_execz .LBB102_159
; %bb.158:
	v_ashrrev_i32_e32 v111, 31, v110
	v_lshlrev_b64 v[118:119], 2, v[110:111]
	v_add_co_u32_e32 v118, vcc, v4, v118
	v_addc_co_u32_e32 v119, vcc, v5, v119, vcc
	flat_load_dword v111, v[118:119]
	flat_load_dword v113, v[4:5] offset:36
	s_waitcnt vmcnt(0) lgkmcnt(0)
	flat_store_dword v[4:5], v111 offset:36
	flat_store_dword v[118:119], v113
.LBB102_159:
	s_or_b64 exec, exec, s[14:15]
	v_mov_b32_e32 v111, v110
	v_mov_b32_e32 v113, v110
.LBB102_160:
	s_or_b64 exec, exec, s[2:3]
.LBB102_161:
	s_andn2_saveexec_b64 s[0:1], s[0:1]
	s_cbranch_execz .LBB102_163
; %bb.162:
	v_mov_b32_e32 v118, v84
	v_mov_b32_e32 v119, v85
	v_mov_b32_e32 v120, v82
	v_mov_b32_e32 v121, v83
	ds_write2_b64 v112, v[118:119], v[120:121] offset0:10 offset1:11
	v_mov_b32_e32 v118, v80
	v_mov_b32_e32 v119, v81
	v_mov_b32_e32 v120, v78
	v_mov_b32_e32 v121, v79
	ds_write2_b64 v112, v[118:119], v[120:121] offset0:12 offset1:13
	;; [unrolled: 5-line block ×20, first 2 shown]
	v_mov_b32_e32 v118, v0
	v_mov_b32_e32 v119, v1
	;; [unrolled: 1-line block ×3, first 2 shown]
	ds_write2_b64 v112, v[118:119], v[106:107] offset0:50 offset1:51
.LBB102_163:
	s_or_b64 exec, exec, s[0:1]
	v_cmp_lt_i32_e32 vcc, 9, v113
	s_waitcnt lgkmcnt(0)
	s_barrier
	s_and_saveexec_b64 s[0:1], vcc
	s_cbranch_execz .LBB102_165
; %bb.164:
	ds_read2_b64 v[118:121], v112 offset0:10 offset1:11
	ds_read2_b64 v[122:125], v112 offset0:12 offset1:13
	;; [unrolled: 1-line block ×3, first 2 shown]
	v_mul_f64 v[86:87], v[108:109], v[86:87]
	s_waitcnt lgkmcnt(0)
	v_fma_f64 v[84:85], -v[86:87], v[118:119], v[84:85]
	v_fma_f64 v[82:83], -v[86:87], v[120:121], v[82:83]
	ds_read2_b64 v[118:121], v112 offset0:16 offset1:17
	v_fma_f64 v[80:81], -v[86:87], v[122:123], v[80:81]
	v_fma_f64 v[78:79], -v[86:87], v[124:125], v[78:79]
	;; [unrolled: 1-line block ×3, first 2 shown]
	ds_read2_b64 v[122:125], v112 offset0:18 offset1:19
	v_fma_f64 v[74:75], -v[86:87], v[128:129], v[74:75]
	ds_read2_b64 v[126:129], v112 offset0:20 offset1:21
	s_waitcnt lgkmcnt(0)
	v_fma_f64 v[72:73], -v[86:87], v[118:119], v[72:73]
	v_fma_f64 v[70:71], -v[86:87], v[120:121], v[70:71]
	;; [unrolled: 1-line block ×3, first 2 shown]
	ds_read2_b64 v[118:121], v112 offset0:22 offset1:23
	v_fma_f64 v[66:67], -v[86:87], v[124:125], v[66:67]
	ds_read2_b64 v[122:125], v112 offset0:24 offset1:25
	v_fma_f64 v[64:65], -v[86:87], v[126:127], v[64:65]
	v_fma_f64 v[62:63], -v[86:87], v[128:129], v[62:63]
	ds_read2_b64 v[126:129], v112 offset0:26 offset1:27
	s_waitcnt lgkmcnt(0)
	v_fma_f64 v[60:61], -v[86:87], v[118:119], v[60:61]
	v_fma_f64 v[58:59], -v[86:87], v[120:121], v[58:59]
	ds_read2_b64 v[118:121], v112 offset0:28 offset1:29
	v_fma_f64 v[56:57], -v[86:87], v[122:123], v[56:57]
	v_fma_f64 v[54:55], -v[86:87], v[124:125], v[54:55]
	;; [unrolled: 1-line block ×3, first 2 shown]
	ds_read2_b64 v[122:125], v112 offset0:30 offset1:31
	v_fma_f64 v[50:51], -v[86:87], v[128:129], v[50:51]
	ds_read2_b64 v[126:129], v112 offset0:32 offset1:33
	s_waitcnt lgkmcnt(0)
	v_fma_f64 v[48:49], -v[86:87], v[118:119], v[48:49]
	v_fma_f64 v[46:47], -v[86:87], v[120:121], v[46:47]
	v_fma_f64 v[44:45], -v[86:87], v[122:123], v[44:45]
	ds_read2_b64 v[118:121], v112 offset0:34 offset1:35
	v_fma_f64 v[42:43], -v[86:87], v[124:125], v[42:43]
	ds_read2_b64 v[122:125], v112 offset0:36 offset1:37
	v_fma_f64 v[40:41], -v[86:87], v[126:127], v[40:41]
	v_fma_f64 v[38:39], -v[86:87], v[128:129], v[38:39]
	ds_read2_b64 v[126:129], v112 offset0:38 offset1:39
	s_waitcnt lgkmcnt(0)
	v_fma_f64 v[36:37], -v[86:87], v[118:119], v[36:37]
	v_fma_f64 v[34:35], -v[86:87], v[120:121], v[34:35]
	ds_read2_b64 v[118:121], v112 offset0:40 offset1:41
	v_fma_f64 v[32:33], -v[86:87], v[122:123], v[32:33]
	v_fma_f64 v[30:31], -v[86:87], v[124:125], v[30:31]
	;; [unrolled: 1-line block ×3, first 2 shown]
	ds_read2_b64 v[122:125], v112 offset0:42 offset1:43
	v_fma_f64 v[26:27], -v[86:87], v[128:129], v[26:27]
	ds_read2_b64 v[126:129], v112 offset0:44 offset1:45
	s_waitcnt lgkmcnt(0)
	v_fma_f64 v[24:25], -v[86:87], v[118:119], v[24:25]
	v_fma_f64 v[22:23], -v[86:87], v[120:121], v[22:23]
	;; [unrolled: 1-line block ×4, first 2 shown]
	ds_read2_b64 v[118:121], v112 offset0:46 offset1:47
	ds_read2_b64 v[122:125], v112 offset0:48 offset1:49
	v_fma_f64 v[16:17], -v[86:87], v[126:127], v[16:17]
	v_fma_f64 v[14:15], -v[86:87], v[128:129], v[14:15]
	ds_read2_b64 v[126:129], v112 offset0:50 offset1:51
	s_waitcnt lgkmcnt(0)
	v_fma_f64 v[12:13], -v[86:87], v[118:119], v[12:13]
	v_fma_f64 v[10:11], -v[86:87], v[120:121], v[10:11]
	v_fma_f64 v[8:9], -v[86:87], v[122:123], v[8:9]
	v_fma_f64 v[6:7], -v[86:87], v[124:125], v[6:7]
	v_fma_f64 v[0:1], -v[86:87], v[126:127], v[0:1]
	v_fma_f64 v[106:107], -v[86:87], v[128:129], v[106:107]
.LBB102_165:
	s_or_b64 exec, exec, s[0:1]
	v_lshl_add_u32 v108, v113, 3, v112
	s_barrier
	ds_write_b64 v108, v[84:85]
	s_waitcnt lgkmcnt(0)
	s_barrier
	ds_read_b64 v[108:109], v112 offset:80
	s_cmp_lt_i32 s18, 12
	v_mov_b32_e32 v110, 10
	s_cbranch_scc1 .LBB102_168
; %bb.166:
	v_add_u32_e32 v117, 0x58, v112
	s_mov_b32 s0, 11
	v_mov_b32_e32 v110, 10
.LBB102_167:                            ; =>This Inner Loop Header: Depth=1
	ds_read_b64 v[118:119], v117
	v_mov_b32_e32 v120, s0
	s_add_i32 s0, s0, 1
	v_add_u32_e32 v117, 8, v117
	s_cmp_lg_u32 s18, s0
	s_waitcnt lgkmcnt(0)
	v_cmp_lt_f64_e64 vcc, |v[108:109]|, |v[118:119]|
	v_cndmask_b32_e32 v109, v109, v119, vcc
	v_cndmask_b32_e32 v108, v108, v118, vcc
	v_cndmask_b32_e32 v110, v110, v120, vcc
	s_cbranch_scc1 .LBB102_167
.LBB102_168:
	s_waitcnt lgkmcnt(0)
	v_cmp_eq_f64_e32 vcc, 0, v[108:109]
	s_and_saveexec_b64 s[0:1], vcc
	s_xor_b64 s[0:1], exec, s[0:1]
; %bb.169:
	v_cmp_ne_u32_e32 vcc, 0, v116
	v_cndmask_b32_e32 v116, 11, v116, vcc
; %bb.170:
	s_andn2_saveexec_b64 s[0:1], s[0:1]
; %bb.171:
	v_div_scale_f64 v[118:119], s[2:3], v[108:109], v[108:109], 1.0
	v_rcp_f64_e32 v[120:121], v[118:119]
	v_div_scale_f64 v[122:123], vcc, 1.0, v[108:109], 1.0
	v_fma_f64 v[124:125], -v[118:119], v[120:121], 1.0
	v_fmac_f64_e32 v[120:121], v[120:121], v[124:125]
	v_fma_f64 v[124:125], -v[118:119], v[120:121], 1.0
	v_fmac_f64_e32 v[120:121], v[120:121], v[124:125]
	v_mul_f64 v[124:125], v[122:123], v[120:121]
	v_fma_f64 v[118:119], -v[118:119], v[124:125], v[122:123]
	v_div_fmas_f64 v[118:119], v[118:119], v[120:121], v[124:125]
	v_div_fixup_f64 v[108:109], v[118:119], v[108:109], 1.0
; %bb.172:
	s_or_b64 exec, exec, s[0:1]
	v_cmp_ne_u32_e32 vcc, v113, v110
	s_and_saveexec_b64 s[0:1], vcc
	s_xor_b64 s[0:1], exec, s[0:1]
	s_cbranch_execz .LBB102_178
; %bb.173:
	v_cmp_eq_u32_e32 vcc, 10, v113
	s_and_saveexec_b64 s[2:3], vcc
	s_cbranch_execz .LBB102_177
; %bb.174:
	v_cmp_ne_u32_e32 vcc, 10, v110
	s_xor_b64 s[14:15], s[6:7], -1
	s_and_b64 s[16:17], s[14:15], vcc
	s_and_saveexec_b64 s[14:15], s[16:17]
	s_cbranch_execz .LBB102_176
; %bb.175:
	v_ashrrev_i32_e32 v111, 31, v110
	v_lshlrev_b64 v[118:119], 2, v[110:111]
	v_add_co_u32_e32 v118, vcc, v4, v118
	v_addc_co_u32_e32 v119, vcc, v5, v119, vcc
	flat_load_dword v111, v[118:119]
	flat_load_dword v113, v[4:5] offset:40
	s_waitcnt vmcnt(0) lgkmcnt(0)
	flat_store_dword v[4:5], v111 offset:40
	flat_store_dword v[118:119], v113
.LBB102_176:
	s_or_b64 exec, exec, s[14:15]
	v_mov_b32_e32 v111, v110
	v_mov_b32_e32 v113, v110
.LBB102_177:
	s_or_b64 exec, exec, s[2:3]
.LBB102_178:
	s_andn2_saveexec_b64 s[0:1], s[0:1]
	s_cbranch_execz .LBB102_180
; %bb.179:
	v_mov_b32_e32 v113, 10
	ds_write2_b64 v112, v[82:83], v[80:81] offset0:11 offset1:12
	ds_write2_b64 v112, v[78:79], v[76:77] offset0:13 offset1:14
	;; [unrolled: 1-line block ×20, first 2 shown]
	ds_write_b64 v112, v[106:107] offset:408
.LBB102_180:
	s_or_b64 exec, exec, s[0:1]
	v_cmp_lt_i32_e32 vcc, 10, v113
	s_waitcnt lgkmcnt(0)
	s_barrier
	s_and_saveexec_b64 s[0:1], vcc
	s_cbranch_execz .LBB102_182
; %bb.181:
	ds_read2_b64 v[118:121], v112 offset0:11 offset1:12
	ds_read2_b64 v[122:125], v112 offset0:13 offset1:14
	v_mul_f64 v[84:85], v[108:109], v[84:85]
	ds_read2_b64 v[126:129], v112 offset0:15 offset1:16
	ds_read_b64 v[108:109], v112 offset:408
	s_waitcnt lgkmcnt(0)
	v_fma_f64 v[82:83], -v[84:85], v[118:119], v[82:83]
	v_fma_f64 v[80:81], -v[84:85], v[120:121], v[80:81]
	ds_read2_b64 v[118:121], v112 offset0:17 offset1:18
	v_fma_f64 v[78:79], -v[84:85], v[122:123], v[78:79]
	v_fma_f64 v[76:77], -v[84:85], v[124:125], v[76:77]
	ds_read2_b64 v[122:125], v112 offset0:19 offset1:20
	;; [unrolled: 3-line block ×3, first 2 shown]
	s_waitcnt lgkmcnt(0)
	v_fma_f64 v[70:71], -v[84:85], v[118:119], v[70:71]
	v_fma_f64 v[68:69], -v[84:85], v[120:121], v[68:69]
	;; [unrolled: 1-line block ×3, first 2 shown]
	ds_read2_b64 v[118:121], v112 offset0:23 offset1:24
	v_fma_f64 v[64:65], -v[84:85], v[124:125], v[64:65]
	ds_read2_b64 v[122:125], v112 offset0:25 offset1:26
	v_fma_f64 v[62:63], -v[84:85], v[126:127], v[62:63]
	v_fma_f64 v[60:61], -v[84:85], v[128:129], v[60:61]
	s_waitcnt lgkmcnt(0)
	v_fma_f64 v[58:59], -v[84:85], v[118:119], v[58:59]
	ds_read2_b64 v[126:129], v112 offset0:27 offset1:28
	v_fma_f64 v[56:57], -v[84:85], v[120:121], v[56:57]
	ds_read2_b64 v[118:121], v112 offset0:29 offset1:30
	v_fma_f64 v[54:55], -v[84:85], v[122:123], v[54:55]
	v_fma_f64 v[52:53], -v[84:85], v[124:125], v[52:53]
	ds_read2_b64 v[122:125], v112 offset0:31 offset1:32
	s_waitcnt lgkmcnt(0)
	v_fma_f64 v[50:51], -v[84:85], v[126:127], v[50:51]
	v_fma_f64 v[48:49], -v[84:85], v[128:129], v[48:49]
	ds_read2_b64 v[126:129], v112 offset0:33 offset1:34
	v_fma_f64 v[46:47], -v[84:85], v[118:119], v[46:47]
	v_fma_f64 v[44:45], -v[84:85], v[120:121], v[44:45]
	v_fma_f64 v[42:43], -v[84:85], v[122:123], v[42:43]
	ds_read2_b64 v[118:121], v112 offset0:35 offset1:36
	v_fma_f64 v[40:41], -v[84:85], v[124:125], v[40:41]
	ds_read2_b64 v[122:125], v112 offset0:37 offset1:38
	s_waitcnt lgkmcnt(0)
	v_fma_f64 v[38:39], -v[84:85], v[126:127], v[38:39]
	v_fma_f64 v[36:37], -v[84:85], v[128:129], v[36:37]
	;; [unrolled: 1-line block ×3, first 2 shown]
	ds_read2_b64 v[126:129], v112 offset0:39 offset1:40
	v_fma_f64 v[32:33], -v[84:85], v[120:121], v[32:33]
	ds_read2_b64 v[118:121], v112 offset0:41 offset1:42
	v_fma_f64 v[30:31], -v[84:85], v[122:123], v[30:31]
	v_fma_f64 v[28:29], -v[84:85], v[124:125], v[28:29]
	ds_read2_b64 v[122:125], v112 offset0:43 offset1:44
	s_waitcnt lgkmcnt(0)
	v_fma_f64 v[26:27], -v[84:85], v[126:127], v[26:27]
	v_fma_f64 v[24:25], -v[84:85], v[128:129], v[24:25]
	ds_read2_b64 v[126:129], v112 offset0:45 offset1:46
	v_fma_f64 v[22:23], -v[84:85], v[118:119], v[22:23]
	v_fma_f64 v[20:21], -v[84:85], v[120:121], v[20:21]
	v_fma_f64 v[18:19], -v[84:85], v[122:123], v[18:19]
	v_fma_f64 v[16:17], -v[84:85], v[124:125], v[16:17]
	ds_read2_b64 v[118:121], v112 offset0:47 offset1:48
	ds_read2_b64 v[122:125], v112 offset0:49 offset1:50
	s_waitcnt lgkmcnt(0)
	v_fma_f64 v[14:15], -v[84:85], v[126:127], v[14:15]
	v_fma_f64 v[12:13], -v[84:85], v[128:129], v[12:13]
	;; [unrolled: 1-line block ×7, first 2 shown]
.LBB102_182:
	s_or_b64 exec, exec, s[0:1]
	v_lshl_add_u32 v108, v113, 3, v112
	s_barrier
	ds_write_b64 v108, v[82:83]
	s_waitcnt lgkmcnt(0)
	s_barrier
	ds_read_b64 v[108:109], v112 offset:88
	s_cmp_lt_i32 s18, 13
	v_mov_b32_e32 v110, 11
	s_cbranch_scc1 .LBB102_185
; %bb.183:
	v_add_u32_e32 v117, 0x60, v112
	s_mov_b32 s0, 12
	v_mov_b32_e32 v110, 11
.LBB102_184:                            ; =>This Inner Loop Header: Depth=1
	ds_read_b64 v[118:119], v117
	v_mov_b32_e32 v120, s0
	s_add_i32 s0, s0, 1
	v_add_u32_e32 v117, 8, v117
	s_cmp_lg_u32 s18, s0
	s_waitcnt lgkmcnt(0)
	v_cmp_lt_f64_e64 vcc, |v[108:109]|, |v[118:119]|
	v_cndmask_b32_e32 v109, v109, v119, vcc
	v_cndmask_b32_e32 v108, v108, v118, vcc
	;; [unrolled: 1-line block ×3, first 2 shown]
	s_cbranch_scc1 .LBB102_184
.LBB102_185:
	s_waitcnt lgkmcnt(0)
	v_cmp_eq_f64_e32 vcc, 0, v[108:109]
	s_and_saveexec_b64 s[0:1], vcc
	s_xor_b64 s[0:1], exec, s[0:1]
; %bb.186:
	v_cmp_ne_u32_e32 vcc, 0, v116
	v_cndmask_b32_e32 v116, 12, v116, vcc
; %bb.187:
	s_andn2_saveexec_b64 s[0:1], s[0:1]
; %bb.188:
	v_div_scale_f64 v[118:119], s[2:3], v[108:109], v[108:109], 1.0
	v_rcp_f64_e32 v[120:121], v[118:119]
	v_div_scale_f64 v[122:123], vcc, 1.0, v[108:109], 1.0
	v_fma_f64 v[124:125], -v[118:119], v[120:121], 1.0
	v_fmac_f64_e32 v[120:121], v[120:121], v[124:125]
	v_fma_f64 v[124:125], -v[118:119], v[120:121], 1.0
	v_fmac_f64_e32 v[120:121], v[120:121], v[124:125]
	v_mul_f64 v[124:125], v[122:123], v[120:121]
	v_fma_f64 v[118:119], -v[118:119], v[124:125], v[122:123]
	v_div_fmas_f64 v[118:119], v[118:119], v[120:121], v[124:125]
	v_div_fixup_f64 v[108:109], v[118:119], v[108:109], 1.0
; %bb.189:
	s_or_b64 exec, exec, s[0:1]
	v_cmp_ne_u32_e32 vcc, v113, v110
	s_and_saveexec_b64 s[0:1], vcc
	s_xor_b64 s[0:1], exec, s[0:1]
	s_cbranch_execz .LBB102_195
; %bb.190:
	v_cmp_eq_u32_e32 vcc, 11, v113
	s_and_saveexec_b64 s[2:3], vcc
	s_cbranch_execz .LBB102_194
; %bb.191:
	v_cmp_ne_u32_e32 vcc, 11, v110
	s_xor_b64 s[14:15], s[6:7], -1
	s_and_b64 s[16:17], s[14:15], vcc
	s_and_saveexec_b64 s[14:15], s[16:17]
	s_cbranch_execz .LBB102_193
; %bb.192:
	v_ashrrev_i32_e32 v111, 31, v110
	v_lshlrev_b64 v[118:119], 2, v[110:111]
	v_add_co_u32_e32 v118, vcc, v4, v118
	v_addc_co_u32_e32 v119, vcc, v5, v119, vcc
	flat_load_dword v111, v[118:119]
	flat_load_dword v113, v[4:5] offset:44
	s_waitcnt vmcnt(0) lgkmcnt(0)
	flat_store_dword v[4:5], v111 offset:44
	flat_store_dword v[118:119], v113
.LBB102_193:
	s_or_b64 exec, exec, s[14:15]
	v_mov_b32_e32 v111, v110
	v_mov_b32_e32 v113, v110
.LBB102_194:
	s_or_b64 exec, exec, s[2:3]
.LBB102_195:
	s_andn2_saveexec_b64 s[0:1], s[0:1]
	s_cbranch_execz .LBB102_197
; %bb.196:
	v_mov_b32_e32 v118, v80
	v_mov_b32_e32 v119, v81
	v_mov_b32_e32 v120, v78
	v_mov_b32_e32 v121, v79
	ds_write2_b64 v112, v[118:119], v[120:121] offset0:12 offset1:13
	v_mov_b32_e32 v118, v76
	v_mov_b32_e32 v119, v77
	v_mov_b32_e32 v120, v74
	v_mov_b32_e32 v121, v75
	ds_write2_b64 v112, v[118:119], v[120:121] offset0:14 offset1:15
	;; [unrolled: 5-line block ×19, first 2 shown]
	v_mov_b32_e32 v118, v0
	v_mov_b32_e32 v119, v1
	;; [unrolled: 1-line block ×3, first 2 shown]
	ds_write2_b64 v112, v[118:119], v[106:107] offset0:50 offset1:51
.LBB102_197:
	s_or_b64 exec, exec, s[0:1]
	v_cmp_lt_i32_e32 vcc, 11, v113
	s_waitcnt lgkmcnt(0)
	s_barrier
	s_and_saveexec_b64 s[0:1], vcc
	s_cbranch_execz .LBB102_199
; %bb.198:
	ds_read2_b64 v[118:121], v112 offset0:12 offset1:13
	ds_read2_b64 v[122:125], v112 offset0:14 offset1:15
	v_mul_f64 v[82:83], v[108:109], v[82:83]
	ds_read2_b64 v[126:129], v112 offset0:16 offset1:17
	s_waitcnt lgkmcnt(0)
	v_fma_f64 v[80:81], -v[82:83], v[118:119], v[80:81]
	v_fma_f64 v[78:79], -v[82:83], v[120:121], v[78:79]
	ds_read2_b64 v[118:121], v112 offset0:18 offset1:19
	v_fma_f64 v[76:77], -v[82:83], v[122:123], v[76:77]
	v_fma_f64 v[74:75], -v[82:83], v[124:125], v[74:75]
	ds_read2_b64 v[122:125], v112 offset0:20 offset1:21
	;; [unrolled: 3-line block ×3, first 2 shown]
	s_waitcnt lgkmcnt(0)
	v_fma_f64 v[68:69], -v[82:83], v[118:119], v[68:69]
	v_fma_f64 v[66:67], -v[82:83], v[120:121], v[66:67]
	;; [unrolled: 1-line block ×3, first 2 shown]
	ds_read2_b64 v[118:121], v112 offset0:24 offset1:25
	v_fma_f64 v[62:63], -v[82:83], v[124:125], v[62:63]
	ds_read2_b64 v[122:125], v112 offset0:26 offset1:27
	v_fma_f64 v[60:61], -v[82:83], v[126:127], v[60:61]
	v_fma_f64 v[58:59], -v[82:83], v[128:129], v[58:59]
	s_waitcnt lgkmcnt(0)
	v_fma_f64 v[56:57], -v[82:83], v[118:119], v[56:57]
	ds_read2_b64 v[126:129], v112 offset0:28 offset1:29
	v_fma_f64 v[54:55], -v[82:83], v[120:121], v[54:55]
	ds_read2_b64 v[118:121], v112 offset0:30 offset1:31
	v_fma_f64 v[52:53], -v[82:83], v[122:123], v[52:53]
	v_fma_f64 v[50:51], -v[82:83], v[124:125], v[50:51]
	ds_read2_b64 v[122:125], v112 offset0:32 offset1:33
	s_waitcnt lgkmcnt(0)
	v_fma_f64 v[48:49], -v[82:83], v[126:127], v[48:49]
	v_fma_f64 v[46:47], -v[82:83], v[128:129], v[46:47]
	ds_read2_b64 v[126:129], v112 offset0:34 offset1:35
	v_fma_f64 v[44:45], -v[82:83], v[118:119], v[44:45]
	v_fma_f64 v[42:43], -v[82:83], v[120:121], v[42:43]
	;; [unrolled: 1-line block ×3, first 2 shown]
	ds_read2_b64 v[118:121], v112 offset0:36 offset1:37
	v_fma_f64 v[38:39], -v[82:83], v[124:125], v[38:39]
	ds_read2_b64 v[122:125], v112 offset0:38 offset1:39
	s_waitcnt lgkmcnt(0)
	v_fma_f64 v[36:37], -v[82:83], v[126:127], v[36:37]
	v_fma_f64 v[34:35], -v[82:83], v[128:129], v[34:35]
	;; [unrolled: 1-line block ×3, first 2 shown]
	ds_read2_b64 v[126:129], v112 offset0:40 offset1:41
	v_fma_f64 v[30:31], -v[82:83], v[120:121], v[30:31]
	ds_read2_b64 v[118:121], v112 offset0:42 offset1:43
	v_fma_f64 v[28:29], -v[82:83], v[122:123], v[28:29]
	v_fma_f64 v[26:27], -v[82:83], v[124:125], v[26:27]
	ds_read2_b64 v[122:125], v112 offset0:44 offset1:45
	s_waitcnt lgkmcnt(0)
	v_fma_f64 v[24:25], -v[82:83], v[126:127], v[24:25]
	v_fma_f64 v[22:23], -v[82:83], v[128:129], v[22:23]
	v_fma_f64 v[20:21], -v[82:83], v[118:119], v[20:21]
	v_fma_f64 v[18:19], -v[82:83], v[120:121], v[18:19]
	ds_read2_b64 v[118:121], v112 offset0:46 offset1:47
	v_fma_f64 v[16:17], -v[82:83], v[122:123], v[16:17]
	ds_read2_b64 v[126:129], v112 offset0:48 offset1:49
	v_fma_f64 v[14:15], -v[82:83], v[124:125], v[14:15]
	ds_read2_b64 v[122:125], v112 offset0:50 offset1:51
	s_waitcnt lgkmcnt(0)
	v_fma_f64 v[12:13], -v[82:83], v[118:119], v[12:13]
	v_fma_f64 v[10:11], -v[82:83], v[120:121], v[10:11]
	;; [unrolled: 1-line block ×6, first 2 shown]
.LBB102_199:
	s_or_b64 exec, exec, s[0:1]
	v_lshl_add_u32 v108, v113, 3, v112
	s_barrier
	ds_write_b64 v108, v[80:81]
	s_waitcnt lgkmcnt(0)
	s_barrier
	ds_read_b64 v[108:109], v112 offset:96
	s_cmp_lt_i32 s18, 14
	v_mov_b32_e32 v110, 12
	s_cbranch_scc1 .LBB102_202
; %bb.200:
	v_add_u32_e32 v117, 0x68, v112
	s_mov_b32 s0, 13
	v_mov_b32_e32 v110, 12
.LBB102_201:                            ; =>This Inner Loop Header: Depth=1
	ds_read_b64 v[118:119], v117
	v_mov_b32_e32 v120, s0
	s_add_i32 s0, s0, 1
	v_add_u32_e32 v117, 8, v117
	s_cmp_lg_u32 s18, s0
	s_waitcnt lgkmcnt(0)
	v_cmp_lt_f64_e64 vcc, |v[108:109]|, |v[118:119]|
	v_cndmask_b32_e32 v109, v109, v119, vcc
	v_cndmask_b32_e32 v108, v108, v118, vcc
	;; [unrolled: 1-line block ×3, first 2 shown]
	s_cbranch_scc1 .LBB102_201
.LBB102_202:
	s_waitcnt lgkmcnt(0)
	v_cmp_eq_f64_e32 vcc, 0, v[108:109]
	s_and_saveexec_b64 s[0:1], vcc
	s_xor_b64 s[0:1], exec, s[0:1]
; %bb.203:
	v_cmp_ne_u32_e32 vcc, 0, v116
	v_cndmask_b32_e32 v116, 13, v116, vcc
; %bb.204:
	s_andn2_saveexec_b64 s[0:1], s[0:1]
; %bb.205:
	v_div_scale_f64 v[118:119], s[2:3], v[108:109], v[108:109], 1.0
	v_rcp_f64_e32 v[120:121], v[118:119]
	v_div_scale_f64 v[122:123], vcc, 1.0, v[108:109], 1.0
	v_fma_f64 v[124:125], -v[118:119], v[120:121], 1.0
	v_fmac_f64_e32 v[120:121], v[120:121], v[124:125]
	v_fma_f64 v[124:125], -v[118:119], v[120:121], 1.0
	v_fmac_f64_e32 v[120:121], v[120:121], v[124:125]
	v_mul_f64 v[124:125], v[122:123], v[120:121]
	v_fma_f64 v[118:119], -v[118:119], v[124:125], v[122:123]
	v_div_fmas_f64 v[118:119], v[118:119], v[120:121], v[124:125]
	v_div_fixup_f64 v[108:109], v[118:119], v[108:109], 1.0
; %bb.206:
	s_or_b64 exec, exec, s[0:1]
	v_cmp_ne_u32_e32 vcc, v113, v110
	s_and_saveexec_b64 s[0:1], vcc
	s_xor_b64 s[0:1], exec, s[0:1]
	s_cbranch_execz .LBB102_212
; %bb.207:
	v_cmp_eq_u32_e32 vcc, 12, v113
	s_and_saveexec_b64 s[2:3], vcc
	s_cbranch_execz .LBB102_211
; %bb.208:
	v_cmp_ne_u32_e32 vcc, 12, v110
	s_xor_b64 s[14:15], s[6:7], -1
	s_and_b64 s[16:17], s[14:15], vcc
	s_and_saveexec_b64 s[14:15], s[16:17]
	s_cbranch_execz .LBB102_210
; %bb.209:
	v_ashrrev_i32_e32 v111, 31, v110
	v_lshlrev_b64 v[118:119], 2, v[110:111]
	v_add_co_u32_e32 v118, vcc, v4, v118
	v_addc_co_u32_e32 v119, vcc, v5, v119, vcc
	flat_load_dword v111, v[118:119]
	flat_load_dword v113, v[4:5] offset:48
	s_waitcnt vmcnt(0) lgkmcnt(0)
	flat_store_dword v[4:5], v111 offset:48
	flat_store_dword v[118:119], v113
.LBB102_210:
	s_or_b64 exec, exec, s[14:15]
	v_mov_b32_e32 v111, v110
	v_mov_b32_e32 v113, v110
.LBB102_211:
	s_or_b64 exec, exec, s[2:3]
.LBB102_212:
	s_andn2_saveexec_b64 s[0:1], s[0:1]
	s_cbranch_execz .LBB102_214
; %bb.213:
	v_mov_b32_e32 v113, 12
	ds_write2_b64 v112, v[78:79], v[76:77] offset0:13 offset1:14
	ds_write2_b64 v112, v[74:75], v[72:73] offset0:15 offset1:16
	;; [unrolled: 1-line block ×19, first 2 shown]
	ds_write_b64 v112, v[106:107] offset:408
.LBB102_214:
	s_or_b64 exec, exec, s[0:1]
	v_cmp_lt_i32_e32 vcc, 12, v113
	s_waitcnt lgkmcnt(0)
	s_barrier
	s_and_saveexec_b64 s[0:1], vcc
	s_cbranch_execz .LBB102_216
; %bb.215:
	ds_read2_b64 v[118:121], v112 offset0:13 offset1:14
	ds_read2_b64 v[122:125], v112 offset0:15 offset1:16
	v_mul_f64 v[80:81], v[108:109], v[80:81]
	ds_read2_b64 v[126:129], v112 offset0:17 offset1:18
	ds_read_b64 v[108:109], v112 offset:408
	s_waitcnt lgkmcnt(0)
	v_fma_f64 v[78:79], -v[80:81], v[118:119], v[78:79]
	v_fma_f64 v[76:77], -v[80:81], v[120:121], v[76:77]
	ds_read2_b64 v[118:121], v112 offset0:19 offset1:20
	v_fma_f64 v[74:75], -v[80:81], v[122:123], v[74:75]
	v_fma_f64 v[72:73], -v[80:81], v[124:125], v[72:73]
	;; [unrolled: 1-line block ×3, first 2 shown]
	ds_read2_b64 v[122:125], v112 offset0:21 offset1:22
	v_fma_f64 v[68:69], -v[80:81], v[128:129], v[68:69]
	ds_read2_b64 v[126:129], v112 offset0:23 offset1:24
	s_waitcnt lgkmcnt(0)
	v_fma_f64 v[66:67], -v[80:81], v[118:119], v[66:67]
	v_fma_f64 v[64:65], -v[80:81], v[120:121], v[64:65]
	ds_read2_b64 v[118:121], v112 offset0:25 offset1:26
	v_fma_f64 v[62:63], -v[80:81], v[122:123], v[62:63]
	v_fma_f64 v[60:61], -v[80:81], v[124:125], v[60:61]
	ds_read2_b64 v[122:125], v112 offset0:27 offset1:28
	v_fma_f64 v[58:59], -v[80:81], v[126:127], v[58:59]
	v_fma_f64 v[56:57], -v[80:81], v[128:129], v[56:57]
	s_waitcnt lgkmcnt(0)
	v_fma_f64 v[54:55], -v[80:81], v[118:119], v[54:55]
	ds_read2_b64 v[126:129], v112 offset0:29 offset1:30
	v_fma_f64 v[52:53], -v[80:81], v[120:121], v[52:53]
	ds_read2_b64 v[118:121], v112 offset0:31 offset1:32
	v_fma_f64 v[50:51], -v[80:81], v[122:123], v[50:51]
	v_fma_f64 v[48:49], -v[80:81], v[124:125], v[48:49]
	s_waitcnt lgkmcnt(0)
	v_fma_f64 v[46:47], -v[80:81], v[126:127], v[46:47]
	ds_read2_b64 v[122:125], v112 offset0:33 offset1:34
	v_fma_f64 v[44:45], -v[80:81], v[128:129], v[44:45]
	ds_read2_b64 v[126:129], v112 offset0:35 offset1:36
	v_fma_f64 v[42:43], -v[80:81], v[118:119], v[42:43]
	v_fma_f64 v[40:41], -v[80:81], v[120:121], v[40:41]
	ds_read2_b64 v[118:121], v112 offset0:37 offset1:38
	s_waitcnt lgkmcnt(0)
	v_fma_f64 v[38:39], -v[80:81], v[122:123], v[38:39]
	v_fma_f64 v[36:37], -v[80:81], v[124:125], v[36:37]
	ds_read2_b64 v[122:125], v112 offset0:39 offset1:40
	v_fma_f64 v[34:35], -v[80:81], v[126:127], v[34:35]
	v_fma_f64 v[32:33], -v[80:81], v[128:129], v[32:33]
	;; [unrolled: 1-line block ×3, first 2 shown]
	ds_read2_b64 v[126:129], v112 offset0:41 offset1:42
	v_fma_f64 v[28:29], -v[80:81], v[120:121], v[28:29]
	ds_read2_b64 v[118:121], v112 offset0:43 offset1:44
	s_waitcnt lgkmcnt(0)
	v_fma_f64 v[26:27], -v[80:81], v[122:123], v[26:27]
	v_fma_f64 v[24:25], -v[80:81], v[124:125], v[24:25]
	;; [unrolled: 1-line block ×3, first 2 shown]
	ds_read2_b64 v[122:125], v112 offset0:45 offset1:46
	v_fma_f64 v[20:21], -v[80:81], v[128:129], v[20:21]
	v_fma_f64 v[18:19], -v[80:81], v[118:119], v[18:19]
	;; [unrolled: 1-line block ×3, first 2 shown]
	ds_read2_b64 v[118:121], v112 offset0:47 offset1:48
	ds_read2_b64 v[126:129], v112 offset0:49 offset1:50
	s_waitcnt lgkmcnt(0)
	v_fma_f64 v[14:15], -v[80:81], v[122:123], v[14:15]
	v_fma_f64 v[12:13], -v[80:81], v[124:125], v[12:13]
	;; [unrolled: 1-line block ×7, first 2 shown]
.LBB102_216:
	s_or_b64 exec, exec, s[0:1]
	v_lshl_add_u32 v108, v113, 3, v112
	s_barrier
	ds_write_b64 v108, v[78:79]
	s_waitcnt lgkmcnt(0)
	s_barrier
	ds_read_b64 v[108:109], v112 offset:104
	s_cmp_lt_i32 s18, 15
	v_mov_b32_e32 v110, 13
	s_cbranch_scc1 .LBB102_219
; %bb.217:
	v_add_u32_e32 v117, 0x70, v112
	s_mov_b32 s0, 14
	v_mov_b32_e32 v110, 13
.LBB102_218:                            ; =>This Inner Loop Header: Depth=1
	ds_read_b64 v[118:119], v117
	v_mov_b32_e32 v120, s0
	s_add_i32 s0, s0, 1
	v_add_u32_e32 v117, 8, v117
	s_cmp_lg_u32 s18, s0
	s_waitcnt lgkmcnt(0)
	v_cmp_lt_f64_e64 vcc, |v[108:109]|, |v[118:119]|
	v_cndmask_b32_e32 v109, v109, v119, vcc
	v_cndmask_b32_e32 v108, v108, v118, vcc
	;; [unrolled: 1-line block ×3, first 2 shown]
	s_cbranch_scc1 .LBB102_218
.LBB102_219:
	s_waitcnt lgkmcnt(0)
	v_cmp_eq_f64_e32 vcc, 0, v[108:109]
	s_and_saveexec_b64 s[0:1], vcc
	s_xor_b64 s[0:1], exec, s[0:1]
; %bb.220:
	v_cmp_ne_u32_e32 vcc, 0, v116
	v_cndmask_b32_e32 v116, 14, v116, vcc
; %bb.221:
	s_andn2_saveexec_b64 s[0:1], s[0:1]
; %bb.222:
	v_div_scale_f64 v[118:119], s[2:3], v[108:109], v[108:109], 1.0
	v_rcp_f64_e32 v[120:121], v[118:119]
	v_div_scale_f64 v[122:123], vcc, 1.0, v[108:109], 1.0
	v_fma_f64 v[124:125], -v[118:119], v[120:121], 1.0
	v_fmac_f64_e32 v[120:121], v[120:121], v[124:125]
	v_fma_f64 v[124:125], -v[118:119], v[120:121], 1.0
	v_fmac_f64_e32 v[120:121], v[120:121], v[124:125]
	v_mul_f64 v[124:125], v[122:123], v[120:121]
	v_fma_f64 v[118:119], -v[118:119], v[124:125], v[122:123]
	v_div_fmas_f64 v[118:119], v[118:119], v[120:121], v[124:125]
	v_div_fixup_f64 v[108:109], v[118:119], v[108:109], 1.0
; %bb.223:
	s_or_b64 exec, exec, s[0:1]
	v_cmp_ne_u32_e32 vcc, v113, v110
	s_and_saveexec_b64 s[0:1], vcc
	s_xor_b64 s[0:1], exec, s[0:1]
	s_cbranch_execz .LBB102_229
; %bb.224:
	v_cmp_eq_u32_e32 vcc, 13, v113
	s_and_saveexec_b64 s[2:3], vcc
	s_cbranch_execz .LBB102_228
; %bb.225:
	v_cmp_ne_u32_e32 vcc, 13, v110
	s_xor_b64 s[14:15], s[6:7], -1
	s_and_b64 s[16:17], s[14:15], vcc
	s_and_saveexec_b64 s[14:15], s[16:17]
	s_cbranch_execz .LBB102_227
; %bb.226:
	v_ashrrev_i32_e32 v111, 31, v110
	v_lshlrev_b64 v[118:119], 2, v[110:111]
	v_add_co_u32_e32 v118, vcc, v4, v118
	v_addc_co_u32_e32 v119, vcc, v5, v119, vcc
	flat_load_dword v111, v[118:119]
	flat_load_dword v113, v[4:5] offset:52
	s_waitcnt vmcnt(0) lgkmcnt(0)
	flat_store_dword v[4:5], v111 offset:52
	flat_store_dword v[118:119], v113
.LBB102_227:
	s_or_b64 exec, exec, s[14:15]
	v_mov_b32_e32 v111, v110
	v_mov_b32_e32 v113, v110
.LBB102_228:
	s_or_b64 exec, exec, s[2:3]
.LBB102_229:
	s_andn2_saveexec_b64 s[0:1], s[0:1]
	s_cbranch_execz .LBB102_231
; %bb.230:
	v_mov_b32_e32 v118, v76
	v_mov_b32_e32 v119, v77
	v_mov_b32_e32 v120, v74
	v_mov_b32_e32 v121, v75
	ds_write2_b64 v112, v[118:119], v[120:121] offset0:14 offset1:15
	v_mov_b32_e32 v118, v72
	v_mov_b32_e32 v119, v73
	v_mov_b32_e32 v120, v70
	v_mov_b32_e32 v121, v71
	ds_write2_b64 v112, v[118:119], v[120:121] offset0:16 offset1:17
	;; [unrolled: 5-line block ×18, first 2 shown]
	v_mov_b32_e32 v118, v0
	v_mov_b32_e32 v119, v1
	v_mov_b32_e32 v113, 13
	ds_write2_b64 v112, v[118:119], v[106:107] offset0:50 offset1:51
.LBB102_231:
	s_or_b64 exec, exec, s[0:1]
	v_cmp_lt_i32_e32 vcc, 13, v113
	s_waitcnt lgkmcnt(0)
	s_barrier
	s_and_saveexec_b64 s[0:1], vcc
	s_cbranch_execz .LBB102_233
; %bb.232:
	ds_read2_b64 v[118:121], v112 offset0:14 offset1:15
	ds_read2_b64 v[122:125], v112 offset0:16 offset1:17
	v_mul_f64 v[78:79], v[108:109], v[78:79]
	ds_read2_b64 v[126:129], v112 offset0:18 offset1:19
	s_waitcnt lgkmcnt(0)
	v_fma_f64 v[76:77], -v[78:79], v[118:119], v[76:77]
	v_fma_f64 v[74:75], -v[78:79], v[120:121], v[74:75]
	ds_read2_b64 v[118:121], v112 offset0:20 offset1:21
	v_fma_f64 v[72:73], -v[78:79], v[122:123], v[72:73]
	v_fma_f64 v[70:71], -v[78:79], v[124:125], v[70:71]
	;; [unrolled: 1-line block ×3, first 2 shown]
	ds_read2_b64 v[122:125], v112 offset0:22 offset1:23
	v_fma_f64 v[66:67], -v[78:79], v[128:129], v[66:67]
	ds_read2_b64 v[126:129], v112 offset0:24 offset1:25
	s_waitcnt lgkmcnt(0)
	v_fma_f64 v[64:65], -v[78:79], v[118:119], v[64:65]
	v_fma_f64 v[62:63], -v[78:79], v[120:121], v[62:63]
	ds_read2_b64 v[118:121], v112 offset0:26 offset1:27
	v_fma_f64 v[60:61], -v[78:79], v[122:123], v[60:61]
	v_fma_f64 v[58:59], -v[78:79], v[124:125], v[58:59]
	ds_read2_b64 v[122:125], v112 offset0:28 offset1:29
	v_fma_f64 v[56:57], -v[78:79], v[126:127], v[56:57]
	v_fma_f64 v[54:55], -v[78:79], v[128:129], v[54:55]
	s_waitcnt lgkmcnt(0)
	v_fma_f64 v[52:53], -v[78:79], v[118:119], v[52:53]
	ds_read2_b64 v[126:129], v112 offset0:30 offset1:31
	v_fma_f64 v[50:51], -v[78:79], v[120:121], v[50:51]
	ds_read2_b64 v[118:121], v112 offset0:32 offset1:33
	v_fma_f64 v[48:49], -v[78:79], v[122:123], v[48:49]
	v_fma_f64 v[46:47], -v[78:79], v[124:125], v[46:47]
	s_waitcnt lgkmcnt(0)
	v_fma_f64 v[44:45], -v[78:79], v[126:127], v[44:45]
	ds_read2_b64 v[122:125], v112 offset0:34 offset1:35
	v_fma_f64 v[42:43], -v[78:79], v[128:129], v[42:43]
	ds_read2_b64 v[126:129], v112 offset0:36 offset1:37
	v_fma_f64 v[40:41], -v[78:79], v[118:119], v[40:41]
	v_fma_f64 v[38:39], -v[78:79], v[120:121], v[38:39]
	ds_read2_b64 v[118:121], v112 offset0:38 offset1:39
	s_waitcnt lgkmcnt(0)
	v_fma_f64 v[36:37], -v[78:79], v[122:123], v[36:37]
	v_fma_f64 v[34:35], -v[78:79], v[124:125], v[34:35]
	ds_read2_b64 v[122:125], v112 offset0:40 offset1:41
	v_fma_f64 v[32:33], -v[78:79], v[126:127], v[32:33]
	v_fma_f64 v[30:31], -v[78:79], v[128:129], v[30:31]
	;; [unrolled: 1-line block ×3, first 2 shown]
	ds_read2_b64 v[126:129], v112 offset0:42 offset1:43
	v_fma_f64 v[26:27], -v[78:79], v[120:121], v[26:27]
	ds_read2_b64 v[118:121], v112 offset0:44 offset1:45
	s_waitcnt lgkmcnt(0)
	v_fma_f64 v[24:25], -v[78:79], v[122:123], v[24:25]
	v_fma_f64 v[22:23], -v[78:79], v[124:125], v[22:23]
	;; [unrolled: 1-line block ×4, first 2 shown]
	ds_read2_b64 v[122:125], v112 offset0:46 offset1:47
	ds_read2_b64 v[126:129], v112 offset0:48 offset1:49
	v_fma_f64 v[16:17], -v[78:79], v[118:119], v[16:17]
	v_fma_f64 v[14:15], -v[78:79], v[120:121], v[14:15]
	ds_read2_b64 v[118:121], v112 offset0:50 offset1:51
	s_waitcnt lgkmcnt(0)
	v_fma_f64 v[12:13], -v[78:79], v[122:123], v[12:13]
	v_fma_f64 v[10:11], -v[78:79], v[124:125], v[10:11]
	;; [unrolled: 1-line block ×6, first 2 shown]
.LBB102_233:
	s_or_b64 exec, exec, s[0:1]
	v_lshl_add_u32 v108, v113, 3, v112
	s_barrier
	ds_write_b64 v108, v[76:77]
	s_waitcnt lgkmcnt(0)
	s_barrier
	ds_read_b64 v[108:109], v112 offset:112
	s_cmp_lt_i32 s18, 16
	v_mov_b32_e32 v110, 14
	s_cbranch_scc1 .LBB102_236
; %bb.234:
	v_add_u32_e32 v117, 0x78, v112
	s_mov_b32 s0, 15
	v_mov_b32_e32 v110, 14
.LBB102_235:                            ; =>This Inner Loop Header: Depth=1
	ds_read_b64 v[118:119], v117
	v_mov_b32_e32 v120, s0
	s_add_i32 s0, s0, 1
	v_add_u32_e32 v117, 8, v117
	s_cmp_lg_u32 s18, s0
	s_waitcnt lgkmcnt(0)
	v_cmp_lt_f64_e64 vcc, |v[108:109]|, |v[118:119]|
	v_cndmask_b32_e32 v109, v109, v119, vcc
	v_cndmask_b32_e32 v108, v108, v118, vcc
	;; [unrolled: 1-line block ×3, first 2 shown]
	s_cbranch_scc1 .LBB102_235
.LBB102_236:
	s_waitcnt lgkmcnt(0)
	v_cmp_eq_f64_e32 vcc, 0, v[108:109]
	s_and_saveexec_b64 s[0:1], vcc
	s_xor_b64 s[0:1], exec, s[0:1]
; %bb.237:
	v_cmp_ne_u32_e32 vcc, 0, v116
	v_cndmask_b32_e32 v116, 15, v116, vcc
; %bb.238:
	s_andn2_saveexec_b64 s[0:1], s[0:1]
; %bb.239:
	v_div_scale_f64 v[118:119], s[2:3], v[108:109], v[108:109], 1.0
	v_rcp_f64_e32 v[120:121], v[118:119]
	v_div_scale_f64 v[122:123], vcc, 1.0, v[108:109], 1.0
	v_fma_f64 v[124:125], -v[118:119], v[120:121], 1.0
	v_fmac_f64_e32 v[120:121], v[120:121], v[124:125]
	v_fma_f64 v[124:125], -v[118:119], v[120:121], 1.0
	v_fmac_f64_e32 v[120:121], v[120:121], v[124:125]
	v_mul_f64 v[124:125], v[122:123], v[120:121]
	v_fma_f64 v[118:119], -v[118:119], v[124:125], v[122:123]
	v_div_fmas_f64 v[118:119], v[118:119], v[120:121], v[124:125]
	v_div_fixup_f64 v[108:109], v[118:119], v[108:109], 1.0
; %bb.240:
	s_or_b64 exec, exec, s[0:1]
	v_cmp_ne_u32_e32 vcc, v113, v110
	s_and_saveexec_b64 s[0:1], vcc
	s_xor_b64 s[0:1], exec, s[0:1]
	s_cbranch_execz .LBB102_246
; %bb.241:
	v_cmp_eq_u32_e32 vcc, 14, v113
	s_and_saveexec_b64 s[2:3], vcc
	s_cbranch_execz .LBB102_245
; %bb.242:
	v_cmp_ne_u32_e32 vcc, 14, v110
	s_xor_b64 s[14:15], s[6:7], -1
	s_and_b64 s[16:17], s[14:15], vcc
	s_and_saveexec_b64 s[14:15], s[16:17]
	s_cbranch_execz .LBB102_244
; %bb.243:
	v_ashrrev_i32_e32 v111, 31, v110
	v_lshlrev_b64 v[118:119], 2, v[110:111]
	v_add_co_u32_e32 v118, vcc, v4, v118
	v_addc_co_u32_e32 v119, vcc, v5, v119, vcc
	flat_load_dword v111, v[118:119]
	flat_load_dword v113, v[4:5] offset:56
	s_waitcnt vmcnt(0) lgkmcnt(0)
	flat_store_dword v[4:5], v111 offset:56
	flat_store_dword v[118:119], v113
.LBB102_244:
	s_or_b64 exec, exec, s[14:15]
	v_mov_b32_e32 v111, v110
	v_mov_b32_e32 v113, v110
.LBB102_245:
	s_or_b64 exec, exec, s[2:3]
.LBB102_246:
	s_andn2_saveexec_b64 s[0:1], s[0:1]
	s_cbranch_execz .LBB102_248
; %bb.247:
	v_mov_b32_e32 v113, 14
	ds_write2_b64 v112, v[74:75], v[72:73] offset0:15 offset1:16
	ds_write2_b64 v112, v[70:71], v[68:69] offset0:17 offset1:18
	ds_write2_b64 v112, v[66:67], v[64:65] offset0:19 offset1:20
	ds_write2_b64 v112, v[62:63], v[60:61] offset0:21 offset1:22
	ds_write2_b64 v112, v[58:59], v[56:57] offset0:23 offset1:24
	ds_write2_b64 v112, v[54:55], v[52:53] offset0:25 offset1:26
	ds_write2_b64 v112, v[50:51], v[48:49] offset0:27 offset1:28
	ds_write2_b64 v112, v[46:47], v[44:45] offset0:29 offset1:30
	ds_write2_b64 v112, v[42:43], v[40:41] offset0:31 offset1:32
	ds_write2_b64 v112, v[38:39], v[36:37] offset0:33 offset1:34
	ds_write2_b64 v112, v[34:35], v[32:33] offset0:35 offset1:36
	ds_write2_b64 v112, v[30:31], v[28:29] offset0:37 offset1:38
	ds_write2_b64 v112, v[26:27], v[24:25] offset0:39 offset1:40
	ds_write2_b64 v112, v[22:23], v[20:21] offset0:41 offset1:42
	ds_write2_b64 v112, v[18:19], v[16:17] offset0:43 offset1:44
	ds_write2_b64 v112, v[14:15], v[12:13] offset0:45 offset1:46
	ds_write2_b64 v112, v[10:11], v[8:9] offset0:47 offset1:48
	ds_write2_b64 v112, v[6:7], v[0:1] offset0:49 offset1:50
	ds_write_b64 v112, v[106:107] offset:408
.LBB102_248:
	s_or_b64 exec, exec, s[0:1]
	v_cmp_lt_i32_e32 vcc, 14, v113
	s_waitcnt lgkmcnt(0)
	s_barrier
	s_and_saveexec_b64 s[0:1], vcc
	s_cbranch_execz .LBB102_250
; %bb.249:
	ds_read2_b64 v[118:121], v112 offset0:15 offset1:16
	ds_read2_b64 v[122:125], v112 offset0:17 offset1:18
	;; [unrolled: 1-line block ×3, first 2 shown]
	v_mul_f64 v[76:77], v[108:109], v[76:77]
	ds_read_b64 v[108:109], v112 offset:408
	s_waitcnt lgkmcnt(0)
	v_fma_f64 v[74:75], -v[76:77], v[118:119], v[74:75]
	v_fma_f64 v[72:73], -v[76:77], v[120:121], v[72:73]
	ds_read2_b64 v[118:121], v112 offset0:21 offset1:22
	v_fma_f64 v[70:71], -v[76:77], v[122:123], v[70:71]
	v_fma_f64 v[68:69], -v[76:77], v[124:125], v[68:69]
	;; [unrolled: 1-line block ×3, first 2 shown]
	ds_read2_b64 v[122:125], v112 offset0:23 offset1:24
	v_fma_f64 v[64:65], -v[76:77], v[128:129], v[64:65]
	ds_read2_b64 v[126:129], v112 offset0:25 offset1:26
	s_waitcnt lgkmcnt(0)
	v_fma_f64 v[62:63], -v[76:77], v[118:119], v[62:63]
	v_fma_f64 v[60:61], -v[76:77], v[120:121], v[60:61]
	;; [unrolled: 1-line block ×3, first 2 shown]
	ds_read2_b64 v[118:121], v112 offset0:27 offset1:28
	v_fma_f64 v[56:57], -v[76:77], v[124:125], v[56:57]
	ds_read2_b64 v[122:125], v112 offset0:29 offset1:30
	v_fma_f64 v[54:55], -v[76:77], v[126:127], v[54:55]
	v_fma_f64 v[52:53], -v[76:77], v[128:129], v[52:53]
	ds_read2_b64 v[126:129], v112 offset0:31 offset1:32
	s_waitcnt lgkmcnt(0)
	v_fma_f64 v[50:51], -v[76:77], v[118:119], v[50:51]
	v_fma_f64 v[48:49], -v[76:77], v[120:121], v[48:49]
	ds_read2_b64 v[118:121], v112 offset0:33 offset1:34
	v_fma_f64 v[46:47], -v[76:77], v[122:123], v[46:47]
	v_fma_f64 v[44:45], -v[76:77], v[124:125], v[44:45]
	;; [unrolled: 1-line block ×3, first 2 shown]
	ds_read2_b64 v[122:125], v112 offset0:35 offset1:36
	v_fma_f64 v[40:41], -v[76:77], v[128:129], v[40:41]
	ds_read2_b64 v[126:129], v112 offset0:37 offset1:38
	s_waitcnt lgkmcnt(0)
	v_fma_f64 v[38:39], -v[76:77], v[118:119], v[38:39]
	v_fma_f64 v[36:37], -v[76:77], v[120:121], v[36:37]
	;; [unrolled: 1-line block ×3, first 2 shown]
	ds_read2_b64 v[118:121], v112 offset0:39 offset1:40
	v_fma_f64 v[32:33], -v[76:77], v[124:125], v[32:33]
	ds_read2_b64 v[122:125], v112 offset0:41 offset1:42
	v_fma_f64 v[30:31], -v[76:77], v[126:127], v[30:31]
	v_fma_f64 v[28:29], -v[76:77], v[128:129], v[28:29]
	ds_read2_b64 v[126:129], v112 offset0:43 offset1:44
	s_waitcnt lgkmcnt(0)
	v_fma_f64 v[26:27], -v[76:77], v[118:119], v[26:27]
	v_fma_f64 v[24:25], -v[76:77], v[120:121], v[24:25]
	ds_read2_b64 v[118:121], v112 offset0:45 offset1:46
	v_fma_f64 v[22:23], -v[76:77], v[122:123], v[22:23]
	v_fma_f64 v[20:21], -v[76:77], v[124:125], v[20:21]
	;; [unrolled: 1-line block ×4, first 2 shown]
	ds_read2_b64 v[122:125], v112 offset0:47 offset1:48
	ds_read2_b64 v[126:129], v112 offset0:49 offset1:50
	s_waitcnt lgkmcnt(0)
	v_fma_f64 v[14:15], -v[76:77], v[118:119], v[14:15]
	v_fma_f64 v[12:13], -v[76:77], v[120:121], v[12:13]
	;; [unrolled: 1-line block ×7, first 2 shown]
.LBB102_250:
	s_or_b64 exec, exec, s[0:1]
	v_lshl_add_u32 v108, v113, 3, v112
	s_barrier
	ds_write_b64 v108, v[74:75]
	s_waitcnt lgkmcnt(0)
	s_barrier
	ds_read_b64 v[108:109], v112 offset:120
	s_cmp_lt_i32 s18, 17
	v_mov_b32_e32 v110, 15
	s_cbranch_scc1 .LBB102_253
; %bb.251:
	v_add_u32_e32 v117, 0x80, v112
	s_mov_b32 s0, 16
	v_mov_b32_e32 v110, 15
.LBB102_252:                            ; =>This Inner Loop Header: Depth=1
	ds_read_b64 v[118:119], v117
	v_mov_b32_e32 v120, s0
	s_add_i32 s0, s0, 1
	v_add_u32_e32 v117, 8, v117
	s_cmp_lg_u32 s18, s0
	s_waitcnt lgkmcnt(0)
	v_cmp_lt_f64_e64 vcc, |v[108:109]|, |v[118:119]|
	v_cndmask_b32_e32 v109, v109, v119, vcc
	v_cndmask_b32_e32 v108, v108, v118, vcc
	v_cndmask_b32_e32 v110, v110, v120, vcc
	s_cbranch_scc1 .LBB102_252
.LBB102_253:
	s_waitcnt lgkmcnt(0)
	v_cmp_eq_f64_e32 vcc, 0, v[108:109]
	s_and_saveexec_b64 s[0:1], vcc
	s_xor_b64 s[0:1], exec, s[0:1]
; %bb.254:
	v_cmp_ne_u32_e32 vcc, 0, v116
	v_cndmask_b32_e32 v116, 16, v116, vcc
; %bb.255:
	s_andn2_saveexec_b64 s[0:1], s[0:1]
; %bb.256:
	v_div_scale_f64 v[118:119], s[2:3], v[108:109], v[108:109], 1.0
	v_rcp_f64_e32 v[120:121], v[118:119]
	v_div_scale_f64 v[122:123], vcc, 1.0, v[108:109], 1.0
	v_fma_f64 v[124:125], -v[118:119], v[120:121], 1.0
	v_fmac_f64_e32 v[120:121], v[120:121], v[124:125]
	v_fma_f64 v[124:125], -v[118:119], v[120:121], 1.0
	v_fmac_f64_e32 v[120:121], v[120:121], v[124:125]
	v_mul_f64 v[124:125], v[122:123], v[120:121]
	v_fma_f64 v[118:119], -v[118:119], v[124:125], v[122:123]
	v_div_fmas_f64 v[118:119], v[118:119], v[120:121], v[124:125]
	v_div_fixup_f64 v[108:109], v[118:119], v[108:109], 1.0
; %bb.257:
	s_or_b64 exec, exec, s[0:1]
	v_cmp_ne_u32_e32 vcc, v113, v110
	s_and_saveexec_b64 s[0:1], vcc
	s_xor_b64 s[0:1], exec, s[0:1]
	s_cbranch_execz .LBB102_263
; %bb.258:
	v_cmp_eq_u32_e32 vcc, 15, v113
	s_and_saveexec_b64 s[2:3], vcc
	s_cbranch_execz .LBB102_262
; %bb.259:
	v_cmp_ne_u32_e32 vcc, 15, v110
	s_xor_b64 s[14:15], s[6:7], -1
	s_and_b64 s[16:17], s[14:15], vcc
	s_and_saveexec_b64 s[14:15], s[16:17]
	s_cbranch_execz .LBB102_261
; %bb.260:
	v_ashrrev_i32_e32 v111, 31, v110
	v_lshlrev_b64 v[118:119], 2, v[110:111]
	v_add_co_u32_e32 v118, vcc, v4, v118
	v_addc_co_u32_e32 v119, vcc, v5, v119, vcc
	flat_load_dword v111, v[118:119]
	flat_load_dword v113, v[4:5] offset:60
	s_waitcnt vmcnt(0) lgkmcnt(0)
	flat_store_dword v[4:5], v111 offset:60
	flat_store_dword v[118:119], v113
.LBB102_261:
	s_or_b64 exec, exec, s[14:15]
	v_mov_b32_e32 v111, v110
	v_mov_b32_e32 v113, v110
.LBB102_262:
	s_or_b64 exec, exec, s[2:3]
.LBB102_263:
	s_andn2_saveexec_b64 s[0:1], s[0:1]
	s_cbranch_execz .LBB102_265
; %bb.264:
	v_mov_b32_e32 v118, v72
	v_mov_b32_e32 v119, v73
	v_mov_b32_e32 v120, v70
	v_mov_b32_e32 v121, v71
	ds_write2_b64 v112, v[118:119], v[120:121] offset0:16 offset1:17
	v_mov_b32_e32 v118, v68
	v_mov_b32_e32 v119, v69
	v_mov_b32_e32 v120, v66
	v_mov_b32_e32 v121, v67
	ds_write2_b64 v112, v[118:119], v[120:121] offset0:18 offset1:19
	;; [unrolled: 5-line block ×17, first 2 shown]
	v_mov_b32_e32 v118, v0
	v_mov_b32_e32 v119, v1
	;; [unrolled: 1-line block ×3, first 2 shown]
	ds_write2_b64 v112, v[118:119], v[106:107] offset0:50 offset1:51
.LBB102_265:
	s_or_b64 exec, exec, s[0:1]
	v_cmp_lt_i32_e32 vcc, 15, v113
	s_waitcnt lgkmcnt(0)
	s_barrier
	s_and_saveexec_b64 s[0:1], vcc
	s_cbranch_execz .LBB102_267
; %bb.266:
	ds_read2_b64 v[118:121], v112 offset0:16 offset1:17
	ds_read2_b64 v[122:125], v112 offset0:18 offset1:19
	;; [unrolled: 1-line block ×3, first 2 shown]
	v_mul_f64 v[74:75], v[108:109], v[74:75]
	s_waitcnt lgkmcnt(0)
	v_fma_f64 v[72:73], -v[74:75], v[118:119], v[72:73]
	v_fma_f64 v[70:71], -v[74:75], v[120:121], v[70:71]
	ds_read2_b64 v[118:121], v112 offset0:22 offset1:23
	v_fma_f64 v[68:69], -v[74:75], v[122:123], v[68:69]
	v_fma_f64 v[66:67], -v[74:75], v[124:125], v[66:67]
	v_fma_f64 v[64:65], -v[74:75], v[126:127], v[64:65]
	ds_read2_b64 v[122:125], v112 offset0:24 offset1:25
	v_fma_f64 v[62:63], -v[74:75], v[128:129], v[62:63]
	ds_read2_b64 v[126:129], v112 offset0:26 offset1:27
	s_waitcnt lgkmcnt(0)
	v_fma_f64 v[60:61], -v[74:75], v[118:119], v[60:61]
	v_fma_f64 v[58:59], -v[74:75], v[120:121], v[58:59]
	;; [unrolled: 1-line block ×3, first 2 shown]
	ds_read2_b64 v[118:121], v112 offset0:28 offset1:29
	v_fma_f64 v[54:55], -v[74:75], v[124:125], v[54:55]
	ds_read2_b64 v[122:125], v112 offset0:30 offset1:31
	v_fma_f64 v[52:53], -v[74:75], v[126:127], v[52:53]
	v_fma_f64 v[50:51], -v[74:75], v[128:129], v[50:51]
	ds_read2_b64 v[126:129], v112 offset0:32 offset1:33
	s_waitcnt lgkmcnt(0)
	v_fma_f64 v[48:49], -v[74:75], v[118:119], v[48:49]
	v_fma_f64 v[46:47], -v[74:75], v[120:121], v[46:47]
	ds_read2_b64 v[118:121], v112 offset0:34 offset1:35
	v_fma_f64 v[44:45], -v[74:75], v[122:123], v[44:45]
	v_fma_f64 v[42:43], -v[74:75], v[124:125], v[42:43]
	;; [unrolled: 1-line block ×3, first 2 shown]
	ds_read2_b64 v[122:125], v112 offset0:36 offset1:37
	v_fma_f64 v[38:39], -v[74:75], v[128:129], v[38:39]
	ds_read2_b64 v[126:129], v112 offset0:38 offset1:39
	s_waitcnt lgkmcnt(0)
	v_fma_f64 v[36:37], -v[74:75], v[118:119], v[36:37]
	v_fma_f64 v[34:35], -v[74:75], v[120:121], v[34:35]
	;; [unrolled: 1-line block ×3, first 2 shown]
	ds_read2_b64 v[118:121], v112 offset0:40 offset1:41
	v_fma_f64 v[30:31], -v[74:75], v[124:125], v[30:31]
	ds_read2_b64 v[122:125], v112 offset0:42 offset1:43
	v_fma_f64 v[28:29], -v[74:75], v[126:127], v[28:29]
	v_fma_f64 v[26:27], -v[74:75], v[128:129], v[26:27]
	ds_read2_b64 v[126:129], v112 offset0:44 offset1:45
	s_waitcnt lgkmcnt(0)
	v_fma_f64 v[24:25], -v[74:75], v[118:119], v[24:25]
	v_fma_f64 v[22:23], -v[74:75], v[120:121], v[22:23]
	ds_read2_b64 v[118:121], v112 offset0:46 offset1:47
	v_fma_f64 v[20:21], -v[74:75], v[122:123], v[20:21]
	v_fma_f64 v[18:19], -v[74:75], v[124:125], v[18:19]
	;; [unrolled: 1-line block ×3, first 2 shown]
	ds_read2_b64 v[122:125], v112 offset0:48 offset1:49
	v_fma_f64 v[14:15], -v[74:75], v[128:129], v[14:15]
	ds_read2_b64 v[126:129], v112 offset0:50 offset1:51
	s_waitcnt lgkmcnt(0)
	v_fma_f64 v[12:13], -v[74:75], v[118:119], v[12:13]
	v_fma_f64 v[10:11], -v[74:75], v[120:121], v[10:11]
	;; [unrolled: 1-line block ×6, first 2 shown]
.LBB102_267:
	s_or_b64 exec, exec, s[0:1]
	v_lshl_add_u32 v108, v113, 3, v112
	s_barrier
	ds_write_b64 v108, v[72:73]
	s_waitcnt lgkmcnt(0)
	s_barrier
	ds_read_b64 v[108:109], v112 offset:128
	s_cmp_lt_i32 s18, 18
	v_mov_b32_e32 v110, 16
	s_cbranch_scc1 .LBB102_270
; %bb.268:
	v_add_u32_e32 v117, 0x88, v112
	s_mov_b32 s0, 17
	v_mov_b32_e32 v110, 16
.LBB102_269:                            ; =>This Inner Loop Header: Depth=1
	ds_read_b64 v[118:119], v117
	v_mov_b32_e32 v120, s0
	s_add_i32 s0, s0, 1
	v_add_u32_e32 v117, 8, v117
	s_cmp_lg_u32 s18, s0
	s_waitcnt lgkmcnt(0)
	v_cmp_lt_f64_e64 vcc, |v[108:109]|, |v[118:119]|
	v_cndmask_b32_e32 v109, v109, v119, vcc
	v_cndmask_b32_e32 v108, v108, v118, vcc
	v_cndmask_b32_e32 v110, v110, v120, vcc
	s_cbranch_scc1 .LBB102_269
.LBB102_270:
	s_waitcnt lgkmcnt(0)
	v_cmp_eq_f64_e32 vcc, 0, v[108:109]
	s_and_saveexec_b64 s[0:1], vcc
	s_xor_b64 s[0:1], exec, s[0:1]
; %bb.271:
	v_cmp_ne_u32_e32 vcc, 0, v116
	v_cndmask_b32_e32 v116, 17, v116, vcc
; %bb.272:
	s_andn2_saveexec_b64 s[0:1], s[0:1]
; %bb.273:
	v_div_scale_f64 v[118:119], s[2:3], v[108:109], v[108:109], 1.0
	v_rcp_f64_e32 v[120:121], v[118:119]
	v_div_scale_f64 v[122:123], vcc, 1.0, v[108:109], 1.0
	v_fma_f64 v[124:125], -v[118:119], v[120:121], 1.0
	v_fmac_f64_e32 v[120:121], v[120:121], v[124:125]
	v_fma_f64 v[124:125], -v[118:119], v[120:121], 1.0
	v_fmac_f64_e32 v[120:121], v[120:121], v[124:125]
	v_mul_f64 v[124:125], v[122:123], v[120:121]
	v_fma_f64 v[118:119], -v[118:119], v[124:125], v[122:123]
	v_div_fmas_f64 v[118:119], v[118:119], v[120:121], v[124:125]
	v_div_fixup_f64 v[108:109], v[118:119], v[108:109], 1.0
; %bb.274:
	s_or_b64 exec, exec, s[0:1]
	v_cmp_ne_u32_e32 vcc, v113, v110
	s_and_saveexec_b64 s[0:1], vcc
	s_xor_b64 s[0:1], exec, s[0:1]
	s_cbranch_execz .LBB102_280
; %bb.275:
	v_cmp_eq_u32_e32 vcc, 16, v113
	s_and_saveexec_b64 s[2:3], vcc
	s_cbranch_execz .LBB102_279
; %bb.276:
	v_cmp_ne_u32_e32 vcc, 16, v110
	s_xor_b64 s[14:15], s[6:7], -1
	s_and_b64 s[16:17], s[14:15], vcc
	s_and_saveexec_b64 s[14:15], s[16:17]
	s_cbranch_execz .LBB102_278
; %bb.277:
	v_ashrrev_i32_e32 v111, 31, v110
	v_lshlrev_b64 v[118:119], 2, v[110:111]
	v_add_co_u32_e32 v118, vcc, v4, v118
	v_addc_co_u32_e32 v119, vcc, v5, v119, vcc
	flat_load_dword v111, v[118:119]
	flat_load_dword v113, v[4:5] offset:64
	s_waitcnt vmcnt(0) lgkmcnt(0)
	flat_store_dword v[4:5], v111 offset:64
	flat_store_dword v[118:119], v113
.LBB102_278:
	s_or_b64 exec, exec, s[14:15]
	v_mov_b32_e32 v111, v110
	v_mov_b32_e32 v113, v110
.LBB102_279:
	s_or_b64 exec, exec, s[2:3]
.LBB102_280:
	s_andn2_saveexec_b64 s[0:1], s[0:1]
	s_cbranch_execz .LBB102_282
; %bb.281:
	v_mov_b32_e32 v113, 16
	ds_write2_b64 v112, v[70:71], v[68:69] offset0:17 offset1:18
	ds_write2_b64 v112, v[66:67], v[64:65] offset0:19 offset1:20
	;; [unrolled: 1-line block ×17, first 2 shown]
	ds_write_b64 v112, v[106:107] offset:408
.LBB102_282:
	s_or_b64 exec, exec, s[0:1]
	v_cmp_lt_i32_e32 vcc, 16, v113
	s_waitcnt lgkmcnt(0)
	s_barrier
	s_and_saveexec_b64 s[0:1], vcc
	s_cbranch_execz .LBB102_284
; %bb.283:
	ds_read2_b64 v[118:121], v112 offset0:17 offset1:18
	ds_read2_b64 v[122:125], v112 offset0:19 offset1:20
	v_mul_f64 v[72:73], v[108:109], v[72:73]
	ds_read2_b64 v[126:129], v112 offset0:21 offset1:22
	ds_read_b64 v[108:109], v112 offset:408
	s_waitcnt lgkmcnt(0)
	v_fma_f64 v[70:71], -v[72:73], v[118:119], v[70:71]
	v_fma_f64 v[68:69], -v[72:73], v[120:121], v[68:69]
	ds_read2_b64 v[118:121], v112 offset0:23 offset1:24
	v_fma_f64 v[66:67], -v[72:73], v[122:123], v[66:67]
	v_fma_f64 v[64:65], -v[72:73], v[124:125], v[64:65]
	ds_read2_b64 v[122:125], v112 offset0:25 offset1:26
	;; [unrolled: 3-line block ×3, first 2 shown]
	s_waitcnt lgkmcnt(0)
	v_fma_f64 v[58:59], -v[72:73], v[118:119], v[58:59]
	v_fma_f64 v[56:57], -v[72:73], v[120:121], v[56:57]
	;; [unrolled: 1-line block ×3, first 2 shown]
	ds_read2_b64 v[118:121], v112 offset0:29 offset1:30
	v_fma_f64 v[52:53], -v[72:73], v[124:125], v[52:53]
	ds_read2_b64 v[122:125], v112 offset0:31 offset1:32
	v_fma_f64 v[50:51], -v[72:73], v[126:127], v[50:51]
	v_fma_f64 v[48:49], -v[72:73], v[128:129], v[48:49]
	s_waitcnt lgkmcnt(0)
	v_fma_f64 v[46:47], -v[72:73], v[118:119], v[46:47]
	ds_read2_b64 v[126:129], v112 offset0:33 offset1:34
	v_fma_f64 v[44:45], -v[72:73], v[120:121], v[44:45]
	ds_read2_b64 v[118:121], v112 offset0:35 offset1:36
	v_fma_f64 v[42:43], -v[72:73], v[122:123], v[42:43]
	v_fma_f64 v[40:41], -v[72:73], v[124:125], v[40:41]
	ds_read2_b64 v[122:125], v112 offset0:37 offset1:38
	s_waitcnt lgkmcnt(0)
	v_fma_f64 v[38:39], -v[72:73], v[126:127], v[38:39]
	v_fma_f64 v[36:37], -v[72:73], v[128:129], v[36:37]
	ds_read2_b64 v[126:129], v112 offset0:39 offset1:40
	v_fma_f64 v[34:35], -v[72:73], v[118:119], v[34:35]
	v_fma_f64 v[32:33], -v[72:73], v[120:121], v[32:33]
	v_fma_f64 v[30:31], -v[72:73], v[122:123], v[30:31]
	ds_read2_b64 v[118:121], v112 offset0:41 offset1:42
	v_fma_f64 v[28:29], -v[72:73], v[124:125], v[28:29]
	ds_read2_b64 v[122:125], v112 offset0:43 offset1:44
	s_waitcnt lgkmcnt(0)
	v_fma_f64 v[26:27], -v[72:73], v[126:127], v[26:27]
	v_fma_f64 v[24:25], -v[72:73], v[128:129], v[24:25]
	v_fma_f64 v[22:23], -v[72:73], v[118:119], v[22:23]
	ds_read2_b64 v[126:129], v112 offset0:45 offset1:46
	v_fma_f64 v[20:21], -v[72:73], v[120:121], v[20:21]
	ds_read2_b64 v[118:121], v112 offset0:47 offset1:48
	v_fma_f64 v[18:19], -v[72:73], v[122:123], v[18:19]
	v_fma_f64 v[16:17], -v[72:73], v[124:125], v[16:17]
	ds_read2_b64 v[122:125], v112 offset0:49 offset1:50
	s_waitcnt lgkmcnt(0)
	v_fma_f64 v[14:15], -v[72:73], v[126:127], v[14:15]
	v_fma_f64 v[12:13], -v[72:73], v[128:129], v[12:13]
	;; [unrolled: 1-line block ×7, first 2 shown]
.LBB102_284:
	s_or_b64 exec, exec, s[0:1]
	v_lshl_add_u32 v108, v113, 3, v112
	s_barrier
	ds_write_b64 v108, v[70:71]
	s_waitcnt lgkmcnt(0)
	s_barrier
	ds_read_b64 v[108:109], v112 offset:136
	s_cmp_lt_i32 s18, 19
	v_mov_b32_e32 v110, 17
	s_cbranch_scc1 .LBB102_287
; %bb.285:
	v_add_u32_e32 v117, 0x90, v112
	s_mov_b32 s0, 18
	v_mov_b32_e32 v110, 17
.LBB102_286:                            ; =>This Inner Loop Header: Depth=1
	ds_read_b64 v[118:119], v117
	v_mov_b32_e32 v120, s0
	s_add_i32 s0, s0, 1
	v_add_u32_e32 v117, 8, v117
	s_cmp_lg_u32 s18, s0
	s_waitcnt lgkmcnt(0)
	v_cmp_lt_f64_e64 vcc, |v[108:109]|, |v[118:119]|
	v_cndmask_b32_e32 v109, v109, v119, vcc
	v_cndmask_b32_e32 v108, v108, v118, vcc
	;; [unrolled: 1-line block ×3, first 2 shown]
	s_cbranch_scc1 .LBB102_286
.LBB102_287:
	s_waitcnt lgkmcnt(0)
	v_cmp_eq_f64_e32 vcc, 0, v[108:109]
	s_and_saveexec_b64 s[0:1], vcc
	s_xor_b64 s[0:1], exec, s[0:1]
; %bb.288:
	v_cmp_ne_u32_e32 vcc, 0, v116
	v_cndmask_b32_e32 v116, 18, v116, vcc
; %bb.289:
	s_andn2_saveexec_b64 s[0:1], s[0:1]
; %bb.290:
	v_div_scale_f64 v[118:119], s[2:3], v[108:109], v[108:109], 1.0
	v_rcp_f64_e32 v[120:121], v[118:119]
	v_div_scale_f64 v[122:123], vcc, 1.0, v[108:109], 1.0
	v_fma_f64 v[124:125], -v[118:119], v[120:121], 1.0
	v_fmac_f64_e32 v[120:121], v[120:121], v[124:125]
	v_fma_f64 v[124:125], -v[118:119], v[120:121], 1.0
	v_fmac_f64_e32 v[120:121], v[120:121], v[124:125]
	v_mul_f64 v[124:125], v[122:123], v[120:121]
	v_fma_f64 v[118:119], -v[118:119], v[124:125], v[122:123]
	v_div_fmas_f64 v[118:119], v[118:119], v[120:121], v[124:125]
	v_div_fixup_f64 v[108:109], v[118:119], v[108:109], 1.0
; %bb.291:
	s_or_b64 exec, exec, s[0:1]
	v_cmp_ne_u32_e32 vcc, v113, v110
	s_and_saveexec_b64 s[0:1], vcc
	s_xor_b64 s[0:1], exec, s[0:1]
	s_cbranch_execz .LBB102_297
; %bb.292:
	v_cmp_eq_u32_e32 vcc, 17, v113
	s_and_saveexec_b64 s[2:3], vcc
	s_cbranch_execz .LBB102_296
; %bb.293:
	v_cmp_ne_u32_e32 vcc, 17, v110
	s_xor_b64 s[14:15], s[6:7], -1
	s_and_b64 s[16:17], s[14:15], vcc
	s_and_saveexec_b64 s[14:15], s[16:17]
	s_cbranch_execz .LBB102_295
; %bb.294:
	v_ashrrev_i32_e32 v111, 31, v110
	v_lshlrev_b64 v[118:119], 2, v[110:111]
	v_add_co_u32_e32 v118, vcc, v4, v118
	v_addc_co_u32_e32 v119, vcc, v5, v119, vcc
	flat_load_dword v111, v[118:119]
	flat_load_dword v113, v[4:5] offset:68
	s_waitcnt vmcnt(0) lgkmcnt(0)
	flat_store_dword v[4:5], v111 offset:68
	flat_store_dword v[118:119], v113
.LBB102_295:
	s_or_b64 exec, exec, s[14:15]
	v_mov_b32_e32 v111, v110
	v_mov_b32_e32 v113, v110
.LBB102_296:
	s_or_b64 exec, exec, s[2:3]
.LBB102_297:
	s_andn2_saveexec_b64 s[0:1], s[0:1]
	s_cbranch_execz .LBB102_299
; %bb.298:
	v_mov_b32_e32 v118, v68
	v_mov_b32_e32 v119, v69
	v_mov_b32_e32 v120, v66
	v_mov_b32_e32 v121, v67
	ds_write2_b64 v112, v[118:119], v[120:121] offset0:18 offset1:19
	v_mov_b32_e32 v118, v64
	v_mov_b32_e32 v119, v65
	v_mov_b32_e32 v120, v62
	v_mov_b32_e32 v121, v63
	ds_write2_b64 v112, v[118:119], v[120:121] offset0:20 offset1:21
	;; [unrolled: 5-line block ×16, first 2 shown]
	v_mov_b32_e32 v118, v0
	v_mov_b32_e32 v119, v1
	;; [unrolled: 1-line block ×3, first 2 shown]
	ds_write2_b64 v112, v[118:119], v[106:107] offset0:50 offset1:51
.LBB102_299:
	s_or_b64 exec, exec, s[0:1]
	v_cmp_lt_i32_e32 vcc, 17, v113
	s_waitcnt lgkmcnt(0)
	s_barrier
	s_and_saveexec_b64 s[0:1], vcc
	s_cbranch_execz .LBB102_301
; %bb.300:
	ds_read2_b64 v[118:121], v112 offset0:18 offset1:19
	ds_read2_b64 v[122:125], v112 offset0:20 offset1:21
	v_mul_f64 v[70:71], v[108:109], v[70:71]
	ds_read2_b64 v[126:129], v112 offset0:22 offset1:23
	s_waitcnt lgkmcnt(0)
	v_fma_f64 v[68:69], -v[70:71], v[118:119], v[68:69]
	v_fma_f64 v[66:67], -v[70:71], v[120:121], v[66:67]
	ds_read2_b64 v[118:121], v112 offset0:24 offset1:25
	v_fma_f64 v[64:65], -v[70:71], v[122:123], v[64:65]
	v_fma_f64 v[62:63], -v[70:71], v[124:125], v[62:63]
	ds_read2_b64 v[122:125], v112 offset0:26 offset1:27
	;; [unrolled: 3-line block ×3, first 2 shown]
	s_waitcnt lgkmcnt(0)
	v_fma_f64 v[56:57], -v[70:71], v[118:119], v[56:57]
	v_fma_f64 v[54:55], -v[70:71], v[120:121], v[54:55]
	;; [unrolled: 1-line block ×3, first 2 shown]
	ds_read2_b64 v[118:121], v112 offset0:30 offset1:31
	v_fma_f64 v[50:51], -v[70:71], v[124:125], v[50:51]
	ds_read2_b64 v[122:125], v112 offset0:32 offset1:33
	v_fma_f64 v[48:49], -v[70:71], v[126:127], v[48:49]
	v_fma_f64 v[46:47], -v[70:71], v[128:129], v[46:47]
	s_waitcnt lgkmcnt(0)
	v_fma_f64 v[44:45], -v[70:71], v[118:119], v[44:45]
	ds_read2_b64 v[126:129], v112 offset0:34 offset1:35
	v_fma_f64 v[42:43], -v[70:71], v[120:121], v[42:43]
	ds_read2_b64 v[118:121], v112 offset0:36 offset1:37
	v_fma_f64 v[40:41], -v[70:71], v[122:123], v[40:41]
	v_fma_f64 v[38:39], -v[70:71], v[124:125], v[38:39]
	ds_read2_b64 v[122:125], v112 offset0:38 offset1:39
	s_waitcnt lgkmcnt(0)
	v_fma_f64 v[36:37], -v[70:71], v[126:127], v[36:37]
	v_fma_f64 v[34:35], -v[70:71], v[128:129], v[34:35]
	ds_read2_b64 v[126:129], v112 offset0:40 offset1:41
	v_fma_f64 v[32:33], -v[70:71], v[118:119], v[32:33]
	v_fma_f64 v[30:31], -v[70:71], v[120:121], v[30:31]
	;; [unrolled: 1-line block ×3, first 2 shown]
	ds_read2_b64 v[118:121], v112 offset0:42 offset1:43
	v_fma_f64 v[26:27], -v[70:71], v[124:125], v[26:27]
	ds_read2_b64 v[122:125], v112 offset0:44 offset1:45
	s_waitcnt lgkmcnt(0)
	v_fma_f64 v[24:25], -v[70:71], v[126:127], v[24:25]
	v_fma_f64 v[22:23], -v[70:71], v[128:129], v[22:23]
	;; [unrolled: 1-line block ×4, first 2 shown]
	ds_read2_b64 v[118:121], v112 offset0:46 offset1:47
	ds_read2_b64 v[126:129], v112 offset0:48 offset1:49
	v_fma_f64 v[16:17], -v[70:71], v[122:123], v[16:17]
	v_fma_f64 v[14:15], -v[70:71], v[124:125], v[14:15]
	ds_read2_b64 v[122:125], v112 offset0:50 offset1:51
	s_waitcnt lgkmcnt(0)
	v_fma_f64 v[12:13], -v[70:71], v[118:119], v[12:13]
	v_fma_f64 v[10:11], -v[70:71], v[120:121], v[10:11]
	;; [unrolled: 1-line block ×6, first 2 shown]
.LBB102_301:
	s_or_b64 exec, exec, s[0:1]
	v_lshl_add_u32 v108, v113, 3, v112
	s_barrier
	ds_write_b64 v108, v[68:69]
	s_waitcnt lgkmcnt(0)
	s_barrier
	ds_read_b64 v[108:109], v112 offset:144
	s_cmp_lt_i32 s18, 20
	v_mov_b32_e32 v110, 18
	s_cbranch_scc1 .LBB102_304
; %bb.302:
	v_add_u32_e32 v117, 0x98, v112
	s_mov_b32 s0, 19
	v_mov_b32_e32 v110, 18
.LBB102_303:                            ; =>This Inner Loop Header: Depth=1
	ds_read_b64 v[118:119], v117
	v_mov_b32_e32 v120, s0
	s_add_i32 s0, s0, 1
	v_add_u32_e32 v117, 8, v117
	s_cmp_lg_u32 s18, s0
	s_waitcnt lgkmcnt(0)
	v_cmp_lt_f64_e64 vcc, |v[108:109]|, |v[118:119]|
	v_cndmask_b32_e32 v109, v109, v119, vcc
	v_cndmask_b32_e32 v108, v108, v118, vcc
	;; [unrolled: 1-line block ×3, first 2 shown]
	s_cbranch_scc1 .LBB102_303
.LBB102_304:
	s_waitcnt lgkmcnt(0)
	v_cmp_eq_f64_e32 vcc, 0, v[108:109]
	s_and_saveexec_b64 s[0:1], vcc
	s_xor_b64 s[0:1], exec, s[0:1]
; %bb.305:
	v_cmp_ne_u32_e32 vcc, 0, v116
	v_cndmask_b32_e32 v116, 19, v116, vcc
; %bb.306:
	s_andn2_saveexec_b64 s[0:1], s[0:1]
; %bb.307:
	v_div_scale_f64 v[118:119], s[2:3], v[108:109], v[108:109], 1.0
	v_rcp_f64_e32 v[120:121], v[118:119]
	v_div_scale_f64 v[122:123], vcc, 1.0, v[108:109], 1.0
	v_fma_f64 v[124:125], -v[118:119], v[120:121], 1.0
	v_fmac_f64_e32 v[120:121], v[120:121], v[124:125]
	v_fma_f64 v[124:125], -v[118:119], v[120:121], 1.0
	v_fmac_f64_e32 v[120:121], v[120:121], v[124:125]
	v_mul_f64 v[124:125], v[122:123], v[120:121]
	v_fma_f64 v[118:119], -v[118:119], v[124:125], v[122:123]
	v_div_fmas_f64 v[118:119], v[118:119], v[120:121], v[124:125]
	v_div_fixup_f64 v[108:109], v[118:119], v[108:109], 1.0
; %bb.308:
	s_or_b64 exec, exec, s[0:1]
	v_cmp_ne_u32_e32 vcc, v113, v110
	s_and_saveexec_b64 s[0:1], vcc
	s_xor_b64 s[0:1], exec, s[0:1]
	s_cbranch_execz .LBB102_314
; %bb.309:
	v_cmp_eq_u32_e32 vcc, 18, v113
	s_and_saveexec_b64 s[2:3], vcc
	s_cbranch_execz .LBB102_313
; %bb.310:
	v_cmp_ne_u32_e32 vcc, 18, v110
	s_xor_b64 s[14:15], s[6:7], -1
	s_and_b64 s[16:17], s[14:15], vcc
	s_and_saveexec_b64 s[14:15], s[16:17]
	s_cbranch_execz .LBB102_312
; %bb.311:
	v_ashrrev_i32_e32 v111, 31, v110
	v_lshlrev_b64 v[118:119], 2, v[110:111]
	v_add_co_u32_e32 v118, vcc, v4, v118
	v_addc_co_u32_e32 v119, vcc, v5, v119, vcc
	flat_load_dword v111, v[118:119]
	flat_load_dword v113, v[4:5] offset:72
	s_waitcnt vmcnt(0) lgkmcnt(0)
	flat_store_dword v[4:5], v111 offset:72
	flat_store_dword v[118:119], v113
.LBB102_312:
	s_or_b64 exec, exec, s[14:15]
	v_mov_b32_e32 v111, v110
	v_mov_b32_e32 v113, v110
.LBB102_313:
	s_or_b64 exec, exec, s[2:3]
.LBB102_314:
	s_andn2_saveexec_b64 s[0:1], s[0:1]
	s_cbranch_execz .LBB102_316
; %bb.315:
	v_mov_b32_e32 v113, 18
	ds_write2_b64 v112, v[66:67], v[64:65] offset0:19 offset1:20
	ds_write2_b64 v112, v[62:63], v[60:61] offset0:21 offset1:22
	;; [unrolled: 1-line block ×16, first 2 shown]
	ds_write_b64 v112, v[106:107] offset:408
.LBB102_316:
	s_or_b64 exec, exec, s[0:1]
	v_cmp_lt_i32_e32 vcc, 18, v113
	s_waitcnt lgkmcnt(0)
	s_barrier
	s_and_saveexec_b64 s[0:1], vcc
	s_cbranch_execz .LBB102_318
; %bb.317:
	ds_read2_b64 v[118:121], v112 offset0:19 offset1:20
	ds_read2_b64 v[122:125], v112 offset0:21 offset1:22
	v_mul_f64 v[68:69], v[108:109], v[68:69]
	ds_read2_b64 v[126:129], v112 offset0:23 offset1:24
	ds_read_b64 v[108:109], v112 offset:408
	s_waitcnt lgkmcnt(0)
	v_fma_f64 v[66:67], -v[68:69], v[118:119], v[66:67]
	v_fma_f64 v[64:65], -v[68:69], v[120:121], v[64:65]
	ds_read2_b64 v[118:121], v112 offset0:25 offset1:26
	v_fma_f64 v[62:63], -v[68:69], v[122:123], v[62:63]
	v_fma_f64 v[60:61], -v[68:69], v[124:125], v[60:61]
	;; [unrolled: 1-line block ×3, first 2 shown]
	ds_read2_b64 v[122:125], v112 offset0:27 offset1:28
	v_fma_f64 v[56:57], -v[68:69], v[128:129], v[56:57]
	ds_read2_b64 v[126:129], v112 offset0:29 offset1:30
	s_waitcnt lgkmcnt(0)
	v_fma_f64 v[54:55], -v[68:69], v[118:119], v[54:55]
	v_fma_f64 v[52:53], -v[68:69], v[120:121], v[52:53]
	ds_read2_b64 v[118:121], v112 offset0:31 offset1:32
	v_fma_f64 v[50:51], -v[68:69], v[122:123], v[50:51]
	v_fma_f64 v[48:49], -v[68:69], v[124:125], v[48:49]
	ds_read2_b64 v[122:125], v112 offset0:33 offset1:34
	v_fma_f64 v[46:47], -v[68:69], v[126:127], v[46:47]
	v_fma_f64 v[44:45], -v[68:69], v[128:129], v[44:45]
	s_waitcnt lgkmcnt(0)
	v_fma_f64 v[42:43], -v[68:69], v[118:119], v[42:43]
	ds_read2_b64 v[126:129], v112 offset0:35 offset1:36
	v_fma_f64 v[40:41], -v[68:69], v[120:121], v[40:41]
	ds_read2_b64 v[118:121], v112 offset0:37 offset1:38
	v_fma_f64 v[38:39], -v[68:69], v[122:123], v[38:39]
	v_fma_f64 v[36:37], -v[68:69], v[124:125], v[36:37]
	s_waitcnt lgkmcnt(0)
	v_fma_f64 v[34:35], -v[68:69], v[126:127], v[34:35]
	ds_read2_b64 v[122:125], v112 offset0:39 offset1:40
	v_fma_f64 v[32:33], -v[68:69], v[128:129], v[32:33]
	ds_read2_b64 v[126:129], v112 offset0:41 offset1:42
	v_fma_f64 v[30:31], -v[68:69], v[118:119], v[30:31]
	v_fma_f64 v[28:29], -v[68:69], v[120:121], v[28:29]
	ds_read2_b64 v[118:121], v112 offset0:43 offset1:44
	s_waitcnt lgkmcnt(0)
	v_fma_f64 v[26:27], -v[68:69], v[122:123], v[26:27]
	v_fma_f64 v[24:25], -v[68:69], v[124:125], v[24:25]
	ds_read2_b64 v[122:125], v112 offset0:45 offset1:46
	v_fma_f64 v[22:23], -v[68:69], v[126:127], v[22:23]
	v_fma_f64 v[20:21], -v[68:69], v[128:129], v[20:21]
	;; [unrolled: 1-line block ×4, first 2 shown]
	ds_read2_b64 v[118:121], v112 offset0:47 offset1:48
	ds_read2_b64 v[126:129], v112 offset0:49 offset1:50
	s_waitcnt lgkmcnt(0)
	v_fma_f64 v[14:15], -v[68:69], v[122:123], v[14:15]
	v_fma_f64 v[12:13], -v[68:69], v[124:125], v[12:13]
	;; [unrolled: 1-line block ×7, first 2 shown]
.LBB102_318:
	s_or_b64 exec, exec, s[0:1]
	v_lshl_add_u32 v108, v113, 3, v112
	s_barrier
	ds_write_b64 v108, v[66:67]
	s_waitcnt lgkmcnt(0)
	s_barrier
	ds_read_b64 v[108:109], v112 offset:152
	s_cmp_lt_i32 s18, 21
	v_mov_b32_e32 v110, 19
	s_cbranch_scc1 .LBB102_321
; %bb.319:
	v_add_u32_e32 v117, 0xa0, v112
	s_mov_b32 s0, 20
	v_mov_b32_e32 v110, 19
.LBB102_320:                            ; =>This Inner Loop Header: Depth=1
	ds_read_b64 v[118:119], v117
	v_mov_b32_e32 v120, s0
	s_add_i32 s0, s0, 1
	v_add_u32_e32 v117, 8, v117
	s_cmp_lg_u32 s18, s0
	s_waitcnt lgkmcnt(0)
	v_cmp_lt_f64_e64 vcc, |v[108:109]|, |v[118:119]|
	v_cndmask_b32_e32 v109, v109, v119, vcc
	v_cndmask_b32_e32 v108, v108, v118, vcc
	v_cndmask_b32_e32 v110, v110, v120, vcc
	s_cbranch_scc1 .LBB102_320
.LBB102_321:
	s_waitcnt lgkmcnt(0)
	v_cmp_eq_f64_e32 vcc, 0, v[108:109]
	s_and_saveexec_b64 s[0:1], vcc
	s_xor_b64 s[0:1], exec, s[0:1]
; %bb.322:
	v_cmp_ne_u32_e32 vcc, 0, v116
	v_cndmask_b32_e32 v116, 20, v116, vcc
; %bb.323:
	s_andn2_saveexec_b64 s[0:1], s[0:1]
; %bb.324:
	v_div_scale_f64 v[118:119], s[2:3], v[108:109], v[108:109], 1.0
	v_rcp_f64_e32 v[120:121], v[118:119]
	v_div_scale_f64 v[122:123], vcc, 1.0, v[108:109], 1.0
	v_fma_f64 v[124:125], -v[118:119], v[120:121], 1.0
	v_fmac_f64_e32 v[120:121], v[120:121], v[124:125]
	v_fma_f64 v[124:125], -v[118:119], v[120:121], 1.0
	v_fmac_f64_e32 v[120:121], v[120:121], v[124:125]
	v_mul_f64 v[124:125], v[122:123], v[120:121]
	v_fma_f64 v[118:119], -v[118:119], v[124:125], v[122:123]
	v_div_fmas_f64 v[118:119], v[118:119], v[120:121], v[124:125]
	v_div_fixup_f64 v[108:109], v[118:119], v[108:109], 1.0
; %bb.325:
	s_or_b64 exec, exec, s[0:1]
	v_cmp_ne_u32_e32 vcc, v113, v110
	s_and_saveexec_b64 s[0:1], vcc
	s_xor_b64 s[0:1], exec, s[0:1]
	s_cbranch_execz .LBB102_331
; %bb.326:
	v_cmp_eq_u32_e32 vcc, 19, v113
	s_and_saveexec_b64 s[2:3], vcc
	s_cbranch_execz .LBB102_330
; %bb.327:
	v_cmp_ne_u32_e32 vcc, 19, v110
	s_xor_b64 s[14:15], s[6:7], -1
	s_and_b64 s[16:17], s[14:15], vcc
	s_and_saveexec_b64 s[14:15], s[16:17]
	s_cbranch_execz .LBB102_329
; %bb.328:
	v_ashrrev_i32_e32 v111, 31, v110
	v_lshlrev_b64 v[118:119], 2, v[110:111]
	v_add_co_u32_e32 v118, vcc, v4, v118
	v_addc_co_u32_e32 v119, vcc, v5, v119, vcc
	flat_load_dword v111, v[118:119]
	flat_load_dword v113, v[4:5] offset:76
	s_waitcnt vmcnt(0) lgkmcnt(0)
	flat_store_dword v[4:5], v111 offset:76
	flat_store_dword v[118:119], v113
.LBB102_329:
	s_or_b64 exec, exec, s[14:15]
	v_mov_b32_e32 v111, v110
	v_mov_b32_e32 v113, v110
.LBB102_330:
	s_or_b64 exec, exec, s[2:3]
.LBB102_331:
	s_andn2_saveexec_b64 s[0:1], s[0:1]
	s_cbranch_execz .LBB102_333
; %bb.332:
	v_mov_b32_e32 v118, v64
	v_mov_b32_e32 v119, v65
	v_mov_b32_e32 v120, v62
	v_mov_b32_e32 v121, v63
	ds_write2_b64 v112, v[118:119], v[120:121] offset0:20 offset1:21
	v_mov_b32_e32 v118, v60
	v_mov_b32_e32 v119, v61
	v_mov_b32_e32 v120, v58
	v_mov_b32_e32 v121, v59
	ds_write2_b64 v112, v[118:119], v[120:121] offset0:22 offset1:23
	;; [unrolled: 5-line block ×15, first 2 shown]
	v_mov_b32_e32 v118, v0
	v_mov_b32_e32 v119, v1
	v_mov_b32_e32 v113, 19
	ds_write2_b64 v112, v[118:119], v[106:107] offset0:50 offset1:51
.LBB102_333:
	s_or_b64 exec, exec, s[0:1]
	v_cmp_lt_i32_e32 vcc, 19, v113
	s_waitcnt lgkmcnt(0)
	s_barrier
	s_and_saveexec_b64 s[0:1], vcc
	s_cbranch_execz .LBB102_335
; %bb.334:
	ds_read2_b64 v[118:121], v112 offset0:20 offset1:21
	ds_read2_b64 v[122:125], v112 offset0:22 offset1:23
	v_mul_f64 v[66:67], v[108:109], v[66:67]
	ds_read2_b64 v[126:129], v112 offset0:24 offset1:25
	s_waitcnt lgkmcnt(0)
	v_fma_f64 v[64:65], -v[66:67], v[118:119], v[64:65]
	v_fma_f64 v[62:63], -v[66:67], v[120:121], v[62:63]
	ds_read2_b64 v[118:121], v112 offset0:26 offset1:27
	v_fma_f64 v[60:61], -v[66:67], v[122:123], v[60:61]
	v_fma_f64 v[58:59], -v[66:67], v[124:125], v[58:59]
	v_fma_f64 v[56:57], -v[66:67], v[126:127], v[56:57]
	ds_read2_b64 v[122:125], v112 offset0:28 offset1:29
	v_fma_f64 v[54:55], -v[66:67], v[128:129], v[54:55]
	ds_read2_b64 v[126:129], v112 offset0:30 offset1:31
	s_waitcnt lgkmcnt(0)
	v_fma_f64 v[52:53], -v[66:67], v[118:119], v[52:53]
	v_fma_f64 v[50:51], -v[66:67], v[120:121], v[50:51]
	ds_read2_b64 v[118:121], v112 offset0:32 offset1:33
	v_fma_f64 v[48:49], -v[66:67], v[122:123], v[48:49]
	v_fma_f64 v[46:47], -v[66:67], v[124:125], v[46:47]
	ds_read2_b64 v[122:125], v112 offset0:34 offset1:35
	v_fma_f64 v[44:45], -v[66:67], v[126:127], v[44:45]
	v_fma_f64 v[42:43], -v[66:67], v[128:129], v[42:43]
	s_waitcnt lgkmcnt(0)
	v_fma_f64 v[40:41], -v[66:67], v[118:119], v[40:41]
	ds_read2_b64 v[126:129], v112 offset0:36 offset1:37
	v_fma_f64 v[38:39], -v[66:67], v[120:121], v[38:39]
	ds_read2_b64 v[118:121], v112 offset0:38 offset1:39
	v_fma_f64 v[36:37], -v[66:67], v[122:123], v[36:37]
	v_fma_f64 v[34:35], -v[66:67], v[124:125], v[34:35]
	s_waitcnt lgkmcnt(0)
	v_fma_f64 v[32:33], -v[66:67], v[126:127], v[32:33]
	ds_read2_b64 v[122:125], v112 offset0:40 offset1:41
	v_fma_f64 v[30:31], -v[66:67], v[128:129], v[30:31]
	ds_read2_b64 v[126:129], v112 offset0:42 offset1:43
	v_fma_f64 v[28:29], -v[66:67], v[118:119], v[28:29]
	v_fma_f64 v[26:27], -v[66:67], v[120:121], v[26:27]
	ds_read2_b64 v[118:121], v112 offset0:44 offset1:45
	s_waitcnt lgkmcnt(0)
	v_fma_f64 v[24:25], -v[66:67], v[122:123], v[24:25]
	v_fma_f64 v[22:23], -v[66:67], v[124:125], v[22:23]
	ds_read2_b64 v[122:125], v112 offset0:46 offset1:47
	v_fma_f64 v[20:21], -v[66:67], v[126:127], v[20:21]
	v_fma_f64 v[18:19], -v[66:67], v[128:129], v[18:19]
	;; [unrolled: 1-line block ×3, first 2 shown]
	ds_read2_b64 v[126:129], v112 offset0:48 offset1:49
	v_fma_f64 v[14:15], -v[66:67], v[120:121], v[14:15]
	ds_read2_b64 v[118:121], v112 offset0:50 offset1:51
	s_waitcnt lgkmcnt(0)
	v_fma_f64 v[12:13], -v[66:67], v[122:123], v[12:13]
	v_fma_f64 v[10:11], -v[66:67], v[124:125], v[10:11]
	v_fma_f64 v[8:9], -v[66:67], v[126:127], v[8:9]
	v_fma_f64 v[6:7], -v[66:67], v[128:129], v[6:7]
	v_fma_f64 v[0:1], -v[66:67], v[118:119], v[0:1]
	v_fma_f64 v[106:107], -v[66:67], v[120:121], v[106:107]
.LBB102_335:
	s_or_b64 exec, exec, s[0:1]
	v_lshl_add_u32 v108, v113, 3, v112
	s_barrier
	ds_write_b64 v108, v[64:65]
	s_waitcnt lgkmcnt(0)
	s_barrier
	ds_read_b64 v[108:109], v112 offset:160
	s_cmp_lt_i32 s18, 22
	v_mov_b32_e32 v110, 20
	s_cbranch_scc1 .LBB102_338
; %bb.336:
	v_add_u32_e32 v117, 0xa8, v112
	s_mov_b32 s0, 21
	v_mov_b32_e32 v110, 20
.LBB102_337:                            ; =>This Inner Loop Header: Depth=1
	ds_read_b64 v[118:119], v117
	v_mov_b32_e32 v120, s0
	s_add_i32 s0, s0, 1
	v_add_u32_e32 v117, 8, v117
	s_cmp_lg_u32 s18, s0
	s_waitcnt lgkmcnt(0)
	v_cmp_lt_f64_e64 vcc, |v[108:109]|, |v[118:119]|
	v_cndmask_b32_e32 v109, v109, v119, vcc
	v_cndmask_b32_e32 v108, v108, v118, vcc
	;; [unrolled: 1-line block ×3, first 2 shown]
	s_cbranch_scc1 .LBB102_337
.LBB102_338:
	s_waitcnt lgkmcnt(0)
	v_cmp_eq_f64_e32 vcc, 0, v[108:109]
	s_and_saveexec_b64 s[0:1], vcc
	s_xor_b64 s[0:1], exec, s[0:1]
; %bb.339:
	v_cmp_ne_u32_e32 vcc, 0, v116
	v_cndmask_b32_e32 v116, 21, v116, vcc
; %bb.340:
	s_andn2_saveexec_b64 s[0:1], s[0:1]
; %bb.341:
	v_div_scale_f64 v[118:119], s[2:3], v[108:109], v[108:109], 1.0
	v_rcp_f64_e32 v[120:121], v[118:119]
	v_div_scale_f64 v[122:123], vcc, 1.0, v[108:109], 1.0
	v_fma_f64 v[124:125], -v[118:119], v[120:121], 1.0
	v_fmac_f64_e32 v[120:121], v[120:121], v[124:125]
	v_fma_f64 v[124:125], -v[118:119], v[120:121], 1.0
	v_fmac_f64_e32 v[120:121], v[120:121], v[124:125]
	v_mul_f64 v[124:125], v[122:123], v[120:121]
	v_fma_f64 v[118:119], -v[118:119], v[124:125], v[122:123]
	v_div_fmas_f64 v[118:119], v[118:119], v[120:121], v[124:125]
	v_div_fixup_f64 v[108:109], v[118:119], v[108:109], 1.0
; %bb.342:
	s_or_b64 exec, exec, s[0:1]
	v_cmp_ne_u32_e32 vcc, v113, v110
	s_and_saveexec_b64 s[0:1], vcc
	s_xor_b64 s[0:1], exec, s[0:1]
	s_cbranch_execz .LBB102_348
; %bb.343:
	v_cmp_eq_u32_e32 vcc, 20, v113
	s_and_saveexec_b64 s[2:3], vcc
	s_cbranch_execz .LBB102_347
; %bb.344:
	v_cmp_ne_u32_e32 vcc, 20, v110
	s_xor_b64 s[14:15], s[6:7], -1
	s_and_b64 s[16:17], s[14:15], vcc
	s_and_saveexec_b64 s[14:15], s[16:17]
	s_cbranch_execz .LBB102_346
; %bb.345:
	v_ashrrev_i32_e32 v111, 31, v110
	v_lshlrev_b64 v[118:119], 2, v[110:111]
	v_add_co_u32_e32 v118, vcc, v4, v118
	v_addc_co_u32_e32 v119, vcc, v5, v119, vcc
	flat_load_dword v111, v[118:119]
	flat_load_dword v113, v[4:5] offset:80
	s_waitcnt vmcnt(0) lgkmcnt(0)
	flat_store_dword v[4:5], v111 offset:80
	flat_store_dword v[118:119], v113
.LBB102_346:
	s_or_b64 exec, exec, s[14:15]
	v_mov_b32_e32 v111, v110
	v_mov_b32_e32 v113, v110
.LBB102_347:
	s_or_b64 exec, exec, s[2:3]
.LBB102_348:
	s_andn2_saveexec_b64 s[0:1], s[0:1]
	s_cbranch_execz .LBB102_350
; %bb.349:
	v_mov_b32_e32 v113, 20
	ds_write2_b64 v112, v[62:63], v[60:61] offset0:21 offset1:22
	ds_write2_b64 v112, v[58:59], v[56:57] offset0:23 offset1:24
	;; [unrolled: 1-line block ×15, first 2 shown]
	ds_write_b64 v112, v[106:107] offset:408
.LBB102_350:
	s_or_b64 exec, exec, s[0:1]
	v_cmp_lt_i32_e32 vcc, 20, v113
	s_waitcnt lgkmcnt(0)
	s_barrier
	s_and_saveexec_b64 s[0:1], vcc
	s_cbranch_execz .LBB102_352
; %bb.351:
	ds_read2_b64 v[118:121], v112 offset0:21 offset1:22
	ds_read2_b64 v[122:125], v112 offset0:23 offset1:24
	;; [unrolled: 1-line block ×3, first 2 shown]
	v_mul_f64 v[64:65], v[108:109], v[64:65]
	ds_read_b64 v[108:109], v112 offset:408
	s_waitcnt lgkmcnt(0)
	v_fma_f64 v[62:63], -v[64:65], v[118:119], v[62:63]
	v_fma_f64 v[60:61], -v[64:65], v[120:121], v[60:61]
	ds_read2_b64 v[118:121], v112 offset0:27 offset1:28
	v_fma_f64 v[58:59], -v[64:65], v[122:123], v[58:59]
	v_fma_f64 v[56:57], -v[64:65], v[124:125], v[56:57]
	;; [unrolled: 1-line block ×3, first 2 shown]
	ds_read2_b64 v[122:125], v112 offset0:29 offset1:30
	v_fma_f64 v[52:53], -v[64:65], v[128:129], v[52:53]
	ds_read2_b64 v[126:129], v112 offset0:31 offset1:32
	s_waitcnt lgkmcnt(0)
	v_fma_f64 v[50:51], -v[64:65], v[118:119], v[50:51]
	v_fma_f64 v[48:49], -v[64:65], v[120:121], v[48:49]
	v_fma_f64 v[46:47], -v[64:65], v[122:123], v[46:47]
	ds_read2_b64 v[118:121], v112 offset0:33 offset1:34
	v_fma_f64 v[44:45], -v[64:65], v[124:125], v[44:45]
	ds_read2_b64 v[122:125], v112 offset0:35 offset1:36
	v_fma_f64 v[42:43], -v[64:65], v[126:127], v[42:43]
	v_fma_f64 v[40:41], -v[64:65], v[128:129], v[40:41]
	ds_read2_b64 v[126:129], v112 offset0:37 offset1:38
	s_waitcnt lgkmcnt(0)
	v_fma_f64 v[38:39], -v[64:65], v[118:119], v[38:39]
	v_fma_f64 v[36:37], -v[64:65], v[120:121], v[36:37]
	ds_read2_b64 v[118:121], v112 offset0:39 offset1:40
	v_fma_f64 v[34:35], -v[64:65], v[122:123], v[34:35]
	v_fma_f64 v[32:33], -v[64:65], v[124:125], v[32:33]
	;; [unrolled: 1-line block ×3, first 2 shown]
	ds_read2_b64 v[122:125], v112 offset0:41 offset1:42
	v_fma_f64 v[28:29], -v[64:65], v[128:129], v[28:29]
	ds_read2_b64 v[126:129], v112 offset0:43 offset1:44
	s_waitcnt lgkmcnt(0)
	v_fma_f64 v[26:27], -v[64:65], v[118:119], v[26:27]
	v_fma_f64 v[24:25], -v[64:65], v[120:121], v[24:25]
	;; [unrolled: 1-line block ×3, first 2 shown]
	ds_read2_b64 v[118:121], v112 offset0:45 offset1:46
	v_fma_f64 v[20:21], -v[64:65], v[124:125], v[20:21]
	ds_read2_b64 v[122:125], v112 offset0:47 offset1:48
	v_fma_f64 v[18:19], -v[64:65], v[126:127], v[18:19]
	v_fma_f64 v[16:17], -v[64:65], v[128:129], v[16:17]
	ds_read2_b64 v[126:129], v112 offset0:49 offset1:50
	s_waitcnt lgkmcnt(0)
	v_fma_f64 v[14:15], -v[64:65], v[118:119], v[14:15]
	v_fma_f64 v[12:13], -v[64:65], v[120:121], v[12:13]
	;; [unrolled: 1-line block ×7, first 2 shown]
.LBB102_352:
	s_or_b64 exec, exec, s[0:1]
	v_lshl_add_u32 v108, v113, 3, v112
	s_barrier
	ds_write_b64 v108, v[62:63]
	s_waitcnt lgkmcnt(0)
	s_barrier
	ds_read_b64 v[108:109], v112 offset:168
	s_cmp_lt_i32 s18, 23
	v_mov_b32_e32 v110, 21
	s_cbranch_scc1 .LBB102_355
; %bb.353:
	v_add_u32_e32 v117, 0xb0, v112
	s_mov_b32 s0, 22
	v_mov_b32_e32 v110, 21
.LBB102_354:                            ; =>This Inner Loop Header: Depth=1
	ds_read_b64 v[118:119], v117
	v_mov_b32_e32 v120, s0
	s_add_i32 s0, s0, 1
	v_add_u32_e32 v117, 8, v117
	s_cmp_lg_u32 s18, s0
	s_waitcnt lgkmcnt(0)
	v_cmp_lt_f64_e64 vcc, |v[108:109]|, |v[118:119]|
	v_cndmask_b32_e32 v109, v109, v119, vcc
	v_cndmask_b32_e32 v108, v108, v118, vcc
	;; [unrolled: 1-line block ×3, first 2 shown]
	s_cbranch_scc1 .LBB102_354
.LBB102_355:
	s_waitcnt lgkmcnt(0)
	v_cmp_eq_f64_e32 vcc, 0, v[108:109]
	s_and_saveexec_b64 s[0:1], vcc
	s_xor_b64 s[0:1], exec, s[0:1]
; %bb.356:
	v_cmp_ne_u32_e32 vcc, 0, v116
	v_cndmask_b32_e32 v116, 22, v116, vcc
; %bb.357:
	s_andn2_saveexec_b64 s[0:1], s[0:1]
; %bb.358:
	v_div_scale_f64 v[118:119], s[2:3], v[108:109], v[108:109], 1.0
	v_rcp_f64_e32 v[120:121], v[118:119]
	v_div_scale_f64 v[122:123], vcc, 1.0, v[108:109], 1.0
	v_fma_f64 v[124:125], -v[118:119], v[120:121], 1.0
	v_fmac_f64_e32 v[120:121], v[120:121], v[124:125]
	v_fma_f64 v[124:125], -v[118:119], v[120:121], 1.0
	v_fmac_f64_e32 v[120:121], v[120:121], v[124:125]
	v_mul_f64 v[124:125], v[122:123], v[120:121]
	v_fma_f64 v[118:119], -v[118:119], v[124:125], v[122:123]
	v_div_fmas_f64 v[118:119], v[118:119], v[120:121], v[124:125]
	v_div_fixup_f64 v[108:109], v[118:119], v[108:109], 1.0
; %bb.359:
	s_or_b64 exec, exec, s[0:1]
	v_cmp_ne_u32_e32 vcc, v113, v110
	s_and_saveexec_b64 s[0:1], vcc
	s_xor_b64 s[0:1], exec, s[0:1]
	s_cbranch_execz .LBB102_365
; %bb.360:
	v_cmp_eq_u32_e32 vcc, 21, v113
	s_and_saveexec_b64 s[2:3], vcc
	s_cbranch_execz .LBB102_364
; %bb.361:
	v_cmp_ne_u32_e32 vcc, 21, v110
	s_xor_b64 s[14:15], s[6:7], -1
	s_and_b64 s[16:17], s[14:15], vcc
	s_and_saveexec_b64 s[14:15], s[16:17]
	s_cbranch_execz .LBB102_363
; %bb.362:
	v_ashrrev_i32_e32 v111, 31, v110
	v_lshlrev_b64 v[118:119], 2, v[110:111]
	v_add_co_u32_e32 v118, vcc, v4, v118
	v_addc_co_u32_e32 v119, vcc, v5, v119, vcc
	flat_load_dword v111, v[118:119]
	flat_load_dword v113, v[4:5] offset:84
	s_waitcnt vmcnt(0) lgkmcnt(0)
	flat_store_dword v[4:5], v111 offset:84
	flat_store_dword v[118:119], v113
.LBB102_363:
	s_or_b64 exec, exec, s[14:15]
	v_mov_b32_e32 v111, v110
	v_mov_b32_e32 v113, v110
.LBB102_364:
	s_or_b64 exec, exec, s[2:3]
.LBB102_365:
	s_andn2_saveexec_b64 s[0:1], s[0:1]
	s_cbranch_execz .LBB102_367
; %bb.366:
	v_mov_b32_e32 v118, v60
	v_mov_b32_e32 v119, v61
	v_mov_b32_e32 v120, v58
	v_mov_b32_e32 v121, v59
	ds_write2_b64 v112, v[118:119], v[120:121] offset0:22 offset1:23
	v_mov_b32_e32 v118, v56
	v_mov_b32_e32 v119, v57
	v_mov_b32_e32 v120, v54
	v_mov_b32_e32 v121, v55
	ds_write2_b64 v112, v[118:119], v[120:121] offset0:24 offset1:25
	;; [unrolled: 5-line block ×14, first 2 shown]
	v_mov_b32_e32 v118, v0
	v_mov_b32_e32 v119, v1
	;; [unrolled: 1-line block ×3, first 2 shown]
	ds_write2_b64 v112, v[118:119], v[106:107] offset0:50 offset1:51
.LBB102_367:
	s_or_b64 exec, exec, s[0:1]
	v_cmp_lt_i32_e32 vcc, 21, v113
	s_waitcnt lgkmcnt(0)
	s_barrier
	s_and_saveexec_b64 s[0:1], vcc
	s_cbranch_execz .LBB102_369
; %bb.368:
	ds_read2_b64 v[118:121], v112 offset0:22 offset1:23
	ds_read2_b64 v[122:125], v112 offset0:24 offset1:25
	;; [unrolled: 1-line block ×3, first 2 shown]
	v_mul_f64 v[62:63], v[108:109], v[62:63]
	s_waitcnt lgkmcnt(0)
	v_fma_f64 v[60:61], -v[62:63], v[118:119], v[60:61]
	v_fma_f64 v[58:59], -v[62:63], v[120:121], v[58:59]
	ds_read2_b64 v[118:121], v112 offset0:28 offset1:29
	v_fma_f64 v[56:57], -v[62:63], v[122:123], v[56:57]
	v_fma_f64 v[54:55], -v[62:63], v[124:125], v[54:55]
	v_fma_f64 v[52:53], -v[62:63], v[126:127], v[52:53]
	ds_read2_b64 v[122:125], v112 offset0:30 offset1:31
	v_fma_f64 v[50:51], -v[62:63], v[128:129], v[50:51]
	ds_read2_b64 v[126:129], v112 offset0:32 offset1:33
	s_waitcnt lgkmcnt(0)
	v_fma_f64 v[48:49], -v[62:63], v[118:119], v[48:49]
	v_fma_f64 v[46:47], -v[62:63], v[120:121], v[46:47]
	;; [unrolled: 1-line block ×3, first 2 shown]
	ds_read2_b64 v[118:121], v112 offset0:34 offset1:35
	v_fma_f64 v[42:43], -v[62:63], v[124:125], v[42:43]
	ds_read2_b64 v[122:125], v112 offset0:36 offset1:37
	v_fma_f64 v[40:41], -v[62:63], v[126:127], v[40:41]
	v_fma_f64 v[38:39], -v[62:63], v[128:129], v[38:39]
	ds_read2_b64 v[126:129], v112 offset0:38 offset1:39
	s_waitcnt lgkmcnt(0)
	v_fma_f64 v[36:37], -v[62:63], v[118:119], v[36:37]
	v_fma_f64 v[34:35], -v[62:63], v[120:121], v[34:35]
	ds_read2_b64 v[118:121], v112 offset0:40 offset1:41
	v_fma_f64 v[32:33], -v[62:63], v[122:123], v[32:33]
	v_fma_f64 v[30:31], -v[62:63], v[124:125], v[30:31]
	;; [unrolled: 1-line block ×3, first 2 shown]
	ds_read2_b64 v[122:125], v112 offset0:42 offset1:43
	v_fma_f64 v[26:27], -v[62:63], v[128:129], v[26:27]
	ds_read2_b64 v[126:129], v112 offset0:44 offset1:45
	s_waitcnt lgkmcnt(0)
	v_fma_f64 v[24:25], -v[62:63], v[118:119], v[24:25]
	v_fma_f64 v[22:23], -v[62:63], v[120:121], v[22:23]
	;; [unrolled: 1-line block ×4, first 2 shown]
	ds_read2_b64 v[118:121], v112 offset0:46 offset1:47
	ds_read2_b64 v[122:125], v112 offset0:48 offset1:49
	v_fma_f64 v[16:17], -v[62:63], v[126:127], v[16:17]
	v_fma_f64 v[14:15], -v[62:63], v[128:129], v[14:15]
	ds_read2_b64 v[126:129], v112 offset0:50 offset1:51
	s_waitcnt lgkmcnt(0)
	v_fma_f64 v[12:13], -v[62:63], v[118:119], v[12:13]
	v_fma_f64 v[10:11], -v[62:63], v[120:121], v[10:11]
	;; [unrolled: 1-line block ×6, first 2 shown]
.LBB102_369:
	s_or_b64 exec, exec, s[0:1]
	v_lshl_add_u32 v108, v113, 3, v112
	s_barrier
	ds_write_b64 v108, v[60:61]
	s_waitcnt lgkmcnt(0)
	s_barrier
	ds_read_b64 v[108:109], v112 offset:176
	s_cmp_lt_i32 s18, 24
	v_mov_b32_e32 v110, 22
	s_cbranch_scc1 .LBB102_372
; %bb.370:
	v_add_u32_e32 v117, 0xb8, v112
	s_mov_b32 s0, 23
	v_mov_b32_e32 v110, 22
.LBB102_371:                            ; =>This Inner Loop Header: Depth=1
	ds_read_b64 v[118:119], v117
	v_mov_b32_e32 v120, s0
	s_add_i32 s0, s0, 1
	v_add_u32_e32 v117, 8, v117
	s_cmp_lg_u32 s18, s0
	s_waitcnt lgkmcnt(0)
	v_cmp_lt_f64_e64 vcc, |v[108:109]|, |v[118:119]|
	v_cndmask_b32_e32 v109, v109, v119, vcc
	v_cndmask_b32_e32 v108, v108, v118, vcc
	;; [unrolled: 1-line block ×3, first 2 shown]
	s_cbranch_scc1 .LBB102_371
.LBB102_372:
	s_waitcnt lgkmcnt(0)
	v_cmp_eq_f64_e32 vcc, 0, v[108:109]
	s_and_saveexec_b64 s[0:1], vcc
	s_xor_b64 s[0:1], exec, s[0:1]
; %bb.373:
	v_cmp_ne_u32_e32 vcc, 0, v116
	v_cndmask_b32_e32 v116, 23, v116, vcc
; %bb.374:
	s_andn2_saveexec_b64 s[0:1], s[0:1]
; %bb.375:
	v_div_scale_f64 v[118:119], s[2:3], v[108:109], v[108:109], 1.0
	v_rcp_f64_e32 v[120:121], v[118:119]
	v_div_scale_f64 v[122:123], vcc, 1.0, v[108:109], 1.0
	v_fma_f64 v[124:125], -v[118:119], v[120:121], 1.0
	v_fmac_f64_e32 v[120:121], v[120:121], v[124:125]
	v_fma_f64 v[124:125], -v[118:119], v[120:121], 1.0
	v_fmac_f64_e32 v[120:121], v[120:121], v[124:125]
	v_mul_f64 v[124:125], v[122:123], v[120:121]
	v_fma_f64 v[118:119], -v[118:119], v[124:125], v[122:123]
	v_div_fmas_f64 v[118:119], v[118:119], v[120:121], v[124:125]
	v_div_fixup_f64 v[108:109], v[118:119], v[108:109], 1.0
; %bb.376:
	s_or_b64 exec, exec, s[0:1]
	v_cmp_ne_u32_e32 vcc, v113, v110
	s_and_saveexec_b64 s[0:1], vcc
	s_xor_b64 s[0:1], exec, s[0:1]
	s_cbranch_execz .LBB102_382
; %bb.377:
	v_cmp_eq_u32_e32 vcc, 22, v113
	s_and_saveexec_b64 s[2:3], vcc
	s_cbranch_execz .LBB102_381
; %bb.378:
	v_cmp_ne_u32_e32 vcc, 22, v110
	s_xor_b64 s[14:15], s[6:7], -1
	s_and_b64 s[16:17], s[14:15], vcc
	s_and_saveexec_b64 s[14:15], s[16:17]
	s_cbranch_execz .LBB102_380
; %bb.379:
	v_ashrrev_i32_e32 v111, 31, v110
	v_lshlrev_b64 v[118:119], 2, v[110:111]
	v_add_co_u32_e32 v118, vcc, v4, v118
	v_addc_co_u32_e32 v119, vcc, v5, v119, vcc
	flat_load_dword v111, v[118:119]
	flat_load_dword v113, v[4:5] offset:88
	s_waitcnt vmcnt(0) lgkmcnt(0)
	flat_store_dword v[4:5], v111 offset:88
	flat_store_dword v[118:119], v113
.LBB102_380:
	s_or_b64 exec, exec, s[14:15]
	v_mov_b32_e32 v111, v110
	v_mov_b32_e32 v113, v110
.LBB102_381:
	s_or_b64 exec, exec, s[2:3]
.LBB102_382:
	s_andn2_saveexec_b64 s[0:1], s[0:1]
	s_cbranch_execz .LBB102_384
; %bb.383:
	v_mov_b32_e32 v113, 22
	ds_write2_b64 v112, v[58:59], v[56:57] offset0:23 offset1:24
	ds_write2_b64 v112, v[54:55], v[52:53] offset0:25 offset1:26
	;; [unrolled: 1-line block ×14, first 2 shown]
	ds_write_b64 v112, v[106:107] offset:408
.LBB102_384:
	s_or_b64 exec, exec, s[0:1]
	v_cmp_lt_i32_e32 vcc, 22, v113
	s_waitcnt lgkmcnt(0)
	s_barrier
	s_and_saveexec_b64 s[0:1], vcc
	s_cbranch_execz .LBB102_386
; %bb.385:
	ds_read2_b64 v[118:121], v112 offset0:23 offset1:24
	ds_read2_b64 v[122:125], v112 offset0:25 offset1:26
	v_mul_f64 v[60:61], v[108:109], v[60:61]
	ds_read2_b64 v[126:129], v112 offset0:27 offset1:28
	ds_read_b64 v[108:109], v112 offset:408
	s_waitcnt lgkmcnt(0)
	v_fma_f64 v[58:59], -v[60:61], v[118:119], v[58:59]
	v_fma_f64 v[56:57], -v[60:61], v[120:121], v[56:57]
	ds_read2_b64 v[118:121], v112 offset0:29 offset1:30
	v_fma_f64 v[54:55], -v[60:61], v[122:123], v[54:55]
	v_fma_f64 v[52:53], -v[60:61], v[124:125], v[52:53]
	ds_read2_b64 v[122:125], v112 offset0:31 offset1:32
	;; [unrolled: 3-line block ×3, first 2 shown]
	s_waitcnt lgkmcnt(0)
	v_fma_f64 v[46:47], -v[60:61], v[118:119], v[46:47]
	v_fma_f64 v[44:45], -v[60:61], v[120:121], v[44:45]
	;; [unrolled: 1-line block ×3, first 2 shown]
	ds_read2_b64 v[118:121], v112 offset0:35 offset1:36
	v_fma_f64 v[40:41], -v[60:61], v[124:125], v[40:41]
	ds_read2_b64 v[122:125], v112 offset0:37 offset1:38
	v_fma_f64 v[38:39], -v[60:61], v[126:127], v[38:39]
	v_fma_f64 v[36:37], -v[60:61], v[128:129], v[36:37]
	s_waitcnt lgkmcnt(0)
	v_fma_f64 v[34:35], -v[60:61], v[118:119], v[34:35]
	ds_read2_b64 v[126:129], v112 offset0:39 offset1:40
	v_fma_f64 v[32:33], -v[60:61], v[120:121], v[32:33]
	ds_read2_b64 v[118:121], v112 offset0:41 offset1:42
	v_fma_f64 v[30:31], -v[60:61], v[122:123], v[30:31]
	v_fma_f64 v[28:29], -v[60:61], v[124:125], v[28:29]
	ds_read2_b64 v[122:125], v112 offset0:43 offset1:44
	s_waitcnt lgkmcnt(0)
	v_fma_f64 v[26:27], -v[60:61], v[126:127], v[26:27]
	v_fma_f64 v[24:25], -v[60:61], v[128:129], v[24:25]
	ds_read2_b64 v[126:129], v112 offset0:45 offset1:46
	v_fma_f64 v[22:23], -v[60:61], v[118:119], v[22:23]
	v_fma_f64 v[20:21], -v[60:61], v[120:121], v[20:21]
	;; [unrolled: 1-line block ×4, first 2 shown]
	ds_read2_b64 v[118:121], v112 offset0:47 offset1:48
	ds_read2_b64 v[122:125], v112 offset0:49 offset1:50
	s_waitcnt lgkmcnt(0)
	v_fma_f64 v[14:15], -v[60:61], v[126:127], v[14:15]
	v_fma_f64 v[12:13], -v[60:61], v[128:129], v[12:13]
	v_fma_f64 v[106:107], -v[60:61], v[108:109], v[106:107]
	v_fma_f64 v[10:11], -v[60:61], v[118:119], v[10:11]
	v_fma_f64 v[8:9], -v[60:61], v[120:121], v[8:9]
	v_fma_f64 v[6:7], -v[60:61], v[122:123], v[6:7]
	v_fma_f64 v[0:1], -v[60:61], v[124:125], v[0:1]
.LBB102_386:
	s_or_b64 exec, exec, s[0:1]
	v_lshl_add_u32 v108, v113, 3, v112
	s_barrier
	ds_write_b64 v108, v[58:59]
	s_waitcnt lgkmcnt(0)
	s_barrier
	ds_read_b64 v[108:109], v112 offset:184
	s_cmp_lt_i32 s18, 25
	v_mov_b32_e32 v110, 23
	s_cbranch_scc1 .LBB102_389
; %bb.387:
	v_add_u32_e32 v117, 0xc0, v112
	s_mov_b32 s0, 24
	v_mov_b32_e32 v110, 23
.LBB102_388:                            ; =>This Inner Loop Header: Depth=1
	ds_read_b64 v[118:119], v117
	v_mov_b32_e32 v120, s0
	s_add_i32 s0, s0, 1
	v_add_u32_e32 v117, 8, v117
	s_cmp_lg_u32 s18, s0
	s_waitcnt lgkmcnt(0)
	v_cmp_lt_f64_e64 vcc, |v[108:109]|, |v[118:119]|
	v_cndmask_b32_e32 v109, v109, v119, vcc
	v_cndmask_b32_e32 v108, v108, v118, vcc
	;; [unrolled: 1-line block ×3, first 2 shown]
	s_cbranch_scc1 .LBB102_388
.LBB102_389:
	s_waitcnt lgkmcnt(0)
	v_cmp_eq_f64_e32 vcc, 0, v[108:109]
	s_and_saveexec_b64 s[0:1], vcc
	s_xor_b64 s[0:1], exec, s[0:1]
; %bb.390:
	v_cmp_ne_u32_e32 vcc, 0, v116
	v_cndmask_b32_e32 v116, 24, v116, vcc
; %bb.391:
	s_andn2_saveexec_b64 s[0:1], s[0:1]
; %bb.392:
	v_div_scale_f64 v[118:119], s[2:3], v[108:109], v[108:109], 1.0
	v_rcp_f64_e32 v[120:121], v[118:119]
	v_div_scale_f64 v[122:123], vcc, 1.0, v[108:109], 1.0
	v_fma_f64 v[124:125], -v[118:119], v[120:121], 1.0
	v_fmac_f64_e32 v[120:121], v[120:121], v[124:125]
	v_fma_f64 v[124:125], -v[118:119], v[120:121], 1.0
	v_fmac_f64_e32 v[120:121], v[120:121], v[124:125]
	v_mul_f64 v[124:125], v[122:123], v[120:121]
	v_fma_f64 v[118:119], -v[118:119], v[124:125], v[122:123]
	v_div_fmas_f64 v[118:119], v[118:119], v[120:121], v[124:125]
	v_div_fixup_f64 v[108:109], v[118:119], v[108:109], 1.0
; %bb.393:
	s_or_b64 exec, exec, s[0:1]
	v_cmp_ne_u32_e32 vcc, v113, v110
	s_and_saveexec_b64 s[0:1], vcc
	s_xor_b64 s[0:1], exec, s[0:1]
	s_cbranch_execz .LBB102_399
; %bb.394:
	v_cmp_eq_u32_e32 vcc, 23, v113
	s_and_saveexec_b64 s[2:3], vcc
	s_cbranch_execz .LBB102_398
; %bb.395:
	v_cmp_ne_u32_e32 vcc, 23, v110
	s_xor_b64 s[14:15], s[6:7], -1
	s_and_b64 s[16:17], s[14:15], vcc
	s_and_saveexec_b64 s[14:15], s[16:17]
	s_cbranch_execz .LBB102_397
; %bb.396:
	v_ashrrev_i32_e32 v111, 31, v110
	v_lshlrev_b64 v[118:119], 2, v[110:111]
	v_add_co_u32_e32 v118, vcc, v4, v118
	v_addc_co_u32_e32 v119, vcc, v5, v119, vcc
	flat_load_dword v111, v[118:119]
	flat_load_dword v113, v[4:5] offset:92
	s_waitcnt vmcnt(0) lgkmcnt(0)
	flat_store_dword v[4:5], v111 offset:92
	flat_store_dword v[118:119], v113
.LBB102_397:
	s_or_b64 exec, exec, s[14:15]
	v_mov_b32_e32 v111, v110
	v_mov_b32_e32 v113, v110
.LBB102_398:
	s_or_b64 exec, exec, s[2:3]
.LBB102_399:
	s_andn2_saveexec_b64 s[0:1], s[0:1]
	s_cbranch_execz .LBB102_401
; %bb.400:
	v_mov_b32_e32 v118, v56
	v_mov_b32_e32 v119, v57
	v_mov_b32_e32 v120, v54
	v_mov_b32_e32 v121, v55
	ds_write2_b64 v112, v[118:119], v[120:121] offset0:24 offset1:25
	v_mov_b32_e32 v118, v52
	v_mov_b32_e32 v119, v53
	v_mov_b32_e32 v120, v50
	v_mov_b32_e32 v121, v51
	ds_write2_b64 v112, v[118:119], v[120:121] offset0:26 offset1:27
	v_mov_b32_e32 v118, v48
	v_mov_b32_e32 v119, v49
	v_mov_b32_e32 v120, v46
	v_mov_b32_e32 v121, v47
	ds_write2_b64 v112, v[118:119], v[120:121] offset0:28 offset1:29
	v_mov_b32_e32 v118, v44
	v_mov_b32_e32 v119, v45
	v_mov_b32_e32 v120, v42
	v_mov_b32_e32 v121, v43
	ds_write2_b64 v112, v[118:119], v[120:121] offset0:30 offset1:31
	v_mov_b32_e32 v118, v40
	v_mov_b32_e32 v119, v41
	v_mov_b32_e32 v120, v38
	v_mov_b32_e32 v121, v39
	ds_write2_b64 v112, v[118:119], v[120:121] offset0:32 offset1:33
	v_mov_b32_e32 v118, v36
	v_mov_b32_e32 v119, v37
	v_mov_b32_e32 v120, v34
	v_mov_b32_e32 v121, v35
	ds_write2_b64 v112, v[118:119], v[120:121] offset0:34 offset1:35
	v_mov_b32_e32 v118, v32
	v_mov_b32_e32 v119, v33
	v_mov_b32_e32 v120, v30
	v_mov_b32_e32 v121, v31
	ds_write2_b64 v112, v[118:119], v[120:121] offset0:36 offset1:37
	v_mov_b32_e32 v118, v28
	v_mov_b32_e32 v119, v29
	v_mov_b32_e32 v120, v26
	v_mov_b32_e32 v121, v27
	ds_write2_b64 v112, v[118:119], v[120:121] offset0:38 offset1:39
	v_mov_b32_e32 v118, v24
	v_mov_b32_e32 v119, v25
	v_mov_b32_e32 v120, v22
	v_mov_b32_e32 v121, v23
	ds_write2_b64 v112, v[118:119], v[120:121] offset0:40 offset1:41
	v_mov_b32_e32 v118, v20
	v_mov_b32_e32 v119, v21
	v_mov_b32_e32 v120, v18
	v_mov_b32_e32 v121, v19
	ds_write2_b64 v112, v[118:119], v[120:121] offset0:42 offset1:43
	v_mov_b32_e32 v118, v16
	v_mov_b32_e32 v119, v17
	v_mov_b32_e32 v120, v14
	v_mov_b32_e32 v121, v15
	ds_write2_b64 v112, v[118:119], v[120:121] offset0:44 offset1:45
	v_mov_b32_e32 v118, v12
	v_mov_b32_e32 v119, v13
	v_mov_b32_e32 v120, v10
	v_mov_b32_e32 v121, v11
	ds_write2_b64 v112, v[118:119], v[120:121] offset0:46 offset1:47
	v_mov_b32_e32 v118, v8
	v_mov_b32_e32 v119, v9
	v_mov_b32_e32 v120, v6
	v_mov_b32_e32 v121, v7
	ds_write2_b64 v112, v[118:119], v[120:121] offset0:48 offset1:49
	v_mov_b32_e32 v118, v0
	v_mov_b32_e32 v119, v1
	v_mov_b32_e32 v113, 23
	ds_write2_b64 v112, v[118:119], v[106:107] offset0:50 offset1:51
.LBB102_401:
	s_or_b64 exec, exec, s[0:1]
	v_cmp_lt_i32_e32 vcc, 23, v113
	s_waitcnt lgkmcnt(0)
	s_barrier
	s_and_saveexec_b64 s[0:1], vcc
	s_cbranch_execz .LBB102_403
; %bb.402:
	ds_read2_b64 v[118:121], v112 offset0:24 offset1:25
	ds_read2_b64 v[122:125], v112 offset0:26 offset1:27
	v_mul_f64 v[58:59], v[108:109], v[58:59]
	ds_read2_b64 v[126:129], v112 offset0:28 offset1:29
	s_waitcnt lgkmcnt(0)
	v_fma_f64 v[56:57], -v[58:59], v[118:119], v[56:57]
	v_fma_f64 v[54:55], -v[58:59], v[120:121], v[54:55]
	ds_read2_b64 v[118:121], v112 offset0:30 offset1:31
	v_fma_f64 v[52:53], -v[58:59], v[122:123], v[52:53]
	v_fma_f64 v[50:51], -v[58:59], v[124:125], v[50:51]
	ds_read2_b64 v[122:125], v112 offset0:32 offset1:33
	;; [unrolled: 3-line block ×3, first 2 shown]
	s_waitcnt lgkmcnt(0)
	v_fma_f64 v[44:45], -v[58:59], v[118:119], v[44:45]
	v_fma_f64 v[42:43], -v[58:59], v[120:121], v[42:43]
	;; [unrolled: 1-line block ×3, first 2 shown]
	ds_read2_b64 v[118:121], v112 offset0:36 offset1:37
	v_fma_f64 v[38:39], -v[58:59], v[124:125], v[38:39]
	ds_read2_b64 v[122:125], v112 offset0:38 offset1:39
	v_fma_f64 v[36:37], -v[58:59], v[126:127], v[36:37]
	v_fma_f64 v[34:35], -v[58:59], v[128:129], v[34:35]
	s_waitcnt lgkmcnt(0)
	v_fma_f64 v[32:33], -v[58:59], v[118:119], v[32:33]
	ds_read2_b64 v[126:129], v112 offset0:40 offset1:41
	v_fma_f64 v[30:31], -v[58:59], v[120:121], v[30:31]
	ds_read2_b64 v[118:121], v112 offset0:42 offset1:43
	v_fma_f64 v[28:29], -v[58:59], v[122:123], v[28:29]
	v_fma_f64 v[26:27], -v[58:59], v[124:125], v[26:27]
	ds_read2_b64 v[122:125], v112 offset0:44 offset1:45
	s_waitcnt lgkmcnt(0)
	v_fma_f64 v[24:25], -v[58:59], v[126:127], v[24:25]
	v_fma_f64 v[22:23], -v[58:59], v[128:129], v[22:23]
	;; [unrolled: 1-line block ×4, first 2 shown]
	ds_read2_b64 v[118:121], v112 offset0:46 offset1:47
	v_fma_f64 v[16:17], -v[58:59], v[122:123], v[16:17]
	ds_read2_b64 v[126:129], v112 offset0:48 offset1:49
	v_fma_f64 v[14:15], -v[58:59], v[124:125], v[14:15]
	ds_read2_b64 v[122:125], v112 offset0:50 offset1:51
	s_waitcnt lgkmcnt(0)
	v_fma_f64 v[12:13], -v[58:59], v[118:119], v[12:13]
	v_fma_f64 v[10:11], -v[58:59], v[120:121], v[10:11]
	;; [unrolled: 1-line block ×6, first 2 shown]
.LBB102_403:
	s_or_b64 exec, exec, s[0:1]
	v_lshl_add_u32 v108, v113, 3, v112
	s_barrier
	ds_write_b64 v108, v[56:57]
	s_waitcnt lgkmcnt(0)
	s_barrier
	ds_read_b64 v[108:109], v112 offset:192
	s_cmp_lt_i32 s18, 26
	v_mov_b32_e32 v110, 24
	s_cbranch_scc1 .LBB102_406
; %bb.404:
	v_add_u32_e32 v117, 0xc8, v112
	s_mov_b32 s0, 25
	v_mov_b32_e32 v110, 24
.LBB102_405:                            ; =>This Inner Loop Header: Depth=1
	ds_read_b64 v[118:119], v117
	v_mov_b32_e32 v120, s0
	s_add_i32 s0, s0, 1
	v_add_u32_e32 v117, 8, v117
	s_cmp_lg_u32 s18, s0
	s_waitcnt lgkmcnt(0)
	v_cmp_lt_f64_e64 vcc, |v[108:109]|, |v[118:119]|
	v_cndmask_b32_e32 v109, v109, v119, vcc
	v_cndmask_b32_e32 v108, v108, v118, vcc
	;; [unrolled: 1-line block ×3, first 2 shown]
	s_cbranch_scc1 .LBB102_405
.LBB102_406:
	s_waitcnt lgkmcnt(0)
	v_cmp_eq_f64_e32 vcc, 0, v[108:109]
	s_and_saveexec_b64 s[0:1], vcc
	s_xor_b64 s[0:1], exec, s[0:1]
; %bb.407:
	v_cmp_ne_u32_e32 vcc, 0, v116
	v_cndmask_b32_e32 v116, 25, v116, vcc
; %bb.408:
	s_andn2_saveexec_b64 s[0:1], s[0:1]
; %bb.409:
	v_div_scale_f64 v[118:119], s[2:3], v[108:109], v[108:109], 1.0
	v_rcp_f64_e32 v[120:121], v[118:119]
	v_div_scale_f64 v[122:123], vcc, 1.0, v[108:109], 1.0
	v_fma_f64 v[124:125], -v[118:119], v[120:121], 1.0
	v_fmac_f64_e32 v[120:121], v[120:121], v[124:125]
	v_fma_f64 v[124:125], -v[118:119], v[120:121], 1.0
	v_fmac_f64_e32 v[120:121], v[120:121], v[124:125]
	v_mul_f64 v[124:125], v[122:123], v[120:121]
	v_fma_f64 v[118:119], -v[118:119], v[124:125], v[122:123]
	v_div_fmas_f64 v[118:119], v[118:119], v[120:121], v[124:125]
	v_div_fixup_f64 v[108:109], v[118:119], v[108:109], 1.0
; %bb.410:
	s_or_b64 exec, exec, s[0:1]
	v_cmp_ne_u32_e32 vcc, v113, v110
	s_and_saveexec_b64 s[0:1], vcc
	s_xor_b64 s[0:1], exec, s[0:1]
	s_cbranch_execz .LBB102_416
; %bb.411:
	v_cmp_eq_u32_e32 vcc, 24, v113
	s_and_saveexec_b64 s[2:3], vcc
	s_cbranch_execz .LBB102_415
; %bb.412:
	v_cmp_ne_u32_e32 vcc, 24, v110
	s_xor_b64 s[14:15], s[6:7], -1
	s_and_b64 s[16:17], s[14:15], vcc
	s_and_saveexec_b64 s[14:15], s[16:17]
	s_cbranch_execz .LBB102_414
; %bb.413:
	v_ashrrev_i32_e32 v111, 31, v110
	v_lshlrev_b64 v[118:119], 2, v[110:111]
	v_add_co_u32_e32 v118, vcc, v4, v118
	v_addc_co_u32_e32 v119, vcc, v5, v119, vcc
	flat_load_dword v111, v[118:119]
	flat_load_dword v113, v[4:5] offset:96
	s_waitcnt vmcnt(0) lgkmcnt(0)
	flat_store_dword v[4:5], v111 offset:96
	flat_store_dword v[118:119], v113
.LBB102_414:
	s_or_b64 exec, exec, s[14:15]
	v_mov_b32_e32 v111, v110
	v_mov_b32_e32 v113, v110
.LBB102_415:
	s_or_b64 exec, exec, s[2:3]
.LBB102_416:
	s_andn2_saveexec_b64 s[0:1], s[0:1]
	s_cbranch_execz .LBB102_418
; %bb.417:
	v_mov_b32_e32 v113, 24
	ds_write2_b64 v112, v[54:55], v[52:53] offset0:25 offset1:26
	ds_write2_b64 v112, v[50:51], v[48:49] offset0:27 offset1:28
	;; [unrolled: 1-line block ×13, first 2 shown]
	ds_write_b64 v112, v[106:107] offset:408
.LBB102_418:
	s_or_b64 exec, exec, s[0:1]
	v_cmp_lt_i32_e32 vcc, 24, v113
	s_waitcnt lgkmcnt(0)
	s_barrier
	s_and_saveexec_b64 s[0:1], vcc
	s_cbranch_execz .LBB102_420
; %bb.419:
	ds_read2_b64 v[118:121], v112 offset0:25 offset1:26
	ds_read2_b64 v[122:125], v112 offset0:27 offset1:28
	v_mul_f64 v[56:57], v[108:109], v[56:57]
	ds_read2_b64 v[126:129], v112 offset0:29 offset1:30
	ds_read_b64 v[108:109], v112 offset:408
	s_waitcnt lgkmcnt(0)
	v_fma_f64 v[54:55], -v[56:57], v[118:119], v[54:55]
	v_fma_f64 v[52:53], -v[56:57], v[120:121], v[52:53]
	ds_read2_b64 v[118:121], v112 offset0:31 offset1:32
	v_fma_f64 v[50:51], -v[56:57], v[122:123], v[50:51]
	v_fma_f64 v[48:49], -v[56:57], v[124:125], v[48:49]
	v_fma_f64 v[46:47], -v[56:57], v[126:127], v[46:47]
	ds_read2_b64 v[122:125], v112 offset0:33 offset1:34
	v_fma_f64 v[44:45], -v[56:57], v[128:129], v[44:45]
	ds_read2_b64 v[126:129], v112 offset0:35 offset1:36
	s_waitcnt lgkmcnt(0)
	v_fma_f64 v[42:43], -v[56:57], v[118:119], v[42:43]
	v_fma_f64 v[40:41], -v[56:57], v[120:121], v[40:41]
	ds_read2_b64 v[118:121], v112 offset0:37 offset1:38
	v_fma_f64 v[38:39], -v[56:57], v[122:123], v[38:39]
	v_fma_f64 v[36:37], -v[56:57], v[124:125], v[36:37]
	ds_read2_b64 v[122:125], v112 offset0:39 offset1:40
	v_fma_f64 v[34:35], -v[56:57], v[126:127], v[34:35]
	v_fma_f64 v[32:33], -v[56:57], v[128:129], v[32:33]
	s_waitcnt lgkmcnt(0)
	v_fma_f64 v[30:31], -v[56:57], v[118:119], v[30:31]
	ds_read2_b64 v[126:129], v112 offset0:41 offset1:42
	v_fma_f64 v[28:29], -v[56:57], v[120:121], v[28:29]
	ds_read2_b64 v[118:121], v112 offset0:43 offset1:44
	v_fma_f64 v[26:27], -v[56:57], v[122:123], v[26:27]
	v_fma_f64 v[24:25], -v[56:57], v[124:125], v[24:25]
	s_waitcnt lgkmcnt(0)
	v_fma_f64 v[22:23], -v[56:57], v[126:127], v[22:23]
	ds_read2_b64 v[122:125], v112 offset0:45 offset1:46
	v_fma_f64 v[20:21], -v[56:57], v[128:129], v[20:21]
	v_fma_f64 v[18:19], -v[56:57], v[118:119], v[18:19]
	;; [unrolled: 1-line block ×3, first 2 shown]
	ds_read2_b64 v[118:121], v112 offset0:47 offset1:48
	ds_read2_b64 v[126:129], v112 offset0:49 offset1:50
	s_waitcnt lgkmcnt(0)
	v_fma_f64 v[14:15], -v[56:57], v[122:123], v[14:15]
	v_fma_f64 v[12:13], -v[56:57], v[124:125], v[12:13]
	v_fma_f64 v[106:107], -v[56:57], v[108:109], v[106:107]
	v_fma_f64 v[10:11], -v[56:57], v[118:119], v[10:11]
	v_fma_f64 v[8:9], -v[56:57], v[120:121], v[8:9]
	v_fma_f64 v[6:7], -v[56:57], v[126:127], v[6:7]
	v_fma_f64 v[0:1], -v[56:57], v[128:129], v[0:1]
.LBB102_420:
	s_or_b64 exec, exec, s[0:1]
	v_lshl_add_u32 v108, v113, 3, v112
	s_barrier
	ds_write_b64 v108, v[54:55]
	s_waitcnt lgkmcnt(0)
	s_barrier
	ds_read_b64 v[108:109], v112 offset:200
	s_cmp_lt_i32 s18, 27
	v_mov_b32_e32 v110, 25
	s_cbranch_scc1 .LBB102_423
; %bb.421:
	v_add_u32_e32 v117, 0xd0, v112
	s_mov_b32 s0, 26
	v_mov_b32_e32 v110, 25
.LBB102_422:                            ; =>This Inner Loop Header: Depth=1
	ds_read_b64 v[118:119], v117
	v_mov_b32_e32 v120, s0
	s_add_i32 s0, s0, 1
	v_add_u32_e32 v117, 8, v117
	s_cmp_lg_u32 s18, s0
	s_waitcnt lgkmcnt(0)
	v_cmp_lt_f64_e64 vcc, |v[108:109]|, |v[118:119]|
	v_cndmask_b32_e32 v109, v109, v119, vcc
	v_cndmask_b32_e32 v108, v108, v118, vcc
	;; [unrolled: 1-line block ×3, first 2 shown]
	s_cbranch_scc1 .LBB102_422
.LBB102_423:
	s_waitcnt lgkmcnt(0)
	v_cmp_eq_f64_e32 vcc, 0, v[108:109]
	s_and_saveexec_b64 s[0:1], vcc
	s_xor_b64 s[0:1], exec, s[0:1]
; %bb.424:
	v_cmp_ne_u32_e32 vcc, 0, v116
	v_cndmask_b32_e32 v116, 26, v116, vcc
; %bb.425:
	s_andn2_saveexec_b64 s[0:1], s[0:1]
; %bb.426:
	v_div_scale_f64 v[118:119], s[2:3], v[108:109], v[108:109], 1.0
	v_rcp_f64_e32 v[120:121], v[118:119]
	v_div_scale_f64 v[122:123], vcc, 1.0, v[108:109], 1.0
	v_fma_f64 v[124:125], -v[118:119], v[120:121], 1.0
	v_fmac_f64_e32 v[120:121], v[120:121], v[124:125]
	v_fma_f64 v[124:125], -v[118:119], v[120:121], 1.0
	v_fmac_f64_e32 v[120:121], v[120:121], v[124:125]
	v_mul_f64 v[124:125], v[122:123], v[120:121]
	v_fma_f64 v[118:119], -v[118:119], v[124:125], v[122:123]
	v_div_fmas_f64 v[118:119], v[118:119], v[120:121], v[124:125]
	v_div_fixup_f64 v[108:109], v[118:119], v[108:109], 1.0
; %bb.427:
	s_or_b64 exec, exec, s[0:1]
	v_cmp_ne_u32_e32 vcc, v113, v110
	s_and_saveexec_b64 s[0:1], vcc
	s_xor_b64 s[0:1], exec, s[0:1]
	s_cbranch_execz .LBB102_433
; %bb.428:
	v_cmp_eq_u32_e32 vcc, 25, v113
	s_and_saveexec_b64 s[2:3], vcc
	s_cbranch_execz .LBB102_432
; %bb.429:
	v_cmp_ne_u32_e32 vcc, 25, v110
	s_xor_b64 s[14:15], s[6:7], -1
	s_and_b64 s[16:17], s[14:15], vcc
	s_and_saveexec_b64 s[14:15], s[16:17]
	s_cbranch_execz .LBB102_431
; %bb.430:
	v_ashrrev_i32_e32 v111, 31, v110
	v_lshlrev_b64 v[118:119], 2, v[110:111]
	v_add_co_u32_e32 v118, vcc, v4, v118
	v_addc_co_u32_e32 v119, vcc, v5, v119, vcc
	flat_load_dword v111, v[118:119]
	flat_load_dword v113, v[4:5] offset:100
	s_waitcnt vmcnt(0) lgkmcnt(0)
	flat_store_dword v[4:5], v111 offset:100
	flat_store_dword v[118:119], v113
.LBB102_431:
	s_or_b64 exec, exec, s[14:15]
	v_mov_b32_e32 v111, v110
	v_mov_b32_e32 v113, v110
.LBB102_432:
	s_or_b64 exec, exec, s[2:3]
.LBB102_433:
	s_andn2_saveexec_b64 s[0:1], s[0:1]
	s_cbranch_execz .LBB102_435
; %bb.434:
	v_mov_b32_e32 v118, v52
	v_mov_b32_e32 v119, v53
	v_mov_b32_e32 v120, v50
	v_mov_b32_e32 v121, v51
	ds_write2_b64 v112, v[118:119], v[120:121] offset0:26 offset1:27
	v_mov_b32_e32 v118, v48
	v_mov_b32_e32 v119, v49
	v_mov_b32_e32 v120, v46
	v_mov_b32_e32 v121, v47
	ds_write2_b64 v112, v[118:119], v[120:121] offset0:28 offset1:29
	;; [unrolled: 5-line block ×12, first 2 shown]
	v_mov_b32_e32 v118, v0
	v_mov_b32_e32 v119, v1
	v_mov_b32_e32 v113, 25
	ds_write2_b64 v112, v[118:119], v[106:107] offset0:50 offset1:51
.LBB102_435:
	s_or_b64 exec, exec, s[0:1]
	v_cmp_lt_i32_e32 vcc, 25, v113
	s_waitcnt lgkmcnt(0)
	s_barrier
	s_and_saveexec_b64 s[0:1], vcc
	s_cbranch_execz .LBB102_437
; %bb.436:
	ds_read2_b64 v[118:121], v112 offset0:26 offset1:27
	ds_read2_b64 v[122:125], v112 offset0:28 offset1:29
	v_mul_f64 v[54:55], v[108:109], v[54:55]
	ds_read2_b64 v[126:129], v112 offset0:30 offset1:31
	s_waitcnt lgkmcnt(0)
	v_fma_f64 v[52:53], -v[54:55], v[118:119], v[52:53]
	v_fma_f64 v[50:51], -v[54:55], v[120:121], v[50:51]
	ds_read2_b64 v[118:121], v112 offset0:32 offset1:33
	v_fma_f64 v[48:49], -v[54:55], v[122:123], v[48:49]
	v_fma_f64 v[46:47], -v[54:55], v[124:125], v[46:47]
	;; [unrolled: 1-line block ×3, first 2 shown]
	ds_read2_b64 v[122:125], v112 offset0:34 offset1:35
	v_fma_f64 v[42:43], -v[54:55], v[128:129], v[42:43]
	ds_read2_b64 v[126:129], v112 offset0:36 offset1:37
	s_waitcnt lgkmcnt(0)
	v_fma_f64 v[40:41], -v[54:55], v[118:119], v[40:41]
	v_fma_f64 v[38:39], -v[54:55], v[120:121], v[38:39]
	ds_read2_b64 v[118:121], v112 offset0:38 offset1:39
	v_fma_f64 v[36:37], -v[54:55], v[122:123], v[36:37]
	v_fma_f64 v[34:35], -v[54:55], v[124:125], v[34:35]
	ds_read2_b64 v[122:125], v112 offset0:40 offset1:41
	v_fma_f64 v[32:33], -v[54:55], v[126:127], v[32:33]
	v_fma_f64 v[30:31], -v[54:55], v[128:129], v[30:31]
	s_waitcnt lgkmcnt(0)
	v_fma_f64 v[28:29], -v[54:55], v[118:119], v[28:29]
	ds_read2_b64 v[126:129], v112 offset0:42 offset1:43
	v_fma_f64 v[26:27], -v[54:55], v[120:121], v[26:27]
	ds_read2_b64 v[118:121], v112 offset0:44 offset1:45
	v_fma_f64 v[24:25], -v[54:55], v[122:123], v[24:25]
	v_fma_f64 v[22:23], -v[54:55], v[124:125], v[22:23]
	s_waitcnt lgkmcnt(0)
	v_fma_f64 v[20:21], -v[54:55], v[126:127], v[20:21]
	v_fma_f64 v[18:19], -v[54:55], v[128:129], v[18:19]
	ds_read2_b64 v[122:125], v112 offset0:46 offset1:47
	ds_read2_b64 v[126:129], v112 offset0:48 offset1:49
	v_fma_f64 v[16:17], -v[54:55], v[118:119], v[16:17]
	v_fma_f64 v[14:15], -v[54:55], v[120:121], v[14:15]
	ds_read2_b64 v[118:121], v112 offset0:50 offset1:51
	s_waitcnt lgkmcnt(0)
	v_fma_f64 v[12:13], -v[54:55], v[122:123], v[12:13]
	v_fma_f64 v[10:11], -v[54:55], v[124:125], v[10:11]
	;; [unrolled: 1-line block ×6, first 2 shown]
.LBB102_437:
	s_or_b64 exec, exec, s[0:1]
	v_lshl_add_u32 v108, v113, 3, v112
	s_barrier
	ds_write_b64 v108, v[52:53]
	s_waitcnt lgkmcnt(0)
	s_barrier
	ds_read_b64 v[108:109], v112 offset:208
	s_cmp_lt_i32 s18, 28
	v_mov_b32_e32 v110, 26
	s_cbranch_scc1 .LBB102_440
; %bb.438:
	v_add_u32_e32 v117, 0xd8, v112
	s_mov_b32 s0, 27
	v_mov_b32_e32 v110, 26
.LBB102_439:                            ; =>This Inner Loop Header: Depth=1
	ds_read_b64 v[118:119], v117
	v_mov_b32_e32 v120, s0
	s_add_i32 s0, s0, 1
	v_add_u32_e32 v117, 8, v117
	s_cmp_lg_u32 s18, s0
	s_waitcnt lgkmcnt(0)
	v_cmp_lt_f64_e64 vcc, |v[108:109]|, |v[118:119]|
	v_cndmask_b32_e32 v109, v109, v119, vcc
	v_cndmask_b32_e32 v108, v108, v118, vcc
	;; [unrolled: 1-line block ×3, first 2 shown]
	s_cbranch_scc1 .LBB102_439
.LBB102_440:
	s_waitcnt lgkmcnt(0)
	v_cmp_eq_f64_e32 vcc, 0, v[108:109]
	s_and_saveexec_b64 s[0:1], vcc
	s_xor_b64 s[0:1], exec, s[0:1]
; %bb.441:
	v_cmp_ne_u32_e32 vcc, 0, v116
	v_cndmask_b32_e32 v116, 27, v116, vcc
; %bb.442:
	s_andn2_saveexec_b64 s[0:1], s[0:1]
; %bb.443:
	v_div_scale_f64 v[118:119], s[2:3], v[108:109], v[108:109], 1.0
	v_rcp_f64_e32 v[120:121], v[118:119]
	v_div_scale_f64 v[122:123], vcc, 1.0, v[108:109], 1.0
	v_fma_f64 v[124:125], -v[118:119], v[120:121], 1.0
	v_fmac_f64_e32 v[120:121], v[120:121], v[124:125]
	v_fma_f64 v[124:125], -v[118:119], v[120:121], 1.0
	v_fmac_f64_e32 v[120:121], v[120:121], v[124:125]
	v_mul_f64 v[124:125], v[122:123], v[120:121]
	v_fma_f64 v[118:119], -v[118:119], v[124:125], v[122:123]
	v_div_fmas_f64 v[118:119], v[118:119], v[120:121], v[124:125]
	v_div_fixup_f64 v[108:109], v[118:119], v[108:109], 1.0
; %bb.444:
	s_or_b64 exec, exec, s[0:1]
	v_cmp_ne_u32_e32 vcc, v113, v110
	s_and_saveexec_b64 s[0:1], vcc
	s_xor_b64 s[0:1], exec, s[0:1]
	s_cbranch_execz .LBB102_450
; %bb.445:
	v_cmp_eq_u32_e32 vcc, 26, v113
	s_and_saveexec_b64 s[2:3], vcc
	s_cbranch_execz .LBB102_449
; %bb.446:
	v_cmp_ne_u32_e32 vcc, 26, v110
	s_xor_b64 s[14:15], s[6:7], -1
	s_and_b64 s[16:17], s[14:15], vcc
	s_and_saveexec_b64 s[14:15], s[16:17]
	s_cbranch_execz .LBB102_448
; %bb.447:
	v_ashrrev_i32_e32 v111, 31, v110
	v_lshlrev_b64 v[118:119], 2, v[110:111]
	v_add_co_u32_e32 v118, vcc, v4, v118
	v_addc_co_u32_e32 v119, vcc, v5, v119, vcc
	flat_load_dword v111, v[118:119]
	flat_load_dword v113, v[4:5] offset:104
	s_waitcnt vmcnt(0) lgkmcnt(0)
	flat_store_dword v[4:5], v111 offset:104
	flat_store_dword v[118:119], v113
.LBB102_448:
	s_or_b64 exec, exec, s[14:15]
	v_mov_b32_e32 v111, v110
	v_mov_b32_e32 v113, v110
.LBB102_449:
	s_or_b64 exec, exec, s[2:3]
.LBB102_450:
	s_andn2_saveexec_b64 s[0:1], s[0:1]
	s_cbranch_execz .LBB102_452
; %bb.451:
	v_mov_b32_e32 v113, 26
	ds_write2_b64 v112, v[50:51], v[48:49] offset0:27 offset1:28
	ds_write2_b64 v112, v[46:47], v[44:45] offset0:29 offset1:30
	;; [unrolled: 1-line block ×12, first 2 shown]
	ds_write_b64 v112, v[106:107] offset:408
.LBB102_452:
	s_or_b64 exec, exec, s[0:1]
	v_cmp_lt_i32_e32 vcc, 26, v113
	s_waitcnt lgkmcnt(0)
	s_barrier
	s_and_saveexec_b64 s[0:1], vcc
	s_cbranch_execz .LBB102_454
; %bb.453:
	ds_read2_b64 v[118:121], v112 offset0:27 offset1:28
	ds_read2_b64 v[122:125], v112 offset0:29 offset1:30
	;; [unrolled: 1-line block ×3, first 2 shown]
	v_mul_f64 v[52:53], v[108:109], v[52:53]
	ds_read_b64 v[108:109], v112 offset:408
	s_waitcnt lgkmcnt(0)
	v_fma_f64 v[50:51], -v[52:53], v[118:119], v[50:51]
	v_fma_f64 v[48:49], -v[52:53], v[120:121], v[48:49]
	ds_read2_b64 v[118:121], v112 offset0:33 offset1:34
	v_fma_f64 v[46:47], -v[52:53], v[122:123], v[46:47]
	v_fma_f64 v[44:45], -v[52:53], v[124:125], v[44:45]
	;; [unrolled: 1-line block ×3, first 2 shown]
	ds_read2_b64 v[122:125], v112 offset0:35 offset1:36
	v_fma_f64 v[40:41], -v[52:53], v[128:129], v[40:41]
	ds_read2_b64 v[126:129], v112 offset0:37 offset1:38
	s_waitcnt lgkmcnt(0)
	v_fma_f64 v[38:39], -v[52:53], v[118:119], v[38:39]
	v_fma_f64 v[36:37], -v[52:53], v[120:121], v[36:37]
	;; [unrolled: 1-line block ×3, first 2 shown]
	ds_read2_b64 v[118:121], v112 offset0:39 offset1:40
	v_fma_f64 v[32:33], -v[52:53], v[124:125], v[32:33]
	ds_read2_b64 v[122:125], v112 offset0:41 offset1:42
	v_fma_f64 v[30:31], -v[52:53], v[126:127], v[30:31]
	v_fma_f64 v[28:29], -v[52:53], v[128:129], v[28:29]
	ds_read2_b64 v[126:129], v112 offset0:43 offset1:44
	s_waitcnt lgkmcnt(0)
	v_fma_f64 v[26:27], -v[52:53], v[118:119], v[26:27]
	v_fma_f64 v[24:25], -v[52:53], v[120:121], v[24:25]
	ds_read2_b64 v[118:121], v112 offset0:45 offset1:46
	v_fma_f64 v[22:23], -v[52:53], v[122:123], v[22:23]
	v_fma_f64 v[20:21], -v[52:53], v[124:125], v[20:21]
	;; [unrolled: 1-line block ×4, first 2 shown]
	ds_read2_b64 v[122:125], v112 offset0:47 offset1:48
	ds_read2_b64 v[126:129], v112 offset0:49 offset1:50
	s_waitcnt lgkmcnt(0)
	v_fma_f64 v[14:15], -v[52:53], v[118:119], v[14:15]
	v_fma_f64 v[12:13], -v[52:53], v[120:121], v[12:13]
	;; [unrolled: 1-line block ×7, first 2 shown]
.LBB102_454:
	s_or_b64 exec, exec, s[0:1]
	v_lshl_add_u32 v108, v113, 3, v112
	s_barrier
	ds_write_b64 v108, v[50:51]
	s_waitcnt lgkmcnt(0)
	s_barrier
	ds_read_b64 v[108:109], v112 offset:216
	s_cmp_lt_i32 s18, 29
	v_mov_b32_e32 v110, 27
	s_cbranch_scc1 .LBB102_457
; %bb.455:
	v_add_u32_e32 v117, 0xe0, v112
	s_mov_b32 s0, 28
	v_mov_b32_e32 v110, 27
.LBB102_456:                            ; =>This Inner Loop Header: Depth=1
	ds_read_b64 v[118:119], v117
	v_mov_b32_e32 v120, s0
	s_add_i32 s0, s0, 1
	v_add_u32_e32 v117, 8, v117
	s_cmp_lg_u32 s18, s0
	s_waitcnt lgkmcnt(0)
	v_cmp_lt_f64_e64 vcc, |v[108:109]|, |v[118:119]|
	v_cndmask_b32_e32 v109, v109, v119, vcc
	v_cndmask_b32_e32 v108, v108, v118, vcc
	;; [unrolled: 1-line block ×3, first 2 shown]
	s_cbranch_scc1 .LBB102_456
.LBB102_457:
	s_waitcnt lgkmcnt(0)
	v_cmp_eq_f64_e32 vcc, 0, v[108:109]
	s_and_saveexec_b64 s[0:1], vcc
	s_xor_b64 s[0:1], exec, s[0:1]
; %bb.458:
	v_cmp_ne_u32_e32 vcc, 0, v116
	v_cndmask_b32_e32 v116, 28, v116, vcc
; %bb.459:
	s_andn2_saveexec_b64 s[0:1], s[0:1]
; %bb.460:
	v_div_scale_f64 v[118:119], s[2:3], v[108:109], v[108:109], 1.0
	v_rcp_f64_e32 v[120:121], v[118:119]
	v_div_scale_f64 v[122:123], vcc, 1.0, v[108:109], 1.0
	v_fma_f64 v[124:125], -v[118:119], v[120:121], 1.0
	v_fmac_f64_e32 v[120:121], v[120:121], v[124:125]
	v_fma_f64 v[124:125], -v[118:119], v[120:121], 1.0
	v_fmac_f64_e32 v[120:121], v[120:121], v[124:125]
	v_mul_f64 v[124:125], v[122:123], v[120:121]
	v_fma_f64 v[118:119], -v[118:119], v[124:125], v[122:123]
	v_div_fmas_f64 v[118:119], v[118:119], v[120:121], v[124:125]
	v_div_fixup_f64 v[108:109], v[118:119], v[108:109], 1.0
; %bb.461:
	s_or_b64 exec, exec, s[0:1]
	v_cmp_ne_u32_e32 vcc, v113, v110
	s_and_saveexec_b64 s[0:1], vcc
	s_xor_b64 s[0:1], exec, s[0:1]
	s_cbranch_execz .LBB102_467
; %bb.462:
	v_cmp_eq_u32_e32 vcc, 27, v113
	s_and_saveexec_b64 s[2:3], vcc
	s_cbranch_execz .LBB102_466
; %bb.463:
	v_cmp_ne_u32_e32 vcc, 27, v110
	s_xor_b64 s[14:15], s[6:7], -1
	s_and_b64 s[16:17], s[14:15], vcc
	s_and_saveexec_b64 s[14:15], s[16:17]
	s_cbranch_execz .LBB102_465
; %bb.464:
	v_ashrrev_i32_e32 v111, 31, v110
	v_lshlrev_b64 v[118:119], 2, v[110:111]
	v_add_co_u32_e32 v118, vcc, v4, v118
	v_addc_co_u32_e32 v119, vcc, v5, v119, vcc
	flat_load_dword v111, v[118:119]
	flat_load_dword v113, v[4:5] offset:108
	s_waitcnt vmcnt(0) lgkmcnt(0)
	flat_store_dword v[4:5], v111 offset:108
	flat_store_dword v[118:119], v113
.LBB102_465:
	s_or_b64 exec, exec, s[14:15]
	v_mov_b32_e32 v111, v110
	v_mov_b32_e32 v113, v110
.LBB102_466:
	s_or_b64 exec, exec, s[2:3]
.LBB102_467:
	s_andn2_saveexec_b64 s[0:1], s[0:1]
	s_cbranch_execz .LBB102_469
; %bb.468:
	v_mov_b32_e32 v118, v48
	v_mov_b32_e32 v119, v49
	v_mov_b32_e32 v120, v46
	v_mov_b32_e32 v121, v47
	ds_write2_b64 v112, v[118:119], v[120:121] offset0:28 offset1:29
	v_mov_b32_e32 v118, v44
	v_mov_b32_e32 v119, v45
	v_mov_b32_e32 v120, v42
	v_mov_b32_e32 v121, v43
	ds_write2_b64 v112, v[118:119], v[120:121] offset0:30 offset1:31
	v_mov_b32_e32 v118, v40
	v_mov_b32_e32 v119, v41
	v_mov_b32_e32 v120, v38
	v_mov_b32_e32 v121, v39
	ds_write2_b64 v112, v[118:119], v[120:121] offset0:32 offset1:33
	v_mov_b32_e32 v118, v36
	v_mov_b32_e32 v119, v37
	v_mov_b32_e32 v120, v34
	v_mov_b32_e32 v121, v35
	ds_write2_b64 v112, v[118:119], v[120:121] offset0:34 offset1:35
	v_mov_b32_e32 v118, v32
	v_mov_b32_e32 v119, v33
	v_mov_b32_e32 v120, v30
	v_mov_b32_e32 v121, v31
	ds_write2_b64 v112, v[118:119], v[120:121] offset0:36 offset1:37
	v_mov_b32_e32 v118, v28
	v_mov_b32_e32 v119, v29
	v_mov_b32_e32 v120, v26
	v_mov_b32_e32 v121, v27
	ds_write2_b64 v112, v[118:119], v[120:121] offset0:38 offset1:39
	v_mov_b32_e32 v118, v24
	v_mov_b32_e32 v119, v25
	v_mov_b32_e32 v120, v22
	v_mov_b32_e32 v121, v23
	ds_write2_b64 v112, v[118:119], v[120:121] offset0:40 offset1:41
	v_mov_b32_e32 v118, v20
	v_mov_b32_e32 v119, v21
	v_mov_b32_e32 v120, v18
	v_mov_b32_e32 v121, v19
	ds_write2_b64 v112, v[118:119], v[120:121] offset0:42 offset1:43
	v_mov_b32_e32 v118, v16
	v_mov_b32_e32 v119, v17
	v_mov_b32_e32 v120, v14
	v_mov_b32_e32 v121, v15
	ds_write2_b64 v112, v[118:119], v[120:121] offset0:44 offset1:45
	v_mov_b32_e32 v118, v12
	v_mov_b32_e32 v119, v13
	v_mov_b32_e32 v120, v10
	v_mov_b32_e32 v121, v11
	ds_write2_b64 v112, v[118:119], v[120:121] offset0:46 offset1:47
	v_mov_b32_e32 v118, v8
	v_mov_b32_e32 v119, v9
	v_mov_b32_e32 v120, v6
	v_mov_b32_e32 v121, v7
	ds_write2_b64 v112, v[118:119], v[120:121] offset0:48 offset1:49
	v_mov_b32_e32 v118, v0
	v_mov_b32_e32 v119, v1
	;; [unrolled: 1-line block ×3, first 2 shown]
	ds_write2_b64 v112, v[118:119], v[106:107] offset0:50 offset1:51
.LBB102_469:
	s_or_b64 exec, exec, s[0:1]
	v_cmp_lt_i32_e32 vcc, 27, v113
	s_waitcnt lgkmcnt(0)
	s_barrier
	s_and_saveexec_b64 s[0:1], vcc
	s_cbranch_execz .LBB102_471
; %bb.470:
	ds_read2_b64 v[118:121], v112 offset0:28 offset1:29
	ds_read2_b64 v[122:125], v112 offset0:30 offset1:31
	;; [unrolled: 1-line block ×3, first 2 shown]
	v_mul_f64 v[50:51], v[108:109], v[50:51]
	s_waitcnt lgkmcnt(0)
	v_fma_f64 v[48:49], -v[50:51], v[118:119], v[48:49]
	v_fma_f64 v[46:47], -v[50:51], v[120:121], v[46:47]
	ds_read2_b64 v[118:121], v112 offset0:34 offset1:35
	v_fma_f64 v[44:45], -v[50:51], v[122:123], v[44:45]
	v_fma_f64 v[42:43], -v[50:51], v[124:125], v[42:43]
	;; [unrolled: 1-line block ×3, first 2 shown]
	ds_read2_b64 v[122:125], v112 offset0:36 offset1:37
	v_fma_f64 v[38:39], -v[50:51], v[128:129], v[38:39]
	ds_read2_b64 v[126:129], v112 offset0:38 offset1:39
	s_waitcnt lgkmcnt(0)
	v_fma_f64 v[36:37], -v[50:51], v[118:119], v[36:37]
	v_fma_f64 v[34:35], -v[50:51], v[120:121], v[34:35]
	;; [unrolled: 1-line block ×3, first 2 shown]
	ds_read2_b64 v[118:121], v112 offset0:40 offset1:41
	v_fma_f64 v[30:31], -v[50:51], v[124:125], v[30:31]
	ds_read2_b64 v[122:125], v112 offset0:42 offset1:43
	v_fma_f64 v[28:29], -v[50:51], v[126:127], v[28:29]
	v_fma_f64 v[26:27], -v[50:51], v[128:129], v[26:27]
	ds_read2_b64 v[126:129], v112 offset0:44 offset1:45
	s_waitcnt lgkmcnt(0)
	v_fma_f64 v[24:25], -v[50:51], v[118:119], v[24:25]
	v_fma_f64 v[22:23], -v[50:51], v[120:121], v[22:23]
	ds_read2_b64 v[118:121], v112 offset0:46 offset1:47
	v_fma_f64 v[20:21], -v[50:51], v[122:123], v[20:21]
	v_fma_f64 v[18:19], -v[50:51], v[124:125], v[18:19]
	;; [unrolled: 1-line block ×3, first 2 shown]
	ds_read2_b64 v[122:125], v112 offset0:48 offset1:49
	v_fma_f64 v[14:15], -v[50:51], v[128:129], v[14:15]
	ds_read2_b64 v[126:129], v112 offset0:50 offset1:51
	s_waitcnt lgkmcnt(0)
	v_fma_f64 v[12:13], -v[50:51], v[118:119], v[12:13]
	v_fma_f64 v[10:11], -v[50:51], v[120:121], v[10:11]
	;; [unrolled: 1-line block ×6, first 2 shown]
.LBB102_471:
	s_or_b64 exec, exec, s[0:1]
	v_lshl_add_u32 v108, v113, 3, v112
	s_barrier
	ds_write_b64 v108, v[48:49]
	s_waitcnt lgkmcnt(0)
	s_barrier
	ds_read_b64 v[108:109], v112 offset:224
	s_cmp_lt_i32 s18, 30
	v_mov_b32_e32 v110, 28
	s_cbranch_scc1 .LBB102_474
; %bb.472:
	v_add_u32_e32 v117, 0xe8, v112
	s_mov_b32 s0, 29
	v_mov_b32_e32 v110, 28
.LBB102_473:                            ; =>This Inner Loop Header: Depth=1
	ds_read_b64 v[118:119], v117
	v_mov_b32_e32 v120, s0
	s_add_i32 s0, s0, 1
	v_add_u32_e32 v117, 8, v117
	s_cmp_lg_u32 s18, s0
	s_waitcnt lgkmcnt(0)
	v_cmp_lt_f64_e64 vcc, |v[108:109]|, |v[118:119]|
	v_cndmask_b32_e32 v109, v109, v119, vcc
	v_cndmask_b32_e32 v108, v108, v118, vcc
	;; [unrolled: 1-line block ×3, first 2 shown]
	s_cbranch_scc1 .LBB102_473
.LBB102_474:
	s_waitcnt lgkmcnt(0)
	v_cmp_eq_f64_e32 vcc, 0, v[108:109]
	s_and_saveexec_b64 s[0:1], vcc
	s_xor_b64 s[0:1], exec, s[0:1]
; %bb.475:
	v_cmp_ne_u32_e32 vcc, 0, v116
	v_cndmask_b32_e32 v116, 29, v116, vcc
; %bb.476:
	s_andn2_saveexec_b64 s[0:1], s[0:1]
; %bb.477:
	v_div_scale_f64 v[118:119], s[2:3], v[108:109], v[108:109], 1.0
	v_rcp_f64_e32 v[120:121], v[118:119]
	v_div_scale_f64 v[122:123], vcc, 1.0, v[108:109], 1.0
	v_fma_f64 v[124:125], -v[118:119], v[120:121], 1.0
	v_fmac_f64_e32 v[120:121], v[120:121], v[124:125]
	v_fma_f64 v[124:125], -v[118:119], v[120:121], 1.0
	v_fmac_f64_e32 v[120:121], v[120:121], v[124:125]
	v_mul_f64 v[124:125], v[122:123], v[120:121]
	v_fma_f64 v[118:119], -v[118:119], v[124:125], v[122:123]
	v_div_fmas_f64 v[118:119], v[118:119], v[120:121], v[124:125]
	v_div_fixup_f64 v[108:109], v[118:119], v[108:109], 1.0
; %bb.478:
	s_or_b64 exec, exec, s[0:1]
	v_cmp_ne_u32_e32 vcc, v113, v110
	s_and_saveexec_b64 s[0:1], vcc
	s_xor_b64 s[0:1], exec, s[0:1]
	s_cbranch_execz .LBB102_484
; %bb.479:
	v_cmp_eq_u32_e32 vcc, 28, v113
	s_and_saveexec_b64 s[2:3], vcc
	s_cbranch_execz .LBB102_483
; %bb.480:
	v_cmp_ne_u32_e32 vcc, 28, v110
	s_xor_b64 s[14:15], s[6:7], -1
	s_and_b64 s[16:17], s[14:15], vcc
	s_and_saveexec_b64 s[14:15], s[16:17]
	s_cbranch_execz .LBB102_482
; %bb.481:
	v_ashrrev_i32_e32 v111, 31, v110
	v_lshlrev_b64 v[118:119], 2, v[110:111]
	v_add_co_u32_e32 v118, vcc, v4, v118
	v_addc_co_u32_e32 v119, vcc, v5, v119, vcc
	flat_load_dword v111, v[118:119]
	flat_load_dword v113, v[4:5] offset:112
	s_waitcnt vmcnt(0) lgkmcnt(0)
	flat_store_dword v[4:5], v111 offset:112
	flat_store_dword v[118:119], v113
.LBB102_482:
	s_or_b64 exec, exec, s[14:15]
	v_mov_b32_e32 v111, v110
	v_mov_b32_e32 v113, v110
.LBB102_483:
	s_or_b64 exec, exec, s[2:3]
.LBB102_484:
	s_andn2_saveexec_b64 s[0:1], s[0:1]
	s_cbranch_execz .LBB102_486
; %bb.485:
	v_mov_b32_e32 v113, 28
	ds_write2_b64 v112, v[46:47], v[44:45] offset0:29 offset1:30
	ds_write2_b64 v112, v[42:43], v[40:41] offset0:31 offset1:32
	;; [unrolled: 1-line block ×11, first 2 shown]
	ds_write_b64 v112, v[106:107] offset:408
.LBB102_486:
	s_or_b64 exec, exec, s[0:1]
	v_cmp_lt_i32_e32 vcc, 28, v113
	s_waitcnt lgkmcnt(0)
	s_barrier
	s_and_saveexec_b64 s[0:1], vcc
	s_cbranch_execz .LBB102_488
; %bb.487:
	ds_read2_b64 v[118:121], v112 offset0:29 offset1:30
	ds_read2_b64 v[122:125], v112 offset0:31 offset1:32
	v_mul_f64 v[48:49], v[108:109], v[48:49]
	ds_read2_b64 v[126:129], v112 offset0:33 offset1:34
	ds_read_b64 v[108:109], v112 offset:408
	s_waitcnt lgkmcnt(0)
	v_fma_f64 v[46:47], -v[48:49], v[118:119], v[46:47]
	v_fma_f64 v[44:45], -v[48:49], v[120:121], v[44:45]
	ds_read2_b64 v[118:121], v112 offset0:35 offset1:36
	v_fma_f64 v[42:43], -v[48:49], v[122:123], v[42:43]
	v_fma_f64 v[40:41], -v[48:49], v[124:125], v[40:41]
	ds_read2_b64 v[122:125], v112 offset0:37 offset1:38
	;; [unrolled: 3-line block ×3, first 2 shown]
	s_waitcnt lgkmcnt(0)
	v_fma_f64 v[34:35], -v[48:49], v[118:119], v[34:35]
	v_fma_f64 v[32:33], -v[48:49], v[120:121], v[32:33]
	;; [unrolled: 1-line block ×3, first 2 shown]
	ds_read2_b64 v[118:121], v112 offset0:41 offset1:42
	v_fma_f64 v[28:29], -v[48:49], v[124:125], v[28:29]
	ds_read2_b64 v[122:125], v112 offset0:43 offset1:44
	v_fma_f64 v[26:27], -v[48:49], v[126:127], v[26:27]
	v_fma_f64 v[24:25], -v[48:49], v[128:129], v[24:25]
	s_waitcnt lgkmcnt(0)
	v_fma_f64 v[22:23], -v[48:49], v[118:119], v[22:23]
	ds_read2_b64 v[126:129], v112 offset0:45 offset1:46
	v_fma_f64 v[20:21], -v[48:49], v[120:121], v[20:21]
	ds_read2_b64 v[118:121], v112 offset0:47 offset1:48
	v_fma_f64 v[18:19], -v[48:49], v[122:123], v[18:19]
	v_fma_f64 v[16:17], -v[48:49], v[124:125], v[16:17]
	ds_read2_b64 v[122:125], v112 offset0:49 offset1:50
	s_waitcnt lgkmcnt(0)
	v_fma_f64 v[14:15], -v[48:49], v[126:127], v[14:15]
	v_fma_f64 v[12:13], -v[48:49], v[128:129], v[12:13]
	;; [unrolled: 1-line block ×7, first 2 shown]
.LBB102_488:
	s_or_b64 exec, exec, s[0:1]
	v_lshl_add_u32 v108, v113, 3, v112
	s_barrier
	ds_write_b64 v108, v[46:47]
	s_waitcnt lgkmcnt(0)
	s_barrier
	ds_read_b64 v[108:109], v112 offset:232
	s_cmp_lt_i32 s18, 31
	v_mov_b32_e32 v110, 29
	s_cbranch_scc1 .LBB102_491
; %bb.489:
	v_add_u32_e32 v117, 0xf0, v112
	s_mov_b32 s0, 30
	v_mov_b32_e32 v110, 29
.LBB102_490:                            ; =>This Inner Loop Header: Depth=1
	ds_read_b64 v[118:119], v117
	v_mov_b32_e32 v120, s0
	s_add_i32 s0, s0, 1
	v_add_u32_e32 v117, 8, v117
	s_cmp_lg_u32 s18, s0
	s_waitcnt lgkmcnt(0)
	v_cmp_lt_f64_e64 vcc, |v[108:109]|, |v[118:119]|
	v_cndmask_b32_e32 v109, v109, v119, vcc
	v_cndmask_b32_e32 v108, v108, v118, vcc
	;; [unrolled: 1-line block ×3, first 2 shown]
	s_cbranch_scc1 .LBB102_490
.LBB102_491:
	s_waitcnt lgkmcnt(0)
	v_cmp_eq_f64_e32 vcc, 0, v[108:109]
	s_and_saveexec_b64 s[0:1], vcc
	s_xor_b64 s[0:1], exec, s[0:1]
; %bb.492:
	v_cmp_ne_u32_e32 vcc, 0, v116
	v_cndmask_b32_e32 v116, 30, v116, vcc
; %bb.493:
	s_andn2_saveexec_b64 s[0:1], s[0:1]
; %bb.494:
	v_div_scale_f64 v[118:119], s[2:3], v[108:109], v[108:109], 1.0
	v_rcp_f64_e32 v[120:121], v[118:119]
	v_div_scale_f64 v[122:123], vcc, 1.0, v[108:109], 1.0
	v_fma_f64 v[124:125], -v[118:119], v[120:121], 1.0
	v_fmac_f64_e32 v[120:121], v[120:121], v[124:125]
	v_fma_f64 v[124:125], -v[118:119], v[120:121], 1.0
	v_fmac_f64_e32 v[120:121], v[120:121], v[124:125]
	v_mul_f64 v[124:125], v[122:123], v[120:121]
	v_fma_f64 v[118:119], -v[118:119], v[124:125], v[122:123]
	v_div_fmas_f64 v[118:119], v[118:119], v[120:121], v[124:125]
	v_div_fixup_f64 v[108:109], v[118:119], v[108:109], 1.0
; %bb.495:
	s_or_b64 exec, exec, s[0:1]
	v_cmp_ne_u32_e32 vcc, v113, v110
	s_and_saveexec_b64 s[0:1], vcc
	s_xor_b64 s[0:1], exec, s[0:1]
	s_cbranch_execz .LBB102_501
; %bb.496:
	v_cmp_eq_u32_e32 vcc, 29, v113
	s_and_saveexec_b64 s[2:3], vcc
	s_cbranch_execz .LBB102_500
; %bb.497:
	v_cmp_ne_u32_e32 vcc, 29, v110
	s_xor_b64 s[14:15], s[6:7], -1
	s_and_b64 s[16:17], s[14:15], vcc
	s_and_saveexec_b64 s[14:15], s[16:17]
	s_cbranch_execz .LBB102_499
; %bb.498:
	v_ashrrev_i32_e32 v111, 31, v110
	v_lshlrev_b64 v[118:119], 2, v[110:111]
	v_add_co_u32_e32 v118, vcc, v4, v118
	v_addc_co_u32_e32 v119, vcc, v5, v119, vcc
	flat_load_dword v111, v[118:119]
	flat_load_dword v113, v[4:5] offset:116
	s_waitcnt vmcnt(0) lgkmcnt(0)
	flat_store_dword v[4:5], v111 offset:116
	flat_store_dword v[118:119], v113
.LBB102_499:
	s_or_b64 exec, exec, s[14:15]
	v_mov_b32_e32 v111, v110
	v_mov_b32_e32 v113, v110
.LBB102_500:
	s_or_b64 exec, exec, s[2:3]
.LBB102_501:
	s_andn2_saveexec_b64 s[0:1], s[0:1]
	s_cbranch_execz .LBB102_503
; %bb.502:
	v_mov_b32_e32 v118, v44
	v_mov_b32_e32 v119, v45
	v_mov_b32_e32 v120, v42
	v_mov_b32_e32 v121, v43
	ds_write2_b64 v112, v[118:119], v[120:121] offset0:30 offset1:31
	v_mov_b32_e32 v118, v40
	v_mov_b32_e32 v119, v41
	v_mov_b32_e32 v120, v38
	v_mov_b32_e32 v121, v39
	ds_write2_b64 v112, v[118:119], v[120:121] offset0:32 offset1:33
	;; [unrolled: 5-line block ×10, first 2 shown]
	v_mov_b32_e32 v118, v0
	v_mov_b32_e32 v119, v1
	;; [unrolled: 1-line block ×3, first 2 shown]
	ds_write2_b64 v112, v[118:119], v[106:107] offset0:50 offset1:51
.LBB102_503:
	s_or_b64 exec, exec, s[0:1]
	v_cmp_lt_i32_e32 vcc, 29, v113
	s_waitcnt lgkmcnt(0)
	s_barrier
	s_and_saveexec_b64 s[0:1], vcc
	s_cbranch_execz .LBB102_505
; %bb.504:
	ds_read2_b64 v[118:121], v112 offset0:30 offset1:31
	ds_read2_b64 v[122:125], v112 offset0:32 offset1:33
	v_mul_f64 v[46:47], v[108:109], v[46:47]
	ds_read2_b64 v[126:129], v112 offset0:34 offset1:35
	s_waitcnt lgkmcnt(0)
	v_fma_f64 v[44:45], -v[46:47], v[118:119], v[44:45]
	v_fma_f64 v[42:43], -v[46:47], v[120:121], v[42:43]
	ds_read2_b64 v[118:121], v112 offset0:36 offset1:37
	v_fma_f64 v[40:41], -v[46:47], v[122:123], v[40:41]
	v_fma_f64 v[38:39], -v[46:47], v[124:125], v[38:39]
	ds_read2_b64 v[122:125], v112 offset0:38 offset1:39
	;; [unrolled: 3-line block ×3, first 2 shown]
	s_waitcnt lgkmcnt(0)
	v_fma_f64 v[32:33], -v[46:47], v[118:119], v[32:33]
	v_fma_f64 v[30:31], -v[46:47], v[120:121], v[30:31]
	;; [unrolled: 1-line block ×3, first 2 shown]
	ds_read2_b64 v[118:121], v112 offset0:42 offset1:43
	v_fma_f64 v[26:27], -v[46:47], v[124:125], v[26:27]
	ds_read2_b64 v[122:125], v112 offset0:44 offset1:45
	v_fma_f64 v[24:25], -v[46:47], v[126:127], v[24:25]
	v_fma_f64 v[22:23], -v[46:47], v[128:129], v[22:23]
	s_waitcnt lgkmcnt(0)
	v_fma_f64 v[20:21], -v[46:47], v[118:119], v[20:21]
	v_fma_f64 v[18:19], -v[46:47], v[120:121], v[18:19]
	ds_read2_b64 v[118:121], v112 offset0:46 offset1:47
	ds_read2_b64 v[126:129], v112 offset0:48 offset1:49
	v_fma_f64 v[16:17], -v[46:47], v[122:123], v[16:17]
	v_fma_f64 v[14:15], -v[46:47], v[124:125], v[14:15]
	ds_read2_b64 v[122:125], v112 offset0:50 offset1:51
	s_waitcnt lgkmcnt(0)
	v_fma_f64 v[12:13], -v[46:47], v[118:119], v[12:13]
	v_fma_f64 v[10:11], -v[46:47], v[120:121], v[10:11]
	v_fma_f64 v[8:9], -v[46:47], v[126:127], v[8:9]
	v_fma_f64 v[6:7], -v[46:47], v[128:129], v[6:7]
	v_fma_f64 v[0:1], -v[46:47], v[122:123], v[0:1]
	v_fma_f64 v[106:107], -v[46:47], v[124:125], v[106:107]
.LBB102_505:
	s_or_b64 exec, exec, s[0:1]
	v_lshl_add_u32 v108, v113, 3, v112
	s_barrier
	ds_write_b64 v108, v[44:45]
	s_waitcnt lgkmcnt(0)
	s_barrier
	ds_read_b64 v[108:109], v112 offset:240
	s_cmp_lt_i32 s18, 32
	v_mov_b32_e32 v110, 30
	s_cbranch_scc1 .LBB102_508
; %bb.506:
	v_add_u32_e32 v117, 0xf8, v112
	s_mov_b32 s0, 31
	v_mov_b32_e32 v110, 30
.LBB102_507:                            ; =>This Inner Loop Header: Depth=1
	ds_read_b64 v[118:119], v117
	v_mov_b32_e32 v120, s0
	s_add_i32 s0, s0, 1
	v_add_u32_e32 v117, 8, v117
	s_cmp_lg_u32 s18, s0
	s_waitcnt lgkmcnt(0)
	v_cmp_lt_f64_e64 vcc, |v[108:109]|, |v[118:119]|
	v_cndmask_b32_e32 v109, v109, v119, vcc
	v_cndmask_b32_e32 v108, v108, v118, vcc
	;; [unrolled: 1-line block ×3, first 2 shown]
	s_cbranch_scc1 .LBB102_507
.LBB102_508:
	s_waitcnt lgkmcnt(0)
	v_cmp_eq_f64_e32 vcc, 0, v[108:109]
	s_and_saveexec_b64 s[0:1], vcc
	s_xor_b64 s[0:1], exec, s[0:1]
; %bb.509:
	v_cmp_ne_u32_e32 vcc, 0, v116
	v_cndmask_b32_e32 v116, 31, v116, vcc
; %bb.510:
	s_andn2_saveexec_b64 s[0:1], s[0:1]
; %bb.511:
	v_div_scale_f64 v[118:119], s[2:3], v[108:109], v[108:109], 1.0
	v_rcp_f64_e32 v[120:121], v[118:119]
	v_div_scale_f64 v[122:123], vcc, 1.0, v[108:109], 1.0
	v_fma_f64 v[124:125], -v[118:119], v[120:121], 1.0
	v_fmac_f64_e32 v[120:121], v[120:121], v[124:125]
	v_fma_f64 v[124:125], -v[118:119], v[120:121], 1.0
	v_fmac_f64_e32 v[120:121], v[120:121], v[124:125]
	v_mul_f64 v[124:125], v[122:123], v[120:121]
	v_fma_f64 v[118:119], -v[118:119], v[124:125], v[122:123]
	v_div_fmas_f64 v[118:119], v[118:119], v[120:121], v[124:125]
	v_div_fixup_f64 v[108:109], v[118:119], v[108:109], 1.0
; %bb.512:
	s_or_b64 exec, exec, s[0:1]
	v_cmp_ne_u32_e32 vcc, v113, v110
	s_and_saveexec_b64 s[0:1], vcc
	s_xor_b64 s[0:1], exec, s[0:1]
	s_cbranch_execz .LBB102_518
; %bb.513:
	v_cmp_eq_u32_e32 vcc, 30, v113
	s_and_saveexec_b64 s[2:3], vcc
	s_cbranch_execz .LBB102_517
; %bb.514:
	v_cmp_ne_u32_e32 vcc, 30, v110
	s_xor_b64 s[14:15], s[6:7], -1
	s_and_b64 s[16:17], s[14:15], vcc
	s_and_saveexec_b64 s[14:15], s[16:17]
	s_cbranch_execz .LBB102_516
; %bb.515:
	v_ashrrev_i32_e32 v111, 31, v110
	v_lshlrev_b64 v[118:119], 2, v[110:111]
	v_add_co_u32_e32 v118, vcc, v4, v118
	v_addc_co_u32_e32 v119, vcc, v5, v119, vcc
	flat_load_dword v111, v[118:119]
	flat_load_dword v113, v[4:5] offset:120
	s_waitcnt vmcnt(0) lgkmcnt(0)
	flat_store_dword v[4:5], v111 offset:120
	flat_store_dword v[118:119], v113
.LBB102_516:
	s_or_b64 exec, exec, s[14:15]
	v_mov_b32_e32 v111, v110
	v_mov_b32_e32 v113, v110
.LBB102_517:
	s_or_b64 exec, exec, s[2:3]
.LBB102_518:
	s_andn2_saveexec_b64 s[0:1], s[0:1]
	s_cbranch_execz .LBB102_520
; %bb.519:
	v_mov_b32_e32 v113, 30
	ds_write2_b64 v112, v[42:43], v[40:41] offset0:31 offset1:32
	ds_write2_b64 v112, v[38:39], v[36:37] offset0:33 offset1:34
	;; [unrolled: 1-line block ×10, first 2 shown]
	ds_write_b64 v112, v[106:107] offset:408
.LBB102_520:
	s_or_b64 exec, exec, s[0:1]
	v_cmp_lt_i32_e32 vcc, 30, v113
	s_waitcnt lgkmcnt(0)
	s_barrier
	s_and_saveexec_b64 s[0:1], vcc
	s_cbranch_execz .LBB102_522
; %bb.521:
	ds_read2_b64 v[118:121], v112 offset0:31 offset1:32
	ds_read2_b64 v[122:125], v112 offset0:33 offset1:34
	v_mul_f64 v[44:45], v[108:109], v[44:45]
	ds_read2_b64 v[126:129], v112 offset0:35 offset1:36
	ds_read_b64 v[108:109], v112 offset:408
	s_waitcnt lgkmcnt(0)
	v_fma_f64 v[42:43], -v[44:45], v[118:119], v[42:43]
	v_fma_f64 v[40:41], -v[44:45], v[120:121], v[40:41]
	ds_read2_b64 v[118:121], v112 offset0:37 offset1:38
	v_fma_f64 v[38:39], -v[44:45], v[122:123], v[38:39]
	v_fma_f64 v[36:37], -v[44:45], v[124:125], v[36:37]
	;; [unrolled: 1-line block ×3, first 2 shown]
	ds_read2_b64 v[122:125], v112 offset0:39 offset1:40
	v_fma_f64 v[32:33], -v[44:45], v[128:129], v[32:33]
	ds_read2_b64 v[126:129], v112 offset0:41 offset1:42
	s_waitcnt lgkmcnt(0)
	v_fma_f64 v[30:31], -v[44:45], v[118:119], v[30:31]
	v_fma_f64 v[28:29], -v[44:45], v[120:121], v[28:29]
	ds_read2_b64 v[118:121], v112 offset0:43 offset1:44
	v_fma_f64 v[26:27], -v[44:45], v[122:123], v[26:27]
	v_fma_f64 v[24:25], -v[44:45], v[124:125], v[24:25]
	ds_read2_b64 v[122:125], v112 offset0:45 offset1:46
	v_fma_f64 v[22:23], -v[44:45], v[126:127], v[22:23]
	v_fma_f64 v[20:21], -v[44:45], v[128:129], v[20:21]
	s_waitcnt lgkmcnt(0)
	v_fma_f64 v[18:19], -v[44:45], v[118:119], v[18:19]
	v_fma_f64 v[16:17], -v[44:45], v[120:121], v[16:17]
	ds_read2_b64 v[118:121], v112 offset0:47 offset1:48
	ds_read2_b64 v[126:129], v112 offset0:49 offset1:50
	v_fma_f64 v[14:15], -v[44:45], v[122:123], v[14:15]
	v_fma_f64 v[12:13], -v[44:45], v[124:125], v[12:13]
	v_fma_f64 v[106:107], -v[44:45], v[108:109], v[106:107]
	s_waitcnt lgkmcnt(0)
	v_fma_f64 v[10:11], -v[44:45], v[118:119], v[10:11]
	v_fma_f64 v[8:9], -v[44:45], v[120:121], v[8:9]
	;; [unrolled: 1-line block ×4, first 2 shown]
.LBB102_522:
	s_or_b64 exec, exec, s[0:1]
	v_lshl_add_u32 v108, v113, 3, v112
	s_barrier
	ds_write_b64 v108, v[42:43]
	s_waitcnt lgkmcnt(0)
	s_barrier
	ds_read_b64 v[108:109], v112 offset:248
	s_cmp_lt_i32 s18, 33
	v_mov_b32_e32 v110, 31
	s_cbranch_scc1 .LBB102_525
; %bb.523:
	v_add_u32_e32 v117, 0x100, v112
	s_mov_b32 s0, 32
	v_mov_b32_e32 v110, 31
.LBB102_524:                            ; =>This Inner Loop Header: Depth=1
	ds_read_b64 v[118:119], v117
	v_mov_b32_e32 v120, s0
	s_add_i32 s0, s0, 1
	v_add_u32_e32 v117, 8, v117
	s_cmp_lg_u32 s18, s0
	s_waitcnt lgkmcnt(0)
	v_cmp_lt_f64_e64 vcc, |v[108:109]|, |v[118:119]|
	v_cndmask_b32_e32 v109, v109, v119, vcc
	v_cndmask_b32_e32 v108, v108, v118, vcc
	;; [unrolled: 1-line block ×3, first 2 shown]
	s_cbranch_scc1 .LBB102_524
.LBB102_525:
	s_waitcnt lgkmcnt(0)
	v_cmp_eq_f64_e32 vcc, 0, v[108:109]
	s_and_saveexec_b64 s[0:1], vcc
	s_xor_b64 s[0:1], exec, s[0:1]
; %bb.526:
	v_cmp_ne_u32_e32 vcc, 0, v116
	v_cndmask_b32_e32 v116, 32, v116, vcc
; %bb.527:
	s_andn2_saveexec_b64 s[0:1], s[0:1]
; %bb.528:
	v_div_scale_f64 v[118:119], s[2:3], v[108:109], v[108:109], 1.0
	v_rcp_f64_e32 v[120:121], v[118:119]
	v_div_scale_f64 v[122:123], vcc, 1.0, v[108:109], 1.0
	v_fma_f64 v[124:125], -v[118:119], v[120:121], 1.0
	v_fmac_f64_e32 v[120:121], v[120:121], v[124:125]
	v_fma_f64 v[124:125], -v[118:119], v[120:121], 1.0
	v_fmac_f64_e32 v[120:121], v[120:121], v[124:125]
	v_mul_f64 v[124:125], v[122:123], v[120:121]
	v_fma_f64 v[118:119], -v[118:119], v[124:125], v[122:123]
	v_div_fmas_f64 v[118:119], v[118:119], v[120:121], v[124:125]
	v_div_fixup_f64 v[108:109], v[118:119], v[108:109], 1.0
; %bb.529:
	s_or_b64 exec, exec, s[0:1]
	v_cmp_ne_u32_e32 vcc, v113, v110
	s_and_saveexec_b64 s[0:1], vcc
	s_xor_b64 s[0:1], exec, s[0:1]
	s_cbranch_execz .LBB102_535
; %bb.530:
	v_cmp_eq_u32_e32 vcc, 31, v113
	s_and_saveexec_b64 s[2:3], vcc
	s_cbranch_execz .LBB102_534
; %bb.531:
	v_cmp_ne_u32_e32 vcc, 31, v110
	s_xor_b64 s[14:15], s[6:7], -1
	s_and_b64 s[16:17], s[14:15], vcc
	s_and_saveexec_b64 s[14:15], s[16:17]
	s_cbranch_execz .LBB102_533
; %bb.532:
	v_ashrrev_i32_e32 v111, 31, v110
	v_lshlrev_b64 v[118:119], 2, v[110:111]
	v_add_co_u32_e32 v118, vcc, v4, v118
	v_addc_co_u32_e32 v119, vcc, v5, v119, vcc
	flat_load_dword v111, v[118:119]
	flat_load_dword v113, v[4:5] offset:124
	s_waitcnt vmcnt(0) lgkmcnt(0)
	flat_store_dword v[4:5], v111 offset:124
	flat_store_dword v[118:119], v113
.LBB102_533:
	s_or_b64 exec, exec, s[14:15]
	v_mov_b32_e32 v111, v110
	v_mov_b32_e32 v113, v110
.LBB102_534:
	s_or_b64 exec, exec, s[2:3]
.LBB102_535:
	s_andn2_saveexec_b64 s[0:1], s[0:1]
	s_cbranch_execz .LBB102_537
; %bb.536:
	v_mov_b32_e32 v118, v40
	v_mov_b32_e32 v119, v41
	v_mov_b32_e32 v120, v38
	v_mov_b32_e32 v121, v39
	ds_write2_b64 v112, v[118:119], v[120:121] offset0:32 offset1:33
	v_mov_b32_e32 v118, v36
	v_mov_b32_e32 v119, v37
	v_mov_b32_e32 v120, v34
	v_mov_b32_e32 v121, v35
	ds_write2_b64 v112, v[118:119], v[120:121] offset0:34 offset1:35
	;; [unrolled: 5-line block ×9, first 2 shown]
	v_mov_b32_e32 v118, v0
	v_mov_b32_e32 v119, v1
	;; [unrolled: 1-line block ×3, first 2 shown]
	ds_write2_b64 v112, v[118:119], v[106:107] offset0:50 offset1:51
.LBB102_537:
	s_or_b64 exec, exec, s[0:1]
	v_cmp_lt_i32_e32 vcc, 31, v113
	s_waitcnt lgkmcnt(0)
	s_barrier
	s_and_saveexec_b64 s[0:1], vcc
	s_cbranch_execz .LBB102_539
; %bb.538:
	ds_read2_b64 v[118:121], v112 offset0:32 offset1:33
	ds_read2_b64 v[122:125], v112 offset0:34 offset1:35
	v_mul_f64 v[42:43], v[108:109], v[42:43]
	ds_read2_b64 v[126:129], v112 offset0:36 offset1:37
	s_waitcnt lgkmcnt(0)
	v_fma_f64 v[40:41], -v[42:43], v[118:119], v[40:41]
	v_fma_f64 v[38:39], -v[42:43], v[120:121], v[38:39]
	ds_read2_b64 v[118:121], v112 offset0:38 offset1:39
	v_fma_f64 v[36:37], -v[42:43], v[122:123], v[36:37]
	v_fma_f64 v[34:35], -v[42:43], v[124:125], v[34:35]
	;; [unrolled: 1-line block ×3, first 2 shown]
	ds_read2_b64 v[122:125], v112 offset0:40 offset1:41
	v_fma_f64 v[30:31], -v[42:43], v[128:129], v[30:31]
	ds_read2_b64 v[126:129], v112 offset0:42 offset1:43
	s_waitcnt lgkmcnt(0)
	v_fma_f64 v[28:29], -v[42:43], v[118:119], v[28:29]
	v_fma_f64 v[26:27], -v[42:43], v[120:121], v[26:27]
	ds_read2_b64 v[118:121], v112 offset0:44 offset1:45
	v_fma_f64 v[24:25], -v[42:43], v[122:123], v[24:25]
	v_fma_f64 v[22:23], -v[42:43], v[124:125], v[22:23]
	ds_read2_b64 v[122:125], v112 offset0:46 offset1:47
	v_fma_f64 v[20:21], -v[42:43], v[126:127], v[20:21]
	v_fma_f64 v[18:19], -v[42:43], v[128:129], v[18:19]
	s_waitcnt lgkmcnt(0)
	v_fma_f64 v[16:17], -v[42:43], v[118:119], v[16:17]
	ds_read2_b64 v[126:129], v112 offset0:48 offset1:49
	v_fma_f64 v[14:15], -v[42:43], v[120:121], v[14:15]
	ds_read2_b64 v[118:121], v112 offset0:50 offset1:51
	v_fma_f64 v[12:13], -v[42:43], v[122:123], v[12:13]
	v_fma_f64 v[10:11], -v[42:43], v[124:125], v[10:11]
	s_waitcnt lgkmcnt(0)
	v_fma_f64 v[8:9], -v[42:43], v[126:127], v[8:9]
	v_fma_f64 v[6:7], -v[42:43], v[128:129], v[6:7]
	v_fma_f64 v[0:1], -v[42:43], v[118:119], v[0:1]
	v_fma_f64 v[106:107], -v[42:43], v[120:121], v[106:107]
.LBB102_539:
	s_or_b64 exec, exec, s[0:1]
	v_lshl_add_u32 v108, v113, 3, v112
	s_barrier
	ds_write_b64 v108, v[40:41]
	s_waitcnt lgkmcnt(0)
	s_barrier
	ds_read_b64 v[108:109], v112 offset:256
	s_cmp_lt_i32 s18, 34
	v_mov_b32_e32 v110, 32
	s_cbranch_scc1 .LBB102_542
; %bb.540:
	v_add_u32_e32 v117, 0x108, v112
	s_mov_b32 s0, 33
	v_mov_b32_e32 v110, 32
.LBB102_541:                            ; =>This Inner Loop Header: Depth=1
	ds_read_b64 v[118:119], v117
	v_mov_b32_e32 v120, s0
	s_add_i32 s0, s0, 1
	v_add_u32_e32 v117, 8, v117
	s_cmp_lg_u32 s18, s0
	s_waitcnt lgkmcnt(0)
	v_cmp_lt_f64_e64 vcc, |v[108:109]|, |v[118:119]|
	v_cndmask_b32_e32 v109, v109, v119, vcc
	v_cndmask_b32_e32 v108, v108, v118, vcc
	;; [unrolled: 1-line block ×3, first 2 shown]
	s_cbranch_scc1 .LBB102_541
.LBB102_542:
	s_waitcnt lgkmcnt(0)
	v_cmp_eq_f64_e32 vcc, 0, v[108:109]
	s_and_saveexec_b64 s[0:1], vcc
	s_xor_b64 s[0:1], exec, s[0:1]
; %bb.543:
	v_cmp_ne_u32_e32 vcc, 0, v116
	v_cndmask_b32_e32 v116, 33, v116, vcc
; %bb.544:
	s_andn2_saveexec_b64 s[0:1], s[0:1]
; %bb.545:
	v_div_scale_f64 v[118:119], s[2:3], v[108:109], v[108:109], 1.0
	v_rcp_f64_e32 v[120:121], v[118:119]
	v_div_scale_f64 v[122:123], vcc, 1.0, v[108:109], 1.0
	v_fma_f64 v[124:125], -v[118:119], v[120:121], 1.0
	v_fmac_f64_e32 v[120:121], v[120:121], v[124:125]
	v_fma_f64 v[124:125], -v[118:119], v[120:121], 1.0
	v_fmac_f64_e32 v[120:121], v[120:121], v[124:125]
	v_mul_f64 v[124:125], v[122:123], v[120:121]
	v_fma_f64 v[118:119], -v[118:119], v[124:125], v[122:123]
	v_div_fmas_f64 v[118:119], v[118:119], v[120:121], v[124:125]
	v_div_fixup_f64 v[108:109], v[118:119], v[108:109], 1.0
; %bb.546:
	s_or_b64 exec, exec, s[0:1]
	v_cmp_ne_u32_e32 vcc, v113, v110
	s_and_saveexec_b64 s[0:1], vcc
	s_xor_b64 s[0:1], exec, s[0:1]
	s_cbranch_execz .LBB102_552
; %bb.547:
	v_cmp_eq_u32_e32 vcc, 32, v113
	s_and_saveexec_b64 s[2:3], vcc
	s_cbranch_execz .LBB102_551
; %bb.548:
	v_cmp_ne_u32_e32 vcc, 32, v110
	s_xor_b64 s[14:15], s[6:7], -1
	s_and_b64 s[16:17], s[14:15], vcc
	s_and_saveexec_b64 s[14:15], s[16:17]
	s_cbranch_execz .LBB102_550
; %bb.549:
	v_ashrrev_i32_e32 v111, 31, v110
	v_lshlrev_b64 v[118:119], 2, v[110:111]
	v_add_co_u32_e32 v118, vcc, v4, v118
	v_addc_co_u32_e32 v119, vcc, v5, v119, vcc
	flat_load_dword v111, v[118:119]
	flat_load_dword v113, v[4:5] offset:128
	s_waitcnt vmcnt(0) lgkmcnt(0)
	flat_store_dword v[4:5], v111 offset:128
	flat_store_dword v[118:119], v113
.LBB102_550:
	s_or_b64 exec, exec, s[14:15]
	v_mov_b32_e32 v111, v110
	v_mov_b32_e32 v113, v110
.LBB102_551:
	s_or_b64 exec, exec, s[2:3]
.LBB102_552:
	s_andn2_saveexec_b64 s[0:1], s[0:1]
	s_cbranch_execz .LBB102_554
; %bb.553:
	v_mov_b32_e32 v113, 32
	ds_write2_b64 v112, v[38:39], v[36:37] offset0:33 offset1:34
	ds_write2_b64 v112, v[34:35], v[32:33] offset0:35 offset1:36
	;; [unrolled: 1-line block ×9, first 2 shown]
	ds_write_b64 v112, v[106:107] offset:408
.LBB102_554:
	s_or_b64 exec, exec, s[0:1]
	v_cmp_lt_i32_e32 vcc, 32, v113
	s_waitcnt lgkmcnt(0)
	s_barrier
	s_and_saveexec_b64 s[0:1], vcc
	s_cbranch_execz .LBB102_556
; %bb.555:
	ds_read2_b64 v[118:121], v112 offset0:33 offset1:34
	ds_read2_b64 v[122:125], v112 offset0:35 offset1:36
	;; [unrolled: 1-line block ×3, first 2 shown]
	v_mul_f64 v[40:41], v[108:109], v[40:41]
	ds_read_b64 v[108:109], v112 offset:408
	s_waitcnt lgkmcnt(0)
	v_fma_f64 v[38:39], -v[40:41], v[118:119], v[38:39]
	v_fma_f64 v[36:37], -v[40:41], v[120:121], v[36:37]
	ds_read2_b64 v[118:121], v112 offset0:39 offset1:40
	v_fma_f64 v[34:35], -v[40:41], v[122:123], v[34:35]
	v_fma_f64 v[32:33], -v[40:41], v[124:125], v[32:33]
	;; [unrolled: 1-line block ×3, first 2 shown]
	ds_read2_b64 v[122:125], v112 offset0:41 offset1:42
	v_fma_f64 v[28:29], -v[40:41], v[128:129], v[28:29]
	ds_read2_b64 v[126:129], v112 offset0:43 offset1:44
	s_waitcnt lgkmcnt(0)
	v_fma_f64 v[26:27], -v[40:41], v[118:119], v[26:27]
	v_fma_f64 v[24:25], -v[40:41], v[120:121], v[24:25]
	;; [unrolled: 1-line block ×3, first 2 shown]
	ds_read2_b64 v[118:121], v112 offset0:45 offset1:46
	v_fma_f64 v[20:21], -v[40:41], v[124:125], v[20:21]
	ds_read2_b64 v[122:125], v112 offset0:47 offset1:48
	v_fma_f64 v[18:19], -v[40:41], v[126:127], v[18:19]
	v_fma_f64 v[16:17], -v[40:41], v[128:129], v[16:17]
	ds_read2_b64 v[126:129], v112 offset0:49 offset1:50
	s_waitcnt lgkmcnt(0)
	v_fma_f64 v[14:15], -v[40:41], v[118:119], v[14:15]
	v_fma_f64 v[12:13], -v[40:41], v[120:121], v[12:13]
	v_fma_f64 v[10:11], -v[40:41], v[122:123], v[10:11]
	v_fma_f64 v[8:9], -v[40:41], v[124:125], v[8:9]
	v_fma_f64 v[6:7], -v[40:41], v[126:127], v[6:7]
	v_fma_f64 v[0:1], -v[40:41], v[128:129], v[0:1]
	v_fma_f64 v[106:107], -v[40:41], v[108:109], v[106:107]
.LBB102_556:
	s_or_b64 exec, exec, s[0:1]
	v_lshl_add_u32 v108, v113, 3, v112
	s_barrier
	ds_write_b64 v108, v[38:39]
	s_waitcnt lgkmcnt(0)
	s_barrier
	ds_read_b64 v[108:109], v112 offset:264
	s_cmp_lt_i32 s18, 35
	v_mov_b32_e32 v110, 33
	s_cbranch_scc1 .LBB102_559
; %bb.557:
	v_add_u32_e32 v117, 0x110, v112
	s_mov_b32 s0, 34
	v_mov_b32_e32 v110, 33
.LBB102_558:                            ; =>This Inner Loop Header: Depth=1
	ds_read_b64 v[118:119], v117
	v_mov_b32_e32 v120, s0
	s_add_i32 s0, s0, 1
	v_add_u32_e32 v117, 8, v117
	s_cmp_lg_u32 s18, s0
	s_waitcnt lgkmcnt(0)
	v_cmp_lt_f64_e64 vcc, |v[108:109]|, |v[118:119]|
	v_cndmask_b32_e32 v109, v109, v119, vcc
	v_cndmask_b32_e32 v108, v108, v118, vcc
	;; [unrolled: 1-line block ×3, first 2 shown]
	s_cbranch_scc1 .LBB102_558
.LBB102_559:
	s_waitcnt lgkmcnt(0)
	v_cmp_eq_f64_e32 vcc, 0, v[108:109]
	s_and_saveexec_b64 s[0:1], vcc
	s_xor_b64 s[0:1], exec, s[0:1]
; %bb.560:
	v_cmp_ne_u32_e32 vcc, 0, v116
	v_cndmask_b32_e32 v116, 34, v116, vcc
; %bb.561:
	s_andn2_saveexec_b64 s[0:1], s[0:1]
; %bb.562:
	v_div_scale_f64 v[118:119], s[2:3], v[108:109], v[108:109], 1.0
	v_rcp_f64_e32 v[120:121], v[118:119]
	v_div_scale_f64 v[122:123], vcc, 1.0, v[108:109], 1.0
	v_fma_f64 v[124:125], -v[118:119], v[120:121], 1.0
	v_fmac_f64_e32 v[120:121], v[120:121], v[124:125]
	v_fma_f64 v[124:125], -v[118:119], v[120:121], 1.0
	v_fmac_f64_e32 v[120:121], v[120:121], v[124:125]
	v_mul_f64 v[124:125], v[122:123], v[120:121]
	v_fma_f64 v[118:119], -v[118:119], v[124:125], v[122:123]
	v_div_fmas_f64 v[118:119], v[118:119], v[120:121], v[124:125]
	v_div_fixup_f64 v[108:109], v[118:119], v[108:109], 1.0
; %bb.563:
	s_or_b64 exec, exec, s[0:1]
	v_cmp_ne_u32_e32 vcc, v113, v110
	s_and_saveexec_b64 s[0:1], vcc
	s_xor_b64 s[0:1], exec, s[0:1]
	s_cbranch_execz .LBB102_569
; %bb.564:
	v_cmp_eq_u32_e32 vcc, 33, v113
	s_and_saveexec_b64 s[2:3], vcc
	s_cbranch_execz .LBB102_568
; %bb.565:
	v_cmp_ne_u32_e32 vcc, 33, v110
	s_xor_b64 s[14:15], s[6:7], -1
	s_and_b64 s[16:17], s[14:15], vcc
	s_and_saveexec_b64 s[14:15], s[16:17]
	s_cbranch_execz .LBB102_567
; %bb.566:
	v_ashrrev_i32_e32 v111, 31, v110
	v_lshlrev_b64 v[118:119], 2, v[110:111]
	v_add_co_u32_e32 v118, vcc, v4, v118
	v_addc_co_u32_e32 v119, vcc, v5, v119, vcc
	flat_load_dword v111, v[118:119]
	flat_load_dword v113, v[4:5] offset:132
	s_waitcnt vmcnt(0) lgkmcnt(0)
	flat_store_dword v[4:5], v111 offset:132
	flat_store_dword v[118:119], v113
.LBB102_567:
	s_or_b64 exec, exec, s[14:15]
	v_mov_b32_e32 v111, v110
	v_mov_b32_e32 v113, v110
.LBB102_568:
	s_or_b64 exec, exec, s[2:3]
.LBB102_569:
	s_andn2_saveexec_b64 s[0:1], s[0:1]
	s_cbranch_execz .LBB102_571
; %bb.570:
	v_mov_b32_e32 v118, v36
	v_mov_b32_e32 v119, v37
	v_mov_b32_e32 v120, v34
	v_mov_b32_e32 v121, v35
	ds_write2_b64 v112, v[118:119], v[120:121] offset0:34 offset1:35
	v_mov_b32_e32 v118, v32
	v_mov_b32_e32 v119, v33
	v_mov_b32_e32 v120, v30
	v_mov_b32_e32 v121, v31
	ds_write2_b64 v112, v[118:119], v[120:121] offset0:36 offset1:37
	;; [unrolled: 5-line block ×8, first 2 shown]
	v_mov_b32_e32 v118, v0
	v_mov_b32_e32 v119, v1
	;; [unrolled: 1-line block ×3, first 2 shown]
	ds_write2_b64 v112, v[118:119], v[106:107] offset0:50 offset1:51
.LBB102_571:
	s_or_b64 exec, exec, s[0:1]
	v_cmp_lt_i32_e32 vcc, 33, v113
	s_waitcnt lgkmcnt(0)
	s_barrier
	s_and_saveexec_b64 s[0:1], vcc
	s_cbranch_execz .LBB102_573
; %bb.572:
	ds_read2_b64 v[118:121], v112 offset0:34 offset1:35
	ds_read2_b64 v[122:125], v112 offset0:36 offset1:37
	;; [unrolled: 1-line block ×3, first 2 shown]
	v_mul_f64 v[38:39], v[108:109], v[38:39]
	s_waitcnt lgkmcnt(0)
	v_fma_f64 v[36:37], -v[38:39], v[118:119], v[36:37]
	v_fma_f64 v[34:35], -v[38:39], v[120:121], v[34:35]
	ds_read2_b64 v[118:121], v112 offset0:40 offset1:41
	v_fma_f64 v[32:33], -v[38:39], v[122:123], v[32:33]
	v_fma_f64 v[30:31], -v[38:39], v[124:125], v[30:31]
	;; [unrolled: 1-line block ×3, first 2 shown]
	ds_read2_b64 v[122:125], v112 offset0:42 offset1:43
	v_fma_f64 v[26:27], -v[38:39], v[128:129], v[26:27]
	ds_read2_b64 v[126:129], v112 offset0:44 offset1:45
	s_waitcnt lgkmcnt(0)
	v_fma_f64 v[24:25], -v[38:39], v[118:119], v[24:25]
	v_fma_f64 v[22:23], -v[38:39], v[120:121], v[22:23]
	;; [unrolled: 1-line block ×4, first 2 shown]
	ds_read2_b64 v[118:121], v112 offset0:46 offset1:47
	ds_read2_b64 v[122:125], v112 offset0:48 offset1:49
	v_fma_f64 v[16:17], -v[38:39], v[126:127], v[16:17]
	v_fma_f64 v[14:15], -v[38:39], v[128:129], v[14:15]
	ds_read2_b64 v[126:129], v112 offset0:50 offset1:51
	s_waitcnt lgkmcnt(0)
	v_fma_f64 v[12:13], -v[38:39], v[118:119], v[12:13]
	v_fma_f64 v[10:11], -v[38:39], v[120:121], v[10:11]
	;; [unrolled: 1-line block ×6, first 2 shown]
.LBB102_573:
	s_or_b64 exec, exec, s[0:1]
	v_lshl_add_u32 v108, v113, 3, v112
	s_barrier
	ds_write_b64 v108, v[36:37]
	s_waitcnt lgkmcnt(0)
	s_barrier
	ds_read_b64 v[108:109], v112 offset:272
	s_cmp_lt_i32 s18, 36
	v_mov_b32_e32 v110, 34
	s_cbranch_scc1 .LBB102_576
; %bb.574:
	v_add_u32_e32 v117, 0x118, v112
	s_mov_b32 s0, 35
	v_mov_b32_e32 v110, 34
.LBB102_575:                            ; =>This Inner Loop Header: Depth=1
	ds_read_b64 v[118:119], v117
	v_mov_b32_e32 v120, s0
	s_add_i32 s0, s0, 1
	v_add_u32_e32 v117, 8, v117
	s_cmp_lg_u32 s18, s0
	s_waitcnt lgkmcnt(0)
	v_cmp_lt_f64_e64 vcc, |v[108:109]|, |v[118:119]|
	v_cndmask_b32_e32 v109, v109, v119, vcc
	v_cndmask_b32_e32 v108, v108, v118, vcc
	;; [unrolled: 1-line block ×3, first 2 shown]
	s_cbranch_scc1 .LBB102_575
.LBB102_576:
	s_waitcnt lgkmcnt(0)
	v_cmp_eq_f64_e32 vcc, 0, v[108:109]
	s_and_saveexec_b64 s[0:1], vcc
	s_xor_b64 s[0:1], exec, s[0:1]
; %bb.577:
	v_cmp_ne_u32_e32 vcc, 0, v116
	v_cndmask_b32_e32 v116, 35, v116, vcc
; %bb.578:
	s_andn2_saveexec_b64 s[0:1], s[0:1]
; %bb.579:
	v_div_scale_f64 v[118:119], s[2:3], v[108:109], v[108:109], 1.0
	v_rcp_f64_e32 v[120:121], v[118:119]
	v_div_scale_f64 v[122:123], vcc, 1.0, v[108:109], 1.0
	v_fma_f64 v[124:125], -v[118:119], v[120:121], 1.0
	v_fmac_f64_e32 v[120:121], v[120:121], v[124:125]
	v_fma_f64 v[124:125], -v[118:119], v[120:121], 1.0
	v_fmac_f64_e32 v[120:121], v[120:121], v[124:125]
	v_mul_f64 v[124:125], v[122:123], v[120:121]
	v_fma_f64 v[118:119], -v[118:119], v[124:125], v[122:123]
	v_div_fmas_f64 v[118:119], v[118:119], v[120:121], v[124:125]
	v_div_fixup_f64 v[108:109], v[118:119], v[108:109], 1.0
; %bb.580:
	s_or_b64 exec, exec, s[0:1]
	v_cmp_ne_u32_e32 vcc, v113, v110
	s_and_saveexec_b64 s[0:1], vcc
	s_xor_b64 s[0:1], exec, s[0:1]
	s_cbranch_execz .LBB102_586
; %bb.581:
	v_cmp_eq_u32_e32 vcc, 34, v113
	s_and_saveexec_b64 s[2:3], vcc
	s_cbranch_execz .LBB102_585
; %bb.582:
	v_cmp_ne_u32_e32 vcc, 34, v110
	s_xor_b64 s[14:15], s[6:7], -1
	s_and_b64 s[16:17], s[14:15], vcc
	s_and_saveexec_b64 s[14:15], s[16:17]
	s_cbranch_execz .LBB102_584
; %bb.583:
	v_ashrrev_i32_e32 v111, 31, v110
	v_lshlrev_b64 v[118:119], 2, v[110:111]
	v_add_co_u32_e32 v118, vcc, v4, v118
	v_addc_co_u32_e32 v119, vcc, v5, v119, vcc
	flat_load_dword v111, v[118:119]
	flat_load_dword v113, v[4:5] offset:136
	s_waitcnt vmcnt(0) lgkmcnt(0)
	flat_store_dword v[4:5], v111 offset:136
	flat_store_dword v[118:119], v113
.LBB102_584:
	s_or_b64 exec, exec, s[14:15]
	v_mov_b32_e32 v111, v110
	v_mov_b32_e32 v113, v110
.LBB102_585:
	s_or_b64 exec, exec, s[2:3]
.LBB102_586:
	s_andn2_saveexec_b64 s[0:1], s[0:1]
	s_cbranch_execz .LBB102_588
; %bb.587:
	v_mov_b32_e32 v113, 34
	ds_write2_b64 v112, v[34:35], v[32:33] offset0:35 offset1:36
	ds_write2_b64 v112, v[30:31], v[28:29] offset0:37 offset1:38
	;; [unrolled: 1-line block ×8, first 2 shown]
	ds_write_b64 v112, v[106:107] offset:408
.LBB102_588:
	s_or_b64 exec, exec, s[0:1]
	v_cmp_lt_i32_e32 vcc, 34, v113
	s_waitcnt lgkmcnt(0)
	s_barrier
	s_and_saveexec_b64 s[0:1], vcc
	s_cbranch_execz .LBB102_590
; %bb.589:
	ds_read2_b64 v[118:121], v112 offset0:35 offset1:36
	ds_read2_b64 v[122:125], v112 offset0:37 offset1:38
	v_mul_f64 v[36:37], v[108:109], v[36:37]
	ds_read2_b64 v[126:129], v112 offset0:39 offset1:40
	ds_read_b64 v[108:109], v112 offset:408
	s_waitcnt lgkmcnt(0)
	v_fma_f64 v[34:35], -v[36:37], v[118:119], v[34:35]
	v_fma_f64 v[32:33], -v[36:37], v[120:121], v[32:33]
	ds_read2_b64 v[118:121], v112 offset0:41 offset1:42
	v_fma_f64 v[30:31], -v[36:37], v[122:123], v[30:31]
	v_fma_f64 v[28:29], -v[36:37], v[124:125], v[28:29]
	ds_read2_b64 v[122:125], v112 offset0:43 offset1:44
	;; [unrolled: 3-line block ×3, first 2 shown]
	s_waitcnt lgkmcnt(0)
	v_fma_f64 v[22:23], -v[36:37], v[118:119], v[22:23]
	v_fma_f64 v[20:21], -v[36:37], v[120:121], v[20:21]
	;; [unrolled: 1-line block ×4, first 2 shown]
	ds_read2_b64 v[118:121], v112 offset0:47 offset1:48
	ds_read2_b64 v[122:125], v112 offset0:49 offset1:50
	v_fma_f64 v[14:15], -v[36:37], v[126:127], v[14:15]
	v_fma_f64 v[12:13], -v[36:37], v[128:129], v[12:13]
	;; [unrolled: 1-line block ×3, first 2 shown]
	s_waitcnt lgkmcnt(0)
	v_fma_f64 v[10:11], -v[36:37], v[118:119], v[10:11]
	v_fma_f64 v[8:9], -v[36:37], v[120:121], v[8:9]
	;; [unrolled: 1-line block ×4, first 2 shown]
.LBB102_590:
	s_or_b64 exec, exec, s[0:1]
	v_lshl_add_u32 v108, v113, 3, v112
	s_barrier
	ds_write_b64 v108, v[34:35]
	s_waitcnt lgkmcnt(0)
	s_barrier
	ds_read_b64 v[108:109], v112 offset:280
	s_cmp_lt_i32 s18, 37
	v_mov_b32_e32 v110, 35
	s_cbranch_scc1 .LBB102_593
; %bb.591:
	v_add_u32_e32 v117, 0x120, v112
	s_mov_b32 s0, 36
	v_mov_b32_e32 v110, 35
.LBB102_592:                            ; =>This Inner Loop Header: Depth=1
	ds_read_b64 v[118:119], v117
	v_mov_b32_e32 v120, s0
	s_add_i32 s0, s0, 1
	v_add_u32_e32 v117, 8, v117
	s_cmp_lg_u32 s18, s0
	s_waitcnt lgkmcnt(0)
	v_cmp_lt_f64_e64 vcc, |v[108:109]|, |v[118:119]|
	v_cndmask_b32_e32 v109, v109, v119, vcc
	v_cndmask_b32_e32 v108, v108, v118, vcc
	;; [unrolled: 1-line block ×3, first 2 shown]
	s_cbranch_scc1 .LBB102_592
.LBB102_593:
	s_waitcnt lgkmcnt(0)
	v_cmp_eq_f64_e32 vcc, 0, v[108:109]
	s_and_saveexec_b64 s[0:1], vcc
	s_xor_b64 s[0:1], exec, s[0:1]
; %bb.594:
	v_cmp_ne_u32_e32 vcc, 0, v116
	v_cndmask_b32_e32 v116, 36, v116, vcc
; %bb.595:
	s_andn2_saveexec_b64 s[0:1], s[0:1]
; %bb.596:
	v_div_scale_f64 v[118:119], s[2:3], v[108:109], v[108:109], 1.0
	v_rcp_f64_e32 v[120:121], v[118:119]
	v_div_scale_f64 v[122:123], vcc, 1.0, v[108:109], 1.0
	v_fma_f64 v[124:125], -v[118:119], v[120:121], 1.0
	v_fmac_f64_e32 v[120:121], v[120:121], v[124:125]
	v_fma_f64 v[124:125], -v[118:119], v[120:121], 1.0
	v_fmac_f64_e32 v[120:121], v[120:121], v[124:125]
	v_mul_f64 v[124:125], v[122:123], v[120:121]
	v_fma_f64 v[118:119], -v[118:119], v[124:125], v[122:123]
	v_div_fmas_f64 v[118:119], v[118:119], v[120:121], v[124:125]
	v_div_fixup_f64 v[108:109], v[118:119], v[108:109], 1.0
; %bb.597:
	s_or_b64 exec, exec, s[0:1]
	v_cmp_ne_u32_e32 vcc, v113, v110
	s_and_saveexec_b64 s[0:1], vcc
	s_xor_b64 s[0:1], exec, s[0:1]
	s_cbranch_execz .LBB102_603
; %bb.598:
	v_cmp_eq_u32_e32 vcc, 35, v113
	s_and_saveexec_b64 s[2:3], vcc
	s_cbranch_execz .LBB102_602
; %bb.599:
	v_cmp_ne_u32_e32 vcc, 35, v110
	s_xor_b64 s[14:15], s[6:7], -1
	s_and_b64 s[16:17], s[14:15], vcc
	s_and_saveexec_b64 s[14:15], s[16:17]
	s_cbranch_execz .LBB102_601
; %bb.600:
	v_ashrrev_i32_e32 v111, 31, v110
	v_lshlrev_b64 v[118:119], 2, v[110:111]
	v_add_co_u32_e32 v118, vcc, v4, v118
	v_addc_co_u32_e32 v119, vcc, v5, v119, vcc
	flat_load_dword v111, v[118:119]
	flat_load_dword v113, v[4:5] offset:140
	s_waitcnt vmcnt(0) lgkmcnt(0)
	flat_store_dword v[4:5], v111 offset:140
	flat_store_dword v[118:119], v113
.LBB102_601:
	s_or_b64 exec, exec, s[14:15]
	v_mov_b32_e32 v111, v110
	v_mov_b32_e32 v113, v110
.LBB102_602:
	s_or_b64 exec, exec, s[2:3]
.LBB102_603:
	s_andn2_saveexec_b64 s[0:1], s[0:1]
	s_cbranch_execz .LBB102_605
; %bb.604:
	v_mov_b32_e32 v118, v32
	v_mov_b32_e32 v119, v33
	v_mov_b32_e32 v120, v30
	v_mov_b32_e32 v121, v31
	ds_write2_b64 v112, v[118:119], v[120:121] offset0:36 offset1:37
	v_mov_b32_e32 v118, v28
	v_mov_b32_e32 v119, v29
	v_mov_b32_e32 v120, v26
	v_mov_b32_e32 v121, v27
	ds_write2_b64 v112, v[118:119], v[120:121] offset0:38 offset1:39
	v_mov_b32_e32 v118, v24
	v_mov_b32_e32 v119, v25
	v_mov_b32_e32 v120, v22
	v_mov_b32_e32 v121, v23
	ds_write2_b64 v112, v[118:119], v[120:121] offset0:40 offset1:41
	v_mov_b32_e32 v118, v20
	v_mov_b32_e32 v119, v21
	v_mov_b32_e32 v120, v18
	v_mov_b32_e32 v121, v19
	ds_write2_b64 v112, v[118:119], v[120:121] offset0:42 offset1:43
	v_mov_b32_e32 v118, v16
	v_mov_b32_e32 v119, v17
	v_mov_b32_e32 v120, v14
	v_mov_b32_e32 v121, v15
	ds_write2_b64 v112, v[118:119], v[120:121] offset0:44 offset1:45
	v_mov_b32_e32 v118, v12
	v_mov_b32_e32 v119, v13
	v_mov_b32_e32 v120, v10
	v_mov_b32_e32 v121, v11
	ds_write2_b64 v112, v[118:119], v[120:121] offset0:46 offset1:47
	v_mov_b32_e32 v118, v8
	v_mov_b32_e32 v119, v9
	v_mov_b32_e32 v120, v6
	v_mov_b32_e32 v121, v7
	ds_write2_b64 v112, v[118:119], v[120:121] offset0:48 offset1:49
	v_mov_b32_e32 v118, v0
	v_mov_b32_e32 v119, v1
	;; [unrolled: 1-line block ×3, first 2 shown]
	ds_write2_b64 v112, v[118:119], v[106:107] offset0:50 offset1:51
.LBB102_605:
	s_or_b64 exec, exec, s[0:1]
	v_cmp_lt_i32_e32 vcc, 35, v113
	s_waitcnt lgkmcnt(0)
	s_barrier
	s_and_saveexec_b64 s[0:1], vcc
	s_cbranch_execz .LBB102_607
; %bb.606:
	ds_read2_b64 v[118:121], v112 offset0:36 offset1:37
	ds_read2_b64 v[122:125], v112 offset0:38 offset1:39
	v_mul_f64 v[34:35], v[108:109], v[34:35]
	ds_read2_b64 v[126:129], v112 offset0:40 offset1:41
	s_waitcnt lgkmcnt(0)
	v_fma_f64 v[32:33], -v[34:35], v[118:119], v[32:33]
	v_fma_f64 v[30:31], -v[34:35], v[120:121], v[30:31]
	ds_read2_b64 v[118:121], v112 offset0:42 offset1:43
	v_fma_f64 v[28:29], -v[34:35], v[122:123], v[28:29]
	v_fma_f64 v[26:27], -v[34:35], v[124:125], v[26:27]
	ds_read2_b64 v[122:125], v112 offset0:44 offset1:45
	v_fma_f64 v[24:25], -v[34:35], v[126:127], v[24:25]
	v_fma_f64 v[22:23], -v[34:35], v[128:129], v[22:23]
	s_waitcnt lgkmcnt(0)
	v_fma_f64 v[20:21], -v[34:35], v[118:119], v[20:21]
	v_fma_f64 v[18:19], -v[34:35], v[120:121], v[18:19]
	ds_read2_b64 v[118:121], v112 offset0:46 offset1:47
	v_fma_f64 v[16:17], -v[34:35], v[122:123], v[16:17]
	ds_read2_b64 v[126:129], v112 offset0:48 offset1:49
	;; [unrolled: 2-line block ×3, first 2 shown]
	s_waitcnt lgkmcnt(0)
	v_fma_f64 v[12:13], -v[34:35], v[118:119], v[12:13]
	v_fma_f64 v[10:11], -v[34:35], v[120:121], v[10:11]
	;; [unrolled: 1-line block ×6, first 2 shown]
.LBB102_607:
	s_or_b64 exec, exec, s[0:1]
	v_lshl_add_u32 v108, v113, 3, v112
	s_barrier
	ds_write_b64 v108, v[32:33]
	s_waitcnt lgkmcnt(0)
	s_barrier
	ds_read_b64 v[108:109], v112 offset:288
	s_cmp_lt_i32 s18, 38
	v_mov_b32_e32 v110, 36
	s_cbranch_scc1 .LBB102_610
; %bb.608:
	v_add_u32_e32 v117, 0x128, v112
	s_mov_b32 s0, 37
	v_mov_b32_e32 v110, 36
.LBB102_609:                            ; =>This Inner Loop Header: Depth=1
	ds_read_b64 v[118:119], v117
	v_mov_b32_e32 v120, s0
	s_add_i32 s0, s0, 1
	v_add_u32_e32 v117, 8, v117
	s_cmp_lg_u32 s18, s0
	s_waitcnt lgkmcnt(0)
	v_cmp_lt_f64_e64 vcc, |v[108:109]|, |v[118:119]|
	v_cndmask_b32_e32 v109, v109, v119, vcc
	v_cndmask_b32_e32 v108, v108, v118, vcc
	;; [unrolled: 1-line block ×3, first 2 shown]
	s_cbranch_scc1 .LBB102_609
.LBB102_610:
	s_waitcnt lgkmcnt(0)
	v_cmp_eq_f64_e32 vcc, 0, v[108:109]
	s_and_saveexec_b64 s[0:1], vcc
	s_xor_b64 s[0:1], exec, s[0:1]
; %bb.611:
	v_cmp_ne_u32_e32 vcc, 0, v116
	v_cndmask_b32_e32 v116, 37, v116, vcc
; %bb.612:
	s_andn2_saveexec_b64 s[0:1], s[0:1]
; %bb.613:
	v_div_scale_f64 v[118:119], s[2:3], v[108:109], v[108:109], 1.0
	v_rcp_f64_e32 v[120:121], v[118:119]
	v_div_scale_f64 v[122:123], vcc, 1.0, v[108:109], 1.0
	v_fma_f64 v[124:125], -v[118:119], v[120:121], 1.0
	v_fmac_f64_e32 v[120:121], v[120:121], v[124:125]
	v_fma_f64 v[124:125], -v[118:119], v[120:121], 1.0
	v_fmac_f64_e32 v[120:121], v[120:121], v[124:125]
	v_mul_f64 v[124:125], v[122:123], v[120:121]
	v_fma_f64 v[118:119], -v[118:119], v[124:125], v[122:123]
	v_div_fmas_f64 v[118:119], v[118:119], v[120:121], v[124:125]
	v_div_fixup_f64 v[108:109], v[118:119], v[108:109], 1.0
; %bb.614:
	s_or_b64 exec, exec, s[0:1]
	v_cmp_ne_u32_e32 vcc, v113, v110
	s_and_saveexec_b64 s[0:1], vcc
	s_xor_b64 s[0:1], exec, s[0:1]
	s_cbranch_execz .LBB102_620
; %bb.615:
	v_cmp_eq_u32_e32 vcc, 36, v113
	s_and_saveexec_b64 s[2:3], vcc
	s_cbranch_execz .LBB102_619
; %bb.616:
	v_cmp_ne_u32_e32 vcc, 36, v110
	s_xor_b64 s[14:15], s[6:7], -1
	s_and_b64 s[16:17], s[14:15], vcc
	s_and_saveexec_b64 s[14:15], s[16:17]
	s_cbranch_execz .LBB102_618
; %bb.617:
	v_ashrrev_i32_e32 v111, 31, v110
	v_lshlrev_b64 v[118:119], 2, v[110:111]
	v_add_co_u32_e32 v118, vcc, v4, v118
	v_addc_co_u32_e32 v119, vcc, v5, v119, vcc
	flat_load_dword v111, v[118:119]
	flat_load_dword v113, v[4:5] offset:144
	s_waitcnt vmcnt(0) lgkmcnt(0)
	flat_store_dword v[4:5], v111 offset:144
	flat_store_dword v[118:119], v113
.LBB102_618:
	s_or_b64 exec, exec, s[14:15]
	v_mov_b32_e32 v111, v110
	v_mov_b32_e32 v113, v110
.LBB102_619:
	s_or_b64 exec, exec, s[2:3]
.LBB102_620:
	s_andn2_saveexec_b64 s[0:1], s[0:1]
	s_cbranch_execz .LBB102_622
; %bb.621:
	v_mov_b32_e32 v113, 36
	ds_write2_b64 v112, v[30:31], v[28:29] offset0:37 offset1:38
	ds_write2_b64 v112, v[26:27], v[24:25] offset0:39 offset1:40
	;; [unrolled: 1-line block ×7, first 2 shown]
	ds_write_b64 v112, v[106:107] offset:408
.LBB102_622:
	s_or_b64 exec, exec, s[0:1]
	v_cmp_lt_i32_e32 vcc, 36, v113
	s_waitcnt lgkmcnt(0)
	s_barrier
	s_and_saveexec_b64 s[0:1], vcc
	s_cbranch_execz .LBB102_624
; %bb.623:
	ds_read2_b64 v[118:121], v112 offset0:37 offset1:38
	ds_read2_b64 v[122:125], v112 offset0:39 offset1:40
	v_mul_f64 v[32:33], v[108:109], v[32:33]
	ds_read2_b64 v[126:129], v112 offset0:41 offset1:42
	ds_read_b64 v[108:109], v112 offset:408
	s_waitcnt lgkmcnt(0)
	v_fma_f64 v[30:31], -v[32:33], v[118:119], v[30:31]
	v_fma_f64 v[28:29], -v[32:33], v[120:121], v[28:29]
	ds_read2_b64 v[118:121], v112 offset0:43 offset1:44
	v_fma_f64 v[26:27], -v[32:33], v[122:123], v[26:27]
	v_fma_f64 v[24:25], -v[32:33], v[124:125], v[24:25]
	;; [unrolled: 1-line block ×3, first 2 shown]
	ds_read2_b64 v[122:125], v112 offset0:45 offset1:46
	v_fma_f64 v[20:21], -v[32:33], v[128:129], v[20:21]
	s_waitcnt lgkmcnt(0)
	v_fma_f64 v[18:19], -v[32:33], v[118:119], v[18:19]
	v_fma_f64 v[16:17], -v[32:33], v[120:121], v[16:17]
	ds_read2_b64 v[118:121], v112 offset0:47 offset1:48
	ds_read2_b64 v[126:129], v112 offset0:49 offset1:50
	v_fma_f64 v[14:15], -v[32:33], v[122:123], v[14:15]
	v_fma_f64 v[12:13], -v[32:33], v[124:125], v[12:13]
	;; [unrolled: 1-line block ×3, first 2 shown]
	s_waitcnt lgkmcnt(0)
	v_fma_f64 v[10:11], -v[32:33], v[118:119], v[10:11]
	v_fma_f64 v[8:9], -v[32:33], v[120:121], v[8:9]
	;; [unrolled: 1-line block ×4, first 2 shown]
.LBB102_624:
	s_or_b64 exec, exec, s[0:1]
	v_lshl_add_u32 v108, v113, 3, v112
	s_barrier
	ds_write_b64 v108, v[30:31]
	s_waitcnt lgkmcnt(0)
	s_barrier
	ds_read_b64 v[108:109], v112 offset:296
	s_cmp_lt_i32 s18, 39
	v_mov_b32_e32 v110, 37
	s_cbranch_scc1 .LBB102_627
; %bb.625:
	v_add_u32_e32 v117, 0x130, v112
	s_mov_b32 s0, 38
	v_mov_b32_e32 v110, 37
.LBB102_626:                            ; =>This Inner Loop Header: Depth=1
	ds_read_b64 v[118:119], v117
	v_mov_b32_e32 v120, s0
	s_add_i32 s0, s0, 1
	v_add_u32_e32 v117, 8, v117
	s_cmp_lg_u32 s18, s0
	s_waitcnt lgkmcnt(0)
	v_cmp_lt_f64_e64 vcc, |v[108:109]|, |v[118:119]|
	v_cndmask_b32_e32 v109, v109, v119, vcc
	v_cndmask_b32_e32 v108, v108, v118, vcc
	;; [unrolled: 1-line block ×3, first 2 shown]
	s_cbranch_scc1 .LBB102_626
.LBB102_627:
	s_waitcnt lgkmcnt(0)
	v_cmp_eq_f64_e32 vcc, 0, v[108:109]
	s_and_saveexec_b64 s[0:1], vcc
	s_xor_b64 s[0:1], exec, s[0:1]
; %bb.628:
	v_cmp_ne_u32_e32 vcc, 0, v116
	v_cndmask_b32_e32 v116, 38, v116, vcc
; %bb.629:
	s_andn2_saveexec_b64 s[0:1], s[0:1]
; %bb.630:
	v_div_scale_f64 v[118:119], s[2:3], v[108:109], v[108:109], 1.0
	v_rcp_f64_e32 v[120:121], v[118:119]
	v_div_scale_f64 v[122:123], vcc, 1.0, v[108:109], 1.0
	v_fma_f64 v[124:125], -v[118:119], v[120:121], 1.0
	v_fmac_f64_e32 v[120:121], v[120:121], v[124:125]
	v_fma_f64 v[124:125], -v[118:119], v[120:121], 1.0
	v_fmac_f64_e32 v[120:121], v[120:121], v[124:125]
	v_mul_f64 v[124:125], v[122:123], v[120:121]
	v_fma_f64 v[118:119], -v[118:119], v[124:125], v[122:123]
	v_div_fmas_f64 v[118:119], v[118:119], v[120:121], v[124:125]
	v_div_fixup_f64 v[108:109], v[118:119], v[108:109], 1.0
; %bb.631:
	s_or_b64 exec, exec, s[0:1]
	v_cmp_ne_u32_e32 vcc, v113, v110
	s_and_saveexec_b64 s[0:1], vcc
	s_xor_b64 s[0:1], exec, s[0:1]
	s_cbranch_execz .LBB102_637
; %bb.632:
	v_cmp_eq_u32_e32 vcc, 37, v113
	s_and_saveexec_b64 s[2:3], vcc
	s_cbranch_execz .LBB102_636
; %bb.633:
	v_cmp_ne_u32_e32 vcc, 37, v110
	s_xor_b64 s[14:15], s[6:7], -1
	s_and_b64 s[16:17], s[14:15], vcc
	s_and_saveexec_b64 s[14:15], s[16:17]
	s_cbranch_execz .LBB102_635
; %bb.634:
	v_ashrrev_i32_e32 v111, 31, v110
	v_lshlrev_b64 v[118:119], 2, v[110:111]
	v_add_co_u32_e32 v118, vcc, v4, v118
	v_addc_co_u32_e32 v119, vcc, v5, v119, vcc
	flat_load_dword v111, v[118:119]
	flat_load_dword v113, v[4:5] offset:148
	s_waitcnt vmcnt(0) lgkmcnt(0)
	flat_store_dword v[4:5], v111 offset:148
	flat_store_dword v[118:119], v113
.LBB102_635:
	s_or_b64 exec, exec, s[14:15]
	v_mov_b32_e32 v111, v110
	v_mov_b32_e32 v113, v110
.LBB102_636:
	s_or_b64 exec, exec, s[2:3]
.LBB102_637:
	s_andn2_saveexec_b64 s[0:1], s[0:1]
	s_cbranch_execz .LBB102_639
; %bb.638:
	v_mov_b32_e32 v118, v28
	v_mov_b32_e32 v119, v29
	v_mov_b32_e32 v120, v26
	v_mov_b32_e32 v121, v27
	ds_write2_b64 v112, v[118:119], v[120:121] offset0:38 offset1:39
	v_mov_b32_e32 v118, v24
	v_mov_b32_e32 v119, v25
	v_mov_b32_e32 v120, v22
	v_mov_b32_e32 v121, v23
	ds_write2_b64 v112, v[118:119], v[120:121] offset0:40 offset1:41
	;; [unrolled: 5-line block ×6, first 2 shown]
	v_mov_b32_e32 v118, v0
	v_mov_b32_e32 v119, v1
	v_mov_b32_e32 v113, 37
	ds_write2_b64 v112, v[118:119], v[106:107] offset0:50 offset1:51
.LBB102_639:
	s_or_b64 exec, exec, s[0:1]
	v_cmp_lt_i32_e32 vcc, 37, v113
	s_waitcnt lgkmcnt(0)
	s_barrier
	s_and_saveexec_b64 s[0:1], vcc
	s_cbranch_execz .LBB102_641
; %bb.640:
	ds_read2_b64 v[118:121], v112 offset0:38 offset1:39
	ds_read2_b64 v[122:125], v112 offset0:40 offset1:41
	v_mul_f64 v[30:31], v[108:109], v[30:31]
	ds_read2_b64 v[126:129], v112 offset0:42 offset1:43
	s_waitcnt lgkmcnt(0)
	v_fma_f64 v[28:29], -v[30:31], v[118:119], v[28:29]
	v_fma_f64 v[26:27], -v[30:31], v[120:121], v[26:27]
	ds_read2_b64 v[118:121], v112 offset0:44 offset1:45
	v_fma_f64 v[24:25], -v[30:31], v[122:123], v[24:25]
	v_fma_f64 v[22:23], -v[30:31], v[124:125], v[22:23]
	;; [unrolled: 1-line block ×4, first 2 shown]
	ds_read2_b64 v[122:125], v112 offset0:46 offset1:47
	ds_read2_b64 v[126:129], v112 offset0:48 offset1:49
	s_waitcnt lgkmcnt(0)
	v_fma_f64 v[16:17], -v[30:31], v[118:119], v[16:17]
	v_fma_f64 v[14:15], -v[30:31], v[120:121], v[14:15]
	ds_read2_b64 v[118:121], v112 offset0:50 offset1:51
	v_fma_f64 v[12:13], -v[30:31], v[122:123], v[12:13]
	v_fma_f64 v[10:11], -v[30:31], v[124:125], v[10:11]
	;; [unrolled: 1-line block ×4, first 2 shown]
	s_waitcnt lgkmcnt(0)
	v_fma_f64 v[0:1], -v[30:31], v[118:119], v[0:1]
	v_fma_f64 v[106:107], -v[30:31], v[120:121], v[106:107]
.LBB102_641:
	s_or_b64 exec, exec, s[0:1]
	v_lshl_add_u32 v108, v113, 3, v112
	s_barrier
	ds_write_b64 v108, v[28:29]
	s_waitcnt lgkmcnt(0)
	s_barrier
	ds_read_b64 v[108:109], v112 offset:304
	s_cmp_lt_i32 s18, 40
	v_mov_b32_e32 v110, 38
	s_cbranch_scc1 .LBB102_644
; %bb.642:
	v_add_u32_e32 v117, 0x138, v112
	s_mov_b32 s0, 39
	v_mov_b32_e32 v110, 38
.LBB102_643:                            ; =>This Inner Loop Header: Depth=1
	ds_read_b64 v[118:119], v117
	v_mov_b32_e32 v120, s0
	s_add_i32 s0, s0, 1
	v_add_u32_e32 v117, 8, v117
	s_cmp_lg_u32 s18, s0
	s_waitcnt lgkmcnt(0)
	v_cmp_lt_f64_e64 vcc, |v[108:109]|, |v[118:119]|
	v_cndmask_b32_e32 v109, v109, v119, vcc
	v_cndmask_b32_e32 v108, v108, v118, vcc
	;; [unrolled: 1-line block ×3, first 2 shown]
	s_cbranch_scc1 .LBB102_643
.LBB102_644:
	s_waitcnt lgkmcnt(0)
	v_cmp_eq_f64_e32 vcc, 0, v[108:109]
	s_and_saveexec_b64 s[0:1], vcc
	s_xor_b64 s[0:1], exec, s[0:1]
; %bb.645:
	v_cmp_ne_u32_e32 vcc, 0, v116
	v_cndmask_b32_e32 v116, 39, v116, vcc
; %bb.646:
	s_andn2_saveexec_b64 s[0:1], s[0:1]
; %bb.647:
	v_div_scale_f64 v[118:119], s[2:3], v[108:109], v[108:109], 1.0
	v_rcp_f64_e32 v[120:121], v[118:119]
	v_div_scale_f64 v[122:123], vcc, 1.0, v[108:109], 1.0
	v_fma_f64 v[124:125], -v[118:119], v[120:121], 1.0
	v_fmac_f64_e32 v[120:121], v[120:121], v[124:125]
	v_fma_f64 v[124:125], -v[118:119], v[120:121], 1.0
	v_fmac_f64_e32 v[120:121], v[120:121], v[124:125]
	v_mul_f64 v[124:125], v[122:123], v[120:121]
	v_fma_f64 v[118:119], -v[118:119], v[124:125], v[122:123]
	v_div_fmas_f64 v[118:119], v[118:119], v[120:121], v[124:125]
	v_div_fixup_f64 v[108:109], v[118:119], v[108:109], 1.0
; %bb.648:
	s_or_b64 exec, exec, s[0:1]
	v_cmp_ne_u32_e32 vcc, v113, v110
	s_and_saveexec_b64 s[0:1], vcc
	s_xor_b64 s[0:1], exec, s[0:1]
	s_cbranch_execz .LBB102_654
; %bb.649:
	v_cmp_eq_u32_e32 vcc, 38, v113
	s_and_saveexec_b64 s[2:3], vcc
	s_cbranch_execz .LBB102_653
; %bb.650:
	v_cmp_ne_u32_e32 vcc, 38, v110
	s_xor_b64 s[14:15], s[6:7], -1
	s_and_b64 s[16:17], s[14:15], vcc
	s_and_saveexec_b64 s[14:15], s[16:17]
	s_cbranch_execz .LBB102_652
; %bb.651:
	v_ashrrev_i32_e32 v111, 31, v110
	v_lshlrev_b64 v[118:119], 2, v[110:111]
	v_add_co_u32_e32 v118, vcc, v4, v118
	v_addc_co_u32_e32 v119, vcc, v5, v119, vcc
	flat_load_dword v111, v[118:119]
	flat_load_dword v113, v[4:5] offset:152
	s_waitcnt vmcnt(0) lgkmcnt(0)
	flat_store_dword v[4:5], v111 offset:152
	flat_store_dword v[118:119], v113
.LBB102_652:
	s_or_b64 exec, exec, s[14:15]
	v_mov_b32_e32 v111, v110
	v_mov_b32_e32 v113, v110
.LBB102_653:
	s_or_b64 exec, exec, s[2:3]
.LBB102_654:
	s_andn2_saveexec_b64 s[0:1], s[0:1]
	s_cbranch_execz .LBB102_656
; %bb.655:
	v_mov_b32_e32 v113, 38
	ds_write2_b64 v112, v[26:27], v[24:25] offset0:39 offset1:40
	ds_write2_b64 v112, v[22:23], v[20:21] offset0:41 offset1:42
	;; [unrolled: 1-line block ×6, first 2 shown]
	ds_write_b64 v112, v[106:107] offset:408
.LBB102_656:
	s_or_b64 exec, exec, s[0:1]
	v_cmp_lt_i32_e32 vcc, 38, v113
	s_waitcnt lgkmcnt(0)
	s_barrier
	s_and_saveexec_b64 s[0:1], vcc
	s_cbranch_execz .LBB102_658
; %bb.657:
	ds_read2_b64 v[118:121], v112 offset0:39 offset1:40
	ds_read2_b64 v[122:125], v112 offset0:41 offset1:42
	;; [unrolled: 1-line block ×3, first 2 shown]
	v_mul_f64 v[28:29], v[108:109], v[28:29]
	ds_read_b64 v[108:109], v112 offset:408
	s_waitcnt lgkmcnt(0)
	v_fma_f64 v[26:27], -v[28:29], v[118:119], v[26:27]
	v_fma_f64 v[24:25], -v[28:29], v[120:121], v[24:25]
	ds_read2_b64 v[118:121], v112 offset0:45 offset1:46
	v_fma_f64 v[22:23], -v[28:29], v[122:123], v[22:23]
	v_fma_f64 v[20:21], -v[28:29], v[124:125], v[20:21]
	;; [unrolled: 1-line block ×4, first 2 shown]
	ds_read2_b64 v[122:125], v112 offset0:47 offset1:48
	ds_read2_b64 v[126:129], v112 offset0:49 offset1:50
	s_waitcnt lgkmcnt(0)
	v_fma_f64 v[14:15], -v[28:29], v[118:119], v[14:15]
	v_fma_f64 v[12:13], -v[28:29], v[120:121], v[12:13]
	;; [unrolled: 1-line block ×7, first 2 shown]
.LBB102_658:
	s_or_b64 exec, exec, s[0:1]
	v_lshl_add_u32 v108, v113, 3, v112
	s_barrier
	ds_write_b64 v108, v[26:27]
	s_waitcnt lgkmcnt(0)
	s_barrier
	ds_read_b64 v[108:109], v112 offset:312
	s_cmp_lt_i32 s18, 41
	v_mov_b32_e32 v110, 39
	s_cbranch_scc1 .LBB102_661
; %bb.659:
	v_add_u32_e32 v117, 0x140, v112
	s_mov_b32 s0, 40
	v_mov_b32_e32 v110, 39
.LBB102_660:                            ; =>This Inner Loop Header: Depth=1
	ds_read_b64 v[118:119], v117
	v_mov_b32_e32 v120, s0
	s_add_i32 s0, s0, 1
	v_add_u32_e32 v117, 8, v117
	s_cmp_lg_u32 s18, s0
	s_waitcnt lgkmcnt(0)
	v_cmp_lt_f64_e64 vcc, |v[108:109]|, |v[118:119]|
	v_cndmask_b32_e32 v109, v109, v119, vcc
	v_cndmask_b32_e32 v108, v108, v118, vcc
	;; [unrolled: 1-line block ×3, first 2 shown]
	s_cbranch_scc1 .LBB102_660
.LBB102_661:
	s_waitcnt lgkmcnt(0)
	v_cmp_eq_f64_e32 vcc, 0, v[108:109]
	s_and_saveexec_b64 s[0:1], vcc
	s_xor_b64 s[0:1], exec, s[0:1]
; %bb.662:
	v_cmp_ne_u32_e32 vcc, 0, v116
	v_cndmask_b32_e32 v116, 40, v116, vcc
; %bb.663:
	s_andn2_saveexec_b64 s[0:1], s[0:1]
; %bb.664:
	v_div_scale_f64 v[118:119], s[2:3], v[108:109], v[108:109], 1.0
	v_rcp_f64_e32 v[120:121], v[118:119]
	v_div_scale_f64 v[122:123], vcc, 1.0, v[108:109], 1.0
	v_fma_f64 v[124:125], -v[118:119], v[120:121], 1.0
	v_fmac_f64_e32 v[120:121], v[120:121], v[124:125]
	v_fma_f64 v[124:125], -v[118:119], v[120:121], 1.0
	v_fmac_f64_e32 v[120:121], v[120:121], v[124:125]
	v_mul_f64 v[124:125], v[122:123], v[120:121]
	v_fma_f64 v[118:119], -v[118:119], v[124:125], v[122:123]
	v_div_fmas_f64 v[118:119], v[118:119], v[120:121], v[124:125]
	v_div_fixup_f64 v[108:109], v[118:119], v[108:109], 1.0
; %bb.665:
	s_or_b64 exec, exec, s[0:1]
	v_cmp_ne_u32_e32 vcc, v113, v110
	s_and_saveexec_b64 s[0:1], vcc
	s_xor_b64 s[0:1], exec, s[0:1]
	s_cbranch_execz .LBB102_671
; %bb.666:
	v_cmp_eq_u32_e32 vcc, 39, v113
	s_and_saveexec_b64 s[2:3], vcc
	s_cbranch_execz .LBB102_670
; %bb.667:
	v_cmp_ne_u32_e32 vcc, 39, v110
	s_xor_b64 s[14:15], s[6:7], -1
	s_and_b64 s[16:17], s[14:15], vcc
	s_and_saveexec_b64 s[14:15], s[16:17]
	s_cbranch_execz .LBB102_669
; %bb.668:
	v_ashrrev_i32_e32 v111, 31, v110
	v_lshlrev_b64 v[118:119], 2, v[110:111]
	v_add_co_u32_e32 v118, vcc, v4, v118
	v_addc_co_u32_e32 v119, vcc, v5, v119, vcc
	flat_load_dword v111, v[118:119]
	flat_load_dword v113, v[4:5] offset:156
	s_waitcnt vmcnt(0) lgkmcnt(0)
	flat_store_dword v[4:5], v111 offset:156
	flat_store_dword v[118:119], v113
.LBB102_669:
	s_or_b64 exec, exec, s[14:15]
	v_mov_b32_e32 v111, v110
	v_mov_b32_e32 v113, v110
.LBB102_670:
	s_or_b64 exec, exec, s[2:3]
.LBB102_671:
	s_andn2_saveexec_b64 s[0:1], s[0:1]
	s_cbranch_execz .LBB102_673
; %bb.672:
	v_mov_b32_e32 v118, v24
	v_mov_b32_e32 v119, v25
	v_mov_b32_e32 v120, v22
	v_mov_b32_e32 v121, v23
	ds_write2_b64 v112, v[118:119], v[120:121] offset0:40 offset1:41
	v_mov_b32_e32 v118, v20
	v_mov_b32_e32 v119, v21
	v_mov_b32_e32 v120, v18
	v_mov_b32_e32 v121, v19
	ds_write2_b64 v112, v[118:119], v[120:121] offset0:42 offset1:43
	;; [unrolled: 5-line block ×5, first 2 shown]
	v_mov_b32_e32 v118, v0
	v_mov_b32_e32 v119, v1
	;; [unrolled: 1-line block ×3, first 2 shown]
	ds_write2_b64 v112, v[118:119], v[106:107] offset0:50 offset1:51
.LBB102_673:
	s_or_b64 exec, exec, s[0:1]
	v_cmp_lt_i32_e32 vcc, 39, v113
	s_waitcnt lgkmcnt(0)
	s_barrier
	s_and_saveexec_b64 s[0:1], vcc
	s_cbranch_execz .LBB102_675
; %bb.674:
	ds_read2_b64 v[118:121], v112 offset0:40 offset1:41
	ds_read2_b64 v[122:125], v112 offset0:42 offset1:43
	;; [unrolled: 1-line block ×3, first 2 shown]
	v_mul_f64 v[26:27], v[108:109], v[26:27]
	s_waitcnt lgkmcnt(0)
	v_fma_f64 v[24:25], -v[26:27], v[118:119], v[24:25]
	v_fma_f64 v[22:23], -v[26:27], v[120:121], v[22:23]
	ds_read2_b64 v[118:121], v112 offset0:46 offset1:47
	v_fma_f64 v[20:21], -v[26:27], v[122:123], v[20:21]
	v_fma_f64 v[18:19], -v[26:27], v[124:125], v[18:19]
	;; [unrolled: 1-line block ×3, first 2 shown]
	ds_read2_b64 v[122:125], v112 offset0:48 offset1:49
	v_fma_f64 v[14:15], -v[26:27], v[128:129], v[14:15]
	ds_read2_b64 v[126:129], v112 offset0:50 offset1:51
	s_waitcnt lgkmcnt(0)
	v_fma_f64 v[12:13], -v[26:27], v[118:119], v[12:13]
	v_fma_f64 v[10:11], -v[26:27], v[120:121], v[10:11]
	;; [unrolled: 1-line block ×6, first 2 shown]
.LBB102_675:
	s_or_b64 exec, exec, s[0:1]
	v_lshl_add_u32 v108, v113, 3, v112
	s_barrier
	ds_write_b64 v108, v[24:25]
	s_waitcnt lgkmcnt(0)
	s_barrier
	ds_read_b64 v[108:109], v112 offset:320
	s_cmp_lt_i32 s18, 42
	v_mov_b32_e32 v110, 40
	s_cbranch_scc1 .LBB102_678
; %bb.676:
	v_add_u32_e32 v117, 0x148, v112
	s_mov_b32 s0, 41
	v_mov_b32_e32 v110, 40
.LBB102_677:                            ; =>This Inner Loop Header: Depth=1
	ds_read_b64 v[118:119], v117
	v_mov_b32_e32 v120, s0
	s_add_i32 s0, s0, 1
	v_add_u32_e32 v117, 8, v117
	s_cmp_lg_u32 s18, s0
	s_waitcnt lgkmcnt(0)
	v_cmp_lt_f64_e64 vcc, |v[108:109]|, |v[118:119]|
	v_cndmask_b32_e32 v109, v109, v119, vcc
	v_cndmask_b32_e32 v108, v108, v118, vcc
	;; [unrolled: 1-line block ×3, first 2 shown]
	s_cbranch_scc1 .LBB102_677
.LBB102_678:
	s_waitcnt lgkmcnt(0)
	v_cmp_eq_f64_e32 vcc, 0, v[108:109]
	s_and_saveexec_b64 s[0:1], vcc
	s_xor_b64 s[0:1], exec, s[0:1]
; %bb.679:
	v_cmp_ne_u32_e32 vcc, 0, v116
	v_cndmask_b32_e32 v116, 41, v116, vcc
; %bb.680:
	s_andn2_saveexec_b64 s[0:1], s[0:1]
; %bb.681:
	v_div_scale_f64 v[118:119], s[2:3], v[108:109], v[108:109], 1.0
	v_rcp_f64_e32 v[120:121], v[118:119]
	v_div_scale_f64 v[122:123], vcc, 1.0, v[108:109], 1.0
	v_fma_f64 v[124:125], -v[118:119], v[120:121], 1.0
	v_fmac_f64_e32 v[120:121], v[120:121], v[124:125]
	v_fma_f64 v[124:125], -v[118:119], v[120:121], 1.0
	v_fmac_f64_e32 v[120:121], v[120:121], v[124:125]
	v_mul_f64 v[124:125], v[122:123], v[120:121]
	v_fma_f64 v[118:119], -v[118:119], v[124:125], v[122:123]
	v_div_fmas_f64 v[118:119], v[118:119], v[120:121], v[124:125]
	v_div_fixup_f64 v[108:109], v[118:119], v[108:109], 1.0
; %bb.682:
	s_or_b64 exec, exec, s[0:1]
	v_cmp_ne_u32_e32 vcc, v113, v110
	s_and_saveexec_b64 s[0:1], vcc
	s_xor_b64 s[0:1], exec, s[0:1]
	s_cbranch_execz .LBB102_688
; %bb.683:
	v_cmp_eq_u32_e32 vcc, 40, v113
	s_and_saveexec_b64 s[2:3], vcc
	s_cbranch_execz .LBB102_687
; %bb.684:
	v_cmp_ne_u32_e32 vcc, 40, v110
	s_xor_b64 s[14:15], s[6:7], -1
	s_and_b64 s[16:17], s[14:15], vcc
	s_and_saveexec_b64 s[14:15], s[16:17]
	s_cbranch_execz .LBB102_686
; %bb.685:
	v_ashrrev_i32_e32 v111, 31, v110
	v_lshlrev_b64 v[118:119], 2, v[110:111]
	v_add_co_u32_e32 v118, vcc, v4, v118
	v_addc_co_u32_e32 v119, vcc, v5, v119, vcc
	flat_load_dword v111, v[118:119]
	flat_load_dword v113, v[4:5] offset:160
	s_waitcnt vmcnt(0) lgkmcnt(0)
	flat_store_dword v[4:5], v111 offset:160
	flat_store_dword v[118:119], v113
.LBB102_686:
	s_or_b64 exec, exec, s[14:15]
	v_mov_b32_e32 v111, v110
	v_mov_b32_e32 v113, v110
.LBB102_687:
	s_or_b64 exec, exec, s[2:3]
.LBB102_688:
	s_andn2_saveexec_b64 s[0:1], s[0:1]
	s_cbranch_execz .LBB102_690
; %bb.689:
	v_mov_b32_e32 v113, 40
	ds_write2_b64 v112, v[22:23], v[20:21] offset0:41 offset1:42
	ds_write2_b64 v112, v[18:19], v[16:17] offset0:43 offset1:44
	ds_write2_b64 v112, v[14:15], v[12:13] offset0:45 offset1:46
	ds_write2_b64 v112, v[10:11], v[8:9] offset0:47 offset1:48
	ds_write2_b64 v112, v[6:7], v[0:1] offset0:49 offset1:50
	ds_write_b64 v112, v[106:107] offset:408
.LBB102_690:
	s_or_b64 exec, exec, s[0:1]
	v_cmp_lt_i32_e32 vcc, 40, v113
	s_waitcnt lgkmcnt(0)
	s_barrier
	s_and_saveexec_b64 s[0:1], vcc
	s_cbranch_execz .LBB102_692
; %bb.691:
	ds_read2_b64 v[118:121], v112 offset0:41 offset1:42
	ds_read2_b64 v[122:125], v112 offset0:43 offset1:44
	v_mul_f64 v[24:25], v[108:109], v[24:25]
	ds_read2_b64 v[126:129], v112 offset0:45 offset1:46
	ds_read_b64 v[108:109], v112 offset:408
	s_waitcnt lgkmcnt(0)
	v_fma_f64 v[22:23], -v[24:25], v[118:119], v[22:23]
	v_fma_f64 v[20:21], -v[24:25], v[120:121], v[20:21]
	ds_read2_b64 v[118:121], v112 offset0:47 offset1:48
	v_fma_f64 v[18:19], -v[24:25], v[122:123], v[18:19]
	v_fma_f64 v[16:17], -v[24:25], v[124:125], v[16:17]
	ds_read2_b64 v[122:125], v112 offset0:49 offset1:50
	v_fma_f64 v[14:15], -v[24:25], v[126:127], v[14:15]
	v_fma_f64 v[12:13], -v[24:25], v[128:129], v[12:13]
	s_waitcnt lgkmcnt(0)
	v_fma_f64 v[10:11], -v[24:25], v[118:119], v[10:11]
	v_fma_f64 v[8:9], -v[24:25], v[120:121], v[8:9]
	;; [unrolled: 1-line block ×5, first 2 shown]
.LBB102_692:
	s_or_b64 exec, exec, s[0:1]
	v_lshl_add_u32 v108, v113, 3, v112
	s_barrier
	ds_write_b64 v108, v[22:23]
	s_waitcnt lgkmcnt(0)
	s_barrier
	ds_read_b64 v[108:109], v112 offset:328
	s_cmp_lt_i32 s18, 43
	v_mov_b32_e32 v110, 41
	s_cbranch_scc1 .LBB102_695
; %bb.693:
	v_add_u32_e32 v117, 0x150, v112
	s_mov_b32 s0, 42
	v_mov_b32_e32 v110, 41
.LBB102_694:                            ; =>This Inner Loop Header: Depth=1
	ds_read_b64 v[118:119], v117
	v_mov_b32_e32 v120, s0
	s_add_i32 s0, s0, 1
	v_add_u32_e32 v117, 8, v117
	s_cmp_lg_u32 s18, s0
	s_waitcnt lgkmcnt(0)
	v_cmp_lt_f64_e64 vcc, |v[108:109]|, |v[118:119]|
	v_cndmask_b32_e32 v109, v109, v119, vcc
	v_cndmask_b32_e32 v108, v108, v118, vcc
	;; [unrolled: 1-line block ×3, first 2 shown]
	s_cbranch_scc1 .LBB102_694
.LBB102_695:
	s_waitcnt lgkmcnt(0)
	v_cmp_eq_f64_e32 vcc, 0, v[108:109]
	s_and_saveexec_b64 s[0:1], vcc
	s_xor_b64 s[0:1], exec, s[0:1]
; %bb.696:
	v_cmp_ne_u32_e32 vcc, 0, v116
	v_cndmask_b32_e32 v116, 42, v116, vcc
; %bb.697:
	s_andn2_saveexec_b64 s[0:1], s[0:1]
; %bb.698:
	v_div_scale_f64 v[118:119], s[2:3], v[108:109], v[108:109], 1.0
	v_rcp_f64_e32 v[120:121], v[118:119]
	v_div_scale_f64 v[122:123], vcc, 1.0, v[108:109], 1.0
	v_fma_f64 v[124:125], -v[118:119], v[120:121], 1.0
	v_fmac_f64_e32 v[120:121], v[120:121], v[124:125]
	v_fma_f64 v[124:125], -v[118:119], v[120:121], 1.0
	v_fmac_f64_e32 v[120:121], v[120:121], v[124:125]
	v_mul_f64 v[124:125], v[122:123], v[120:121]
	v_fma_f64 v[118:119], -v[118:119], v[124:125], v[122:123]
	v_div_fmas_f64 v[118:119], v[118:119], v[120:121], v[124:125]
	v_div_fixup_f64 v[108:109], v[118:119], v[108:109], 1.0
; %bb.699:
	s_or_b64 exec, exec, s[0:1]
	v_cmp_ne_u32_e32 vcc, v113, v110
	s_and_saveexec_b64 s[0:1], vcc
	s_xor_b64 s[0:1], exec, s[0:1]
	s_cbranch_execz .LBB102_705
; %bb.700:
	v_cmp_eq_u32_e32 vcc, 41, v113
	s_and_saveexec_b64 s[2:3], vcc
	s_cbranch_execz .LBB102_704
; %bb.701:
	v_cmp_ne_u32_e32 vcc, 41, v110
	s_xor_b64 s[14:15], s[6:7], -1
	s_and_b64 s[16:17], s[14:15], vcc
	s_and_saveexec_b64 s[14:15], s[16:17]
	s_cbranch_execz .LBB102_703
; %bb.702:
	v_ashrrev_i32_e32 v111, 31, v110
	v_lshlrev_b64 v[118:119], 2, v[110:111]
	v_add_co_u32_e32 v118, vcc, v4, v118
	v_addc_co_u32_e32 v119, vcc, v5, v119, vcc
	flat_load_dword v111, v[118:119]
	flat_load_dword v113, v[4:5] offset:164
	s_waitcnt vmcnt(0) lgkmcnt(0)
	flat_store_dword v[4:5], v111 offset:164
	flat_store_dword v[118:119], v113
.LBB102_703:
	s_or_b64 exec, exec, s[14:15]
	v_mov_b32_e32 v111, v110
	v_mov_b32_e32 v113, v110
.LBB102_704:
	s_or_b64 exec, exec, s[2:3]
.LBB102_705:
	s_andn2_saveexec_b64 s[0:1], s[0:1]
	s_cbranch_execz .LBB102_707
; %bb.706:
	v_mov_b32_e32 v118, v20
	v_mov_b32_e32 v119, v21
	v_mov_b32_e32 v120, v18
	v_mov_b32_e32 v121, v19
	ds_write2_b64 v112, v[118:119], v[120:121] offset0:42 offset1:43
	v_mov_b32_e32 v118, v16
	v_mov_b32_e32 v119, v17
	v_mov_b32_e32 v120, v14
	v_mov_b32_e32 v121, v15
	ds_write2_b64 v112, v[118:119], v[120:121] offset0:44 offset1:45
	;; [unrolled: 5-line block ×4, first 2 shown]
	v_mov_b32_e32 v118, v0
	v_mov_b32_e32 v119, v1
	;; [unrolled: 1-line block ×3, first 2 shown]
	ds_write2_b64 v112, v[118:119], v[106:107] offset0:50 offset1:51
.LBB102_707:
	s_or_b64 exec, exec, s[0:1]
	v_cmp_lt_i32_e32 vcc, 41, v113
	s_waitcnt lgkmcnt(0)
	s_barrier
	s_and_saveexec_b64 s[0:1], vcc
	s_cbranch_execz .LBB102_709
; %bb.708:
	ds_read2_b64 v[118:121], v112 offset0:42 offset1:43
	ds_read2_b64 v[122:125], v112 offset0:44 offset1:45
	v_mul_f64 v[22:23], v[108:109], v[22:23]
	ds_read2_b64 v[126:129], v112 offset0:48 offset1:49
	s_waitcnt lgkmcnt(0)
	v_fma_f64 v[20:21], -v[22:23], v[118:119], v[20:21]
	v_fma_f64 v[18:19], -v[22:23], v[120:121], v[18:19]
	ds_read2_b64 v[118:121], v112 offset0:46 offset1:47
	v_fma_f64 v[16:17], -v[22:23], v[122:123], v[16:17]
	v_fma_f64 v[14:15], -v[22:23], v[124:125], v[14:15]
	ds_read2_b64 v[122:125], v112 offset0:50 offset1:51
	v_fma_f64 v[8:9], -v[22:23], v[126:127], v[8:9]
	s_waitcnt lgkmcnt(0)
	v_fma_f64 v[12:13], -v[22:23], v[118:119], v[12:13]
	v_fma_f64 v[10:11], -v[22:23], v[120:121], v[10:11]
	;; [unrolled: 1-line block ×5, first 2 shown]
.LBB102_709:
	s_or_b64 exec, exec, s[0:1]
	v_lshl_add_u32 v108, v113, 3, v112
	s_barrier
	ds_write_b64 v108, v[20:21]
	s_waitcnt lgkmcnt(0)
	s_barrier
	ds_read_b64 v[108:109], v112 offset:336
	s_cmp_lt_i32 s18, 44
	v_mov_b32_e32 v110, 42
	s_cbranch_scc1 .LBB102_712
; %bb.710:
	v_add_u32_e32 v117, 0x158, v112
	s_mov_b32 s0, 43
	v_mov_b32_e32 v110, 42
.LBB102_711:                            ; =>This Inner Loop Header: Depth=1
	ds_read_b64 v[118:119], v117
	v_mov_b32_e32 v120, s0
	s_add_i32 s0, s0, 1
	v_add_u32_e32 v117, 8, v117
	s_cmp_lg_u32 s18, s0
	s_waitcnt lgkmcnt(0)
	v_cmp_lt_f64_e64 vcc, |v[108:109]|, |v[118:119]|
	v_cndmask_b32_e32 v109, v109, v119, vcc
	v_cndmask_b32_e32 v108, v108, v118, vcc
	;; [unrolled: 1-line block ×3, first 2 shown]
	s_cbranch_scc1 .LBB102_711
.LBB102_712:
	s_waitcnt lgkmcnt(0)
	v_cmp_eq_f64_e32 vcc, 0, v[108:109]
	s_and_saveexec_b64 s[0:1], vcc
	s_xor_b64 s[0:1], exec, s[0:1]
; %bb.713:
	v_cmp_ne_u32_e32 vcc, 0, v116
	v_cndmask_b32_e32 v116, 43, v116, vcc
; %bb.714:
	s_andn2_saveexec_b64 s[0:1], s[0:1]
; %bb.715:
	v_div_scale_f64 v[118:119], s[2:3], v[108:109], v[108:109], 1.0
	v_rcp_f64_e32 v[120:121], v[118:119]
	v_div_scale_f64 v[122:123], vcc, 1.0, v[108:109], 1.0
	v_fma_f64 v[124:125], -v[118:119], v[120:121], 1.0
	v_fmac_f64_e32 v[120:121], v[120:121], v[124:125]
	v_fma_f64 v[124:125], -v[118:119], v[120:121], 1.0
	v_fmac_f64_e32 v[120:121], v[120:121], v[124:125]
	v_mul_f64 v[124:125], v[122:123], v[120:121]
	v_fma_f64 v[118:119], -v[118:119], v[124:125], v[122:123]
	v_div_fmas_f64 v[118:119], v[118:119], v[120:121], v[124:125]
	v_div_fixup_f64 v[108:109], v[118:119], v[108:109], 1.0
; %bb.716:
	s_or_b64 exec, exec, s[0:1]
	v_cmp_ne_u32_e32 vcc, v113, v110
	s_and_saveexec_b64 s[0:1], vcc
	s_xor_b64 s[0:1], exec, s[0:1]
	s_cbranch_execz .LBB102_722
; %bb.717:
	v_cmp_eq_u32_e32 vcc, 42, v113
	s_and_saveexec_b64 s[2:3], vcc
	s_cbranch_execz .LBB102_721
; %bb.718:
	v_cmp_ne_u32_e32 vcc, 42, v110
	s_xor_b64 s[14:15], s[6:7], -1
	s_and_b64 s[16:17], s[14:15], vcc
	s_and_saveexec_b64 s[14:15], s[16:17]
	s_cbranch_execz .LBB102_720
; %bb.719:
	v_ashrrev_i32_e32 v111, 31, v110
	v_lshlrev_b64 v[118:119], 2, v[110:111]
	v_add_co_u32_e32 v118, vcc, v4, v118
	v_addc_co_u32_e32 v119, vcc, v5, v119, vcc
	flat_load_dword v111, v[118:119]
	flat_load_dword v113, v[4:5] offset:168
	s_waitcnt vmcnt(0) lgkmcnt(0)
	flat_store_dword v[4:5], v111 offset:168
	flat_store_dword v[118:119], v113
.LBB102_720:
	s_or_b64 exec, exec, s[14:15]
	v_mov_b32_e32 v111, v110
	v_mov_b32_e32 v113, v110
.LBB102_721:
	s_or_b64 exec, exec, s[2:3]
.LBB102_722:
	s_andn2_saveexec_b64 s[0:1], s[0:1]
	s_cbranch_execz .LBB102_724
; %bb.723:
	v_mov_b32_e32 v113, 42
	ds_write2_b64 v112, v[18:19], v[16:17] offset0:43 offset1:44
	ds_write2_b64 v112, v[14:15], v[12:13] offset0:45 offset1:46
	;; [unrolled: 1-line block ×4, first 2 shown]
	ds_write_b64 v112, v[106:107] offset:408
.LBB102_724:
	s_or_b64 exec, exec, s[0:1]
	v_cmp_lt_i32_e32 vcc, 42, v113
	s_waitcnt lgkmcnt(0)
	s_barrier
	s_and_saveexec_b64 s[0:1], vcc
	s_cbranch_execz .LBB102_726
; %bb.725:
	ds_read2_b64 v[118:121], v112 offset0:43 offset1:44
	ds_read2_b64 v[122:125], v112 offset0:45 offset1:46
	v_mul_f64 v[20:21], v[108:109], v[20:21]
	ds_read_b64 v[108:109], v112 offset:408
	ds_read2_b64 v[126:129], v112 offset0:49 offset1:50
	s_waitcnt lgkmcnt(0)
	v_fma_f64 v[18:19], -v[20:21], v[118:119], v[18:19]
	v_fma_f64 v[16:17], -v[20:21], v[120:121], v[16:17]
	ds_read2_b64 v[118:121], v112 offset0:47 offset1:48
	v_fma_f64 v[14:15], -v[20:21], v[122:123], v[14:15]
	v_fma_f64 v[12:13], -v[20:21], v[124:125], v[12:13]
	;; [unrolled: 1-line block ×4, first 2 shown]
	s_waitcnt lgkmcnt(0)
	v_fma_f64 v[10:11], -v[20:21], v[118:119], v[10:11]
	v_fma_f64 v[8:9], -v[20:21], v[120:121], v[8:9]
	;; [unrolled: 1-line block ×3, first 2 shown]
.LBB102_726:
	s_or_b64 exec, exec, s[0:1]
	v_lshl_add_u32 v108, v113, 3, v112
	s_barrier
	ds_write_b64 v108, v[18:19]
	s_waitcnt lgkmcnt(0)
	s_barrier
	ds_read_b64 v[108:109], v112 offset:344
	s_cmp_lt_i32 s18, 45
	v_mov_b32_e32 v110, 43
	s_cbranch_scc1 .LBB102_729
; %bb.727:
	v_add_u32_e32 v117, 0x160, v112
	s_mov_b32 s0, 44
	v_mov_b32_e32 v110, 43
.LBB102_728:                            ; =>This Inner Loop Header: Depth=1
	ds_read_b64 v[118:119], v117
	v_mov_b32_e32 v120, s0
	s_add_i32 s0, s0, 1
	v_add_u32_e32 v117, 8, v117
	s_cmp_lg_u32 s18, s0
	s_waitcnt lgkmcnt(0)
	v_cmp_lt_f64_e64 vcc, |v[108:109]|, |v[118:119]|
	v_cndmask_b32_e32 v109, v109, v119, vcc
	v_cndmask_b32_e32 v108, v108, v118, vcc
	;; [unrolled: 1-line block ×3, first 2 shown]
	s_cbranch_scc1 .LBB102_728
.LBB102_729:
	s_waitcnt lgkmcnt(0)
	v_cmp_eq_f64_e32 vcc, 0, v[108:109]
	s_and_saveexec_b64 s[0:1], vcc
	s_xor_b64 s[0:1], exec, s[0:1]
; %bb.730:
	v_cmp_ne_u32_e32 vcc, 0, v116
	v_cndmask_b32_e32 v116, 44, v116, vcc
; %bb.731:
	s_andn2_saveexec_b64 s[0:1], s[0:1]
; %bb.732:
	v_div_scale_f64 v[118:119], s[2:3], v[108:109], v[108:109], 1.0
	v_rcp_f64_e32 v[120:121], v[118:119]
	v_div_scale_f64 v[122:123], vcc, 1.0, v[108:109], 1.0
	v_fma_f64 v[124:125], -v[118:119], v[120:121], 1.0
	v_fmac_f64_e32 v[120:121], v[120:121], v[124:125]
	v_fma_f64 v[124:125], -v[118:119], v[120:121], 1.0
	v_fmac_f64_e32 v[120:121], v[120:121], v[124:125]
	v_mul_f64 v[124:125], v[122:123], v[120:121]
	v_fma_f64 v[118:119], -v[118:119], v[124:125], v[122:123]
	v_div_fmas_f64 v[118:119], v[118:119], v[120:121], v[124:125]
	v_div_fixup_f64 v[108:109], v[118:119], v[108:109], 1.0
; %bb.733:
	s_or_b64 exec, exec, s[0:1]
	v_cmp_ne_u32_e32 vcc, v113, v110
	s_and_saveexec_b64 s[0:1], vcc
	s_xor_b64 s[0:1], exec, s[0:1]
	s_cbranch_execz .LBB102_739
; %bb.734:
	v_cmp_eq_u32_e32 vcc, 43, v113
	s_and_saveexec_b64 s[2:3], vcc
	s_cbranch_execz .LBB102_738
; %bb.735:
	v_cmp_ne_u32_e32 vcc, 43, v110
	s_xor_b64 s[14:15], s[6:7], -1
	s_and_b64 s[16:17], s[14:15], vcc
	s_and_saveexec_b64 s[14:15], s[16:17]
	s_cbranch_execz .LBB102_737
; %bb.736:
	v_ashrrev_i32_e32 v111, 31, v110
	v_lshlrev_b64 v[118:119], 2, v[110:111]
	v_add_co_u32_e32 v118, vcc, v4, v118
	v_addc_co_u32_e32 v119, vcc, v5, v119, vcc
	flat_load_dword v111, v[118:119]
	flat_load_dword v113, v[4:5] offset:172
	s_waitcnt vmcnt(0) lgkmcnt(0)
	flat_store_dword v[4:5], v111 offset:172
	flat_store_dword v[118:119], v113
.LBB102_737:
	s_or_b64 exec, exec, s[14:15]
	v_mov_b32_e32 v111, v110
	v_mov_b32_e32 v113, v110
.LBB102_738:
	s_or_b64 exec, exec, s[2:3]
.LBB102_739:
	s_andn2_saveexec_b64 s[0:1], s[0:1]
	s_cbranch_execz .LBB102_741
; %bb.740:
	v_mov_b32_e32 v118, v16
	v_mov_b32_e32 v119, v17
	v_mov_b32_e32 v120, v14
	v_mov_b32_e32 v121, v15
	ds_write2_b64 v112, v[118:119], v[120:121] offset0:44 offset1:45
	v_mov_b32_e32 v118, v12
	v_mov_b32_e32 v119, v13
	v_mov_b32_e32 v120, v10
	v_mov_b32_e32 v121, v11
	ds_write2_b64 v112, v[118:119], v[120:121] offset0:46 offset1:47
	;; [unrolled: 5-line block ×3, first 2 shown]
	v_mov_b32_e32 v118, v0
	v_mov_b32_e32 v119, v1
	;; [unrolled: 1-line block ×3, first 2 shown]
	ds_write2_b64 v112, v[118:119], v[106:107] offset0:50 offset1:51
.LBB102_741:
	s_or_b64 exec, exec, s[0:1]
	v_cmp_lt_i32_e32 vcc, 43, v113
	s_waitcnt lgkmcnt(0)
	s_barrier
	s_and_saveexec_b64 s[0:1], vcc
	s_cbranch_execz .LBB102_743
; %bb.742:
	ds_read2_b64 v[118:121], v112 offset0:44 offset1:45
	ds_read2_b64 v[122:125], v112 offset0:46 offset1:47
	v_mul_f64 v[18:19], v[108:109], v[18:19]
	ds_read2_b64 v[126:129], v112 offset0:48 offset1:49
	s_waitcnt lgkmcnt(0)
	v_fma_f64 v[16:17], -v[18:19], v[118:119], v[16:17]
	v_fma_f64 v[14:15], -v[18:19], v[120:121], v[14:15]
	ds_read2_b64 v[118:121], v112 offset0:50 offset1:51
	v_fma_f64 v[12:13], -v[18:19], v[122:123], v[12:13]
	v_fma_f64 v[10:11], -v[18:19], v[124:125], v[10:11]
	;; [unrolled: 1-line block ×4, first 2 shown]
	s_waitcnt lgkmcnt(0)
	v_fma_f64 v[0:1], -v[18:19], v[118:119], v[0:1]
	v_fma_f64 v[106:107], -v[18:19], v[120:121], v[106:107]
.LBB102_743:
	s_or_b64 exec, exec, s[0:1]
	v_lshl_add_u32 v108, v113, 3, v112
	s_barrier
	ds_write_b64 v108, v[16:17]
	s_waitcnt lgkmcnt(0)
	s_barrier
	ds_read_b64 v[108:109], v112 offset:352
	s_cmp_lt_i32 s18, 46
	v_mov_b32_e32 v110, 44
	s_cbranch_scc1 .LBB102_746
; %bb.744:
	v_add_u32_e32 v117, 0x168, v112
	s_mov_b32 s0, 45
	v_mov_b32_e32 v110, 44
.LBB102_745:                            ; =>This Inner Loop Header: Depth=1
	ds_read_b64 v[118:119], v117
	v_mov_b32_e32 v120, s0
	s_add_i32 s0, s0, 1
	v_add_u32_e32 v117, 8, v117
	s_cmp_lg_u32 s18, s0
	s_waitcnt lgkmcnt(0)
	v_cmp_lt_f64_e64 vcc, |v[108:109]|, |v[118:119]|
	v_cndmask_b32_e32 v109, v109, v119, vcc
	v_cndmask_b32_e32 v108, v108, v118, vcc
	v_cndmask_b32_e32 v110, v110, v120, vcc
	s_cbranch_scc1 .LBB102_745
.LBB102_746:
	s_waitcnt lgkmcnt(0)
	v_cmp_eq_f64_e32 vcc, 0, v[108:109]
	s_and_saveexec_b64 s[0:1], vcc
	s_xor_b64 s[0:1], exec, s[0:1]
; %bb.747:
	v_cmp_ne_u32_e32 vcc, 0, v116
	v_cndmask_b32_e32 v116, 45, v116, vcc
; %bb.748:
	s_andn2_saveexec_b64 s[0:1], s[0:1]
; %bb.749:
	v_div_scale_f64 v[118:119], s[2:3], v[108:109], v[108:109], 1.0
	v_rcp_f64_e32 v[120:121], v[118:119]
	v_div_scale_f64 v[122:123], vcc, 1.0, v[108:109], 1.0
	v_fma_f64 v[124:125], -v[118:119], v[120:121], 1.0
	v_fmac_f64_e32 v[120:121], v[120:121], v[124:125]
	v_fma_f64 v[124:125], -v[118:119], v[120:121], 1.0
	v_fmac_f64_e32 v[120:121], v[120:121], v[124:125]
	v_mul_f64 v[124:125], v[122:123], v[120:121]
	v_fma_f64 v[118:119], -v[118:119], v[124:125], v[122:123]
	v_div_fmas_f64 v[118:119], v[118:119], v[120:121], v[124:125]
	v_div_fixup_f64 v[108:109], v[118:119], v[108:109], 1.0
; %bb.750:
	s_or_b64 exec, exec, s[0:1]
	v_cmp_ne_u32_e32 vcc, v113, v110
	s_and_saveexec_b64 s[0:1], vcc
	s_xor_b64 s[0:1], exec, s[0:1]
	s_cbranch_execz .LBB102_756
; %bb.751:
	v_cmp_eq_u32_e32 vcc, 44, v113
	s_and_saveexec_b64 s[2:3], vcc
	s_cbranch_execz .LBB102_755
; %bb.752:
	v_cmp_ne_u32_e32 vcc, 44, v110
	s_xor_b64 s[14:15], s[6:7], -1
	s_and_b64 s[16:17], s[14:15], vcc
	s_and_saveexec_b64 s[14:15], s[16:17]
	s_cbranch_execz .LBB102_754
; %bb.753:
	v_ashrrev_i32_e32 v111, 31, v110
	v_lshlrev_b64 v[118:119], 2, v[110:111]
	v_add_co_u32_e32 v118, vcc, v4, v118
	v_addc_co_u32_e32 v119, vcc, v5, v119, vcc
	flat_load_dword v111, v[118:119]
	flat_load_dword v113, v[4:5] offset:176
	s_waitcnt vmcnt(0) lgkmcnt(0)
	flat_store_dword v[4:5], v111 offset:176
	flat_store_dword v[118:119], v113
.LBB102_754:
	s_or_b64 exec, exec, s[14:15]
	v_mov_b32_e32 v111, v110
	v_mov_b32_e32 v113, v110
.LBB102_755:
	s_or_b64 exec, exec, s[2:3]
.LBB102_756:
	s_andn2_saveexec_b64 s[0:1], s[0:1]
	s_cbranch_execz .LBB102_758
; %bb.757:
	v_mov_b32_e32 v113, 44
	ds_write2_b64 v112, v[14:15], v[12:13] offset0:45 offset1:46
	ds_write2_b64 v112, v[10:11], v[8:9] offset0:47 offset1:48
	ds_write2_b64 v112, v[6:7], v[0:1] offset0:49 offset1:50
	ds_write_b64 v112, v[106:107] offset:408
.LBB102_758:
	s_or_b64 exec, exec, s[0:1]
	v_cmp_lt_i32_e32 vcc, 44, v113
	s_waitcnt lgkmcnt(0)
	s_barrier
	s_and_saveexec_b64 s[0:1], vcc
	s_cbranch_execz .LBB102_760
; %bb.759:
	ds_read2_b64 v[118:121], v112 offset0:45 offset1:46
	ds_read2_b64 v[122:125], v112 offset0:47 offset1:48
	v_mul_f64 v[16:17], v[108:109], v[16:17]
	ds_read2_b64 v[126:129], v112 offset0:49 offset1:50
	ds_read_b64 v[108:109], v112 offset:408
	s_waitcnt lgkmcnt(0)
	v_fma_f64 v[14:15], -v[16:17], v[118:119], v[14:15]
	v_fma_f64 v[12:13], -v[16:17], v[120:121], v[12:13]
	;; [unrolled: 1-line block ×7, first 2 shown]
.LBB102_760:
	s_or_b64 exec, exec, s[0:1]
	v_lshl_add_u32 v108, v113, 3, v112
	s_barrier
	ds_write_b64 v108, v[14:15]
	s_waitcnt lgkmcnt(0)
	s_barrier
	ds_read_b64 v[108:109], v112 offset:360
	s_cmp_lt_i32 s18, 47
	v_mov_b32_e32 v110, 45
	s_cbranch_scc1 .LBB102_763
; %bb.761:
	v_add_u32_e32 v117, 0x170, v112
	s_mov_b32 s0, 46
	v_mov_b32_e32 v110, 45
.LBB102_762:                            ; =>This Inner Loop Header: Depth=1
	ds_read_b64 v[118:119], v117
	v_mov_b32_e32 v120, s0
	s_add_i32 s0, s0, 1
	v_add_u32_e32 v117, 8, v117
	s_cmp_lg_u32 s18, s0
	s_waitcnt lgkmcnt(0)
	v_cmp_lt_f64_e64 vcc, |v[108:109]|, |v[118:119]|
	v_cndmask_b32_e32 v109, v109, v119, vcc
	v_cndmask_b32_e32 v108, v108, v118, vcc
	;; [unrolled: 1-line block ×3, first 2 shown]
	s_cbranch_scc1 .LBB102_762
.LBB102_763:
	s_waitcnt lgkmcnt(0)
	v_cmp_eq_f64_e32 vcc, 0, v[108:109]
	s_and_saveexec_b64 s[0:1], vcc
	s_xor_b64 s[0:1], exec, s[0:1]
; %bb.764:
	v_cmp_ne_u32_e32 vcc, 0, v116
	v_cndmask_b32_e32 v116, 46, v116, vcc
; %bb.765:
	s_andn2_saveexec_b64 s[0:1], s[0:1]
; %bb.766:
	v_div_scale_f64 v[118:119], s[2:3], v[108:109], v[108:109], 1.0
	v_rcp_f64_e32 v[120:121], v[118:119]
	v_div_scale_f64 v[122:123], vcc, 1.0, v[108:109], 1.0
	v_fma_f64 v[124:125], -v[118:119], v[120:121], 1.0
	v_fmac_f64_e32 v[120:121], v[120:121], v[124:125]
	v_fma_f64 v[124:125], -v[118:119], v[120:121], 1.0
	v_fmac_f64_e32 v[120:121], v[120:121], v[124:125]
	v_mul_f64 v[124:125], v[122:123], v[120:121]
	v_fma_f64 v[118:119], -v[118:119], v[124:125], v[122:123]
	v_div_fmas_f64 v[118:119], v[118:119], v[120:121], v[124:125]
	v_div_fixup_f64 v[108:109], v[118:119], v[108:109], 1.0
; %bb.767:
	s_or_b64 exec, exec, s[0:1]
	v_cmp_ne_u32_e32 vcc, v113, v110
	s_and_saveexec_b64 s[0:1], vcc
	s_xor_b64 s[0:1], exec, s[0:1]
	s_cbranch_execz .LBB102_773
; %bb.768:
	v_cmp_eq_u32_e32 vcc, 45, v113
	s_and_saveexec_b64 s[2:3], vcc
	s_cbranch_execz .LBB102_772
; %bb.769:
	v_cmp_ne_u32_e32 vcc, 45, v110
	s_xor_b64 s[14:15], s[6:7], -1
	s_and_b64 s[16:17], s[14:15], vcc
	s_and_saveexec_b64 s[14:15], s[16:17]
	s_cbranch_execz .LBB102_771
; %bb.770:
	v_ashrrev_i32_e32 v111, 31, v110
	v_lshlrev_b64 v[118:119], 2, v[110:111]
	v_add_co_u32_e32 v118, vcc, v4, v118
	v_addc_co_u32_e32 v119, vcc, v5, v119, vcc
	flat_load_dword v111, v[118:119]
	flat_load_dword v113, v[4:5] offset:180
	s_waitcnt vmcnt(0) lgkmcnt(0)
	flat_store_dword v[4:5], v111 offset:180
	flat_store_dword v[118:119], v113
.LBB102_771:
	s_or_b64 exec, exec, s[14:15]
	v_mov_b32_e32 v111, v110
	v_mov_b32_e32 v113, v110
.LBB102_772:
	s_or_b64 exec, exec, s[2:3]
.LBB102_773:
	s_andn2_saveexec_b64 s[0:1], s[0:1]
	s_cbranch_execz .LBB102_775
; %bb.774:
	v_mov_b32_e32 v118, v12
	v_mov_b32_e32 v119, v13
	v_mov_b32_e32 v120, v10
	v_mov_b32_e32 v121, v11
	ds_write2_b64 v112, v[118:119], v[120:121] offset0:46 offset1:47
	v_mov_b32_e32 v118, v8
	v_mov_b32_e32 v119, v9
	;; [unrolled: 1-line block ×4, first 2 shown]
	ds_write2_b64 v112, v[118:119], v[120:121] offset0:48 offset1:49
	v_mov_b32_e32 v118, v0
	v_mov_b32_e32 v119, v1
	;; [unrolled: 1-line block ×3, first 2 shown]
	ds_write2_b64 v112, v[118:119], v[106:107] offset0:50 offset1:51
.LBB102_775:
	s_or_b64 exec, exec, s[0:1]
	v_cmp_lt_i32_e32 vcc, 45, v113
	s_waitcnt lgkmcnt(0)
	s_barrier
	s_and_saveexec_b64 s[0:1], vcc
	s_cbranch_execz .LBB102_777
; %bb.776:
	ds_read2_b64 v[118:121], v112 offset0:46 offset1:47
	ds_read2_b64 v[122:125], v112 offset0:48 offset1:49
	;; [unrolled: 1-line block ×3, first 2 shown]
	v_mul_f64 v[14:15], v[108:109], v[14:15]
	s_waitcnt lgkmcnt(0)
	v_fma_f64 v[12:13], -v[14:15], v[118:119], v[12:13]
	v_fma_f64 v[10:11], -v[14:15], v[120:121], v[10:11]
	;; [unrolled: 1-line block ×6, first 2 shown]
.LBB102_777:
	s_or_b64 exec, exec, s[0:1]
	v_lshl_add_u32 v108, v113, 3, v112
	s_barrier
	ds_write_b64 v108, v[12:13]
	s_waitcnt lgkmcnt(0)
	s_barrier
	ds_read_b64 v[108:109], v112 offset:368
	s_cmp_lt_i32 s18, 48
	v_mov_b32_e32 v110, 46
	s_cbranch_scc1 .LBB102_780
; %bb.778:
	v_add_u32_e32 v117, 0x178, v112
	s_mov_b32 s0, 47
	v_mov_b32_e32 v110, 46
.LBB102_779:                            ; =>This Inner Loop Header: Depth=1
	ds_read_b64 v[118:119], v117
	v_mov_b32_e32 v120, s0
	s_add_i32 s0, s0, 1
	v_add_u32_e32 v117, 8, v117
	s_cmp_lg_u32 s18, s0
	s_waitcnt lgkmcnt(0)
	v_cmp_lt_f64_e64 vcc, |v[108:109]|, |v[118:119]|
	v_cndmask_b32_e32 v109, v109, v119, vcc
	v_cndmask_b32_e32 v108, v108, v118, vcc
	;; [unrolled: 1-line block ×3, first 2 shown]
	s_cbranch_scc1 .LBB102_779
.LBB102_780:
	s_waitcnt lgkmcnt(0)
	v_cmp_eq_f64_e32 vcc, 0, v[108:109]
	s_and_saveexec_b64 s[0:1], vcc
	s_xor_b64 s[0:1], exec, s[0:1]
; %bb.781:
	v_cmp_ne_u32_e32 vcc, 0, v116
	v_cndmask_b32_e32 v116, 47, v116, vcc
; %bb.782:
	s_andn2_saveexec_b64 s[0:1], s[0:1]
; %bb.783:
	v_div_scale_f64 v[118:119], s[2:3], v[108:109], v[108:109], 1.0
	v_rcp_f64_e32 v[120:121], v[118:119]
	v_div_scale_f64 v[122:123], vcc, 1.0, v[108:109], 1.0
	v_fma_f64 v[124:125], -v[118:119], v[120:121], 1.0
	v_fmac_f64_e32 v[120:121], v[120:121], v[124:125]
	v_fma_f64 v[124:125], -v[118:119], v[120:121], 1.0
	v_fmac_f64_e32 v[120:121], v[120:121], v[124:125]
	v_mul_f64 v[124:125], v[122:123], v[120:121]
	v_fma_f64 v[118:119], -v[118:119], v[124:125], v[122:123]
	v_div_fmas_f64 v[118:119], v[118:119], v[120:121], v[124:125]
	v_div_fixup_f64 v[108:109], v[118:119], v[108:109], 1.0
; %bb.784:
	s_or_b64 exec, exec, s[0:1]
	v_cmp_ne_u32_e32 vcc, v113, v110
	s_and_saveexec_b64 s[0:1], vcc
	s_xor_b64 s[0:1], exec, s[0:1]
	s_cbranch_execz .LBB102_790
; %bb.785:
	v_cmp_eq_u32_e32 vcc, 46, v113
	s_and_saveexec_b64 s[2:3], vcc
	s_cbranch_execz .LBB102_789
; %bb.786:
	v_cmp_ne_u32_e32 vcc, 46, v110
	s_xor_b64 s[14:15], s[6:7], -1
	s_and_b64 s[16:17], s[14:15], vcc
	s_and_saveexec_b64 s[14:15], s[16:17]
	s_cbranch_execz .LBB102_788
; %bb.787:
	v_ashrrev_i32_e32 v111, 31, v110
	v_lshlrev_b64 v[118:119], 2, v[110:111]
	v_add_co_u32_e32 v118, vcc, v4, v118
	v_addc_co_u32_e32 v119, vcc, v5, v119, vcc
	flat_load_dword v111, v[118:119]
	flat_load_dword v113, v[4:5] offset:184
	s_waitcnt vmcnt(0) lgkmcnt(0)
	flat_store_dword v[4:5], v111 offset:184
	flat_store_dword v[118:119], v113
.LBB102_788:
	s_or_b64 exec, exec, s[14:15]
	v_mov_b32_e32 v111, v110
	v_mov_b32_e32 v113, v110
.LBB102_789:
	s_or_b64 exec, exec, s[2:3]
.LBB102_790:
	s_andn2_saveexec_b64 s[0:1], s[0:1]
	s_cbranch_execz .LBB102_792
; %bb.791:
	v_mov_b32_e32 v113, 46
	ds_write2_b64 v112, v[10:11], v[8:9] offset0:47 offset1:48
	ds_write2_b64 v112, v[6:7], v[0:1] offset0:49 offset1:50
	ds_write_b64 v112, v[106:107] offset:408
.LBB102_792:
	s_or_b64 exec, exec, s[0:1]
	v_cmp_lt_i32_e32 vcc, 46, v113
	s_waitcnt lgkmcnt(0)
	s_barrier
	s_and_saveexec_b64 s[0:1], vcc
	s_cbranch_execz .LBB102_794
; %bb.793:
	ds_read2_b64 v[118:121], v112 offset0:47 offset1:48
	ds_read2_b64 v[122:125], v112 offset0:49 offset1:50
	v_mul_f64 v[12:13], v[108:109], v[12:13]
	ds_read_b64 v[108:109], v112 offset:408
	s_waitcnt lgkmcnt(0)
	v_fma_f64 v[10:11], -v[12:13], v[118:119], v[10:11]
	v_fma_f64 v[8:9], -v[12:13], v[120:121], v[8:9]
	;; [unrolled: 1-line block ×5, first 2 shown]
.LBB102_794:
	s_or_b64 exec, exec, s[0:1]
	v_lshl_add_u32 v108, v113, 3, v112
	s_barrier
	ds_write_b64 v108, v[10:11]
	s_waitcnt lgkmcnt(0)
	s_barrier
	ds_read_b64 v[108:109], v112 offset:376
	s_cmp_lt_i32 s18, 49
	v_mov_b32_e32 v110, 47
	s_cbranch_scc1 .LBB102_797
; %bb.795:
	v_add_u32_e32 v117, 0x180, v112
	s_mov_b32 s0, 48
	v_mov_b32_e32 v110, 47
.LBB102_796:                            ; =>This Inner Loop Header: Depth=1
	ds_read_b64 v[118:119], v117
	v_mov_b32_e32 v120, s0
	s_add_i32 s0, s0, 1
	v_add_u32_e32 v117, 8, v117
	s_cmp_lg_u32 s18, s0
	s_waitcnt lgkmcnt(0)
	v_cmp_lt_f64_e64 vcc, |v[108:109]|, |v[118:119]|
	v_cndmask_b32_e32 v109, v109, v119, vcc
	v_cndmask_b32_e32 v108, v108, v118, vcc
	;; [unrolled: 1-line block ×3, first 2 shown]
	s_cbranch_scc1 .LBB102_796
.LBB102_797:
	s_waitcnt lgkmcnt(0)
	v_cmp_eq_f64_e32 vcc, 0, v[108:109]
	s_and_saveexec_b64 s[0:1], vcc
	s_xor_b64 s[0:1], exec, s[0:1]
; %bb.798:
	v_cmp_ne_u32_e32 vcc, 0, v116
	v_cndmask_b32_e32 v116, 48, v116, vcc
; %bb.799:
	s_andn2_saveexec_b64 s[0:1], s[0:1]
; %bb.800:
	v_div_scale_f64 v[118:119], s[2:3], v[108:109], v[108:109], 1.0
	v_rcp_f64_e32 v[120:121], v[118:119]
	v_div_scale_f64 v[122:123], vcc, 1.0, v[108:109], 1.0
	v_fma_f64 v[124:125], -v[118:119], v[120:121], 1.0
	v_fmac_f64_e32 v[120:121], v[120:121], v[124:125]
	v_fma_f64 v[124:125], -v[118:119], v[120:121], 1.0
	v_fmac_f64_e32 v[120:121], v[120:121], v[124:125]
	v_mul_f64 v[124:125], v[122:123], v[120:121]
	v_fma_f64 v[118:119], -v[118:119], v[124:125], v[122:123]
	v_div_fmas_f64 v[118:119], v[118:119], v[120:121], v[124:125]
	v_div_fixup_f64 v[108:109], v[118:119], v[108:109], 1.0
; %bb.801:
	s_or_b64 exec, exec, s[0:1]
	v_cmp_ne_u32_e32 vcc, v113, v110
	s_and_saveexec_b64 s[0:1], vcc
	s_xor_b64 s[0:1], exec, s[0:1]
	s_cbranch_execz .LBB102_807
; %bb.802:
	v_cmp_eq_u32_e32 vcc, 47, v113
	s_and_saveexec_b64 s[2:3], vcc
	s_cbranch_execz .LBB102_806
; %bb.803:
	v_cmp_ne_u32_e32 vcc, 47, v110
	s_xor_b64 s[14:15], s[6:7], -1
	s_and_b64 s[16:17], s[14:15], vcc
	s_and_saveexec_b64 s[14:15], s[16:17]
	s_cbranch_execz .LBB102_805
; %bb.804:
	v_ashrrev_i32_e32 v111, 31, v110
	v_lshlrev_b64 v[118:119], 2, v[110:111]
	v_add_co_u32_e32 v118, vcc, v4, v118
	v_addc_co_u32_e32 v119, vcc, v5, v119, vcc
	flat_load_dword v111, v[118:119]
	flat_load_dword v113, v[4:5] offset:188
	s_waitcnt vmcnt(0) lgkmcnt(0)
	flat_store_dword v[4:5], v111 offset:188
	flat_store_dword v[118:119], v113
.LBB102_805:
	s_or_b64 exec, exec, s[14:15]
	v_mov_b32_e32 v111, v110
	v_mov_b32_e32 v113, v110
.LBB102_806:
	s_or_b64 exec, exec, s[2:3]
.LBB102_807:
	s_andn2_saveexec_b64 s[0:1], s[0:1]
	s_cbranch_execz .LBB102_809
; %bb.808:
	v_mov_b32_e32 v118, v8
	v_mov_b32_e32 v119, v9
	;; [unrolled: 1-line block ×4, first 2 shown]
	ds_write2_b64 v112, v[118:119], v[120:121] offset0:48 offset1:49
	v_mov_b32_e32 v118, v0
	v_mov_b32_e32 v119, v1
	;; [unrolled: 1-line block ×3, first 2 shown]
	ds_write2_b64 v112, v[118:119], v[106:107] offset0:50 offset1:51
.LBB102_809:
	s_or_b64 exec, exec, s[0:1]
	v_cmp_lt_i32_e32 vcc, 47, v113
	s_waitcnt lgkmcnt(0)
	s_barrier
	s_and_saveexec_b64 s[0:1], vcc
	s_cbranch_execz .LBB102_811
; %bb.810:
	ds_read2_b64 v[118:121], v112 offset0:48 offset1:49
	ds_read2_b64 v[122:125], v112 offset0:50 offset1:51
	v_mul_f64 v[10:11], v[108:109], v[10:11]
	s_waitcnt lgkmcnt(0)
	v_fma_f64 v[8:9], -v[10:11], v[118:119], v[8:9]
	v_fma_f64 v[6:7], -v[10:11], v[120:121], v[6:7]
	;; [unrolled: 1-line block ×4, first 2 shown]
.LBB102_811:
	s_or_b64 exec, exec, s[0:1]
	v_lshl_add_u32 v108, v113, 3, v112
	s_barrier
	ds_write_b64 v108, v[8:9]
	s_waitcnt lgkmcnt(0)
	s_barrier
	ds_read_b64 v[108:109], v112 offset:384
	s_cmp_lt_i32 s18, 50
	v_mov_b32_e32 v110, 48
	s_cbranch_scc1 .LBB102_814
; %bb.812:
	v_add_u32_e32 v117, 0x188, v112
	s_mov_b32 s0, 49
	v_mov_b32_e32 v110, 48
.LBB102_813:                            ; =>This Inner Loop Header: Depth=1
	ds_read_b64 v[118:119], v117
	v_mov_b32_e32 v120, s0
	s_add_i32 s0, s0, 1
	v_add_u32_e32 v117, 8, v117
	s_cmp_lg_u32 s18, s0
	s_waitcnt lgkmcnt(0)
	v_cmp_lt_f64_e64 vcc, |v[108:109]|, |v[118:119]|
	v_cndmask_b32_e32 v109, v109, v119, vcc
	v_cndmask_b32_e32 v108, v108, v118, vcc
	;; [unrolled: 1-line block ×3, first 2 shown]
	s_cbranch_scc1 .LBB102_813
.LBB102_814:
	s_waitcnt lgkmcnt(0)
	v_cmp_eq_f64_e32 vcc, 0, v[108:109]
	s_and_saveexec_b64 s[0:1], vcc
	s_xor_b64 s[0:1], exec, s[0:1]
; %bb.815:
	v_cmp_ne_u32_e32 vcc, 0, v116
	v_cndmask_b32_e32 v116, 49, v116, vcc
; %bb.816:
	s_andn2_saveexec_b64 s[0:1], s[0:1]
; %bb.817:
	v_div_scale_f64 v[118:119], s[2:3], v[108:109], v[108:109], 1.0
	v_rcp_f64_e32 v[120:121], v[118:119]
	v_div_scale_f64 v[122:123], vcc, 1.0, v[108:109], 1.0
	v_fma_f64 v[124:125], -v[118:119], v[120:121], 1.0
	v_fmac_f64_e32 v[120:121], v[120:121], v[124:125]
	v_fma_f64 v[124:125], -v[118:119], v[120:121], 1.0
	v_fmac_f64_e32 v[120:121], v[120:121], v[124:125]
	v_mul_f64 v[124:125], v[122:123], v[120:121]
	v_fma_f64 v[118:119], -v[118:119], v[124:125], v[122:123]
	v_div_fmas_f64 v[118:119], v[118:119], v[120:121], v[124:125]
	v_div_fixup_f64 v[108:109], v[118:119], v[108:109], 1.0
; %bb.818:
	s_or_b64 exec, exec, s[0:1]
	v_cmp_ne_u32_e32 vcc, v113, v110
	s_and_saveexec_b64 s[0:1], vcc
	s_xor_b64 s[0:1], exec, s[0:1]
	s_cbranch_execz .LBB102_824
; %bb.819:
	v_cmp_eq_u32_e32 vcc, 48, v113
	s_and_saveexec_b64 s[2:3], vcc
	s_cbranch_execz .LBB102_823
; %bb.820:
	v_cmp_ne_u32_e32 vcc, 48, v110
	s_xor_b64 s[14:15], s[6:7], -1
	s_and_b64 s[16:17], s[14:15], vcc
	s_and_saveexec_b64 s[14:15], s[16:17]
	s_cbranch_execz .LBB102_822
; %bb.821:
	v_ashrrev_i32_e32 v111, 31, v110
	v_lshlrev_b64 v[118:119], 2, v[110:111]
	v_add_co_u32_e32 v118, vcc, v4, v118
	v_addc_co_u32_e32 v119, vcc, v5, v119, vcc
	flat_load_dword v111, v[118:119]
	flat_load_dword v113, v[4:5] offset:192
	s_waitcnt vmcnt(0) lgkmcnt(0)
	flat_store_dword v[4:5], v111 offset:192
	flat_store_dword v[118:119], v113
.LBB102_822:
	s_or_b64 exec, exec, s[14:15]
	v_mov_b32_e32 v111, v110
	v_mov_b32_e32 v113, v110
.LBB102_823:
	s_or_b64 exec, exec, s[2:3]
.LBB102_824:
	s_andn2_saveexec_b64 s[0:1], s[0:1]
	s_cbranch_execz .LBB102_826
; %bb.825:
	v_mov_b32_e32 v113, 48
	ds_write2_b64 v112, v[6:7], v[0:1] offset0:49 offset1:50
	ds_write_b64 v112, v[106:107] offset:408
.LBB102_826:
	s_or_b64 exec, exec, s[0:1]
	v_cmp_lt_i32_e32 vcc, 48, v113
	s_waitcnt lgkmcnt(0)
	s_barrier
	s_and_saveexec_b64 s[0:1], vcc
	s_cbranch_execz .LBB102_828
; %bb.827:
	ds_read2_b64 v[118:121], v112 offset0:49 offset1:50
	ds_read_b64 v[122:123], v112 offset:408
	v_mul_f64 v[8:9], v[108:109], v[8:9]
	s_waitcnt lgkmcnt(0)
	v_fma_f64 v[6:7], -v[8:9], v[118:119], v[6:7]
	v_fma_f64 v[0:1], -v[8:9], v[120:121], v[0:1]
	;; [unrolled: 1-line block ×3, first 2 shown]
.LBB102_828:
	s_or_b64 exec, exec, s[0:1]
	v_lshl_add_u32 v108, v113, 3, v112
	s_barrier
	ds_write_b64 v108, v[6:7]
	s_waitcnt lgkmcnt(0)
	s_barrier
	ds_read_b64 v[108:109], v112 offset:392
	s_cmp_lt_i32 s18, 51
	v_mov_b32_e32 v110, 49
	s_cbranch_scc1 .LBB102_831
; %bb.829:
	v_add_u32_e32 v117, 0x190, v112
	s_mov_b32 s0, 50
	v_mov_b32_e32 v110, 49
.LBB102_830:                            ; =>This Inner Loop Header: Depth=1
	ds_read_b64 v[118:119], v117
	v_mov_b32_e32 v120, s0
	s_add_i32 s0, s0, 1
	v_add_u32_e32 v117, 8, v117
	s_cmp_lg_u32 s18, s0
	s_waitcnt lgkmcnt(0)
	v_cmp_lt_f64_e64 vcc, |v[108:109]|, |v[118:119]|
	v_cndmask_b32_e32 v109, v109, v119, vcc
	v_cndmask_b32_e32 v108, v108, v118, vcc
	;; [unrolled: 1-line block ×3, first 2 shown]
	s_cbranch_scc1 .LBB102_830
.LBB102_831:
	s_waitcnt lgkmcnt(0)
	v_cmp_eq_f64_e32 vcc, 0, v[108:109]
	s_and_saveexec_b64 s[0:1], vcc
	s_xor_b64 s[0:1], exec, s[0:1]
; %bb.832:
	v_cmp_ne_u32_e32 vcc, 0, v116
	v_cndmask_b32_e32 v116, 50, v116, vcc
; %bb.833:
	s_andn2_saveexec_b64 s[0:1], s[0:1]
; %bb.834:
	v_div_scale_f64 v[118:119], s[2:3], v[108:109], v[108:109], 1.0
	v_rcp_f64_e32 v[120:121], v[118:119]
	v_div_scale_f64 v[122:123], vcc, 1.0, v[108:109], 1.0
	v_fma_f64 v[124:125], -v[118:119], v[120:121], 1.0
	v_fmac_f64_e32 v[120:121], v[120:121], v[124:125]
	v_fma_f64 v[124:125], -v[118:119], v[120:121], 1.0
	v_fmac_f64_e32 v[120:121], v[120:121], v[124:125]
	v_mul_f64 v[124:125], v[122:123], v[120:121]
	v_fma_f64 v[118:119], -v[118:119], v[124:125], v[122:123]
	v_div_fmas_f64 v[118:119], v[118:119], v[120:121], v[124:125]
	v_div_fixup_f64 v[108:109], v[118:119], v[108:109], 1.0
; %bb.835:
	s_or_b64 exec, exec, s[0:1]
	v_cmp_ne_u32_e32 vcc, v113, v110
	s_and_saveexec_b64 s[0:1], vcc
	s_xor_b64 s[0:1], exec, s[0:1]
	s_cbranch_execz .LBB102_841
; %bb.836:
	v_cmp_eq_u32_e32 vcc, 49, v113
	s_and_saveexec_b64 s[2:3], vcc
	s_cbranch_execz .LBB102_840
; %bb.837:
	v_cmp_ne_u32_e32 vcc, 49, v110
	s_xor_b64 s[14:15], s[6:7], -1
	s_and_b64 s[16:17], s[14:15], vcc
	s_and_saveexec_b64 s[14:15], s[16:17]
	s_cbranch_execz .LBB102_839
; %bb.838:
	v_ashrrev_i32_e32 v111, 31, v110
	v_lshlrev_b64 v[118:119], 2, v[110:111]
	v_add_co_u32_e32 v118, vcc, v4, v118
	v_addc_co_u32_e32 v119, vcc, v5, v119, vcc
	flat_load_dword v111, v[118:119]
	flat_load_dword v113, v[4:5] offset:196
	s_waitcnt vmcnt(0) lgkmcnt(0)
	flat_store_dword v[4:5], v111 offset:196
	flat_store_dword v[118:119], v113
.LBB102_839:
	s_or_b64 exec, exec, s[14:15]
	v_mov_b32_e32 v111, v110
	v_mov_b32_e32 v113, v110
.LBB102_840:
	s_or_b64 exec, exec, s[2:3]
.LBB102_841:
	s_andn2_saveexec_b64 s[0:1], s[0:1]
	s_cbranch_execz .LBB102_843
; %bb.842:
	v_mov_b32_e32 v118, v0
	v_mov_b32_e32 v119, v1
	;; [unrolled: 1-line block ×3, first 2 shown]
	ds_write2_b64 v112, v[118:119], v[106:107] offset0:50 offset1:51
.LBB102_843:
	s_or_b64 exec, exec, s[0:1]
	v_cmp_lt_i32_e32 vcc, 49, v113
	s_waitcnt lgkmcnt(0)
	s_barrier
	s_and_saveexec_b64 s[0:1], vcc
	s_cbranch_execz .LBB102_845
; %bb.844:
	ds_read2_b64 v[118:121], v112 offset0:50 offset1:51
	v_mul_f64 v[6:7], v[108:109], v[6:7]
	s_waitcnt lgkmcnt(0)
	v_fma_f64 v[0:1], -v[6:7], v[118:119], v[0:1]
	v_fma_f64 v[106:107], -v[6:7], v[120:121], v[106:107]
.LBB102_845:
	s_or_b64 exec, exec, s[0:1]
	v_lshl_add_u32 v108, v113, 3, v112
	s_barrier
	ds_write_b64 v108, v[0:1]
	s_waitcnt lgkmcnt(0)
	s_barrier
	ds_read_b64 v[108:109], v112 offset:400
	s_cmp_lt_i32 s18, 52
	v_mov_b32_e32 v110, 50
	s_cbranch_scc1 .LBB102_848
; %bb.846:
	v_add_u32_e32 v117, 0x198, v112
	s_mov_b32 s0, 51
	v_mov_b32_e32 v110, 50
.LBB102_847:                            ; =>This Inner Loop Header: Depth=1
	ds_read_b64 v[118:119], v117
	v_mov_b32_e32 v120, s0
	s_add_i32 s0, s0, 1
	v_add_u32_e32 v117, 8, v117
	s_cmp_lg_u32 s18, s0
	s_waitcnt lgkmcnt(0)
	v_cmp_lt_f64_e64 vcc, |v[108:109]|, |v[118:119]|
	v_cndmask_b32_e32 v109, v109, v119, vcc
	v_cndmask_b32_e32 v108, v108, v118, vcc
	;; [unrolled: 1-line block ×3, first 2 shown]
	s_cbranch_scc1 .LBB102_847
.LBB102_848:
	s_waitcnt lgkmcnt(0)
	v_cmp_eq_f64_e32 vcc, 0, v[108:109]
	s_and_saveexec_b64 s[0:1], vcc
	s_xor_b64 s[0:1], exec, s[0:1]
; %bb.849:
	v_cmp_ne_u32_e32 vcc, 0, v116
	v_cndmask_b32_e32 v116, 51, v116, vcc
; %bb.850:
	s_andn2_saveexec_b64 s[0:1], s[0:1]
; %bb.851:
	v_div_scale_f64 v[118:119], s[2:3], v[108:109], v[108:109], 1.0
	v_rcp_f64_e32 v[120:121], v[118:119]
	v_div_scale_f64 v[122:123], vcc, 1.0, v[108:109], 1.0
	v_fma_f64 v[124:125], -v[118:119], v[120:121], 1.0
	v_fmac_f64_e32 v[120:121], v[120:121], v[124:125]
	v_fma_f64 v[124:125], -v[118:119], v[120:121], 1.0
	v_fmac_f64_e32 v[120:121], v[120:121], v[124:125]
	v_mul_f64 v[124:125], v[122:123], v[120:121]
	v_fma_f64 v[118:119], -v[118:119], v[124:125], v[122:123]
	v_div_fmas_f64 v[118:119], v[118:119], v[120:121], v[124:125]
	v_div_fixup_f64 v[108:109], v[118:119], v[108:109], 1.0
; %bb.852:
	s_or_b64 exec, exec, s[0:1]
	v_cmp_ne_u32_e32 vcc, v113, v110
	s_and_saveexec_b64 s[0:1], vcc
	s_xor_b64 s[0:1], exec, s[0:1]
	s_cbranch_execz .LBB102_858
; %bb.853:
	v_cmp_eq_u32_e32 vcc, 50, v113
	s_and_saveexec_b64 s[2:3], vcc
	s_cbranch_execz .LBB102_857
; %bb.854:
	v_cmp_ne_u32_e32 vcc, 50, v110
	s_xor_b64 s[14:15], s[6:7], -1
	s_and_b64 s[16:17], s[14:15], vcc
	s_and_saveexec_b64 s[14:15], s[16:17]
	s_cbranch_execz .LBB102_856
; %bb.855:
	v_ashrrev_i32_e32 v111, 31, v110
	v_lshlrev_b64 v[118:119], 2, v[110:111]
	v_add_co_u32_e32 v118, vcc, v4, v118
	v_addc_co_u32_e32 v119, vcc, v5, v119, vcc
	flat_load_dword v111, v[118:119]
	flat_load_dword v113, v[4:5] offset:200
	s_waitcnt vmcnt(0) lgkmcnt(0)
	flat_store_dword v[4:5], v111 offset:200
	flat_store_dword v[118:119], v113
.LBB102_856:
	s_or_b64 exec, exec, s[14:15]
	v_mov_b32_e32 v111, v110
	v_mov_b32_e32 v113, v110
.LBB102_857:
	s_or_b64 exec, exec, s[2:3]
.LBB102_858:
	s_andn2_saveexec_b64 s[0:1], s[0:1]
	s_cbranch_execz .LBB102_860
; %bb.859:
	v_mov_b32_e32 v113, 50
	ds_write_b64 v112, v[106:107] offset:408
.LBB102_860:
	s_or_b64 exec, exec, s[0:1]
	v_cmp_lt_i32_e32 vcc, 50, v113
	s_waitcnt lgkmcnt(0)
	s_barrier
	s_and_saveexec_b64 s[0:1], vcc
	s_cbranch_execz .LBB102_862
; %bb.861:
	ds_read_b64 v[118:119], v112 offset:408
	v_mul_f64 v[0:1], v[108:109], v[0:1]
	s_waitcnt lgkmcnt(0)
	v_fma_f64 v[106:107], -v[0:1], v[118:119], v[106:107]
.LBB102_862:
	s_or_b64 exec, exec, s[0:1]
	v_lshl_add_u32 v108, v113, 3, v112
	s_barrier
	ds_write_b64 v108, v[106:107]
	s_waitcnt lgkmcnt(0)
	s_barrier
	ds_read_b64 v[108:109], v112 offset:408
	s_cmp_lt_i32 s18, 53
	v_mov_b32_e32 v110, 51
	s_cbranch_scc1 .LBB102_865
; %bb.863:
	v_add_u32_e32 v112, 0x1a0, v112
	s_mov_b32 s0, 52
	v_mov_b32_e32 v110, 51
.LBB102_864:                            ; =>This Inner Loop Header: Depth=1
	ds_read_b64 v[118:119], v112
	v_mov_b32_e32 v117, s0
	s_add_i32 s0, s0, 1
	v_add_u32_e32 v112, 8, v112
	s_cmp_lg_u32 s18, s0
	s_waitcnt lgkmcnt(0)
	v_cmp_lt_f64_e64 vcc, |v[108:109]|, |v[118:119]|
	v_cndmask_b32_e32 v109, v109, v119, vcc
	v_cndmask_b32_e32 v108, v108, v118, vcc
	;; [unrolled: 1-line block ×3, first 2 shown]
	s_cbranch_scc1 .LBB102_864
.LBB102_865:
	s_waitcnt lgkmcnt(0)
	v_cmp_eq_f64_e32 vcc, 0, v[108:109]
	s_and_saveexec_b64 s[0:1], vcc
	s_xor_b64 s[0:1], exec, s[0:1]
; %bb.866:
	v_cmp_ne_u32_e32 vcc, 0, v116
	v_cndmask_b32_e32 v116, 52, v116, vcc
; %bb.867:
	s_andn2_saveexec_b64 s[0:1], s[0:1]
; %bb.868:
	v_div_scale_f64 v[118:119], s[2:3], v[108:109], v[108:109], 1.0
	v_rcp_f64_e32 v[120:121], v[118:119]
	v_div_scale_f64 v[122:123], vcc, 1.0, v[108:109], 1.0
	v_fma_f64 v[124:125], -v[118:119], v[120:121], 1.0
	v_fmac_f64_e32 v[120:121], v[120:121], v[124:125]
	v_fma_f64 v[124:125], -v[118:119], v[120:121], 1.0
	v_fmac_f64_e32 v[120:121], v[120:121], v[124:125]
	v_mul_f64 v[124:125], v[122:123], v[120:121]
	v_fma_f64 v[118:119], -v[118:119], v[124:125], v[122:123]
	v_div_fmas_f64 v[118:119], v[118:119], v[120:121], v[124:125]
	v_div_fixup_f64 v[108:109], v[118:119], v[108:109], 1.0
; %bb.869:
	s_or_b64 exec, exec, s[0:1]
	v_cmp_ne_u32_e32 vcc, v113, v110
	v_mov_b32_e32 v112, 51
	s_and_saveexec_b64 s[0:1], vcc
	s_cbranch_execz .LBB102_875
; %bb.870:
	v_cmp_eq_u32_e32 vcc, 51, v113
	s_and_saveexec_b64 s[2:3], vcc
	s_cbranch_execz .LBB102_874
; %bb.871:
	v_cmp_ne_u32_e32 vcc, 51, v110
	s_xor_b64 s[6:7], s[6:7], -1
	s_and_b64 s[14:15], s[6:7], vcc
	s_and_saveexec_b64 s[6:7], s[14:15]
	s_cbranch_execz .LBB102_873
; %bb.872:
	v_ashrrev_i32_e32 v111, 31, v110
	v_lshlrev_b64 v[112:113], 2, v[110:111]
	v_add_co_u32_e32 v112, vcc, v4, v112
	v_addc_co_u32_e32 v113, vcc, v5, v113, vcc
	flat_load_dword v111, v[112:113]
	flat_load_dword v117, v[4:5] offset:204
	s_waitcnt vmcnt(0) lgkmcnt(0)
	flat_store_dword v[4:5], v111 offset:204
	flat_store_dword v[112:113], v117
.LBB102_873:
	s_or_b64 exec, exec, s[6:7]
	v_mov_b32_e32 v111, v110
	v_mov_b32_e32 v113, v110
.LBB102_874:
	s_or_b64 exec, exec, s[2:3]
	v_mov_b32_e32 v112, v113
.LBB102_875:
	s_or_b64 exec, exec, s[0:1]
	s_load_dwordx8 s[0:7], s[4:5], 0x28
	v_cmp_gt_i32_e32 vcc, 52, v112
	v_ashrrev_i32_e32 v113, 31, v112
	s_waitcnt lgkmcnt(0)
	s_barrier
	s_barrier
	s_and_saveexec_b64 s[14:15], vcc
	s_cbranch_execz .LBB102_877
; %bb.876:
	v_mul_lo_u32 v110, v3, s4
	v_mul_lo_u32 v117, v2, s5
	v_mad_u64_u32 v[4:5], s[4:5], v2, s4, 0
	s_lshl_b64 s[2:3], s[2:3], 2
	v_add3_u32 v5, v5, v117, v110
	s_add_u32 s0, s2, s0
	v_lshlrev_b64 v[4:5], 2, v[4:5]
	s_addc_u32 s1, s3, s1
	v_mov_b32_e32 v110, s1
	v_add_co_u32_e32 v117, vcc, s0, v4
	v_addc_co_u32_e32 v110, vcc, v110, v5, vcc
	v_lshlrev_b64 v[4:5], 2, v[112:113]
	v_add_co_u32_e32 v4, vcc, v117, v4
	v_addc_co_u32_e32 v5, vcc, v110, v5, vcc
	v_add3_u32 v110, v111, s13, 1
	global_store_dword v[4:5], v110, off
.LBB102_877:
	s_or_b64 exec, exec, s[14:15]
	v_cmp_eq_u32_e32 vcc, 0, v112
	s_and_saveexec_b64 s[2:3], vcc
	s_cbranch_execz .LBB102_880
; %bb.878:
	v_lshlrev_b64 v[2:3], 2, v[2:3]
	v_mov_b32_e32 v4, s7
	v_add_co_u32_e32 v2, vcc, s6, v2
	v_addc_co_u32_e32 v3, vcc, v4, v3, vcc
	global_load_dword v4, v[2:3], off
	v_cmp_lt_i32_e64 s[0:1], 0, v116
	s_waitcnt vmcnt(0)
	v_cmp_eq_u32_e32 vcc, 0, v4
	s_and_b64 s[0:1], vcc, s[0:1]
	s_and_b64 exec, exec, s[0:1]
	s_cbranch_execz .LBB102_880
; %bb.879:
	v_add_u32_e32 v4, s13, v116
	global_store_dword v[2:3], v4, off
.LBB102_880:
	s_or_b64 exec, exec, s[2:3]
	v_mul_f64 v[2:3], v[108:109], v[106:107]
	v_cmp_lt_i32_e32 vcc, 51, v112
	v_lshlrev_b64 v[4:5], 3, v[112:113]
	v_cndmask_b32_e32 v3, v107, v3, vcc
	v_cndmask_b32_e32 v2, v106, v2, vcc
	v_add_co_u32_e32 v4, vcc, v114, v4
	v_addc_co_u32_e32 v5, vcc, v115, v5, vcc
	global_store_dwordx2 v[4:5], v[102:103], off
	v_mov_b32_e32 v102, s11
	v_add_co_u32_e32 v4, vcc, s10, v4
	v_addc_co_u32_e32 v5, vcc, v5, v102, vcc
	global_store_dwordx2 v[4:5], v[104:105], off
	v_add_u32_e32 v4, s12, v112
	v_ashrrev_i32_e32 v5, 31, v4
	v_lshlrev_b64 v[102:103], 3, v[4:5]
	v_add_co_u32_e32 v102, vcc, v114, v102
	v_add_u32_e32 v4, s8, v4
	v_addc_co_u32_e32 v103, vcc, v115, v103, vcc
	v_ashrrev_i32_e32 v5, 31, v4
	global_store_dwordx2 v[102:103], v[100:101], off
	v_lshlrev_b64 v[100:101], 3, v[4:5]
	v_add_co_u32_e32 v100, vcc, v114, v100
	v_add_u32_e32 v4, s8, v4
	v_addc_co_u32_e32 v101, vcc, v115, v101, vcc
	v_ashrrev_i32_e32 v5, 31, v4
	global_store_dwordx2 v[100:101], v[98:99], off
	;; [unrolled: 6-line block ×48, first 2 shown]
	v_lshlrev_b64 v[6:7], 3, v[4:5]
	v_add_co_u32_e32 v6, vcc, v114, v6
	v_addc_co_u32_e32 v7, vcc, v115, v7, vcc
	global_store_dwordx2 v[6:7], v[0:1], off
	v_add_u32_e32 v0, s8, v4
	v_ashrrev_i32_e32 v1, 31, v0
	v_lshlrev_b64 v[0:1], 3, v[0:1]
	v_add_co_u32_e32 v0, vcc, v114, v0
	v_addc_co_u32_e32 v1, vcc, v115, v1, vcc
	global_store_dwordx2 v[0:1], v[2:3], off
.LBB102_881:
	s_endpgm
	.section	.rodata,"a",@progbits
	.p2align	6, 0x0
	.amdhsa_kernel _ZN9rocsolver6v33100L18getf2_small_kernelILi52EdiiPKPdEEvT1_T3_lS5_lPS5_llPT2_S5_S5_S7_l
		.amdhsa_group_segment_fixed_size 0
		.amdhsa_private_segment_fixed_size 0
		.amdhsa_kernarg_size 352
		.amdhsa_user_sgpr_count 6
		.amdhsa_user_sgpr_private_segment_buffer 1
		.amdhsa_user_sgpr_dispatch_ptr 0
		.amdhsa_user_sgpr_queue_ptr 0
		.amdhsa_user_sgpr_kernarg_segment_ptr 1
		.amdhsa_user_sgpr_dispatch_id 0
		.amdhsa_user_sgpr_flat_scratch_init 0
		.amdhsa_user_sgpr_kernarg_preload_length 0
		.amdhsa_user_sgpr_kernarg_preload_offset 0
		.amdhsa_user_sgpr_private_segment_size 0
		.amdhsa_uses_dynamic_stack 0
		.amdhsa_system_sgpr_private_segment_wavefront_offset 0
		.amdhsa_system_sgpr_workgroup_id_x 1
		.amdhsa_system_sgpr_workgroup_id_y 1
		.amdhsa_system_sgpr_workgroup_id_z 0
		.amdhsa_system_sgpr_workgroup_info 0
		.amdhsa_system_vgpr_workitem_id 1
		.amdhsa_next_free_vgpr 168
		.amdhsa_next_free_sgpr 22
		.amdhsa_accum_offset 168
		.amdhsa_reserve_vcc 1
		.amdhsa_reserve_flat_scratch 0
		.amdhsa_float_round_mode_32 0
		.amdhsa_float_round_mode_16_64 0
		.amdhsa_float_denorm_mode_32 3
		.amdhsa_float_denorm_mode_16_64 3
		.amdhsa_dx10_clamp 1
		.amdhsa_ieee_mode 1
		.amdhsa_fp16_overflow 0
		.amdhsa_tg_split 0
		.amdhsa_exception_fp_ieee_invalid_op 0
		.amdhsa_exception_fp_denorm_src 0
		.amdhsa_exception_fp_ieee_div_zero 0
		.amdhsa_exception_fp_ieee_overflow 0
		.amdhsa_exception_fp_ieee_underflow 0
		.amdhsa_exception_fp_ieee_inexact 0
		.amdhsa_exception_int_div_zero 0
	.end_amdhsa_kernel
	.section	.text._ZN9rocsolver6v33100L18getf2_small_kernelILi52EdiiPKPdEEvT1_T3_lS5_lPS5_llPT2_S5_S5_S7_l,"axG",@progbits,_ZN9rocsolver6v33100L18getf2_small_kernelILi52EdiiPKPdEEvT1_T3_lS5_lPS5_llPT2_S5_S5_S7_l,comdat
.Lfunc_end102:
	.size	_ZN9rocsolver6v33100L18getf2_small_kernelILi52EdiiPKPdEEvT1_T3_lS5_lPS5_llPT2_S5_S5_S7_l, .Lfunc_end102-_ZN9rocsolver6v33100L18getf2_small_kernelILi52EdiiPKPdEEvT1_T3_lS5_lPS5_llPT2_S5_S5_S7_l
                                        ; -- End function
	.section	.AMDGPU.csdata,"",@progbits
; Kernel info:
; codeLenInByte = 51588
; NumSgprs: 26
; NumVgprs: 168
; NumAgprs: 0
; TotalNumVgprs: 168
; ScratchSize: 0
; MemoryBound: 0
; FloatMode: 240
; IeeeMode: 1
; LDSByteSize: 0 bytes/workgroup (compile time only)
; SGPRBlocks: 3
; VGPRBlocks: 20
; NumSGPRsForWavesPerEU: 26
; NumVGPRsForWavesPerEU: 168
; AccumOffset: 168
; Occupancy: 3
; WaveLimiterHint : 1
; COMPUTE_PGM_RSRC2:SCRATCH_EN: 0
; COMPUTE_PGM_RSRC2:USER_SGPR: 6
; COMPUTE_PGM_RSRC2:TRAP_HANDLER: 0
; COMPUTE_PGM_RSRC2:TGID_X_EN: 1
; COMPUTE_PGM_RSRC2:TGID_Y_EN: 1
; COMPUTE_PGM_RSRC2:TGID_Z_EN: 0
; COMPUTE_PGM_RSRC2:TIDIG_COMP_CNT: 1
; COMPUTE_PGM_RSRC3_GFX90A:ACCUM_OFFSET: 41
; COMPUTE_PGM_RSRC3_GFX90A:TG_SPLIT: 0
	.section	.text._ZN9rocsolver6v33100L23getf2_npvt_small_kernelILi52EdiiPKPdEEvT1_T3_lS5_lPT2_S5_S5_,"axG",@progbits,_ZN9rocsolver6v33100L23getf2_npvt_small_kernelILi52EdiiPKPdEEvT1_T3_lS5_lPT2_S5_S5_,comdat
	.globl	_ZN9rocsolver6v33100L23getf2_npvt_small_kernelILi52EdiiPKPdEEvT1_T3_lS5_lPT2_S5_S5_ ; -- Begin function _ZN9rocsolver6v33100L23getf2_npvt_small_kernelILi52EdiiPKPdEEvT1_T3_lS5_lPT2_S5_S5_
	.p2align	8
	.type	_ZN9rocsolver6v33100L23getf2_npvt_small_kernelILi52EdiiPKPdEEvT1_T3_lS5_lPT2_S5_S5_,@function
_ZN9rocsolver6v33100L23getf2_npvt_small_kernelILi52EdiiPKPdEEvT1_T3_lS5_lPT2_S5_S5_: ; @_ZN9rocsolver6v33100L23getf2_npvt_small_kernelILi52EdiiPKPdEEvT1_T3_lS5_lPT2_S5_S5_
; %bb.0:
	s_mov_b64 s[18:19], s[2:3]
	s_mov_b64 s[16:17], s[0:1]
	s_add_u32 s16, s16, s8
	s_load_dword s0, s[4:5], 0x44
	s_load_dwordx2 s[8:9], s[4:5], 0x30
	s_addc_u32 s17, s17, 0
	v_bfe_u32 v1, v0, 10, 10
	s_waitcnt lgkmcnt(0)
	s_lshr_b32 s6, s0, 16
	s_mul_i32 s7, s7, s6
	v_add_u32_e32 v2, s7, v1
	v_cmp_gt_i32_e32 vcc, s8, v2
	s_and_saveexec_b64 s[0:1], vcc
	s_cbranch_execz .LBB103_263
; %bb.1:
	v_ashrrev_i32_e32 v3, 31, v2
	s_load_dwordx4 s[12:15], s[4:5], 0x8
	s_load_dword s0, s[4:5], 0x18
	buffer_store_dword v2, off, s[16:19], 0 offset:232 ; 4-byte Folded Spill
	s_nop 0
	buffer_store_dword v3, off, s[16:19], 0 offset:236 ; 4-byte Folded Spill
	v_and_b32_e32 v14, 0x3ff, v0
	s_mulk_i32 s6, 0x1a0
	s_waitcnt lgkmcnt(0)
	v_mov_b32_e32 v4, s13
	s_add_i32 s1, s0, s0
	s_lshl_b64 s[2:3], s[14:15], 3
	v_mov_b32_e32 v0, s3
	v_lshlrev_b64 v[2:3], 3, v[2:3]
	v_add_co_u32_e32 v2, vcc, s12, v2
	v_addc_co_u32_e32 v3, vcc, v4, v3, vcc
	global_load_dwordx2 v[2:3], v[2:3], off
	v_add_u32_e32 v4, s1, v14
	v_ashrrev_i32_e32 v5, 31, v4
	v_add_u32_e32 v6, s0, v4
	v_lshlrev_b64 v[4:5], 3, v[4:5]
	v_ashrrev_i32_e32 v7, 31, v6
	v_add_u32_e32 v8, s0, v6
	v_lshlrev_b64 v[6:7], 3, v[6:7]
	;; [unrolled: 3-line block ×10, first 2 shown]
	v_ashrrev_i32_e32 v27, 31, v26
	s_ashr_i32 s1, s0, 31
	s_waitcnt vmcnt(0)
	v_add_co_u32_e32 v15, vcc, s2, v2
	v_addc_co_u32_e32 v0, vcc, v3, v0, vcc
	v_add_co_u32_e32 v108, vcc, v15, v4
	v_addc_co_u32_e32 v109, vcc, v0, v5, vcc
	;; [unrolled: 2-line block ×11, first 2 shown]
	v_lshlrev_b64 v[2:3], 3, v[26:27]
	v_add_co_u32_e32 v112, vcc, v15, v2
	v_add_u32_e32 v2, s0, v26
	v_addc_co_u32_e32 v113, vcc, v0, v3, vcc
	v_ashrrev_i32_e32 v3, 31, v2
	v_lshlrev_b64 v[4:5], 3, v[2:3]
	v_add_u32_e32 v2, s0, v2
	v_add_co_u32_e32 v24, vcc, v15, v4
	v_ashrrev_i32_e32 v3, 31, v2
	v_addc_co_u32_e32 v25, vcc, v0, v5, vcc
	v_lshlrev_b64 v[4:5], 3, v[2:3]
	v_add_u32_e32 v2, s0, v2
	v_add_co_u32_e32 v26, vcc, v15, v4
	v_ashrrev_i32_e32 v3, 31, v2
	v_addc_co_u32_e32 v27, vcc, v0, v5, vcc
	;; [unrolled: 5-line block ×38, first 2 shown]
	v_lshlrev_b64 v[2:3], 3, v[2:3]
	v_add_co_u32_e32 v100, vcc, v15, v2
	v_addc_co_u32_e32 v101, vcc, v0, v3, vcc
	v_lshlrev_b32_e32 v2, 3, v14
	v_add_co_u32_e32 v102, vcc, v15, v2
	v_addc_co_u32_e32 v103, vcc, 0, v0, vcc
	s_lshl_b64 s[0:1], s[0:1], 3
	v_mov_b32_e32 v0, s1
	v_add_co_u32_e32 v104, vcc, s0, v102
	v_addc_co_u32_e32 v105, vcc, v103, v0, vcc
	global_load_dwordx2 v[106:107], v[102:103], off
	global_load_dwordx2 v[156:157], v[104:105], off
	s_nop 0
	buffer_store_dword v108, off, s[16:19], 0 ; 4-byte Folded Spill
	s_nop 0
	buffer_store_dword v109, off, s[16:19], 0 offset:4 ; 4-byte Folded Spill
	s_movk_i32 s0, 0x1a0
	s_add_i32 s1, s6, 0
	v_cmp_ne_u32_e64 s[2:3], 0, v14
	global_load_dwordx2 v[206:207], v[108:109], off
	s_nop 0
	buffer_store_dword v6, off, s[16:19], 0 offset:8 ; 4-byte Folded Spill
	s_nop 0
	buffer_store_dword v7, off, s[16:19], 0 offset:12 ; 4-byte Folded Spill
	global_load_dwordx2 v[154:155], v[6:7], off
	s_nop 0
	buffer_store_dword v8, off, s[16:19], 0 offset:16 ; 4-byte Folded Spill
	s_nop 0
	buffer_store_dword v9, off, s[16:19], 0 offset:20 ; 4-byte Folded Spill
	global_load_dwordx2 v[204:205], v[8:9], off
	s_nop 0
	buffer_store_dword v10, off, s[16:19], 0 offset:24 ; 4-byte Folded Spill
	s_nop 0
	buffer_store_dword v11, off, s[16:19], 0 offset:28 ; 4-byte Folded Spill
	global_load_dwordx2 v[152:153], v[10:11], off
	s_nop 0
	buffer_store_dword v12, off, s[16:19], 0 offset:32 ; 4-byte Folded Spill
	s_nop 0
	buffer_store_dword v13, off, s[16:19], 0 offset:36 ; 4-byte Folded Spill
	global_load_dwordx2 v[202:203], v[12:13], off
	s_nop 0
	buffer_store_dword v16, off, s[16:19], 0 offset:40 ; 4-byte Folded Spill
	s_nop 0
	buffer_store_dword v17, off, s[16:19], 0 offset:44 ; 4-byte Folded Spill
	v_mad_u32_u24 v13, v1, s0, 0
	v_lshl_add_u32 v12, v1, 3, s1
	v_cmp_eq_u32_e64 s[0:1], 0, v14
	global_load_dwordx2 v[150:151], v[16:17], off
	s_nop 0
	buffer_store_dword v18, off, s[16:19], 0 offset:48 ; 4-byte Folded Spill
	s_nop 0
	buffer_store_dword v19, off, s[16:19], 0 offset:52 ; 4-byte Folded Spill
	global_load_dwordx2 v[200:201], v[18:19], off
	s_nop 0
	buffer_store_dword v20, off, s[16:19], 0 offset:56 ; 4-byte Folded Spill
	s_nop 0
	buffer_store_dword v21, off, s[16:19], 0 offset:60 ; 4-byte Folded Spill
	;; [unrolled: 5-line block ×5, first 2 shown]
	global_load_dwordx2 v[196:197], v[112:113], off
	global_load_dwordx2 v[144:145], v[24:25], off
	;; [unrolled: 1-line block ×40, first 2 shown]
	s_and_saveexec_b64 s[6:7], s[0:1]
	s_cbranch_execz .LBB103_4
; %bb.2:
	s_waitcnt vmcnt(62)
	ds_write_b64 v12, v[106:107]
	ds_write2_b64 v13, v[156:157], v[206:207] offset0:1 offset1:2
	ds_write2_b64 v13, v[154:155], v[204:205] offset0:3 offset1:4
	s_waitcnt vmcnt(57)
	ds_write2_b64 v13, v[152:153], v[202:203] offset0:5 offset1:6
	s_waitcnt vmcnt(51)
	;; [unrolled: 2-line block ×24, first 2 shown]
	ds_write_b64 v13, v[208:209] offset:408
	ds_read_b64 v[0:1], v12
	s_waitcnt lgkmcnt(0)
	v_cmp_neq_f64_e32 vcc, 0, v[0:1]
	s_and_b64 exec, exec, vcc
	s_cbranch_execz .LBB103_4
; %bb.3:
	v_div_scale_f64 v[2:3], s[10:11], v[0:1], v[0:1], 1.0
	v_rcp_f64_e32 v[4:5], v[2:3]
	v_div_scale_f64 v[6:7], vcc, 1.0, v[0:1], 1.0
	v_fma_f64 v[8:9], -v[2:3], v[4:5], 1.0
	v_fmac_f64_e32 v[4:5], v[4:5], v[8:9]
	v_fma_f64 v[8:9], -v[2:3], v[4:5], 1.0
	v_fmac_f64_e32 v[4:5], v[4:5], v[8:9]
	v_mul_f64 v[8:9], v[6:7], v[4:5]
	v_fma_f64 v[2:3], -v[2:3], v[8:9], v[6:7]
	v_div_fmas_f64 v[2:3], v[2:3], v[4:5], v[8:9]
	v_div_fixup_f64 v[0:1], v[2:3], v[0:1], 1.0
	ds_write_b64 v12, v[0:1]
.LBB103_4:
	s_or_b64 exec, exec, s[6:7]
	s_waitcnt lgkmcnt(0)
	s_barrier
	ds_read_b64 v[22:23], v12
	s_and_saveexec_b64 s[6:7], s[2:3]
	s_cbranch_execz .LBB103_6
; %bb.5:
	ds_read2_b64 v[0:3], v13 offset0:1 offset1:2
	ds_read2_b64 v[4:7], v13 offset0:3 offset1:4
	s_waitcnt lgkmcnt(2)
	v_mul_f64 v[106:107], v[22:23], v[106:107]
	ds_read2_b64 v[8:11], v13 offset0:5 offset1:6
	s_waitcnt lgkmcnt(2)
	v_fma_f64 v[156:157], -v[106:107], v[0:1], v[156:157]
	v_fma_f64 v[206:207], -v[106:107], v[2:3], v[206:207]
	ds_read2_b64 v[0:3], v13 offset0:7 offset1:8
	s_waitcnt lgkmcnt(2)
	v_fma_f64 v[154:155], -v[106:107], v[4:5], v[154:155]
	v_fma_f64 v[204:205], -v[106:107], v[6:7], v[204:205]
	ds_read2_b64 v[4:7], v13 offset0:9 offset1:10
	s_waitcnt vmcnt(60) lgkmcnt(2)
	v_fma_f64 v[152:153], -v[106:107], v[8:9], v[152:153]
	s_waitcnt vmcnt(57)
	v_fma_f64 v[202:203], -v[106:107], v[10:11], v[202:203]
	ds_read2_b64 v[8:11], v13 offset0:11 offset1:12
	s_waitcnt vmcnt(54) lgkmcnt(2)
	v_fma_f64 v[150:151], -v[106:107], v[0:1], v[150:151]
	s_waitcnt vmcnt(51)
	v_fma_f64 v[200:201], -v[106:107], v[2:3], v[200:201]
	s_waitcnt vmcnt(48) lgkmcnt(1)
	v_fma_f64 v[148:149], -v[106:107], v[4:5], v[148:149]
	ds_read2_b64 v[0:3], v13 offset0:13 offset1:14
	s_waitcnt vmcnt(45)
	v_fma_f64 v[198:199], -v[106:107], v[6:7], v[198:199]
	ds_read2_b64 v[4:7], v13 offset0:15 offset1:16
	s_waitcnt vmcnt(42) lgkmcnt(2)
	v_fma_f64 v[146:147], -v[106:107], v[8:9], v[146:147]
	s_waitcnt vmcnt(39)
	v_fma_f64 v[196:197], -v[106:107], v[10:11], v[196:197]
	s_waitcnt vmcnt(38) lgkmcnt(1)
	v_fma_f64 v[144:145], -v[106:107], v[0:1], v[144:145]
	ds_read2_b64 v[8:11], v13 offset0:17 offset1:18
	s_waitcnt vmcnt(37)
	v_fma_f64 v[194:195], -v[106:107], v[2:3], v[194:195]
	ds_read2_b64 v[0:3], v13 offset0:19 offset1:20
	s_waitcnt vmcnt(36) lgkmcnt(2)
	v_fma_f64 v[142:143], -v[106:107], v[4:5], v[142:143]
	s_waitcnt vmcnt(35)
	v_fma_f64 v[192:193], -v[106:107], v[6:7], v[192:193]
	ds_read2_b64 v[4:7], v13 offset0:21 offset1:22
	s_waitcnt vmcnt(34) lgkmcnt(2)
	v_fma_f64 v[140:141], -v[106:107], v[8:9], v[140:141]
	s_waitcnt vmcnt(33)
	v_fma_f64 v[190:191], -v[106:107], v[10:11], v[190:191]
	ds_read2_b64 v[8:11], v13 offset0:23 offset1:24
	s_waitcnt vmcnt(32) lgkmcnt(2)
	v_fma_f64 v[138:139], -v[106:107], v[0:1], v[138:139]
	s_waitcnt vmcnt(31)
	v_fma_f64 v[188:189], -v[106:107], v[2:3], v[188:189]
	s_waitcnt vmcnt(30) lgkmcnt(1)
	v_fma_f64 v[136:137], -v[106:107], v[4:5], v[136:137]
	ds_read2_b64 v[0:3], v13 offset0:25 offset1:26
	s_waitcnt vmcnt(29)
	v_fma_f64 v[186:187], -v[106:107], v[6:7], v[186:187]
	ds_read2_b64 v[4:7], v13 offset0:27 offset1:28
	s_waitcnt vmcnt(28) lgkmcnt(2)
	v_fma_f64 v[134:135], -v[106:107], v[8:9], v[134:135]
	s_waitcnt vmcnt(27)
	v_fma_f64 v[184:185], -v[106:107], v[10:11], v[184:185]
	s_waitcnt vmcnt(26) lgkmcnt(1)
	v_fma_f64 v[132:133], -v[106:107], v[0:1], v[132:133]
	ds_read2_b64 v[8:11], v13 offset0:29 offset1:30
	s_waitcnt vmcnt(25)
	v_fma_f64 v[182:183], -v[106:107], v[2:3], v[182:183]
	ds_read2_b64 v[0:3], v13 offset0:31 offset1:32
	s_waitcnt vmcnt(24) lgkmcnt(2)
	v_fma_f64 v[130:131], -v[106:107], v[4:5], v[130:131]
	s_waitcnt vmcnt(23)
	;; [unrolled: 30-line block ×3, first 2 shown]
	v_fma_f64 v[168:169], -v[106:107], v[6:7], v[168:169]
	ds_read2_b64 v[4:7], v13 offset0:45 offset1:46
	s_waitcnt vmcnt(10) lgkmcnt(2)
	v_fma_f64 v[116:117], -v[106:107], v[8:9], v[116:117]
	s_waitcnt vmcnt(9)
	v_fma_f64 v[166:167], -v[106:107], v[10:11], v[166:167]
	s_waitcnt vmcnt(8) lgkmcnt(1)
	v_fma_f64 v[114:115], -v[106:107], v[0:1], v[114:115]
	s_waitcnt vmcnt(7)
	v_fma_f64 v[164:165], -v[106:107], v[2:3], v[164:165]
	ds_read2_b64 v[0:3], v13 offset0:47 offset1:48
	s_waitcnt vmcnt(6) lgkmcnt(1)
	v_fma_f64 v[112:113], -v[106:107], v[4:5], v[112:113]
	ds_read2_b64 v[8:11], v13 offset0:49 offset1:50
	ds_read_b64 v[4:5], v13 offset:408
	s_waitcnt vmcnt(5)
	v_fma_f64 v[162:163], -v[106:107], v[6:7], v[162:163]
	s_waitcnt vmcnt(4) lgkmcnt(2)
	v_fma_f64 v[110:111], -v[106:107], v[0:1], v[110:111]
	s_waitcnt vmcnt(3)
	v_fma_f64 v[160:161], -v[106:107], v[2:3], v[160:161]
	s_waitcnt vmcnt(2) lgkmcnt(1)
	v_fma_f64 v[108:109], -v[106:107], v[8:9], v[108:109]
	;; [unrolled: 4-line block ×3, first 2 shown]
.LBB103_6:
	s_or_b64 exec, exec, s[6:7]
	v_cmp_eq_u32_e32 vcc, 1, v14
	s_waitcnt lgkmcnt(0)
	s_barrier
	s_and_saveexec_b64 s[2:3], vcc
	s_cbranch_execz .LBB103_9
; %bb.7:
	v_mov_b32_e32 v0, v206
	v_mov_b32_e32 v1, v207
	;; [unrolled: 1-line block ×4, first 2 shown]
	ds_write_b64 v12, v[156:157]
	ds_write2_b64 v13, v[0:1], v[2:3] offset0:2 offset1:3
	v_mov_b32_e32 v0, v204
	v_mov_b32_e32 v1, v205
	s_waitcnt vmcnt(60)
	v_mov_b32_e32 v2, v152
	v_mov_b32_e32 v3, v153
	ds_write2_b64 v13, v[0:1], v[2:3] offset0:4 offset1:5
	s_waitcnt vmcnt(57)
	v_mov_b32_e32 v0, v202
	v_mov_b32_e32 v1, v203
	s_waitcnt vmcnt(54)
	v_mov_b32_e32 v2, v150
	v_mov_b32_e32 v3, v151
	ds_write2_b64 v13, v[0:1], v[2:3] offset0:6 offset1:7
	s_waitcnt vmcnt(51)
	;; [unrolled: 7-line block ×23, first 2 shown]
	v_mov_b32_e32 v0, v158
	v_mov_b32_e32 v1, v159
	s_waitcnt vmcnt(0)
	ds_write2_b64 v13, v[0:1], v[208:209] offset0:50 offset1:51
	ds_read_b64 v[0:1], v12
	s_waitcnt lgkmcnt(0)
	v_cmp_neq_f64_e32 vcc, 0, v[0:1]
	s_and_b64 exec, exec, vcc
	s_cbranch_execz .LBB103_9
; %bb.8:
	v_div_scale_f64 v[2:3], s[6:7], v[0:1], v[0:1], 1.0
	v_rcp_f64_e32 v[4:5], v[2:3]
	v_div_scale_f64 v[6:7], vcc, 1.0, v[0:1], 1.0
	v_fma_f64 v[8:9], -v[2:3], v[4:5], 1.0
	v_fmac_f64_e32 v[4:5], v[4:5], v[8:9]
	v_fma_f64 v[8:9], -v[2:3], v[4:5], 1.0
	v_fmac_f64_e32 v[4:5], v[4:5], v[8:9]
	v_mul_f64 v[8:9], v[6:7], v[4:5]
	v_fma_f64 v[2:3], -v[2:3], v[8:9], v[6:7]
	v_div_fmas_f64 v[2:3], v[2:3], v[4:5], v[8:9]
	v_div_fixup_f64 v[0:1], v[2:3], v[0:1], 1.0
	ds_write_b64 v12, v[0:1]
.LBB103_9:
	s_or_b64 exec, exec, s[2:3]
	s_waitcnt lgkmcnt(0)
	s_barrier
	ds_read_b64 v[254:255], v12
	v_cmp_lt_u32_e32 vcc, 1, v14
	s_and_saveexec_b64 s[2:3], vcc
	s_cbranch_execz .LBB103_11
; %bb.10:
	ds_read2_b64 v[0:3], v13 offset0:2 offset1:3
	ds_read2_b64 v[4:7], v13 offset0:4 offset1:5
	s_waitcnt lgkmcnt(2)
	v_mul_f64 v[156:157], v[254:255], v[156:157]
	ds_read2_b64 v[8:11], v13 offset0:6 offset1:7
	s_waitcnt lgkmcnt(2)
	v_fma_f64 v[206:207], -v[156:157], v[0:1], v[206:207]
	v_fma_f64 v[154:155], -v[156:157], v[2:3], v[154:155]
	ds_read2_b64 v[0:3], v13 offset0:8 offset1:9
	s_waitcnt lgkmcnt(2)
	v_fma_f64 v[204:205], -v[156:157], v[4:5], v[204:205]
	s_waitcnt vmcnt(60)
	v_fma_f64 v[152:153], -v[156:157], v[6:7], v[152:153]
	s_waitcnt vmcnt(57) lgkmcnt(1)
	v_fma_f64 v[202:203], -v[156:157], v[8:9], v[202:203]
	ds_read2_b64 v[4:7], v13 offset0:10 offset1:11
	s_waitcnt vmcnt(54)
	v_fma_f64 v[150:151], -v[156:157], v[10:11], v[150:151]
	ds_read2_b64 v[8:11], v13 offset0:12 offset1:13
	s_waitcnt vmcnt(51) lgkmcnt(2)
	v_fma_f64 v[200:201], -v[156:157], v[0:1], v[200:201]
	s_waitcnt vmcnt(48)
	v_fma_f64 v[148:149], -v[156:157], v[2:3], v[148:149]
	ds_read2_b64 v[0:3], v13 offset0:14 offset1:15
	s_waitcnt vmcnt(45) lgkmcnt(2)
	v_fma_f64 v[198:199], -v[156:157], v[4:5], v[198:199]
	s_waitcnt vmcnt(42)
	v_fma_f64 v[146:147], -v[156:157], v[6:7], v[146:147]
	ds_read2_b64 v[4:7], v13 offset0:16 offset1:17
	s_waitcnt vmcnt(39) lgkmcnt(2)
	v_fma_f64 v[196:197], -v[156:157], v[8:9], v[196:197]
	s_waitcnt vmcnt(38)
	v_fma_f64 v[144:145], -v[156:157], v[10:11], v[144:145]
	s_waitcnt vmcnt(37) lgkmcnt(1)
	v_fma_f64 v[194:195], -v[156:157], v[0:1], v[194:195]
	ds_read2_b64 v[8:11], v13 offset0:18 offset1:19
	s_waitcnt vmcnt(36)
	v_fma_f64 v[142:143], -v[156:157], v[2:3], v[142:143]
	ds_read2_b64 v[0:3], v13 offset0:20 offset1:21
	s_waitcnt vmcnt(35) lgkmcnt(2)
	v_fma_f64 v[192:193], -v[156:157], v[4:5], v[192:193]
	s_waitcnt vmcnt(34)
	v_fma_f64 v[140:141], -v[156:157], v[6:7], v[140:141]
	s_waitcnt vmcnt(33) lgkmcnt(1)
	v_fma_f64 v[190:191], -v[156:157], v[8:9], v[190:191]
	ds_read2_b64 v[4:7], v13 offset0:22 offset1:23
	s_waitcnt vmcnt(32)
	v_fma_f64 v[138:139], -v[156:157], v[10:11], v[138:139]
	ds_read2_b64 v[8:11], v13 offset0:24 offset1:25
	s_waitcnt vmcnt(31) lgkmcnt(2)
	v_fma_f64 v[188:189], -v[156:157], v[0:1], v[188:189]
	s_waitcnt vmcnt(30)
	v_fma_f64 v[136:137], -v[156:157], v[2:3], v[136:137]
	ds_read2_b64 v[0:3], v13 offset0:26 offset1:27
	s_waitcnt vmcnt(29) lgkmcnt(2)
	v_fma_f64 v[186:187], -v[156:157], v[4:5], v[186:187]
	s_waitcnt vmcnt(28)
	v_fma_f64 v[134:135], -v[156:157], v[6:7], v[134:135]
	ds_read2_b64 v[4:7], v13 offset0:28 offset1:29
	s_waitcnt vmcnt(27) lgkmcnt(2)
	v_fma_f64 v[184:185], -v[156:157], v[8:9], v[184:185]
	s_waitcnt vmcnt(26)
	v_fma_f64 v[132:133], -v[156:157], v[10:11], v[132:133]
	s_waitcnt vmcnt(25) lgkmcnt(1)
	v_fma_f64 v[182:183], -v[156:157], v[0:1], v[182:183]
	ds_read2_b64 v[8:11], v13 offset0:30 offset1:31
	s_waitcnt vmcnt(24)
	v_fma_f64 v[130:131], -v[156:157], v[2:3], v[130:131]
	ds_read2_b64 v[0:3], v13 offset0:32 offset1:33
	s_waitcnt vmcnt(23) lgkmcnt(2)
	;; [unrolled: 30-line block ×3, first 2 shown]
	v_fma_f64 v[168:169], -v[156:157], v[4:5], v[168:169]
	s_waitcnt vmcnt(10)
	v_fma_f64 v[116:117], -v[156:157], v[6:7], v[116:117]
	s_waitcnt vmcnt(9) lgkmcnt(1)
	v_fma_f64 v[166:167], -v[156:157], v[8:9], v[166:167]
	s_waitcnt vmcnt(8)
	v_fma_f64 v[114:115], -v[156:157], v[10:11], v[114:115]
	ds_read2_b64 v[4:7], v13 offset0:46 offset1:47
	ds_read2_b64 v[8:11], v13 offset0:48 offset1:49
	s_waitcnt vmcnt(7) lgkmcnt(2)
	v_fma_f64 v[164:165], -v[156:157], v[0:1], v[164:165]
	s_waitcnt vmcnt(6)
	v_fma_f64 v[112:113], -v[156:157], v[2:3], v[112:113]
	ds_read2_b64 v[0:3], v13 offset0:50 offset1:51
	s_waitcnt vmcnt(5) lgkmcnt(2)
	v_fma_f64 v[162:163], -v[156:157], v[4:5], v[162:163]
	s_waitcnt vmcnt(4)
	v_fma_f64 v[110:111], -v[156:157], v[6:7], v[110:111]
	s_waitcnt vmcnt(3) lgkmcnt(1)
	v_fma_f64 v[160:161], -v[156:157], v[8:9], v[160:161]
	s_waitcnt vmcnt(2)
	v_fma_f64 v[108:109], -v[156:157], v[10:11], v[108:109]
	;; [unrolled: 4-line block ×3, first 2 shown]
.LBB103_11:
	s_or_b64 exec, exec, s[2:3]
	v_cmp_eq_u32_e32 vcc, 2, v14
	s_waitcnt lgkmcnt(0)
	s_barrier
	s_and_saveexec_b64 s[2:3], vcc
	s_cbranch_execz .LBB103_14
; %bb.12:
	ds_write_b64 v12, v[206:207]
	ds_write2_b64 v13, v[154:155], v[204:205] offset0:3 offset1:4
	s_waitcnt vmcnt(57)
	ds_write2_b64 v13, v[152:153], v[202:203] offset0:5 offset1:6
	s_waitcnt vmcnt(51)
	;; [unrolled: 2-line block ×24, first 2 shown]
	ds_write_b64 v13, v[208:209] offset:408
	ds_read_b64 v[0:1], v12
	s_waitcnt lgkmcnt(0)
	v_cmp_neq_f64_e32 vcc, 0, v[0:1]
	s_and_b64 exec, exec, vcc
	s_cbranch_execz .LBB103_14
; %bb.13:
	v_div_scale_f64 v[2:3], s[6:7], v[0:1], v[0:1], 1.0
	v_rcp_f64_e32 v[4:5], v[2:3]
	v_div_scale_f64 v[6:7], vcc, 1.0, v[0:1], 1.0
	v_fma_f64 v[8:9], -v[2:3], v[4:5], 1.0
	v_fmac_f64_e32 v[4:5], v[4:5], v[8:9]
	v_fma_f64 v[8:9], -v[2:3], v[4:5], 1.0
	v_fmac_f64_e32 v[4:5], v[4:5], v[8:9]
	v_mul_f64 v[8:9], v[6:7], v[4:5]
	v_fma_f64 v[2:3], -v[2:3], v[8:9], v[6:7]
	v_div_fmas_f64 v[2:3], v[2:3], v[4:5], v[8:9]
	v_div_fixup_f64 v[0:1], v[2:3], v[0:1], 1.0
	ds_write_b64 v12, v[0:1]
.LBB103_14:
	s_or_b64 exec, exec, s[2:3]
	s_waitcnt lgkmcnt(0)
	s_barrier
	ds_read_b64 v[210:211], v12
	v_cmp_lt_u32_e32 vcc, 2, v14
	s_and_saveexec_b64 s[2:3], vcc
	s_cbranch_execz .LBB103_16
; %bb.15:
	ds_read2_b64 v[0:3], v13 offset0:3 offset1:4
	ds_read2_b64 v[4:7], v13 offset0:5 offset1:6
	s_waitcnt lgkmcnt(2)
	v_mul_f64 v[206:207], v[210:211], v[206:207]
	ds_read2_b64 v[8:11], v13 offset0:7 offset1:8
	s_waitcnt lgkmcnt(2)
	v_fma_f64 v[154:155], -v[206:207], v[0:1], v[154:155]
	v_fma_f64 v[204:205], -v[206:207], v[2:3], v[204:205]
	ds_read2_b64 v[0:3], v13 offset0:9 offset1:10
	s_waitcnt vmcnt(60) lgkmcnt(2)
	v_fma_f64 v[152:153], -v[206:207], v[4:5], v[152:153]
	s_waitcnt vmcnt(57)
	v_fma_f64 v[202:203], -v[206:207], v[6:7], v[202:203]
	s_waitcnt vmcnt(54) lgkmcnt(1)
	v_fma_f64 v[150:151], -v[206:207], v[8:9], v[150:151]
	ds_read2_b64 v[4:7], v13 offset0:11 offset1:12
	s_waitcnt vmcnt(51)
	v_fma_f64 v[200:201], -v[206:207], v[10:11], v[200:201]
	ds_read2_b64 v[8:11], v13 offset0:13 offset1:14
	s_waitcnt vmcnt(48) lgkmcnt(2)
	v_fma_f64 v[148:149], -v[206:207], v[0:1], v[148:149]
	s_waitcnt vmcnt(45)
	v_fma_f64 v[198:199], -v[206:207], v[2:3], v[198:199]
	ds_read2_b64 v[0:3], v13 offset0:15 offset1:16
	s_waitcnt vmcnt(42) lgkmcnt(2)
	v_fma_f64 v[146:147], -v[206:207], v[4:5], v[146:147]
	s_waitcnt vmcnt(39)
	v_fma_f64 v[196:197], -v[206:207], v[6:7], v[196:197]
	ds_read2_b64 v[4:7], v13 offset0:17 offset1:18
	s_waitcnt vmcnt(38) lgkmcnt(2)
	v_fma_f64 v[144:145], -v[206:207], v[8:9], v[144:145]
	s_waitcnt vmcnt(37)
	v_fma_f64 v[194:195], -v[206:207], v[10:11], v[194:195]
	s_waitcnt vmcnt(36) lgkmcnt(1)
	v_fma_f64 v[142:143], -v[206:207], v[0:1], v[142:143]
	ds_read2_b64 v[8:11], v13 offset0:19 offset1:20
	s_waitcnt vmcnt(35)
	v_fma_f64 v[192:193], -v[206:207], v[2:3], v[192:193]
	ds_read2_b64 v[0:3], v13 offset0:21 offset1:22
	s_waitcnt vmcnt(34) lgkmcnt(2)
	v_fma_f64 v[140:141], -v[206:207], v[4:5], v[140:141]
	s_waitcnt vmcnt(33)
	v_fma_f64 v[190:191], -v[206:207], v[6:7], v[190:191]
	s_waitcnt vmcnt(32) lgkmcnt(1)
	v_fma_f64 v[138:139], -v[206:207], v[8:9], v[138:139]
	ds_read2_b64 v[4:7], v13 offset0:23 offset1:24
	s_waitcnt vmcnt(31)
	v_fma_f64 v[188:189], -v[206:207], v[10:11], v[188:189]
	ds_read2_b64 v[8:11], v13 offset0:25 offset1:26
	s_waitcnt vmcnt(30) lgkmcnt(2)
	v_fma_f64 v[136:137], -v[206:207], v[0:1], v[136:137]
	s_waitcnt vmcnt(29)
	v_fma_f64 v[186:187], -v[206:207], v[2:3], v[186:187]
	ds_read2_b64 v[0:3], v13 offset0:27 offset1:28
	s_waitcnt vmcnt(28) lgkmcnt(2)
	v_fma_f64 v[134:135], -v[206:207], v[4:5], v[134:135]
	s_waitcnt vmcnt(27)
	v_fma_f64 v[184:185], -v[206:207], v[6:7], v[184:185]
	ds_read2_b64 v[4:7], v13 offset0:29 offset1:30
	s_waitcnt vmcnt(26) lgkmcnt(2)
	v_fma_f64 v[132:133], -v[206:207], v[8:9], v[132:133]
	s_waitcnt vmcnt(25)
	v_fma_f64 v[182:183], -v[206:207], v[10:11], v[182:183]
	s_waitcnt vmcnt(24) lgkmcnt(1)
	v_fma_f64 v[130:131], -v[206:207], v[0:1], v[130:131]
	ds_read2_b64 v[8:11], v13 offset0:31 offset1:32
	s_waitcnt vmcnt(23)
	v_fma_f64 v[180:181], -v[206:207], v[2:3], v[180:181]
	ds_read2_b64 v[0:3], v13 offset0:33 offset1:34
	s_waitcnt vmcnt(22) lgkmcnt(2)
	v_fma_f64 v[128:129], -v[206:207], v[4:5], v[128:129]
	s_waitcnt vmcnt(21)
	v_fma_f64 v[178:179], -v[206:207], v[6:7], v[178:179]
	s_waitcnt vmcnt(20) lgkmcnt(1)
	v_fma_f64 v[126:127], -v[206:207], v[8:9], v[126:127]
	ds_read2_b64 v[4:7], v13 offset0:35 offset1:36
	s_waitcnt vmcnt(19)
	v_fma_f64 v[176:177], -v[206:207], v[10:11], v[176:177]
	ds_read2_b64 v[8:11], v13 offset0:37 offset1:38
	s_waitcnt vmcnt(18) lgkmcnt(2)
	v_fma_f64 v[124:125], -v[206:207], v[0:1], v[124:125]
	s_waitcnt vmcnt(17)
	v_fma_f64 v[174:175], -v[206:207], v[2:3], v[174:175]
	ds_read2_b64 v[0:3], v13 offset0:39 offset1:40
	s_waitcnt vmcnt(16) lgkmcnt(2)
	v_fma_f64 v[122:123], -v[206:207], v[4:5], v[122:123]
	s_waitcnt vmcnt(15)
	v_fma_f64 v[172:173], -v[206:207], v[6:7], v[172:173]
	ds_read2_b64 v[4:7], v13 offset0:41 offset1:42
	s_waitcnt vmcnt(14) lgkmcnt(2)
	v_fma_f64 v[120:121], -v[206:207], v[8:9], v[120:121]
	s_waitcnt vmcnt(13)
	v_fma_f64 v[170:171], -v[206:207], v[10:11], v[170:171]
	s_waitcnt vmcnt(12) lgkmcnt(1)
	v_fma_f64 v[118:119], -v[206:207], v[0:1], v[118:119]
	ds_read2_b64 v[8:11], v13 offset0:43 offset1:44
	s_waitcnt vmcnt(11)
	v_fma_f64 v[168:169], -v[206:207], v[2:3], v[168:169]
	ds_read2_b64 v[0:3], v13 offset0:45 offset1:46
	s_waitcnt vmcnt(10) lgkmcnt(2)
	v_fma_f64 v[116:117], -v[206:207], v[4:5], v[116:117]
	s_waitcnt vmcnt(9)
	v_fma_f64 v[166:167], -v[206:207], v[6:7], v[166:167]
	s_waitcnt vmcnt(8) lgkmcnt(1)
	v_fma_f64 v[114:115], -v[206:207], v[8:9], v[114:115]
	s_waitcnt vmcnt(7)
	v_fma_f64 v[164:165], -v[206:207], v[10:11], v[164:165]
	ds_read2_b64 v[4:7], v13 offset0:47 offset1:48
	ds_read2_b64 v[8:11], v13 offset0:49 offset1:50
	s_waitcnt vmcnt(6) lgkmcnt(2)
	v_fma_f64 v[112:113], -v[206:207], v[0:1], v[112:113]
	ds_read_b64 v[0:1], v13 offset:408
	s_waitcnt vmcnt(5)
	v_fma_f64 v[162:163], -v[206:207], v[2:3], v[162:163]
	s_waitcnt vmcnt(4) lgkmcnt(2)
	v_fma_f64 v[110:111], -v[206:207], v[4:5], v[110:111]
	s_waitcnt vmcnt(3)
	v_fma_f64 v[160:161], -v[206:207], v[6:7], v[160:161]
	s_waitcnt vmcnt(2) lgkmcnt(1)
	v_fma_f64 v[108:109], -v[206:207], v[8:9], v[108:109]
	;; [unrolled: 4-line block ×3, first 2 shown]
.LBB103_16:
	s_or_b64 exec, exec, s[2:3]
	v_cmp_eq_u32_e32 vcc, 3, v14
	s_waitcnt lgkmcnt(0)
	s_barrier
	s_and_saveexec_b64 s[2:3], vcc
	s_cbranch_execz .LBB103_19
; %bb.17:
	v_mov_b32_e32 v0, v204
	v_mov_b32_e32 v1, v205
	s_waitcnt vmcnt(60)
	v_mov_b32_e32 v2, v152
	v_mov_b32_e32 v3, v153
	ds_write_b64 v12, v[154:155]
	ds_write2_b64 v13, v[0:1], v[2:3] offset0:4 offset1:5
	s_waitcnt vmcnt(57)
	v_mov_b32_e32 v0, v202
	v_mov_b32_e32 v1, v203
	s_waitcnt vmcnt(54)
	v_mov_b32_e32 v2, v150
	v_mov_b32_e32 v3, v151
	ds_write2_b64 v13, v[0:1], v[2:3] offset0:6 offset1:7
	s_waitcnt vmcnt(51)
	v_mov_b32_e32 v0, v200
	v_mov_b32_e32 v1, v201
	s_waitcnt vmcnt(48)
	v_mov_b32_e32 v2, v148
	v_mov_b32_e32 v3, v149
	;; [unrolled: 7-line block ×22, first 2 shown]
	ds_write2_b64 v13, v[0:1], v[2:3] offset0:48 offset1:49
	s_waitcnt vmcnt(1)
	v_mov_b32_e32 v0, v158
	v_mov_b32_e32 v1, v159
	s_waitcnt vmcnt(0)
	ds_write2_b64 v13, v[0:1], v[208:209] offset0:50 offset1:51
	ds_read_b64 v[0:1], v12
	s_waitcnt lgkmcnt(0)
	v_cmp_neq_f64_e32 vcc, 0, v[0:1]
	s_and_b64 exec, exec, vcc
	s_cbranch_execz .LBB103_19
; %bb.18:
	v_div_scale_f64 v[2:3], s[6:7], v[0:1], v[0:1], 1.0
	v_rcp_f64_e32 v[4:5], v[2:3]
	v_div_scale_f64 v[6:7], vcc, 1.0, v[0:1], 1.0
	v_fma_f64 v[8:9], -v[2:3], v[4:5], 1.0
	v_fmac_f64_e32 v[4:5], v[4:5], v[8:9]
	v_fma_f64 v[8:9], -v[2:3], v[4:5], 1.0
	v_fmac_f64_e32 v[4:5], v[4:5], v[8:9]
	v_mul_f64 v[8:9], v[6:7], v[4:5]
	v_fma_f64 v[2:3], -v[2:3], v[8:9], v[6:7]
	v_div_fmas_f64 v[2:3], v[2:3], v[4:5], v[8:9]
	v_div_fixup_f64 v[0:1], v[2:3], v[0:1], 1.0
	ds_write_b64 v12, v[0:1]
.LBB103_19:
	s_or_b64 exec, exec, s[2:3]
	s_waitcnt lgkmcnt(0)
	s_barrier
	ds_read_b64 v[212:213], v12
	v_cmp_lt_u32_e32 vcc, 3, v14
	s_and_saveexec_b64 s[2:3], vcc
	s_cbranch_execz .LBB103_21
; %bb.20:
	ds_read2_b64 v[0:3], v13 offset0:4 offset1:5
	ds_read2_b64 v[4:7], v13 offset0:6 offset1:7
	ds_read2_b64 v[8:11], v13 offset0:8 offset1:9
	s_waitcnt lgkmcnt(3)
	v_mul_f64 v[154:155], v[212:213], v[154:155]
	s_waitcnt lgkmcnt(2)
	v_fma_f64 v[204:205], -v[154:155], v[0:1], v[204:205]
	s_waitcnt vmcnt(60)
	v_fma_f64 v[152:153], -v[154:155], v[2:3], v[152:153]
	ds_read2_b64 v[0:3], v13 offset0:10 offset1:11
	s_waitcnt vmcnt(57) lgkmcnt(2)
	v_fma_f64 v[202:203], -v[154:155], v[4:5], v[202:203]
	s_waitcnt vmcnt(54)
	v_fma_f64 v[150:151], -v[154:155], v[6:7], v[150:151]
	s_waitcnt vmcnt(51) lgkmcnt(1)
	v_fma_f64 v[200:201], -v[154:155], v[8:9], v[200:201]
	ds_read2_b64 v[4:7], v13 offset0:12 offset1:13
	s_waitcnt vmcnt(48)
	v_fma_f64 v[148:149], -v[154:155], v[10:11], v[148:149]
	ds_read2_b64 v[8:11], v13 offset0:14 offset1:15
	s_waitcnt vmcnt(45) lgkmcnt(2)
	v_fma_f64 v[198:199], -v[154:155], v[0:1], v[198:199]
	s_waitcnt vmcnt(42)
	v_fma_f64 v[146:147], -v[154:155], v[2:3], v[146:147]
	s_waitcnt vmcnt(39) lgkmcnt(1)
	v_fma_f64 v[196:197], -v[154:155], v[4:5], v[196:197]
	ds_read2_b64 v[0:3], v13 offset0:16 offset1:17
	s_waitcnt vmcnt(38)
	v_fma_f64 v[144:145], -v[154:155], v[6:7], v[144:145]
	ds_read2_b64 v[4:7], v13 offset0:18 offset1:19
	s_waitcnt vmcnt(37) lgkmcnt(2)
	v_fma_f64 v[194:195], -v[154:155], v[8:9], v[194:195]
	s_waitcnt vmcnt(36)
	v_fma_f64 v[142:143], -v[154:155], v[10:11], v[142:143]
	ds_read2_b64 v[8:11], v13 offset0:20 offset1:21
	s_waitcnt vmcnt(35) lgkmcnt(2)
	v_fma_f64 v[192:193], -v[154:155], v[0:1], v[192:193]
	s_waitcnt vmcnt(34)
	v_fma_f64 v[140:141], -v[154:155], v[2:3], v[140:141]
	ds_read2_b64 v[0:3], v13 offset0:22 offset1:23
	s_waitcnt vmcnt(33) lgkmcnt(2)
	v_fma_f64 v[190:191], -v[154:155], v[4:5], v[190:191]
	s_waitcnt vmcnt(32)
	v_fma_f64 v[138:139], -v[154:155], v[6:7], v[138:139]
	s_waitcnt vmcnt(31) lgkmcnt(1)
	v_fma_f64 v[188:189], -v[154:155], v[8:9], v[188:189]
	ds_read2_b64 v[4:7], v13 offset0:24 offset1:25
	s_waitcnt vmcnt(30)
	v_fma_f64 v[136:137], -v[154:155], v[10:11], v[136:137]
	ds_read2_b64 v[8:11], v13 offset0:26 offset1:27
	s_waitcnt vmcnt(29) lgkmcnt(2)
	v_fma_f64 v[186:187], -v[154:155], v[0:1], v[186:187]
	s_waitcnt vmcnt(28)
	v_fma_f64 v[134:135], -v[154:155], v[2:3], v[134:135]
	s_waitcnt vmcnt(27) lgkmcnt(1)
	v_fma_f64 v[184:185], -v[154:155], v[4:5], v[184:185]
	ds_read2_b64 v[0:3], v13 offset0:28 offset1:29
	s_waitcnt vmcnt(26)
	v_fma_f64 v[132:133], -v[154:155], v[6:7], v[132:133]
	ds_read2_b64 v[4:7], v13 offset0:30 offset1:31
	s_waitcnt vmcnt(25) lgkmcnt(2)
	v_fma_f64 v[182:183], -v[154:155], v[8:9], v[182:183]
	s_waitcnt vmcnt(24)
	v_fma_f64 v[130:131], -v[154:155], v[10:11], v[130:131]
	ds_read2_b64 v[8:11], v13 offset0:32 offset1:33
	s_waitcnt vmcnt(23) lgkmcnt(2)
	;; [unrolled: 30-line block ×3, first 2 shown]
	v_fma_f64 v[168:169], -v[154:155], v[0:1], v[168:169]
	s_waitcnt vmcnt(10)
	v_fma_f64 v[116:117], -v[154:155], v[2:3], v[116:117]
	ds_read2_b64 v[0:3], v13 offset0:46 offset1:47
	s_waitcnt vmcnt(9) lgkmcnt(2)
	v_fma_f64 v[166:167], -v[154:155], v[4:5], v[166:167]
	s_waitcnt vmcnt(8)
	v_fma_f64 v[114:115], -v[154:155], v[6:7], v[114:115]
	s_waitcnt vmcnt(7) lgkmcnt(1)
	v_fma_f64 v[164:165], -v[154:155], v[8:9], v[164:165]
	ds_read2_b64 v[4:7], v13 offset0:48 offset1:49
	s_waitcnt vmcnt(6)
	v_fma_f64 v[112:113], -v[154:155], v[10:11], v[112:113]
	ds_read2_b64 v[8:11], v13 offset0:50 offset1:51
	s_waitcnt vmcnt(5) lgkmcnt(2)
	v_fma_f64 v[162:163], -v[154:155], v[0:1], v[162:163]
	s_waitcnt vmcnt(4)
	v_fma_f64 v[110:111], -v[154:155], v[2:3], v[110:111]
	s_waitcnt vmcnt(3) lgkmcnt(1)
	v_fma_f64 v[160:161], -v[154:155], v[4:5], v[160:161]
	s_waitcnt vmcnt(2)
	v_fma_f64 v[108:109], -v[154:155], v[6:7], v[108:109]
	;; [unrolled: 4-line block ×3, first 2 shown]
.LBB103_21:
	s_or_b64 exec, exec, s[2:3]
	v_cmp_eq_u32_e32 vcc, 4, v14
	s_waitcnt lgkmcnt(0)
	s_barrier
	s_and_saveexec_b64 s[2:3], vcc
	s_cbranch_execz .LBB103_24
; %bb.22:
	ds_write_b64 v12, v[204:205]
	s_waitcnt vmcnt(57)
	ds_write2_b64 v13, v[152:153], v[202:203] offset0:5 offset1:6
	s_waitcnt vmcnt(51)
	ds_write2_b64 v13, v[150:151], v[200:201] offset0:7 offset1:8
	;; [unrolled: 2-line block ×23, first 2 shown]
	s_waitcnt vmcnt(0)
	ds_write_b64 v13, v[208:209] offset:408
	ds_read_b64 v[0:1], v12
	s_waitcnt lgkmcnt(0)
	v_cmp_neq_f64_e32 vcc, 0, v[0:1]
	s_and_b64 exec, exec, vcc
	s_cbranch_execz .LBB103_24
; %bb.23:
	v_div_scale_f64 v[2:3], s[6:7], v[0:1], v[0:1], 1.0
	v_rcp_f64_e32 v[4:5], v[2:3]
	v_div_scale_f64 v[6:7], vcc, 1.0, v[0:1], 1.0
	v_fma_f64 v[8:9], -v[2:3], v[4:5], 1.0
	v_fmac_f64_e32 v[4:5], v[4:5], v[8:9]
	v_fma_f64 v[8:9], -v[2:3], v[4:5], 1.0
	v_fmac_f64_e32 v[4:5], v[4:5], v[8:9]
	v_mul_f64 v[8:9], v[6:7], v[4:5]
	v_fma_f64 v[2:3], -v[2:3], v[8:9], v[6:7]
	v_div_fmas_f64 v[2:3], v[2:3], v[4:5], v[8:9]
	v_div_fixup_f64 v[0:1], v[2:3], v[0:1], 1.0
	ds_write_b64 v12, v[0:1]
.LBB103_24:
	s_or_b64 exec, exec, s[2:3]
	s_waitcnt lgkmcnt(0)
	s_barrier
	ds_read_b64 v[214:215], v12
	v_cmp_lt_u32_e32 vcc, 4, v14
	s_and_saveexec_b64 s[2:3], vcc
	s_cbranch_execz .LBB103_26
; %bb.25:
	ds_read2_b64 v[0:3], v13 offset0:5 offset1:6
	ds_read2_b64 v[4:7], v13 offset0:7 offset1:8
	ds_read2_b64 v[8:11], v13 offset0:9 offset1:10
	s_waitcnt lgkmcnt(3)
	v_mul_f64 v[204:205], v[214:215], v[204:205]
	s_waitcnt vmcnt(60) lgkmcnt(2)
	v_fma_f64 v[152:153], -v[204:205], v[0:1], v[152:153]
	s_waitcnt vmcnt(57)
	v_fma_f64 v[202:203], -v[204:205], v[2:3], v[202:203]
	ds_read2_b64 v[0:3], v13 offset0:11 offset1:12
	s_waitcnt vmcnt(54) lgkmcnt(2)
	v_fma_f64 v[150:151], -v[204:205], v[4:5], v[150:151]
	s_waitcnt vmcnt(51)
	v_fma_f64 v[200:201], -v[204:205], v[6:7], v[200:201]
	s_waitcnt vmcnt(48) lgkmcnt(1)
	v_fma_f64 v[148:149], -v[204:205], v[8:9], v[148:149]
	ds_read2_b64 v[4:7], v13 offset0:13 offset1:14
	s_waitcnt vmcnt(45)
	v_fma_f64 v[198:199], -v[204:205], v[10:11], v[198:199]
	ds_read2_b64 v[8:11], v13 offset0:15 offset1:16
	s_waitcnt vmcnt(42) lgkmcnt(2)
	v_fma_f64 v[146:147], -v[204:205], v[0:1], v[146:147]
	s_waitcnt vmcnt(39)
	v_fma_f64 v[196:197], -v[204:205], v[2:3], v[196:197]
	s_waitcnt vmcnt(38) lgkmcnt(1)
	v_fma_f64 v[144:145], -v[204:205], v[4:5], v[144:145]
	ds_read2_b64 v[0:3], v13 offset0:17 offset1:18
	s_waitcnt vmcnt(37)
	v_fma_f64 v[194:195], -v[204:205], v[6:7], v[194:195]
	ds_read2_b64 v[4:7], v13 offset0:19 offset1:20
	s_waitcnt vmcnt(36) lgkmcnt(2)
	v_fma_f64 v[142:143], -v[204:205], v[8:9], v[142:143]
	s_waitcnt vmcnt(35)
	v_fma_f64 v[192:193], -v[204:205], v[10:11], v[192:193]
	ds_read2_b64 v[8:11], v13 offset0:21 offset1:22
	s_waitcnt vmcnt(34) lgkmcnt(2)
	v_fma_f64 v[140:141], -v[204:205], v[0:1], v[140:141]
	s_waitcnt vmcnt(33)
	v_fma_f64 v[190:191], -v[204:205], v[2:3], v[190:191]
	ds_read2_b64 v[0:3], v13 offset0:23 offset1:24
	s_waitcnt vmcnt(32) lgkmcnt(2)
	v_fma_f64 v[138:139], -v[204:205], v[4:5], v[138:139]
	s_waitcnt vmcnt(31)
	v_fma_f64 v[188:189], -v[204:205], v[6:7], v[188:189]
	s_waitcnt vmcnt(30) lgkmcnt(1)
	v_fma_f64 v[136:137], -v[204:205], v[8:9], v[136:137]
	ds_read2_b64 v[4:7], v13 offset0:25 offset1:26
	s_waitcnt vmcnt(29)
	v_fma_f64 v[186:187], -v[204:205], v[10:11], v[186:187]
	ds_read2_b64 v[8:11], v13 offset0:27 offset1:28
	s_waitcnt vmcnt(28) lgkmcnt(2)
	v_fma_f64 v[134:135], -v[204:205], v[0:1], v[134:135]
	s_waitcnt vmcnt(27)
	v_fma_f64 v[184:185], -v[204:205], v[2:3], v[184:185]
	s_waitcnt vmcnt(26) lgkmcnt(1)
	v_fma_f64 v[132:133], -v[204:205], v[4:5], v[132:133]
	ds_read2_b64 v[0:3], v13 offset0:29 offset1:30
	s_waitcnt vmcnt(25)
	v_fma_f64 v[182:183], -v[204:205], v[6:7], v[182:183]
	ds_read2_b64 v[4:7], v13 offset0:31 offset1:32
	s_waitcnt vmcnt(24) lgkmcnt(2)
	v_fma_f64 v[130:131], -v[204:205], v[8:9], v[130:131]
	s_waitcnt vmcnt(23)
	v_fma_f64 v[180:181], -v[204:205], v[10:11], v[180:181]
	ds_read2_b64 v[8:11], v13 offset0:33 offset1:34
	;; [unrolled: 30-line block ×3, first 2 shown]
	s_waitcnt vmcnt(10) lgkmcnt(2)
	v_fma_f64 v[116:117], -v[204:205], v[0:1], v[116:117]
	s_waitcnt vmcnt(9)
	v_fma_f64 v[166:167], -v[204:205], v[2:3], v[166:167]
	ds_read2_b64 v[0:3], v13 offset0:47 offset1:48
	s_waitcnt vmcnt(8) lgkmcnt(2)
	v_fma_f64 v[114:115], -v[204:205], v[4:5], v[114:115]
	s_waitcnt vmcnt(7)
	v_fma_f64 v[164:165], -v[204:205], v[6:7], v[164:165]
	s_waitcnt vmcnt(6) lgkmcnt(1)
	v_fma_f64 v[112:113], -v[204:205], v[8:9], v[112:113]
	ds_read2_b64 v[4:7], v13 offset0:49 offset1:50
	ds_read_b64 v[8:9], v13 offset:408
	s_waitcnt vmcnt(5)
	v_fma_f64 v[162:163], -v[204:205], v[10:11], v[162:163]
	s_waitcnt vmcnt(4) lgkmcnt(2)
	v_fma_f64 v[110:111], -v[204:205], v[0:1], v[110:111]
	s_waitcnt vmcnt(3)
	v_fma_f64 v[160:161], -v[204:205], v[2:3], v[160:161]
	s_waitcnt vmcnt(2) lgkmcnt(1)
	v_fma_f64 v[108:109], -v[204:205], v[4:5], v[108:109]
	;; [unrolled: 4-line block ×3, first 2 shown]
.LBB103_26:
	s_or_b64 exec, exec, s[2:3]
	v_cmp_eq_u32_e32 vcc, 5, v14
	s_waitcnt lgkmcnt(0)
	s_barrier
	s_and_saveexec_b64 s[2:3], vcc
	s_cbranch_execz .LBB103_29
; %bb.27:
	s_waitcnt vmcnt(57)
	v_mov_b32_e32 v0, v202
	v_mov_b32_e32 v1, v203
	s_waitcnt vmcnt(54)
	v_mov_b32_e32 v2, v150
	v_mov_b32_e32 v3, v151
	ds_write_b64 v12, v[152:153]
	ds_write2_b64 v13, v[0:1], v[2:3] offset0:6 offset1:7
	s_waitcnt vmcnt(51)
	v_mov_b32_e32 v0, v200
	v_mov_b32_e32 v1, v201
	s_waitcnt vmcnt(48)
	v_mov_b32_e32 v2, v148
	v_mov_b32_e32 v3, v149
	ds_write2_b64 v13, v[0:1], v[2:3] offset0:8 offset1:9
	s_waitcnt vmcnt(45)
	v_mov_b32_e32 v0, v198
	v_mov_b32_e32 v1, v199
	s_waitcnt vmcnt(42)
	v_mov_b32_e32 v2, v146
	v_mov_b32_e32 v3, v147
	;; [unrolled: 7-line block ×21, first 2 shown]
	ds_write2_b64 v13, v[0:1], v[2:3] offset0:48 offset1:49
	s_waitcnt vmcnt(1)
	v_mov_b32_e32 v0, v158
	v_mov_b32_e32 v1, v159
	s_waitcnt vmcnt(0)
	ds_write2_b64 v13, v[0:1], v[208:209] offset0:50 offset1:51
	ds_read_b64 v[0:1], v12
	s_waitcnt lgkmcnt(0)
	v_cmp_neq_f64_e32 vcc, 0, v[0:1]
	s_and_b64 exec, exec, vcc
	s_cbranch_execz .LBB103_29
; %bb.28:
	v_div_scale_f64 v[2:3], s[6:7], v[0:1], v[0:1], 1.0
	v_rcp_f64_e32 v[4:5], v[2:3]
	v_div_scale_f64 v[6:7], vcc, 1.0, v[0:1], 1.0
	v_fma_f64 v[8:9], -v[2:3], v[4:5], 1.0
	v_fmac_f64_e32 v[4:5], v[4:5], v[8:9]
	v_fma_f64 v[8:9], -v[2:3], v[4:5], 1.0
	v_fmac_f64_e32 v[4:5], v[4:5], v[8:9]
	v_mul_f64 v[8:9], v[6:7], v[4:5]
	v_fma_f64 v[2:3], -v[2:3], v[8:9], v[6:7]
	v_div_fmas_f64 v[2:3], v[2:3], v[4:5], v[8:9]
	v_div_fixup_f64 v[0:1], v[2:3], v[0:1], 1.0
	ds_write_b64 v12, v[0:1]
.LBB103_29:
	s_or_b64 exec, exec, s[2:3]
	s_waitcnt lgkmcnt(0)
	s_barrier
	ds_read_b64 v[216:217], v12
	v_cmp_lt_u32_e32 vcc, 5, v14
	s_and_saveexec_b64 s[2:3], vcc
	s_cbranch_execz .LBB103_31
; %bb.30:
	ds_read2_b64 v[0:3], v13 offset0:6 offset1:7
	ds_read2_b64 v[4:7], v13 offset0:8 offset1:9
	s_waitcnt vmcnt(60) lgkmcnt(2)
	v_mul_f64 v[152:153], v[216:217], v[152:153]
	ds_read2_b64 v[8:11], v13 offset0:10 offset1:11
	s_waitcnt vmcnt(57) lgkmcnt(2)
	v_fma_f64 v[202:203], -v[152:153], v[0:1], v[202:203]
	s_waitcnt vmcnt(54)
	v_fma_f64 v[150:151], -v[152:153], v[2:3], v[150:151]
	ds_read2_b64 v[0:3], v13 offset0:12 offset1:13
	s_waitcnt vmcnt(51) lgkmcnt(2)
	v_fma_f64 v[200:201], -v[152:153], v[4:5], v[200:201]
	s_waitcnt vmcnt(48)
	v_fma_f64 v[148:149], -v[152:153], v[6:7], v[148:149]
	;; [unrolled: 5-line block ×4, first 2 shown]
	s_waitcnt vmcnt(37) lgkmcnt(1)
	v_fma_f64 v[194:195], -v[152:153], v[4:5], v[194:195]
	ds_read2_b64 v[0:3], v13 offset0:18 offset1:19
	s_waitcnt vmcnt(36)
	v_fma_f64 v[142:143], -v[152:153], v[6:7], v[142:143]
	ds_read2_b64 v[4:7], v13 offset0:20 offset1:21
	s_waitcnt vmcnt(35) lgkmcnt(2)
	v_fma_f64 v[192:193], -v[152:153], v[8:9], v[192:193]
	s_waitcnt vmcnt(34)
	v_fma_f64 v[140:141], -v[152:153], v[10:11], v[140:141]
	s_waitcnt vmcnt(33) lgkmcnt(1)
	v_fma_f64 v[190:191], -v[152:153], v[0:1], v[190:191]
	ds_read2_b64 v[8:11], v13 offset0:22 offset1:23
	s_waitcnt vmcnt(32)
	v_fma_f64 v[138:139], -v[152:153], v[2:3], v[138:139]
	ds_read2_b64 v[0:3], v13 offset0:24 offset1:25
	s_waitcnt vmcnt(31) lgkmcnt(2)
	v_fma_f64 v[188:189], -v[152:153], v[4:5], v[188:189]
	s_waitcnt vmcnt(30)
	v_fma_f64 v[136:137], -v[152:153], v[6:7], v[136:137]
	ds_read2_b64 v[4:7], v13 offset0:26 offset1:27
	s_waitcnt vmcnt(29) lgkmcnt(2)
	v_fma_f64 v[186:187], -v[152:153], v[8:9], v[186:187]
	;; [unrolled: 5-line block ×3, first 2 shown]
	s_waitcnt vmcnt(26)
	v_fma_f64 v[132:133], -v[152:153], v[2:3], v[132:133]
	s_waitcnt vmcnt(25) lgkmcnt(1)
	v_fma_f64 v[182:183], -v[152:153], v[4:5], v[182:183]
	ds_read2_b64 v[0:3], v13 offset0:30 offset1:31
	s_waitcnt vmcnt(24)
	v_fma_f64 v[130:131], -v[152:153], v[6:7], v[130:131]
	ds_read2_b64 v[4:7], v13 offset0:32 offset1:33
	s_waitcnt vmcnt(23) lgkmcnt(2)
	v_fma_f64 v[180:181], -v[152:153], v[8:9], v[180:181]
	s_waitcnt vmcnt(22)
	v_fma_f64 v[128:129], -v[152:153], v[10:11], v[128:129]
	s_waitcnt vmcnt(21) lgkmcnt(1)
	v_fma_f64 v[178:179], -v[152:153], v[0:1], v[178:179]
	ds_read2_b64 v[8:11], v13 offset0:34 offset1:35
	s_waitcnt vmcnt(20)
	v_fma_f64 v[126:127], -v[152:153], v[2:3], v[126:127]
	ds_read2_b64 v[0:3], v13 offset0:36 offset1:37
	s_waitcnt vmcnt(19) lgkmcnt(2)
	v_fma_f64 v[176:177], -v[152:153], v[4:5], v[176:177]
	s_waitcnt vmcnt(18)
	v_fma_f64 v[124:125], -v[152:153], v[6:7], v[124:125]
	ds_read2_b64 v[4:7], v13 offset0:38 offset1:39
	s_waitcnt vmcnt(17) lgkmcnt(2)
	v_fma_f64 v[174:175], -v[152:153], v[8:9], v[174:175]
	s_waitcnt vmcnt(16)
	v_fma_f64 v[122:123], -v[152:153], v[10:11], v[122:123]
	ds_read2_b64 v[8:11], v13 offset0:40 offset1:41
	s_waitcnt vmcnt(15) lgkmcnt(2)
	v_fma_f64 v[172:173], -v[152:153], v[0:1], v[172:173]
	s_waitcnt vmcnt(14)
	v_fma_f64 v[120:121], -v[152:153], v[2:3], v[120:121]
	s_waitcnt vmcnt(13) lgkmcnt(1)
	v_fma_f64 v[170:171], -v[152:153], v[4:5], v[170:171]
	ds_read2_b64 v[0:3], v13 offset0:42 offset1:43
	s_waitcnt vmcnt(12)
	v_fma_f64 v[118:119], -v[152:153], v[6:7], v[118:119]
	ds_read2_b64 v[4:7], v13 offset0:44 offset1:45
	s_waitcnt vmcnt(11) lgkmcnt(2)
	v_fma_f64 v[168:169], -v[152:153], v[8:9], v[168:169]
	s_waitcnt vmcnt(10)
	v_fma_f64 v[116:117], -v[152:153], v[10:11], v[116:117]
	s_waitcnt vmcnt(9) lgkmcnt(1)
	v_fma_f64 v[166:167], -v[152:153], v[0:1], v[166:167]
	s_waitcnt vmcnt(8)
	v_fma_f64 v[114:115], -v[152:153], v[2:3], v[114:115]
	ds_read2_b64 v[0:3], v13 offset0:46 offset1:47
	ds_read2_b64 v[8:11], v13 offset0:48 offset1:49
	s_waitcnt vmcnt(7) lgkmcnt(2)
	v_fma_f64 v[164:165], -v[152:153], v[4:5], v[164:165]
	s_waitcnt vmcnt(6)
	v_fma_f64 v[112:113], -v[152:153], v[6:7], v[112:113]
	ds_read2_b64 v[4:7], v13 offset0:50 offset1:51
	s_waitcnt vmcnt(5) lgkmcnt(2)
	v_fma_f64 v[162:163], -v[152:153], v[0:1], v[162:163]
	s_waitcnt vmcnt(4)
	v_fma_f64 v[110:111], -v[152:153], v[2:3], v[110:111]
	s_waitcnt vmcnt(3) lgkmcnt(1)
	v_fma_f64 v[160:161], -v[152:153], v[8:9], v[160:161]
	s_waitcnt vmcnt(2)
	v_fma_f64 v[108:109], -v[152:153], v[10:11], v[108:109]
	;; [unrolled: 4-line block ×3, first 2 shown]
.LBB103_31:
	s_or_b64 exec, exec, s[2:3]
	v_cmp_eq_u32_e32 vcc, 6, v14
	s_waitcnt lgkmcnt(0)
	s_barrier
	s_and_saveexec_b64 s[2:3], vcc
	s_cbranch_execz .LBB103_34
; %bb.32:
	s_waitcnt vmcnt(57)
	ds_write_b64 v12, v[202:203]
	s_waitcnt vmcnt(51)
	ds_write2_b64 v13, v[150:151], v[200:201] offset0:7 offset1:8
	s_waitcnt vmcnt(45)
	ds_write2_b64 v13, v[148:149], v[198:199] offset0:9 offset1:10
	;; [unrolled: 2-line block ×22, first 2 shown]
	s_waitcnt vmcnt(0)
	ds_write_b64 v13, v[208:209] offset:408
	ds_read_b64 v[0:1], v12
	s_waitcnt lgkmcnt(0)
	v_cmp_neq_f64_e32 vcc, 0, v[0:1]
	s_and_b64 exec, exec, vcc
	s_cbranch_execz .LBB103_34
; %bb.33:
	v_div_scale_f64 v[2:3], s[6:7], v[0:1], v[0:1], 1.0
	v_rcp_f64_e32 v[4:5], v[2:3]
	v_div_scale_f64 v[6:7], vcc, 1.0, v[0:1], 1.0
	v_fma_f64 v[8:9], -v[2:3], v[4:5], 1.0
	v_fmac_f64_e32 v[4:5], v[4:5], v[8:9]
	v_fma_f64 v[8:9], -v[2:3], v[4:5], 1.0
	v_fmac_f64_e32 v[4:5], v[4:5], v[8:9]
	v_mul_f64 v[8:9], v[6:7], v[4:5]
	v_fma_f64 v[2:3], -v[2:3], v[8:9], v[6:7]
	v_div_fmas_f64 v[2:3], v[2:3], v[4:5], v[8:9]
	v_div_fixup_f64 v[0:1], v[2:3], v[0:1], 1.0
	ds_write_b64 v12, v[0:1]
.LBB103_34:
	s_or_b64 exec, exec, s[2:3]
	s_waitcnt lgkmcnt(0)
	s_barrier
	ds_read_b64 v[218:219], v12
	v_cmp_lt_u32_e32 vcc, 6, v14
	s_and_saveexec_b64 s[2:3], vcc
	s_cbranch_execz .LBB103_36
; %bb.35:
	ds_read2_b64 v[0:3], v13 offset0:7 offset1:8
	ds_read2_b64 v[4:7], v13 offset0:9 offset1:10
	s_waitcnt vmcnt(57) lgkmcnt(2)
	v_mul_f64 v[202:203], v[218:219], v[202:203]
	ds_read2_b64 v[8:11], v13 offset0:11 offset1:12
	s_waitcnt vmcnt(54) lgkmcnt(2)
	v_fma_f64 v[150:151], -v[202:203], v[0:1], v[150:151]
	s_waitcnt vmcnt(51)
	v_fma_f64 v[200:201], -v[202:203], v[2:3], v[200:201]
	ds_read2_b64 v[0:3], v13 offset0:13 offset1:14
	s_waitcnt vmcnt(48) lgkmcnt(2)
	v_fma_f64 v[148:149], -v[202:203], v[4:5], v[148:149]
	s_waitcnt vmcnt(45)
	v_fma_f64 v[198:199], -v[202:203], v[6:7], v[198:199]
	;; [unrolled: 5-line block ×4, first 2 shown]
	s_waitcnt vmcnt(36) lgkmcnt(1)
	v_fma_f64 v[142:143], -v[202:203], v[4:5], v[142:143]
	ds_read2_b64 v[0:3], v13 offset0:19 offset1:20
	s_waitcnt vmcnt(35)
	v_fma_f64 v[192:193], -v[202:203], v[6:7], v[192:193]
	ds_read2_b64 v[4:7], v13 offset0:21 offset1:22
	s_waitcnt vmcnt(34) lgkmcnt(2)
	v_fma_f64 v[140:141], -v[202:203], v[8:9], v[140:141]
	s_waitcnt vmcnt(33)
	v_fma_f64 v[190:191], -v[202:203], v[10:11], v[190:191]
	s_waitcnt vmcnt(32) lgkmcnt(1)
	v_fma_f64 v[138:139], -v[202:203], v[0:1], v[138:139]
	ds_read2_b64 v[8:11], v13 offset0:23 offset1:24
	s_waitcnt vmcnt(31)
	v_fma_f64 v[188:189], -v[202:203], v[2:3], v[188:189]
	ds_read2_b64 v[0:3], v13 offset0:25 offset1:26
	s_waitcnt vmcnt(30) lgkmcnt(2)
	v_fma_f64 v[136:137], -v[202:203], v[4:5], v[136:137]
	s_waitcnt vmcnt(29)
	v_fma_f64 v[186:187], -v[202:203], v[6:7], v[186:187]
	ds_read2_b64 v[4:7], v13 offset0:27 offset1:28
	s_waitcnt vmcnt(28) lgkmcnt(2)
	v_fma_f64 v[134:135], -v[202:203], v[8:9], v[134:135]
	;; [unrolled: 5-line block ×3, first 2 shown]
	s_waitcnt vmcnt(25)
	v_fma_f64 v[182:183], -v[202:203], v[2:3], v[182:183]
	s_waitcnt vmcnt(24) lgkmcnt(1)
	v_fma_f64 v[130:131], -v[202:203], v[4:5], v[130:131]
	ds_read2_b64 v[0:3], v13 offset0:31 offset1:32
	s_waitcnt vmcnt(23)
	v_fma_f64 v[180:181], -v[202:203], v[6:7], v[180:181]
	ds_read2_b64 v[4:7], v13 offset0:33 offset1:34
	s_waitcnt vmcnt(22) lgkmcnt(2)
	v_fma_f64 v[128:129], -v[202:203], v[8:9], v[128:129]
	s_waitcnt vmcnt(21)
	v_fma_f64 v[178:179], -v[202:203], v[10:11], v[178:179]
	s_waitcnt vmcnt(20) lgkmcnt(1)
	v_fma_f64 v[126:127], -v[202:203], v[0:1], v[126:127]
	ds_read2_b64 v[8:11], v13 offset0:35 offset1:36
	s_waitcnt vmcnt(19)
	v_fma_f64 v[176:177], -v[202:203], v[2:3], v[176:177]
	ds_read2_b64 v[0:3], v13 offset0:37 offset1:38
	s_waitcnt vmcnt(18) lgkmcnt(2)
	v_fma_f64 v[124:125], -v[202:203], v[4:5], v[124:125]
	s_waitcnt vmcnt(17)
	v_fma_f64 v[174:175], -v[202:203], v[6:7], v[174:175]
	ds_read2_b64 v[4:7], v13 offset0:39 offset1:40
	s_waitcnt vmcnt(16) lgkmcnt(2)
	v_fma_f64 v[122:123], -v[202:203], v[8:9], v[122:123]
	;; [unrolled: 5-line block ×3, first 2 shown]
	s_waitcnt vmcnt(13)
	v_fma_f64 v[170:171], -v[202:203], v[2:3], v[170:171]
	s_waitcnt vmcnt(12) lgkmcnt(1)
	v_fma_f64 v[118:119], -v[202:203], v[4:5], v[118:119]
	ds_read2_b64 v[0:3], v13 offset0:43 offset1:44
	s_waitcnt vmcnt(11)
	v_fma_f64 v[168:169], -v[202:203], v[6:7], v[168:169]
	ds_read2_b64 v[4:7], v13 offset0:45 offset1:46
	s_waitcnt vmcnt(10) lgkmcnt(2)
	v_fma_f64 v[116:117], -v[202:203], v[8:9], v[116:117]
	s_waitcnt vmcnt(9)
	v_fma_f64 v[166:167], -v[202:203], v[10:11], v[166:167]
	s_waitcnt vmcnt(8) lgkmcnt(1)
	v_fma_f64 v[114:115], -v[202:203], v[0:1], v[114:115]
	s_waitcnt vmcnt(7)
	v_fma_f64 v[164:165], -v[202:203], v[2:3], v[164:165]
	ds_read2_b64 v[0:3], v13 offset0:47 offset1:48
	ds_read2_b64 v[8:11], v13 offset0:49 offset1:50
	s_waitcnt vmcnt(6) lgkmcnt(2)
	v_fma_f64 v[112:113], -v[202:203], v[4:5], v[112:113]
	ds_read_b64 v[4:5], v13 offset:408
	s_waitcnt vmcnt(5)
	v_fma_f64 v[162:163], -v[202:203], v[6:7], v[162:163]
	s_waitcnt vmcnt(4) lgkmcnt(2)
	v_fma_f64 v[110:111], -v[202:203], v[0:1], v[110:111]
	s_waitcnt vmcnt(3)
	v_fma_f64 v[160:161], -v[202:203], v[2:3], v[160:161]
	s_waitcnt vmcnt(2) lgkmcnt(1)
	v_fma_f64 v[108:109], -v[202:203], v[8:9], v[108:109]
	;; [unrolled: 4-line block ×3, first 2 shown]
.LBB103_36:
	s_or_b64 exec, exec, s[2:3]
	v_cmp_eq_u32_e32 vcc, 7, v14
	s_waitcnt lgkmcnt(0)
	s_barrier
	s_and_saveexec_b64 s[2:3], vcc
	s_cbranch_execz .LBB103_39
; %bb.37:
	s_waitcnt vmcnt(51)
	v_mov_b32_e32 v0, v200
	v_mov_b32_e32 v1, v201
	s_waitcnt vmcnt(48)
	v_mov_b32_e32 v2, v148
	v_mov_b32_e32 v3, v149
	ds_write_b64 v12, v[150:151]
	ds_write2_b64 v13, v[0:1], v[2:3] offset0:8 offset1:9
	s_waitcnt vmcnt(45)
	v_mov_b32_e32 v0, v198
	v_mov_b32_e32 v1, v199
	s_waitcnt vmcnt(42)
	v_mov_b32_e32 v2, v146
	v_mov_b32_e32 v3, v147
	ds_write2_b64 v13, v[0:1], v[2:3] offset0:10 offset1:11
	s_waitcnt vmcnt(39)
	v_mov_b32_e32 v0, v196
	v_mov_b32_e32 v1, v197
	s_waitcnt vmcnt(38)
	v_mov_b32_e32 v2, v144
	v_mov_b32_e32 v3, v145
	;; [unrolled: 7-line block ×20, first 2 shown]
	ds_write2_b64 v13, v[0:1], v[2:3] offset0:48 offset1:49
	s_waitcnt vmcnt(1)
	v_mov_b32_e32 v0, v158
	v_mov_b32_e32 v1, v159
	s_waitcnt vmcnt(0)
	ds_write2_b64 v13, v[0:1], v[208:209] offset0:50 offset1:51
	ds_read_b64 v[0:1], v12
	s_waitcnt lgkmcnt(0)
	v_cmp_neq_f64_e32 vcc, 0, v[0:1]
	s_and_b64 exec, exec, vcc
	s_cbranch_execz .LBB103_39
; %bb.38:
	v_div_scale_f64 v[2:3], s[6:7], v[0:1], v[0:1], 1.0
	v_rcp_f64_e32 v[4:5], v[2:3]
	v_div_scale_f64 v[6:7], vcc, 1.0, v[0:1], 1.0
	v_fma_f64 v[8:9], -v[2:3], v[4:5], 1.0
	v_fmac_f64_e32 v[4:5], v[4:5], v[8:9]
	v_fma_f64 v[8:9], -v[2:3], v[4:5], 1.0
	v_fmac_f64_e32 v[4:5], v[4:5], v[8:9]
	v_mul_f64 v[8:9], v[6:7], v[4:5]
	v_fma_f64 v[2:3], -v[2:3], v[8:9], v[6:7]
	v_div_fmas_f64 v[2:3], v[2:3], v[4:5], v[8:9]
	v_div_fixup_f64 v[0:1], v[2:3], v[0:1], 1.0
	ds_write_b64 v12, v[0:1]
.LBB103_39:
	s_or_b64 exec, exec, s[2:3]
	s_waitcnt lgkmcnt(0)
	s_barrier
	ds_read_b64 v[220:221], v12
	v_cmp_lt_u32_e32 vcc, 7, v14
	s_and_saveexec_b64 s[2:3], vcc
	s_cbranch_execz .LBB103_41
; %bb.40:
	ds_read2_b64 v[0:3], v13 offset0:8 offset1:9
	ds_read2_b64 v[4:7], v13 offset0:10 offset1:11
	s_waitcnt vmcnt(54) lgkmcnt(2)
	v_mul_f64 v[150:151], v[220:221], v[150:151]
	ds_read2_b64 v[8:11], v13 offset0:12 offset1:13
	s_waitcnt vmcnt(51) lgkmcnt(2)
	v_fma_f64 v[200:201], -v[150:151], v[0:1], v[200:201]
	s_waitcnt vmcnt(48)
	v_fma_f64 v[148:149], -v[150:151], v[2:3], v[148:149]
	ds_read2_b64 v[0:3], v13 offset0:14 offset1:15
	s_waitcnt vmcnt(45) lgkmcnt(2)
	v_fma_f64 v[198:199], -v[150:151], v[4:5], v[198:199]
	s_waitcnt vmcnt(42)
	v_fma_f64 v[146:147], -v[150:151], v[6:7], v[146:147]
	s_waitcnt vmcnt(39) lgkmcnt(1)
	v_fma_f64 v[196:197], -v[150:151], v[8:9], v[196:197]
	ds_read2_b64 v[4:7], v13 offset0:16 offset1:17
	s_waitcnt vmcnt(38)
	v_fma_f64 v[144:145], -v[150:151], v[10:11], v[144:145]
	ds_read2_b64 v[8:11], v13 offset0:18 offset1:19
	s_waitcnt vmcnt(37) lgkmcnt(2)
	v_fma_f64 v[194:195], -v[150:151], v[0:1], v[194:195]
	s_waitcnt vmcnt(36)
	v_fma_f64 v[142:143], -v[150:151], v[2:3], v[142:143]
	ds_read2_b64 v[0:3], v13 offset0:20 offset1:21
	s_waitcnt vmcnt(35) lgkmcnt(2)
	v_fma_f64 v[192:193], -v[150:151], v[4:5], v[192:193]
	s_waitcnt vmcnt(34)
	v_fma_f64 v[140:141], -v[150:151], v[6:7], v[140:141]
	ds_read2_b64 v[4:7], v13 offset0:22 offset1:23
	s_waitcnt vmcnt(33) lgkmcnt(2)
	v_fma_f64 v[190:191], -v[150:151], v[8:9], v[190:191]
	s_waitcnt vmcnt(32)
	v_fma_f64 v[138:139], -v[150:151], v[10:11], v[138:139]
	s_waitcnt vmcnt(31) lgkmcnt(1)
	v_fma_f64 v[188:189], -v[150:151], v[0:1], v[188:189]
	ds_read2_b64 v[8:11], v13 offset0:24 offset1:25
	s_waitcnt vmcnt(30)
	v_fma_f64 v[136:137], -v[150:151], v[2:3], v[136:137]
	ds_read2_b64 v[0:3], v13 offset0:26 offset1:27
	s_waitcnt vmcnt(29) lgkmcnt(2)
	v_fma_f64 v[186:187], -v[150:151], v[4:5], v[186:187]
	s_waitcnt vmcnt(28)
	v_fma_f64 v[134:135], -v[150:151], v[6:7], v[134:135]
	s_waitcnt vmcnt(27) lgkmcnt(1)
	v_fma_f64 v[184:185], -v[150:151], v[8:9], v[184:185]
	ds_read2_b64 v[4:7], v13 offset0:28 offset1:29
	s_waitcnt vmcnt(26)
	v_fma_f64 v[132:133], -v[150:151], v[10:11], v[132:133]
	ds_read2_b64 v[8:11], v13 offset0:30 offset1:31
	s_waitcnt vmcnt(25) lgkmcnt(2)
	v_fma_f64 v[182:183], -v[150:151], v[0:1], v[182:183]
	s_waitcnt vmcnt(24)
	v_fma_f64 v[130:131], -v[150:151], v[2:3], v[130:131]
	ds_read2_b64 v[0:3], v13 offset0:32 offset1:33
	s_waitcnt vmcnt(23) lgkmcnt(2)
	v_fma_f64 v[180:181], -v[150:151], v[4:5], v[180:181]
	s_waitcnt vmcnt(22)
	v_fma_f64 v[128:129], -v[150:151], v[6:7], v[128:129]
	ds_read2_b64 v[4:7], v13 offset0:34 offset1:35
	s_waitcnt vmcnt(21) lgkmcnt(2)
	v_fma_f64 v[178:179], -v[150:151], v[8:9], v[178:179]
	s_waitcnt vmcnt(20)
	v_fma_f64 v[126:127], -v[150:151], v[10:11], v[126:127]
	s_waitcnt vmcnt(19) lgkmcnt(1)
	v_fma_f64 v[176:177], -v[150:151], v[0:1], v[176:177]
	ds_read2_b64 v[8:11], v13 offset0:36 offset1:37
	;; [unrolled: 30-line block ×3, first 2 shown]
	s_waitcnt vmcnt(6)
	v_fma_f64 v[112:113], -v[150:151], v[2:3], v[112:113]
	ds_read2_b64 v[0:3], v13 offset0:50 offset1:51
	s_waitcnt vmcnt(5) lgkmcnt(2)
	v_fma_f64 v[162:163], -v[150:151], v[4:5], v[162:163]
	s_waitcnt vmcnt(4)
	v_fma_f64 v[110:111], -v[150:151], v[6:7], v[110:111]
	s_waitcnt vmcnt(3) lgkmcnt(1)
	v_fma_f64 v[160:161], -v[150:151], v[8:9], v[160:161]
	s_waitcnt vmcnt(2)
	v_fma_f64 v[108:109], -v[150:151], v[10:11], v[108:109]
	;; [unrolled: 4-line block ×3, first 2 shown]
.LBB103_41:
	s_or_b64 exec, exec, s[2:3]
	v_cmp_eq_u32_e32 vcc, 8, v14
	s_waitcnt lgkmcnt(0)
	s_barrier
	s_and_saveexec_b64 s[2:3], vcc
	s_cbranch_execz .LBB103_44
; %bb.42:
	s_waitcnt vmcnt(51)
	ds_write_b64 v12, v[200:201]
	s_waitcnt vmcnt(45)
	ds_write2_b64 v13, v[148:149], v[198:199] offset0:9 offset1:10
	s_waitcnt vmcnt(39)
	ds_write2_b64 v13, v[146:147], v[196:197] offset0:11 offset1:12
	;; [unrolled: 2-line block ×21, first 2 shown]
	s_waitcnt vmcnt(0)
	ds_write_b64 v13, v[208:209] offset:408
	ds_read_b64 v[0:1], v12
	s_waitcnt lgkmcnt(0)
	v_cmp_neq_f64_e32 vcc, 0, v[0:1]
	s_and_b64 exec, exec, vcc
	s_cbranch_execz .LBB103_44
; %bb.43:
	v_div_scale_f64 v[2:3], s[6:7], v[0:1], v[0:1], 1.0
	v_rcp_f64_e32 v[4:5], v[2:3]
	v_div_scale_f64 v[6:7], vcc, 1.0, v[0:1], 1.0
	v_fma_f64 v[8:9], -v[2:3], v[4:5], 1.0
	v_fmac_f64_e32 v[4:5], v[4:5], v[8:9]
	v_fma_f64 v[8:9], -v[2:3], v[4:5], 1.0
	v_fmac_f64_e32 v[4:5], v[4:5], v[8:9]
	v_mul_f64 v[8:9], v[6:7], v[4:5]
	v_fma_f64 v[2:3], -v[2:3], v[8:9], v[6:7]
	v_div_fmas_f64 v[2:3], v[2:3], v[4:5], v[8:9]
	v_div_fixup_f64 v[0:1], v[2:3], v[0:1], 1.0
	ds_write_b64 v12, v[0:1]
.LBB103_44:
	s_or_b64 exec, exec, s[2:3]
	s_waitcnt lgkmcnt(0)
	s_barrier
	ds_read_b64 v[222:223], v12
	v_cmp_lt_u32_e32 vcc, 8, v14
	s_and_saveexec_b64 s[2:3], vcc
	s_cbranch_execz .LBB103_46
; %bb.45:
	ds_read2_b64 v[0:3], v13 offset0:9 offset1:10
	ds_read2_b64 v[4:7], v13 offset0:11 offset1:12
	s_waitcnt vmcnt(51) lgkmcnt(2)
	v_mul_f64 v[200:201], v[222:223], v[200:201]
	ds_read2_b64 v[8:11], v13 offset0:13 offset1:14
	s_waitcnt vmcnt(48) lgkmcnt(2)
	v_fma_f64 v[148:149], -v[200:201], v[0:1], v[148:149]
	s_waitcnt vmcnt(45)
	v_fma_f64 v[198:199], -v[200:201], v[2:3], v[198:199]
	ds_read2_b64 v[0:3], v13 offset0:15 offset1:16
	s_waitcnt vmcnt(42) lgkmcnt(2)
	v_fma_f64 v[146:147], -v[200:201], v[4:5], v[146:147]
	s_waitcnt vmcnt(39)
	v_fma_f64 v[196:197], -v[200:201], v[6:7], v[196:197]
	s_waitcnt vmcnt(38) lgkmcnt(1)
	v_fma_f64 v[144:145], -v[200:201], v[8:9], v[144:145]
	ds_read2_b64 v[4:7], v13 offset0:17 offset1:18
	s_waitcnt vmcnt(37)
	v_fma_f64 v[194:195], -v[200:201], v[10:11], v[194:195]
	ds_read2_b64 v[8:11], v13 offset0:19 offset1:20
	s_waitcnt vmcnt(36) lgkmcnt(2)
	v_fma_f64 v[142:143], -v[200:201], v[0:1], v[142:143]
	s_waitcnt vmcnt(35)
	v_fma_f64 v[192:193], -v[200:201], v[2:3], v[192:193]
	ds_read2_b64 v[0:3], v13 offset0:21 offset1:22
	s_waitcnt vmcnt(34) lgkmcnt(2)
	v_fma_f64 v[140:141], -v[200:201], v[4:5], v[140:141]
	s_waitcnt vmcnt(33)
	v_fma_f64 v[190:191], -v[200:201], v[6:7], v[190:191]
	ds_read2_b64 v[4:7], v13 offset0:23 offset1:24
	s_waitcnt vmcnt(32) lgkmcnt(2)
	v_fma_f64 v[138:139], -v[200:201], v[8:9], v[138:139]
	s_waitcnt vmcnt(31)
	v_fma_f64 v[188:189], -v[200:201], v[10:11], v[188:189]
	s_waitcnt vmcnt(30) lgkmcnt(1)
	v_fma_f64 v[136:137], -v[200:201], v[0:1], v[136:137]
	ds_read2_b64 v[8:11], v13 offset0:25 offset1:26
	s_waitcnt vmcnt(29)
	v_fma_f64 v[186:187], -v[200:201], v[2:3], v[186:187]
	ds_read2_b64 v[0:3], v13 offset0:27 offset1:28
	s_waitcnt vmcnt(28) lgkmcnt(2)
	v_fma_f64 v[134:135], -v[200:201], v[4:5], v[134:135]
	s_waitcnt vmcnt(27)
	v_fma_f64 v[184:185], -v[200:201], v[6:7], v[184:185]
	s_waitcnt vmcnt(26) lgkmcnt(1)
	v_fma_f64 v[132:133], -v[200:201], v[8:9], v[132:133]
	ds_read2_b64 v[4:7], v13 offset0:29 offset1:30
	s_waitcnt vmcnt(25)
	v_fma_f64 v[182:183], -v[200:201], v[10:11], v[182:183]
	ds_read2_b64 v[8:11], v13 offset0:31 offset1:32
	s_waitcnt vmcnt(24) lgkmcnt(2)
	v_fma_f64 v[130:131], -v[200:201], v[0:1], v[130:131]
	s_waitcnt vmcnt(23)
	v_fma_f64 v[180:181], -v[200:201], v[2:3], v[180:181]
	ds_read2_b64 v[0:3], v13 offset0:33 offset1:34
	s_waitcnt vmcnt(22) lgkmcnt(2)
	v_fma_f64 v[128:129], -v[200:201], v[4:5], v[128:129]
	s_waitcnt vmcnt(21)
	v_fma_f64 v[178:179], -v[200:201], v[6:7], v[178:179]
	ds_read2_b64 v[4:7], v13 offset0:35 offset1:36
	s_waitcnt vmcnt(20) lgkmcnt(2)
	v_fma_f64 v[126:127], -v[200:201], v[8:9], v[126:127]
	s_waitcnt vmcnt(19)
	v_fma_f64 v[176:177], -v[200:201], v[10:11], v[176:177]
	s_waitcnt vmcnt(18) lgkmcnt(1)
	v_fma_f64 v[124:125], -v[200:201], v[0:1], v[124:125]
	ds_read2_b64 v[8:11], v13 offset0:37 offset1:38
	;; [unrolled: 30-line block ×3, first 2 shown]
	ds_read_b64 v[0:1], v13 offset:408
	s_waitcnt vmcnt(5)
	v_fma_f64 v[162:163], -v[200:201], v[2:3], v[162:163]
	s_waitcnt vmcnt(4) lgkmcnt(2)
	v_fma_f64 v[110:111], -v[200:201], v[4:5], v[110:111]
	s_waitcnt vmcnt(3)
	v_fma_f64 v[160:161], -v[200:201], v[6:7], v[160:161]
	s_waitcnt vmcnt(2) lgkmcnt(1)
	v_fma_f64 v[108:109], -v[200:201], v[8:9], v[108:109]
	;; [unrolled: 4-line block ×3, first 2 shown]
.LBB103_46:
	s_or_b64 exec, exec, s[2:3]
	v_cmp_eq_u32_e32 vcc, 9, v14
	s_waitcnt lgkmcnt(0)
	s_barrier
	s_and_saveexec_b64 s[2:3], vcc
	s_cbranch_execz .LBB103_49
; %bb.47:
	s_waitcnt vmcnt(45)
	v_mov_b32_e32 v0, v198
	v_mov_b32_e32 v1, v199
	s_waitcnt vmcnt(42)
	v_mov_b32_e32 v2, v146
	v_mov_b32_e32 v3, v147
	ds_write_b64 v12, v[148:149]
	ds_write2_b64 v13, v[0:1], v[2:3] offset0:10 offset1:11
	s_waitcnt vmcnt(39)
	v_mov_b32_e32 v0, v196
	v_mov_b32_e32 v1, v197
	s_waitcnt vmcnt(38)
	v_mov_b32_e32 v2, v144
	v_mov_b32_e32 v3, v145
	ds_write2_b64 v13, v[0:1], v[2:3] offset0:12 offset1:13
	s_waitcnt vmcnt(37)
	v_mov_b32_e32 v0, v194
	v_mov_b32_e32 v1, v195
	s_waitcnt vmcnt(36)
	v_mov_b32_e32 v2, v142
	v_mov_b32_e32 v3, v143
	;; [unrolled: 7-line block ×19, first 2 shown]
	ds_write2_b64 v13, v[0:1], v[2:3] offset0:48 offset1:49
	s_waitcnt vmcnt(1)
	v_mov_b32_e32 v0, v158
	v_mov_b32_e32 v1, v159
	s_waitcnt vmcnt(0)
	ds_write2_b64 v13, v[0:1], v[208:209] offset0:50 offset1:51
	ds_read_b64 v[0:1], v12
	s_waitcnt lgkmcnt(0)
	v_cmp_neq_f64_e32 vcc, 0, v[0:1]
	s_and_b64 exec, exec, vcc
	s_cbranch_execz .LBB103_49
; %bb.48:
	v_div_scale_f64 v[2:3], s[6:7], v[0:1], v[0:1], 1.0
	v_rcp_f64_e32 v[4:5], v[2:3]
	v_div_scale_f64 v[6:7], vcc, 1.0, v[0:1], 1.0
	v_fma_f64 v[8:9], -v[2:3], v[4:5], 1.0
	v_fmac_f64_e32 v[4:5], v[4:5], v[8:9]
	v_fma_f64 v[8:9], -v[2:3], v[4:5], 1.0
	v_fmac_f64_e32 v[4:5], v[4:5], v[8:9]
	v_mul_f64 v[8:9], v[6:7], v[4:5]
	v_fma_f64 v[2:3], -v[2:3], v[8:9], v[6:7]
	v_div_fmas_f64 v[2:3], v[2:3], v[4:5], v[8:9]
	v_div_fixup_f64 v[0:1], v[2:3], v[0:1], 1.0
	ds_write_b64 v12, v[0:1]
.LBB103_49:
	s_or_b64 exec, exec, s[2:3]
	s_waitcnt lgkmcnt(0)
	s_barrier
	ds_read_b64 v[224:225], v12
	v_cmp_lt_u32_e32 vcc, 9, v14
	s_and_saveexec_b64 s[2:3], vcc
	s_cbranch_execz .LBB103_51
; %bb.50:
	ds_read2_b64 v[0:3], v13 offset0:10 offset1:11
	ds_read2_b64 v[4:7], v13 offset0:12 offset1:13
	ds_read2_b64 v[8:11], v13 offset0:14 offset1:15
	s_waitcnt vmcnt(48) lgkmcnt(3)
	v_mul_f64 v[148:149], v[224:225], v[148:149]
	s_waitcnt vmcnt(45) lgkmcnt(2)
	v_fma_f64 v[198:199], -v[148:149], v[0:1], v[198:199]
	s_waitcnt vmcnt(42)
	v_fma_f64 v[146:147], -v[148:149], v[2:3], v[146:147]
	ds_read2_b64 v[0:3], v13 offset0:16 offset1:17
	s_waitcnt vmcnt(39) lgkmcnt(2)
	v_fma_f64 v[196:197], -v[148:149], v[4:5], v[196:197]
	s_waitcnt vmcnt(38)
	v_fma_f64 v[144:145], -v[148:149], v[6:7], v[144:145]
	s_waitcnt vmcnt(37) lgkmcnt(1)
	v_fma_f64 v[194:195], -v[148:149], v[8:9], v[194:195]
	ds_read2_b64 v[4:7], v13 offset0:18 offset1:19
	s_waitcnt vmcnt(36)
	v_fma_f64 v[142:143], -v[148:149], v[10:11], v[142:143]
	ds_read2_b64 v[8:11], v13 offset0:20 offset1:21
	s_waitcnt vmcnt(35) lgkmcnt(2)
	v_fma_f64 v[192:193], -v[148:149], v[0:1], v[192:193]
	s_waitcnt vmcnt(34)
	v_fma_f64 v[140:141], -v[148:149], v[2:3], v[140:141]
	s_waitcnt vmcnt(33) lgkmcnt(1)
	v_fma_f64 v[190:191], -v[148:149], v[4:5], v[190:191]
	ds_read2_b64 v[0:3], v13 offset0:22 offset1:23
	s_waitcnt vmcnt(32)
	v_fma_f64 v[138:139], -v[148:149], v[6:7], v[138:139]
	ds_read2_b64 v[4:7], v13 offset0:24 offset1:25
	s_waitcnt vmcnt(31) lgkmcnt(2)
	v_fma_f64 v[188:189], -v[148:149], v[8:9], v[188:189]
	s_waitcnt vmcnt(30)
	v_fma_f64 v[136:137], -v[148:149], v[10:11], v[136:137]
	ds_read2_b64 v[8:11], v13 offset0:26 offset1:27
	s_waitcnt vmcnt(29) lgkmcnt(2)
	v_fma_f64 v[186:187], -v[148:149], v[0:1], v[186:187]
	s_waitcnt vmcnt(28)
	v_fma_f64 v[134:135], -v[148:149], v[2:3], v[134:135]
	ds_read2_b64 v[0:3], v13 offset0:28 offset1:29
	s_waitcnt vmcnt(27) lgkmcnt(2)
	v_fma_f64 v[184:185], -v[148:149], v[4:5], v[184:185]
	s_waitcnt vmcnt(26)
	v_fma_f64 v[132:133], -v[148:149], v[6:7], v[132:133]
	s_waitcnt vmcnt(25) lgkmcnt(1)
	v_fma_f64 v[182:183], -v[148:149], v[8:9], v[182:183]
	ds_read2_b64 v[4:7], v13 offset0:30 offset1:31
	s_waitcnt vmcnt(24)
	v_fma_f64 v[130:131], -v[148:149], v[10:11], v[130:131]
	ds_read2_b64 v[8:11], v13 offset0:32 offset1:33
	s_waitcnt vmcnt(23) lgkmcnt(2)
	v_fma_f64 v[180:181], -v[148:149], v[0:1], v[180:181]
	s_waitcnt vmcnt(22)
	v_fma_f64 v[128:129], -v[148:149], v[2:3], v[128:129]
	s_waitcnt vmcnt(21) lgkmcnt(1)
	v_fma_f64 v[178:179], -v[148:149], v[4:5], v[178:179]
	ds_read2_b64 v[0:3], v13 offset0:34 offset1:35
	s_waitcnt vmcnt(20)
	v_fma_f64 v[126:127], -v[148:149], v[6:7], v[126:127]
	ds_read2_b64 v[4:7], v13 offset0:36 offset1:37
	s_waitcnt vmcnt(19) lgkmcnt(2)
	v_fma_f64 v[176:177], -v[148:149], v[8:9], v[176:177]
	s_waitcnt vmcnt(18)
	v_fma_f64 v[124:125], -v[148:149], v[10:11], v[124:125]
	ds_read2_b64 v[8:11], v13 offset0:38 offset1:39
	s_waitcnt vmcnt(17) lgkmcnt(2)
	v_fma_f64 v[174:175], -v[148:149], v[0:1], v[174:175]
	;; [unrolled: 5-line block ×3, first 2 shown]
	s_waitcnt vmcnt(14)
	v_fma_f64 v[120:121], -v[148:149], v[6:7], v[120:121]
	s_waitcnt vmcnt(13) lgkmcnt(1)
	v_fma_f64 v[170:171], -v[148:149], v[8:9], v[170:171]
	ds_read2_b64 v[4:7], v13 offset0:42 offset1:43
	s_waitcnt vmcnt(12)
	v_fma_f64 v[118:119], -v[148:149], v[10:11], v[118:119]
	ds_read2_b64 v[8:11], v13 offset0:44 offset1:45
	s_waitcnt vmcnt(11) lgkmcnt(2)
	v_fma_f64 v[168:169], -v[148:149], v[0:1], v[168:169]
	s_waitcnt vmcnt(10)
	v_fma_f64 v[116:117], -v[148:149], v[2:3], v[116:117]
	s_waitcnt vmcnt(9) lgkmcnt(1)
	v_fma_f64 v[166:167], -v[148:149], v[4:5], v[166:167]
	s_waitcnt vmcnt(8)
	v_fma_f64 v[114:115], -v[148:149], v[6:7], v[114:115]
	ds_read2_b64 v[0:3], v13 offset0:46 offset1:47
	ds_read2_b64 v[4:7], v13 offset0:48 offset1:49
	s_waitcnt vmcnt(7) lgkmcnt(2)
	v_fma_f64 v[164:165], -v[148:149], v[8:9], v[164:165]
	s_waitcnt vmcnt(6)
	v_fma_f64 v[112:113], -v[148:149], v[10:11], v[112:113]
	ds_read2_b64 v[8:11], v13 offset0:50 offset1:51
	s_waitcnt vmcnt(5) lgkmcnt(2)
	v_fma_f64 v[162:163], -v[148:149], v[0:1], v[162:163]
	s_waitcnt vmcnt(4)
	v_fma_f64 v[110:111], -v[148:149], v[2:3], v[110:111]
	s_waitcnt vmcnt(3) lgkmcnt(1)
	v_fma_f64 v[160:161], -v[148:149], v[4:5], v[160:161]
	s_waitcnt vmcnt(2)
	v_fma_f64 v[108:109], -v[148:149], v[6:7], v[108:109]
	;; [unrolled: 4-line block ×3, first 2 shown]
.LBB103_51:
	s_or_b64 exec, exec, s[2:3]
	v_cmp_eq_u32_e32 vcc, 10, v14
	s_waitcnt lgkmcnt(0)
	s_barrier
	s_and_saveexec_b64 s[2:3], vcc
	s_cbranch_execz .LBB103_54
; %bb.52:
	s_waitcnt vmcnt(45)
	ds_write_b64 v12, v[198:199]
	s_waitcnt vmcnt(39)
	ds_write2_b64 v13, v[146:147], v[196:197] offset0:11 offset1:12
	s_waitcnt vmcnt(37)
	ds_write2_b64 v13, v[144:145], v[194:195] offset0:13 offset1:14
	;; [unrolled: 2-line block ×20, first 2 shown]
	s_waitcnt vmcnt(0)
	ds_write_b64 v13, v[208:209] offset:408
	ds_read_b64 v[0:1], v12
	s_waitcnt lgkmcnt(0)
	v_cmp_neq_f64_e32 vcc, 0, v[0:1]
	s_and_b64 exec, exec, vcc
	s_cbranch_execz .LBB103_54
; %bb.53:
	v_div_scale_f64 v[2:3], s[6:7], v[0:1], v[0:1], 1.0
	v_rcp_f64_e32 v[4:5], v[2:3]
	v_div_scale_f64 v[6:7], vcc, 1.0, v[0:1], 1.0
	v_fma_f64 v[8:9], -v[2:3], v[4:5], 1.0
	v_fmac_f64_e32 v[4:5], v[4:5], v[8:9]
	v_fma_f64 v[8:9], -v[2:3], v[4:5], 1.0
	v_fmac_f64_e32 v[4:5], v[4:5], v[8:9]
	v_mul_f64 v[8:9], v[6:7], v[4:5]
	v_fma_f64 v[2:3], -v[2:3], v[8:9], v[6:7]
	v_div_fmas_f64 v[2:3], v[2:3], v[4:5], v[8:9]
	v_div_fixup_f64 v[0:1], v[2:3], v[0:1], 1.0
	ds_write_b64 v12, v[0:1]
.LBB103_54:
	s_or_b64 exec, exec, s[2:3]
	s_waitcnt lgkmcnt(0)
	s_barrier
	ds_read_b64 v[226:227], v12
	v_cmp_lt_u32_e32 vcc, 10, v14
	s_and_saveexec_b64 s[2:3], vcc
	s_cbranch_execz .LBB103_56
; %bb.55:
	ds_read2_b64 v[0:3], v13 offset0:11 offset1:12
	ds_read2_b64 v[4:7], v13 offset0:13 offset1:14
	;; [unrolled: 1-line block ×3, first 2 shown]
	s_waitcnt vmcnt(45) lgkmcnt(3)
	v_mul_f64 v[198:199], v[226:227], v[198:199]
	s_waitcnt vmcnt(42) lgkmcnt(2)
	v_fma_f64 v[146:147], -v[198:199], v[0:1], v[146:147]
	s_waitcnt vmcnt(39)
	v_fma_f64 v[196:197], -v[198:199], v[2:3], v[196:197]
	ds_read2_b64 v[0:3], v13 offset0:17 offset1:18
	s_waitcnt vmcnt(38) lgkmcnt(2)
	v_fma_f64 v[144:145], -v[198:199], v[4:5], v[144:145]
	s_waitcnt vmcnt(37)
	v_fma_f64 v[194:195], -v[198:199], v[6:7], v[194:195]
	s_waitcnt vmcnt(36) lgkmcnt(1)
	v_fma_f64 v[142:143], -v[198:199], v[8:9], v[142:143]
	ds_read2_b64 v[4:7], v13 offset0:19 offset1:20
	s_waitcnt vmcnt(35)
	v_fma_f64 v[192:193], -v[198:199], v[10:11], v[192:193]
	ds_read2_b64 v[8:11], v13 offset0:21 offset1:22
	s_waitcnt vmcnt(34) lgkmcnt(2)
	v_fma_f64 v[140:141], -v[198:199], v[0:1], v[140:141]
	s_waitcnt vmcnt(33)
	v_fma_f64 v[190:191], -v[198:199], v[2:3], v[190:191]
	s_waitcnt vmcnt(32) lgkmcnt(1)
	v_fma_f64 v[138:139], -v[198:199], v[4:5], v[138:139]
	ds_read2_b64 v[0:3], v13 offset0:23 offset1:24
	s_waitcnt vmcnt(31)
	v_fma_f64 v[188:189], -v[198:199], v[6:7], v[188:189]
	ds_read2_b64 v[4:7], v13 offset0:25 offset1:26
	s_waitcnt vmcnt(30) lgkmcnt(2)
	v_fma_f64 v[136:137], -v[198:199], v[8:9], v[136:137]
	s_waitcnt vmcnt(29)
	v_fma_f64 v[186:187], -v[198:199], v[10:11], v[186:187]
	ds_read2_b64 v[8:11], v13 offset0:27 offset1:28
	s_waitcnt vmcnt(28) lgkmcnt(2)
	v_fma_f64 v[134:135], -v[198:199], v[0:1], v[134:135]
	s_waitcnt vmcnt(27)
	v_fma_f64 v[184:185], -v[198:199], v[2:3], v[184:185]
	ds_read2_b64 v[0:3], v13 offset0:29 offset1:30
	s_waitcnt vmcnt(26) lgkmcnt(2)
	v_fma_f64 v[132:133], -v[198:199], v[4:5], v[132:133]
	s_waitcnt vmcnt(25)
	v_fma_f64 v[182:183], -v[198:199], v[6:7], v[182:183]
	s_waitcnt vmcnt(24) lgkmcnt(1)
	v_fma_f64 v[130:131], -v[198:199], v[8:9], v[130:131]
	ds_read2_b64 v[4:7], v13 offset0:31 offset1:32
	s_waitcnt vmcnt(23)
	v_fma_f64 v[180:181], -v[198:199], v[10:11], v[180:181]
	ds_read2_b64 v[8:11], v13 offset0:33 offset1:34
	s_waitcnt vmcnt(22) lgkmcnt(2)
	v_fma_f64 v[128:129], -v[198:199], v[0:1], v[128:129]
	s_waitcnt vmcnt(21)
	v_fma_f64 v[178:179], -v[198:199], v[2:3], v[178:179]
	s_waitcnt vmcnt(20) lgkmcnt(1)
	v_fma_f64 v[126:127], -v[198:199], v[4:5], v[126:127]
	ds_read2_b64 v[0:3], v13 offset0:35 offset1:36
	s_waitcnt vmcnt(19)
	v_fma_f64 v[176:177], -v[198:199], v[6:7], v[176:177]
	ds_read2_b64 v[4:7], v13 offset0:37 offset1:38
	s_waitcnt vmcnt(18) lgkmcnt(2)
	v_fma_f64 v[124:125], -v[198:199], v[8:9], v[124:125]
	s_waitcnt vmcnt(17)
	v_fma_f64 v[174:175], -v[198:199], v[10:11], v[174:175]
	ds_read2_b64 v[8:11], v13 offset0:39 offset1:40
	s_waitcnt vmcnt(16) lgkmcnt(2)
	v_fma_f64 v[122:123], -v[198:199], v[0:1], v[122:123]
	;; [unrolled: 5-line block ×3, first 2 shown]
	s_waitcnt vmcnt(13)
	v_fma_f64 v[170:171], -v[198:199], v[6:7], v[170:171]
	s_waitcnt vmcnt(12) lgkmcnt(1)
	v_fma_f64 v[118:119], -v[198:199], v[8:9], v[118:119]
	ds_read2_b64 v[4:7], v13 offset0:43 offset1:44
	s_waitcnt vmcnt(11)
	v_fma_f64 v[168:169], -v[198:199], v[10:11], v[168:169]
	ds_read2_b64 v[8:11], v13 offset0:45 offset1:46
	s_waitcnt vmcnt(10) lgkmcnt(2)
	v_fma_f64 v[116:117], -v[198:199], v[0:1], v[116:117]
	s_waitcnt vmcnt(9)
	v_fma_f64 v[166:167], -v[198:199], v[2:3], v[166:167]
	s_waitcnt vmcnt(8) lgkmcnt(1)
	v_fma_f64 v[114:115], -v[198:199], v[4:5], v[114:115]
	s_waitcnt vmcnt(7)
	v_fma_f64 v[164:165], -v[198:199], v[6:7], v[164:165]
	ds_read2_b64 v[0:3], v13 offset0:47 offset1:48
	ds_read2_b64 v[4:7], v13 offset0:49 offset1:50
	s_waitcnt vmcnt(6) lgkmcnt(2)
	v_fma_f64 v[112:113], -v[198:199], v[8:9], v[112:113]
	ds_read_b64 v[8:9], v13 offset:408
	s_waitcnt vmcnt(5)
	v_fma_f64 v[162:163], -v[198:199], v[10:11], v[162:163]
	s_waitcnt vmcnt(4) lgkmcnt(2)
	v_fma_f64 v[110:111], -v[198:199], v[0:1], v[110:111]
	s_waitcnt vmcnt(3)
	v_fma_f64 v[160:161], -v[198:199], v[2:3], v[160:161]
	s_waitcnt vmcnt(2) lgkmcnt(1)
	v_fma_f64 v[108:109], -v[198:199], v[4:5], v[108:109]
	;; [unrolled: 4-line block ×3, first 2 shown]
.LBB103_56:
	s_or_b64 exec, exec, s[2:3]
	v_cmp_eq_u32_e32 vcc, 11, v14
	s_waitcnt lgkmcnt(0)
	s_barrier
	s_and_saveexec_b64 s[2:3], vcc
	s_cbranch_execz .LBB103_59
; %bb.57:
	s_waitcnt vmcnt(39)
	v_mov_b32_e32 v0, v196
	v_mov_b32_e32 v1, v197
	s_waitcnt vmcnt(38)
	v_mov_b32_e32 v2, v144
	v_mov_b32_e32 v3, v145
	ds_write_b64 v12, v[146:147]
	ds_write2_b64 v13, v[0:1], v[2:3] offset0:12 offset1:13
	s_waitcnt vmcnt(37)
	v_mov_b32_e32 v0, v194
	v_mov_b32_e32 v1, v195
	s_waitcnt vmcnt(36)
	v_mov_b32_e32 v2, v142
	v_mov_b32_e32 v3, v143
	ds_write2_b64 v13, v[0:1], v[2:3] offset0:14 offset1:15
	s_waitcnt vmcnt(35)
	v_mov_b32_e32 v0, v192
	v_mov_b32_e32 v1, v193
	s_waitcnt vmcnt(34)
	v_mov_b32_e32 v2, v140
	v_mov_b32_e32 v3, v141
	;; [unrolled: 7-line block ×18, first 2 shown]
	ds_write2_b64 v13, v[0:1], v[2:3] offset0:48 offset1:49
	s_waitcnt vmcnt(1)
	v_mov_b32_e32 v0, v158
	v_mov_b32_e32 v1, v159
	s_waitcnt vmcnt(0)
	ds_write2_b64 v13, v[0:1], v[208:209] offset0:50 offset1:51
	ds_read_b64 v[0:1], v12
	s_waitcnt lgkmcnt(0)
	v_cmp_neq_f64_e32 vcc, 0, v[0:1]
	s_and_b64 exec, exec, vcc
	s_cbranch_execz .LBB103_59
; %bb.58:
	v_div_scale_f64 v[2:3], s[6:7], v[0:1], v[0:1], 1.0
	v_rcp_f64_e32 v[4:5], v[2:3]
	v_div_scale_f64 v[6:7], vcc, 1.0, v[0:1], 1.0
	v_fma_f64 v[8:9], -v[2:3], v[4:5], 1.0
	v_fmac_f64_e32 v[4:5], v[4:5], v[8:9]
	v_fma_f64 v[8:9], -v[2:3], v[4:5], 1.0
	v_fmac_f64_e32 v[4:5], v[4:5], v[8:9]
	v_mul_f64 v[8:9], v[6:7], v[4:5]
	v_fma_f64 v[2:3], -v[2:3], v[8:9], v[6:7]
	v_div_fmas_f64 v[2:3], v[2:3], v[4:5], v[8:9]
	v_div_fixup_f64 v[0:1], v[2:3], v[0:1], 1.0
	ds_write_b64 v12, v[0:1]
.LBB103_59:
	s_or_b64 exec, exec, s[2:3]
	s_waitcnt lgkmcnt(0)
	s_barrier
	ds_read_b64 v[228:229], v12
	v_cmp_lt_u32_e32 vcc, 11, v14
	s_and_saveexec_b64 s[2:3], vcc
	s_cbranch_execz .LBB103_61
; %bb.60:
	ds_read2_b64 v[0:3], v13 offset0:12 offset1:13
	ds_read2_b64 v[4:7], v13 offset0:14 offset1:15
	s_waitcnt vmcnt(42) lgkmcnt(2)
	v_mul_f64 v[146:147], v[228:229], v[146:147]
	ds_read2_b64 v[8:11], v13 offset0:16 offset1:17
	s_waitcnt vmcnt(39) lgkmcnt(2)
	v_fma_f64 v[196:197], -v[146:147], v[0:1], v[196:197]
	s_waitcnt vmcnt(38)
	v_fma_f64 v[144:145], -v[146:147], v[2:3], v[144:145]
	ds_read2_b64 v[0:3], v13 offset0:18 offset1:19
	s_waitcnt vmcnt(37) lgkmcnt(2)
	v_fma_f64 v[194:195], -v[146:147], v[4:5], v[194:195]
	s_waitcnt vmcnt(36)
	v_fma_f64 v[142:143], -v[146:147], v[6:7], v[142:143]
	;; [unrolled: 5-line block ×4, first 2 shown]
	s_waitcnt vmcnt(31) lgkmcnt(1)
	v_fma_f64 v[188:189], -v[146:147], v[4:5], v[188:189]
	ds_read2_b64 v[0:3], v13 offset0:24 offset1:25
	s_waitcnt vmcnt(30)
	v_fma_f64 v[136:137], -v[146:147], v[6:7], v[136:137]
	ds_read2_b64 v[4:7], v13 offset0:26 offset1:27
	s_waitcnt vmcnt(29) lgkmcnt(2)
	v_fma_f64 v[186:187], -v[146:147], v[8:9], v[186:187]
	s_waitcnt vmcnt(28)
	v_fma_f64 v[134:135], -v[146:147], v[10:11], v[134:135]
	s_waitcnt vmcnt(27) lgkmcnt(1)
	v_fma_f64 v[184:185], -v[146:147], v[0:1], v[184:185]
	ds_read2_b64 v[8:11], v13 offset0:28 offset1:29
	s_waitcnt vmcnt(26)
	v_fma_f64 v[132:133], -v[146:147], v[2:3], v[132:133]
	ds_read2_b64 v[0:3], v13 offset0:30 offset1:31
	s_waitcnt vmcnt(25) lgkmcnt(2)
	v_fma_f64 v[182:183], -v[146:147], v[4:5], v[182:183]
	s_waitcnt vmcnt(24)
	v_fma_f64 v[130:131], -v[146:147], v[6:7], v[130:131]
	ds_read2_b64 v[4:7], v13 offset0:32 offset1:33
	s_waitcnt vmcnt(23) lgkmcnt(2)
	v_fma_f64 v[180:181], -v[146:147], v[8:9], v[180:181]
	;; [unrolled: 5-line block ×3, first 2 shown]
	s_waitcnt vmcnt(20)
	v_fma_f64 v[126:127], -v[146:147], v[2:3], v[126:127]
	s_waitcnt vmcnt(19) lgkmcnt(1)
	v_fma_f64 v[176:177], -v[146:147], v[4:5], v[176:177]
	ds_read2_b64 v[0:3], v13 offset0:36 offset1:37
	s_waitcnt vmcnt(18)
	v_fma_f64 v[124:125], -v[146:147], v[6:7], v[124:125]
	ds_read2_b64 v[4:7], v13 offset0:38 offset1:39
	s_waitcnt vmcnt(17) lgkmcnt(2)
	v_fma_f64 v[174:175], -v[146:147], v[8:9], v[174:175]
	s_waitcnt vmcnt(16)
	v_fma_f64 v[122:123], -v[146:147], v[10:11], v[122:123]
	s_waitcnt vmcnt(15) lgkmcnt(1)
	v_fma_f64 v[172:173], -v[146:147], v[0:1], v[172:173]
	ds_read2_b64 v[8:11], v13 offset0:40 offset1:41
	s_waitcnt vmcnt(14)
	v_fma_f64 v[120:121], -v[146:147], v[2:3], v[120:121]
	ds_read2_b64 v[0:3], v13 offset0:42 offset1:43
	s_waitcnt vmcnt(13) lgkmcnt(2)
	v_fma_f64 v[170:171], -v[146:147], v[4:5], v[170:171]
	s_waitcnt vmcnt(12)
	v_fma_f64 v[118:119], -v[146:147], v[6:7], v[118:119]
	ds_read2_b64 v[4:7], v13 offset0:44 offset1:45
	s_waitcnt vmcnt(11) lgkmcnt(2)
	v_fma_f64 v[168:169], -v[146:147], v[8:9], v[168:169]
	s_waitcnt vmcnt(10)
	v_fma_f64 v[116:117], -v[146:147], v[10:11], v[116:117]
	s_waitcnt vmcnt(9) lgkmcnt(1)
	v_fma_f64 v[166:167], -v[146:147], v[0:1], v[166:167]
	s_waitcnt vmcnt(8)
	v_fma_f64 v[114:115], -v[146:147], v[2:3], v[114:115]
	ds_read2_b64 v[0:3], v13 offset0:46 offset1:47
	s_waitcnt vmcnt(7) lgkmcnt(1)
	v_fma_f64 v[164:165], -v[146:147], v[4:5], v[164:165]
	ds_read2_b64 v[8:11], v13 offset0:48 offset1:49
	s_waitcnt vmcnt(6)
	v_fma_f64 v[112:113], -v[146:147], v[6:7], v[112:113]
	ds_read2_b64 v[4:7], v13 offset0:50 offset1:51
	s_waitcnt vmcnt(5) lgkmcnt(2)
	v_fma_f64 v[162:163], -v[146:147], v[0:1], v[162:163]
	s_waitcnt vmcnt(4)
	v_fma_f64 v[110:111], -v[146:147], v[2:3], v[110:111]
	s_waitcnt vmcnt(3) lgkmcnt(1)
	v_fma_f64 v[160:161], -v[146:147], v[8:9], v[160:161]
	s_waitcnt vmcnt(2)
	v_fma_f64 v[108:109], -v[146:147], v[10:11], v[108:109]
	;; [unrolled: 4-line block ×3, first 2 shown]
.LBB103_61:
	s_or_b64 exec, exec, s[2:3]
	v_cmp_eq_u32_e32 vcc, 12, v14
	s_waitcnt lgkmcnt(0)
	s_barrier
	s_and_saveexec_b64 s[2:3], vcc
	s_cbranch_execz .LBB103_64
; %bb.62:
	s_waitcnt vmcnt(39)
	ds_write_b64 v12, v[196:197]
	s_waitcnt vmcnt(37)
	ds_write2_b64 v13, v[144:145], v[194:195] offset0:13 offset1:14
	s_waitcnt vmcnt(35)
	ds_write2_b64 v13, v[142:143], v[192:193] offset0:15 offset1:16
	;; [unrolled: 2-line block ×19, first 2 shown]
	s_waitcnt vmcnt(0)
	ds_write_b64 v13, v[208:209] offset:408
	ds_read_b64 v[0:1], v12
	s_waitcnt lgkmcnt(0)
	v_cmp_neq_f64_e32 vcc, 0, v[0:1]
	s_and_b64 exec, exec, vcc
	s_cbranch_execz .LBB103_64
; %bb.63:
	v_div_scale_f64 v[2:3], s[6:7], v[0:1], v[0:1], 1.0
	v_rcp_f64_e32 v[4:5], v[2:3]
	v_div_scale_f64 v[6:7], vcc, 1.0, v[0:1], 1.0
	v_fma_f64 v[8:9], -v[2:3], v[4:5], 1.0
	v_fmac_f64_e32 v[4:5], v[4:5], v[8:9]
	v_fma_f64 v[8:9], -v[2:3], v[4:5], 1.0
	v_fmac_f64_e32 v[4:5], v[4:5], v[8:9]
	v_mul_f64 v[8:9], v[6:7], v[4:5]
	v_fma_f64 v[2:3], -v[2:3], v[8:9], v[6:7]
	v_div_fmas_f64 v[2:3], v[2:3], v[4:5], v[8:9]
	v_div_fixup_f64 v[0:1], v[2:3], v[0:1], 1.0
	ds_write_b64 v12, v[0:1]
.LBB103_64:
	s_or_b64 exec, exec, s[2:3]
	s_waitcnt lgkmcnt(0)
	s_barrier
	ds_read_b64 v[230:231], v12
	v_cmp_lt_u32_e32 vcc, 12, v14
	s_and_saveexec_b64 s[2:3], vcc
	s_cbranch_execz .LBB103_66
; %bb.65:
	ds_read2_b64 v[0:3], v13 offset0:13 offset1:14
	ds_read2_b64 v[4:7], v13 offset0:15 offset1:16
	s_waitcnt vmcnt(39) lgkmcnt(2)
	v_mul_f64 v[196:197], v[230:231], v[196:197]
	ds_read2_b64 v[8:11], v13 offset0:17 offset1:18
	s_waitcnt vmcnt(38) lgkmcnt(2)
	v_fma_f64 v[144:145], -v[196:197], v[0:1], v[144:145]
	s_waitcnt vmcnt(37)
	v_fma_f64 v[194:195], -v[196:197], v[2:3], v[194:195]
	ds_read2_b64 v[0:3], v13 offset0:19 offset1:20
	s_waitcnt vmcnt(36) lgkmcnt(2)
	v_fma_f64 v[142:143], -v[196:197], v[4:5], v[142:143]
	s_waitcnt vmcnt(35)
	v_fma_f64 v[192:193], -v[196:197], v[6:7], v[192:193]
	;; [unrolled: 5-line block ×4, first 2 shown]
	s_waitcnt vmcnt(30) lgkmcnt(1)
	v_fma_f64 v[136:137], -v[196:197], v[4:5], v[136:137]
	ds_read2_b64 v[0:3], v13 offset0:25 offset1:26
	s_waitcnt vmcnt(29)
	v_fma_f64 v[186:187], -v[196:197], v[6:7], v[186:187]
	ds_read2_b64 v[4:7], v13 offset0:27 offset1:28
	s_waitcnt vmcnt(28) lgkmcnt(2)
	v_fma_f64 v[134:135], -v[196:197], v[8:9], v[134:135]
	s_waitcnt vmcnt(27)
	v_fma_f64 v[184:185], -v[196:197], v[10:11], v[184:185]
	s_waitcnt vmcnt(26) lgkmcnt(1)
	v_fma_f64 v[132:133], -v[196:197], v[0:1], v[132:133]
	ds_read2_b64 v[8:11], v13 offset0:29 offset1:30
	s_waitcnt vmcnt(25)
	v_fma_f64 v[182:183], -v[196:197], v[2:3], v[182:183]
	ds_read2_b64 v[0:3], v13 offset0:31 offset1:32
	s_waitcnt vmcnt(24) lgkmcnt(2)
	v_fma_f64 v[130:131], -v[196:197], v[4:5], v[130:131]
	s_waitcnt vmcnt(23)
	v_fma_f64 v[180:181], -v[196:197], v[6:7], v[180:181]
	ds_read2_b64 v[4:7], v13 offset0:33 offset1:34
	s_waitcnt vmcnt(22) lgkmcnt(2)
	v_fma_f64 v[128:129], -v[196:197], v[8:9], v[128:129]
	;; [unrolled: 5-line block ×3, first 2 shown]
	s_waitcnt vmcnt(19)
	v_fma_f64 v[176:177], -v[196:197], v[2:3], v[176:177]
	s_waitcnt vmcnt(18) lgkmcnt(1)
	v_fma_f64 v[124:125], -v[196:197], v[4:5], v[124:125]
	ds_read2_b64 v[0:3], v13 offset0:37 offset1:38
	s_waitcnt vmcnt(17)
	v_fma_f64 v[174:175], -v[196:197], v[6:7], v[174:175]
	ds_read2_b64 v[4:7], v13 offset0:39 offset1:40
	s_waitcnt vmcnt(16) lgkmcnt(2)
	v_fma_f64 v[122:123], -v[196:197], v[8:9], v[122:123]
	s_waitcnt vmcnt(15)
	v_fma_f64 v[172:173], -v[196:197], v[10:11], v[172:173]
	s_waitcnt vmcnt(14) lgkmcnt(1)
	v_fma_f64 v[120:121], -v[196:197], v[0:1], v[120:121]
	ds_read2_b64 v[8:11], v13 offset0:41 offset1:42
	s_waitcnt vmcnt(13)
	v_fma_f64 v[170:171], -v[196:197], v[2:3], v[170:171]
	ds_read2_b64 v[0:3], v13 offset0:43 offset1:44
	s_waitcnt vmcnt(12) lgkmcnt(2)
	v_fma_f64 v[118:119], -v[196:197], v[4:5], v[118:119]
	s_waitcnt vmcnt(11)
	v_fma_f64 v[168:169], -v[196:197], v[6:7], v[168:169]
	ds_read2_b64 v[4:7], v13 offset0:45 offset1:46
	s_waitcnt vmcnt(10) lgkmcnt(2)
	v_fma_f64 v[116:117], -v[196:197], v[8:9], v[116:117]
	s_waitcnt vmcnt(9)
	v_fma_f64 v[166:167], -v[196:197], v[10:11], v[166:167]
	s_waitcnt vmcnt(8) lgkmcnt(1)
	v_fma_f64 v[114:115], -v[196:197], v[0:1], v[114:115]
	s_waitcnt vmcnt(7)
	v_fma_f64 v[164:165], -v[196:197], v[2:3], v[164:165]
	ds_read2_b64 v[0:3], v13 offset0:47 offset1:48
	s_waitcnt vmcnt(6) lgkmcnt(1)
	v_fma_f64 v[112:113], -v[196:197], v[4:5], v[112:113]
	ds_read2_b64 v[8:11], v13 offset0:49 offset1:50
	ds_read_b64 v[4:5], v13 offset:408
	s_waitcnt vmcnt(5)
	v_fma_f64 v[162:163], -v[196:197], v[6:7], v[162:163]
	s_waitcnt vmcnt(4) lgkmcnt(2)
	v_fma_f64 v[110:111], -v[196:197], v[0:1], v[110:111]
	s_waitcnt vmcnt(3)
	v_fma_f64 v[160:161], -v[196:197], v[2:3], v[160:161]
	s_waitcnt vmcnt(2) lgkmcnt(1)
	v_fma_f64 v[108:109], -v[196:197], v[8:9], v[108:109]
	s_waitcnt vmcnt(1)
	v_fma_f64 v[158:159], -v[196:197], v[10:11], v[158:159]
	s_waitcnt vmcnt(0) lgkmcnt(0)
	v_fma_f64 v[208:209], -v[196:197], v[4:5], v[208:209]
.LBB103_66:
	s_or_b64 exec, exec, s[2:3]
	v_cmp_eq_u32_e32 vcc, 13, v14
	s_waitcnt lgkmcnt(0)
	s_barrier
	s_and_saveexec_b64 s[2:3], vcc
	s_cbranch_execz .LBB103_69
; %bb.67:
	s_waitcnt vmcnt(37)
	v_mov_b32_e32 v0, v194
	v_mov_b32_e32 v1, v195
	s_waitcnt vmcnt(36)
	v_mov_b32_e32 v2, v142
	v_mov_b32_e32 v3, v143
	ds_write_b64 v12, v[144:145]
	ds_write2_b64 v13, v[0:1], v[2:3] offset0:14 offset1:15
	s_waitcnt vmcnt(35)
	v_mov_b32_e32 v0, v192
	v_mov_b32_e32 v1, v193
	s_waitcnt vmcnt(34)
	v_mov_b32_e32 v2, v140
	v_mov_b32_e32 v3, v141
	ds_write2_b64 v13, v[0:1], v[2:3] offset0:16 offset1:17
	s_waitcnt vmcnt(33)
	v_mov_b32_e32 v0, v190
	v_mov_b32_e32 v1, v191
	s_waitcnt vmcnt(32)
	v_mov_b32_e32 v2, v138
	v_mov_b32_e32 v3, v139
	ds_write2_b64 v13, v[0:1], v[2:3] offset0:18 offset1:19
	s_waitcnt vmcnt(31)
	v_mov_b32_e32 v0, v188
	v_mov_b32_e32 v1, v189
	s_waitcnt vmcnt(30)
	v_mov_b32_e32 v2, v136
	v_mov_b32_e32 v3, v137
	ds_write2_b64 v13, v[0:1], v[2:3] offset0:20 offset1:21
	s_waitcnt vmcnt(29)
	v_mov_b32_e32 v0, v186
	v_mov_b32_e32 v1, v187
	s_waitcnt vmcnt(28)
	v_mov_b32_e32 v2, v134
	v_mov_b32_e32 v3, v135
	ds_write2_b64 v13, v[0:1], v[2:3] offset0:22 offset1:23
	s_waitcnt vmcnt(27)
	v_mov_b32_e32 v0, v184
	v_mov_b32_e32 v1, v185
	s_waitcnt vmcnt(26)
	v_mov_b32_e32 v2, v132
	v_mov_b32_e32 v3, v133
	ds_write2_b64 v13, v[0:1], v[2:3] offset0:24 offset1:25
	s_waitcnt vmcnt(25)
	v_mov_b32_e32 v0, v182
	v_mov_b32_e32 v1, v183
	s_waitcnt vmcnt(24)
	v_mov_b32_e32 v2, v130
	v_mov_b32_e32 v3, v131
	ds_write2_b64 v13, v[0:1], v[2:3] offset0:26 offset1:27
	s_waitcnt vmcnt(23)
	v_mov_b32_e32 v0, v180
	v_mov_b32_e32 v1, v181
	s_waitcnt vmcnt(22)
	v_mov_b32_e32 v2, v128
	v_mov_b32_e32 v3, v129
	ds_write2_b64 v13, v[0:1], v[2:3] offset0:28 offset1:29
	s_waitcnt vmcnt(21)
	v_mov_b32_e32 v0, v178
	v_mov_b32_e32 v1, v179
	s_waitcnt vmcnt(20)
	v_mov_b32_e32 v2, v126
	v_mov_b32_e32 v3, v127
	ds_write2_b64 v13, v[0:1], v[2:3] offset0:30 offset1:31
	s_waitcnt vmcnt(19)
	v_mov_b32_e32 v0, v176
	v_mov_b32_e32 v1, v177
	s_waitcnt vmcnt(18)
	v_mov_b32_e32 v2, v124
	v_mov_b32_e32 v3, v125
	ds_write2_b64 v13, v[0:1], v[2:3] offset0:32 offset1:33
	s_waitcnt vmcnt(17)
	v_mov_b32_e32 v0, v174
	v_mov_b32_e32 v1, v175
	s_waitcnt vmcnt(16)
	v_mov_b32_e32 v2, v122
	v_mov_b32_e32 v3, v123
	ds_write2_b64 v13, v[0:1], v[2:3] offset0:34 offset1:35
	s_waitcnt vmcnt(15)
	v_mov_b32_e32 v0, v172
	v_mov_b32_e32 v1, v173
	s_waitcnt vmcnt(14)
	v_mov_b32_e32 v2, v120
	v_mov_b32_e32 v3, v121
	ds_write2_b64 v13, v[0:1], v[2:3] offset0:36 offset1:37
	s_waitcnt vmcnt(13)
	v_mov_b32_e32 v0, v170
	v_mov_b32_e32 v1, v171
	s_waitcnt vmcnt(12)
	v_mov_b32_e32 v2, v118
	v_mov_b32_e32 v3, v119
	ds_write2_b64 v13, v[0:1], v[2:3] offset0:38 offset1:39
	s_waitcnt vmcnt(11)
	v_mov_b32_e32 v0, v168
	v_mov_b32_e32 v1, v169
	s_waitcnt vmcnt(10)
	v_mov_b32_e32 v2, v116
	v_mov_b32_e32 v3, v117
	ds_write2_b64 v13, v[0:1], v[2:3] offset0:40 offset1:41
	s_waitcnt vmcnt(9)
	v_mov_b32_e32 v0, v166
	v_mov_b32_e32 v1, v167
	s_waitcnt vmcnt(8)
	v_mov_b32_e32 v2, v114
	v_mov_b32_e32 v3, v115
	ds_write2_b64 v13, v[0:1], v[2:3] offset0:42 offset1:43
	s_waitcnt vmcnt(7)
	v_mov_b32_e32 v0, v164
	v_mov_b32_e32 v1, v165
	s_waitcnt vmcnt(6)
	v_mov_b32_e32 v2, v112
	v_mov_b32_e32 v3, v113
	ds_write2_b64 v13, v[0:1], v[2:3] offset0:44 offset1:45
	s_waitcnt vmcnt(5)
	v_mov_b32_e32 v0, v162
	v_mov_b32_e32 v1, v163
	s_waitcnt vmcnt(4)
	v_mov_b32_e32 v2, v110
	v_mov_b32_e32 v3, v111
	ds_write2_b64 v13, v[0:1], v[2:3] offset0:46 offset1:47
	s_waitcnt vmcnt(3)
	v_mov_b32_e32 v0, v160
	v_mov_b32_e32 v1, v161
	s_waitcnt vmcnt(2)
	v_mov_b32_e32 v2, v108
	v_mov_b32_e32 v3, v109
	ds_write2_b64 v13, v[0:1], v[2:3] offset0:48 offset1:49
	s_waitcnt vmcnt(1)
	v_mov_b32_e32 v0, v158
	v_mov_b32_e32 v1, v159
	s_waitcnt vmcnt(0)
	ds_write2_b64 v13, v[0:1], v[208:209] offset0:50 offset1:51
	ds_read_b64 v[0:1], v12
	s_waitcnt lgkmcnt(0)
	v_cmp_neq_f64_e32 vcc, 0, v[0:1]
	s_and_b64 exec, exec, vcc
	s_cbranch_execz .LBB103_69
; %bb.68:
	v_div_scale_f64 v[2:3], s[6:7], v[0:1], v[0:1], 1.0
	v_rcp_f64_e32 v[4:5], v[2:3]
	v_div_scale_f64 v[6:7], vcc, 1.0, v[0:1], 1.0
	v_fma_f64 v[8:9], -v[2:3], v[4:5], 1.0
	v_fmac_f64_e32 v[4:5], v[4:5], v[8:9]
	v_fma_f64 v[8:9], -v[2:3], v[4:5], 1.0
	v_fmac_f64_e32 v[4:5], v[4:5], v[8:9]
	v_mul_f64 v[8:9], v[6:7], v[4:5]
	v_fma_f64 v[2:3], -v[2:3], v[8:9], v[6:7]
	v_div_fmas_f64 v[2:3], v[2:3], v[4:5], v[8:9]
	v_div_fixup_f64 v[0:1], v[2:3], v[0:1], 1.0
	ds_write_b64 v12, v[0:1]
.LBB103_69:
	s_or_b64 exec, exec, s[2:3]
	s_waitcnt lgkmcnt(0)
	s_barrier
	ds_read_b64 v[232:233], v12
	v_cmp_lt_u32_e32 vcc, 13, v14
	s_and_saveexec_b64 s[2:3], vcc
	s_cbranch_execz .LBB103_71
; %bb.70:
	ds_read2_b64 v[0:3], v13 offset0:14 offset1:15
	ds_read2_b64 v[4:7], v13 offset0:16 offset1:17
	s_waitcnt vmcnt(38) lgkmcnt(2)
	v_mul_f64 v[144:145], v[232:233], v[144:145]
	ds_read2_b64 v[8:11], v13 offset0:18 offset1:19
	s_waitcnt vmcnt(37) lgkmcnt(2)
	v_fma_f64 v[194:195], -v[144:145], v[0:1], v[194:195]
	s_waitcnt vmcnt(36)
	v_fma_f64 v[142:143], -v[144:145], v[2:3], v[142:143]
	ds_read2_b64 v[0:3], v13 offset0:20 offset1:21
	s_waitcnt vmcnt(35) lgkmcnt(2)
	v_fma_f64 v[192:193], -v[144:145], v[4:5], v[192:193]
	s_waitcnt vmcnt(34)
	v_fma_f64 v[140:141], -v[144:145], v[6:7], v[140:141]
	s_waitcnt vmcnt(33) lgkmcnt(1)
	v_fma_f64 v[190:191], -v[144:145], v[8:9], v[190:191]
	ds_read2_b64 v[4:7], v13 offset0:22 offset1:23
	s_waitcnt vmcnt(32)
	v_fma_f64 v[138:139], -v[144:145], v[10:11], v[138:139]
	ds_read2_b64 v[8:11], v13 offset0:24 offset1:25
	s_waitcnt vmcnt(31) lgkmcnt(2)
	v_fma_f64 v[188:189], -v[144:145], v[0:1], v[188:189]
	s_waitcnt vmcnt(30)
	v_fma_f64 v[136:137], -v[144:145], v[2:3], v[136:137]
	ds_read2_b64 v[0:3], v13 offset0:26 offset1:27
	s_waitcnt vmcnt(29) lgkmcnt(2)
	v_fma_f64 v[186:187], -v[144:145], v[4:5], v[186:187]
	;; [unrolled: 5-line block ×3, first 2 shown]
	s_waitcnt vmcnt(26)
	v_fma_f64 v[132:133], -v[144:145], v[10:11], v[132:133]
	s_waitcnt vmcnt(25) lgkmcnt(1)
	v_fma_f64 v[182:183], -v[144:145], v[0:1], v[182:183]
	ds_read2_b64 v[8:11], v13 offset0:30 offset1:31
	s_waitcnt vmcnt(24)
	v_fma_f64 v[130:131], -v[144:145], v[2:3], v[130:131]
	ds_read2_b64 v[0:3], v13 offset0:32 offset1:33
	s_waitcnt vmcnt(23) lgkmcnt(2)
	v_fma_f64 v[180:181], -v[144:145], v[4:5], v[180:181]
	s_waitcnt vmcnt(22)
	v_fma_f64 v[128:129], -v[144:145], v[6:7], v[128:129]
	s_waitcnt vmcnt(21) lgkmcnt(1)
	v_fma_f64 v[178:179], -v[144:145], v[8:9], v[178:179]
	ds_read2_b64 v[4:7], v13 offset0:34 offset1:35
	s_waitcnt vmcnt(20)
	v_fma_f64 v[126:127], -v[144:145], v[10:11], v[126:127]
	ds_read2_b64 v[8:11], v13 offset0:36 offset1:37
	s_waitcnt vmcnt(19) lgkmcnt(2)
	v_fma_f64 v[176:177], -v[144:145], v[0:1], v[176:177]
	s_waitcnt vmcnt(18)
	v_fma_f64 v[124:125], -v[144:145], v[2:3], v[124:125]
	ds_read2_b64 v[0:3], v13 offset0:38 offset1:39
	s_waitcnt vmcnt(17) lgkmcnt(2)
	v_fma_f64 v[174:175], -v[144:145], v[4:5], v[174:175]
	;; [unrolled: 5-line block ×3, first 2 shown]
	s_waitcnt vmcnt(14)
	v_fma_f64 v[120:121], -v[144:145], v[10:11], v[120:121]
	s_waitcnt vmcnt(13) lgkmcnt(1)
	v_fma_f64 v[170:171], -v[144:145], v[0:1], v[170:171]
	ds_read2_b64 v[8:11], v13 offset0:42 offset1:43
	s_waitcnt vmcnt(12)
	v_fma_f64 v[118:119], -v[144:145], v[2:3], v[118:119]
	ds_read2_b64 v[0:3], v13 offset0:44 offset1:45
	s_waitcnt vmcnt(11) lgkmcnt(2)
	v_fma_f64 v[168:169], -v[144:145], v[4:5], v[168:169]
	s_waitcnt vmcnt(10)
	v_fma_f64 v[116:117], -v[144:145], v[6:7], v[116:117]
	s_waitcnt vmcnt(9) lgkmcnt(1)
	v_fma_f64 v[166:167], -v[144:145], v[8:9], v[166:167]
	s_waitcnt vmcnt(8)
	v_fma_f64 v[114:115], -v[144:145], v[10:11], v[114:115]
	ds_read2_b64 v[4:7], v13 offset0:46 offset1:47
	ds_read2_b64 v[8:11], v13 offset0:48 offset1:49
	s_waitcnt vmcnt(7) lgkmcnt(2)
	v_fma_f64 v[164:165], -v[144:145], v[0:1], v[164:165]
	s_waitcnt vmcnt(6)
	v_fma_f64 v[112:113], -v[144:145], v[2:3], v[112:113]
	ds_read2_b64 v[0:3], v13 offset0:50 offset1:51
	s_waitcnt vmcnt(5) lgkmcnt(2)
	v_fma_f64 v[162:163], -v[144:145], v[4:5], v[162:163]
	s_waitcnt vmcnt(4)
	v_fma_f64 v[110:111], -v[144:145], v[6:7], v[110:111]
	s_waitcnt vmcnt(3) lgkmcnt(1)
	v_fma_f64 v[160:161], -v[144:145], v[8:9], v[160:161]
	s_waitcnt vmcnt(2)
	v_fma_f64 v[108:109], -v[144:145], v[10:11], v[108:109]
	;; [unrolled: 4-line block ×3, first 2 shown]
.LBB103_71:
	s_or_b64 exec, exec, s[2:3]
	v_cmp_eq_u32_e32 vcc, 14, v14
	s_waitcnt lgkmcnt(0)
	s_barrier
	s_and_saveexec_b64 s[2:3], vcc
	s_cbranch_execz .LBB103_74
; %bb.72:
	s_waitcnt vmcnt(37)
	ds_write_b64 v12, v[194:195]
	s_waitcnt vmcnt(35)
	ds_write2_b64 v13, v[142:143], v[192:193] offset0:15 offset1:16
	s_waitcnt vmcnt(33)
	ds_write2_b64 v13, v[140:141], v[190:191] offset0:17 offset1:18
	;; [unrolled: 2-line block ×18, first 2 shown]
	s_waitcnt vmcnt(0)
	ds_write_b64 v13, v[208:209] offset:408
	ds_read_b64 v[0:1], v12
	s_waitcnt lgkmcnt(0)
	v_cmp_neq_f64_e32 vcc, 0, v[0:1]
	s_and_b64 exec, exec, vcc
	s_cbranch_execz .LBB103_74
; %bb.73:
	v_div_scale_f64 v[2:3], s[6:7], v[0:1], v[0:1], 1.0
	v_rcp_f64_e32 v[4:5], v[2:3]
	v_div_scale_f64 v[6:7], vcc, 1.0, v[0:1], 1.0
	v_fma_f64 v[8:9], -v[2:3], v[4:5], 1.0
	v_fmac_f64_e32 v[4:5], v[4:5], v[8:9]
	v_fma_f64 v[8:9], -v[2:3], v[4:5], 1.0
	v_fmac_f64_e32 v[4:5], v[4:5], v[8:9]
	v_mul_f64 v[8:9], v[6:7], v[4:5]
	v_fma_f64 v[2:3], -v[2:3], v[8:9], v[6:7]
	v_div_fmas_f64 v[2:3], v[2:3], v[4:5], v[8:9]
	v_div_fixup_f64 v[0:1], v[2:3], v[0:1], 1.0
	ds_write_b64 v12, v[0:1]
.LBB103_74:
	s_or_b64 exec, exec, s[2:3]
	s_waitcnt lgkmcnt(0)
	s_barrier
	ds_read_b64 v[234:235], v12
	v_cmp_lt_u32_e32 vcc, 14, v14
	s_and_saveexec_b64 s[2:3], vcc
	s_cbranch_execz .LBB103_76
; %bb.75:
	ds_read2_b64 v[0:3], v13 offset0:15 offset1:16
	ds_read2_b64 v[4:7], v13 offset0:17 offset1:18
	s_waitcnt vmcnt(37) lgkmcnt(2)
	v_mul_f64 v[194:195], v[234:235], v[194:195]
	ds_read2_b64 v[8:11], v13 offset0:19 offset1:20
	s_waitcnt vmcnt(36) lgkmcnt(2)
	v_fma_f64 v[142:143], -v[194:195], v[0:1], v[142:143]
	s_waitcnt vmcnt(35)
	v_fma_f64 v[192:193], -v[194:195], v[2:3], v[192:193]
	ds_read2_b64 v[0:3], v13 offset0:21 offset1:22
	s_waitcnt vmcnt(34) lgkmcnt(2)
	v_fma_f64 v[140:141], -v[194:195], v[4:5], v[140:141]
	s_waitcnt vmcnt(33)
	v_fma_f64 v[190:191], -v[194:195], v[6:7], v[190:191]
	s_waitcnt vmcnt(32) lgkmcnt(1)
	v_fma_f64 v[138:139], -v[194:195], v[8:9], v[138:139]
	ds_read2_b64 v[4:7], v13 offset0:23 offset1:24
	s_waitcnt vmcnt(31)
	v_fma_f64 v[188:189], -v[194:195], v[10:11], v[188:189]
	ds_read2_b64 v[8:11], v13 offset0:25 offset1:26
	s_waitcnt vmcnt(30) lgkmcnt(2)
	v_fma_f64 v[136:137], -v[194:195], v[0:1], v[136:137]
	s_waitcnt vmcnt(29)
	v_fma_f64 v[186:187], -v[194:195], v[2:3], v[186:187]
	ds_read2_b64 v[0:3], v13 offset0:27 offset1:28
	s_waitcnt vmcnt(28) lgkmcnt(2)
	v_fma_f64 v[134:135], -v[194:195], v[4:5], v[134:135]
	;; [unrolled: 5-line block ×3, first 2 shown]
	s_waitcnt vmcnt(25)
	v_fma_f64 v[182:183], -v[194:195], v[10:11], v[182:183]
	s_waitcnt vmcnt(24) lgkmcnt(1)
	v_fma_f64 v[130:131], -v[194:195], v[0:1], v[130:131]
	ds_read2_b64 v[8:11], v13 offset0:31 offset1:32
	s_waitcnt vmcnt(23)
	v_fma_f64 v[180:181], -v[194:195], v[2:3], v[180:181]
	ds_read2_b64 v[0:3], v13 offset0:33 offset1:34
	s_waitcnt vmcnt(22) lgkmcnt(2)
	v_fma_f64 v[128:129], -v[194:195], v[4:5], v[128:129]
	s_waitcnt vmcnt(21)
	v_fma_f64 v[178:179], -v[194:195], v[6:7], v[178:179]
	s_waitcnt vmcnt(20) lgkmcnt(1)
	v_fma_f64 v[126:127], -v[194:195], v[8:9], v[126:127]
	ds_read2_b64 v[4:7], v13 offset0:35 offset1:36
	s_waitcnt vmcnt(19)
	v_fma_f64 v[176:177], -v[194:195], v[10:11], v[176:177]
	ds_read2_b64 v[8:11], v13 offset0:37 offset1:38
	s_waitcnt vmcnt(18) lgkmcnt(2)
	v_fma_f64 v[124:125], -v[194:195], v[0:1], v[124:125]
	s_waitcnt vmcnt(17)
	v_fma_f64 v[174:175], -v[194:195], v[2:3], v[174:175]
	ds_read2_b64 v[0:3], v13 offset0:39 offset1:40
	s_waitcnt vmcnt(16) lgkmcnt(2)
	v_fma_f64 v[122:123], -v[194:195], v[4:5], v[122:123]
	;; [unrolled: 5-line block ×3, first 2 shown]
	s_waitcnt vmcnt(13)
	v_fma_f64 v[170:171], -v[194:195], v[10:11], v[170:171]
	s_waitcnt vmcnt(12) lgkmcnt(1)
	v_fma_f64 v[118:119], -v[194:195], v[0:1], v[118:119]
	ds_read2_b64 v[8:11], v13 offset0:43 offset1:44
	s_waitcnt vmcnt(11)
	v_fma_f64 v[168:169], -v[194:195], v[2:3], v[168:169]
	ds_read2_b64 v[0:3], v13 offset0:45 offset1:46
	s_waitcnt vmcnt(10) lgkmcnt(2)
	v_fma_f64 v[116:117], -v[194:195], v[4:5], v[116:117]
	s_waitcnt vmcnt(9)
	v_fma_f64 v[166:167], -v[194:195], v[6:7], v[166:167]
	s_waitcnt vmcnt(8) lgkmcnt(1)
	v_fma_f64 v[114:115], -v[194:195], v[8:9], v[114:115]
	s_waitcnt vmcnt(7)
	v_fma_f64 v[164:165], -v[194:195], v[10:11], v[164:165]
	ds_read2_b64 v[4:7], v13 offset0:47 offset1:48
	ds_read2_b64 v[8:11], v13 offset0:49 offset1:50
	s_waitcnt vmcnt(6) lgkmcnt(2)
	v_fma_f64 v[112:113], -v[194:195], v[0:1], v[112:113]
	ds_read_b64 v[0:1], v13 offset:408
	s_waitcnt vmcnt(5)
	v_fma_f64 v[162:163], -v[194:195], v[2:3], v[162:163]
	s_waitcnt vmcnt(4) lgkmcnt(2)
	v_fma_f64 v[110:111], -v[194:195], v[4:5], v[110:111]
	s_waitcnt vmcnt(3)
	v_fma_f64 v[160:161], -v[194:195], v[6:7], v[160:161]
	s_waitcnt vmcnt(2) lgkmcnt(1)
	v_fma_f64 v[108:109], -v[194:195], v[8:9], v[108:109]
	;; [unrolled: 4-line block ×3, first 2 shown]
.LBB103_76:
	s_or_b64 exec, exec, s[2:3]
	v_cmp_eq_u32_e32 vcc, 15, v14
	s_waitcnt lgkmcnt(0)
	s_barrier
	s_and_saveexec_b64 s[2:3], vcc
	s_cbranch_execz .LBB103_79
; %bb.77:
	s_waitcnt vmcnt(35)
	v_mov_b32_e32 v0, v192
	v_mov_b32_e32 v1, v193
	s_waitcnt vmcnt(34)
	v_mov_b32_e32 v2, v140
	v_mov_b32_e32 v3, v141
	ds_write_b64 v12, v[142:143]
	ds_write2_b64 v13, v[0:1], v[2:3] offset0:16 offset1:17
	s_waitcnt vmcnt(33)
	v_mov_b32_e32 v0, v190
	v_mov_b32_e32 v1, v191
	s_waitcnt vmcnt(32)
	v_mov_b32_e32 v2, v138
	v_mov_b32_e32 v3, v139
	ds_write2_b64 v13, v[0:1], v[2:3] offset0:18 offset1:19
	s_waitcnt vmcnt(31)
	v_mov_b32_e32 v0, v188
	v_mov_b32_e32 v1, v189
	s_waitcnt vmcnt(30)
	v_mov_b32_e32 v2, v136
	v_mov_b32_e32 v3, v137
	ds_write2_b64 v13, v[0:1], v[2:3] offset0:20 offset1:21
	s_waitcnt vmcnt(29)
	v_mov_b32_e32 v0, v186
	v_mov_b32_e32 v1, v187
	s_waitcnt vmcnt(28)
	v_mov_b32_e32 v2, v134
	v_mov_b32_e32 v3, v135
	ds_write2_b64 v13, v[0:1], v[2:3] offset0:22 offset1:23
	s_waitcnt vmcnt(27)
	v_mov_b32_e32 v0, v184
	v_mov_b32_e32 v1, v185
	s_waitcnt vmcnt(26)
	v_mov_b32_e32 v2, v132
	v_mov_b32_e32 v3, v133
	ds_write2_b64 v13, v[0:1], v[2:3] offset0:24 offset1:25
	s_waitcnt vmcnt(25)
	v_mov_b32_e32 v0, v182
	v_mov_b32_e32 v1, v183
	s_waitcnt vmcnt(24)
	v_mov_b32_e32 v2, v130
	v_mov_b32_e32 v3, v131
	ds_write2_b64 v13, v[0:1], v[2:3] offset0:26 offset1:27
	s_waitcnt vmcnt(23)
	v_mov_b32_e32 v0, v180
	v_mov_b32_e32 v1, v181
	s_waitcnt vmcnt(22)
	v_mov_b32_e32 v2, v128
	v_mov_b32_e32 v3, v129
	ds_write2_b64 v13, v[0:1], v[2:3] offset0:28 offset1:29
	s_waitcnt vmcnt(21)
	v_mov_b32_e32 v0, v178
	v_mov_b32_e32 v1, v179
	s_waitcnt vmcnt(20)
	v_mov_b32_e32 v2, v126
	v_mov_b32_e32 v3, v127
	ds_write2_b64 v13, v[0:1], v[2:3] offset0:30 offset1:31
	s_waitcnt vmcnt(19)
	v_mov_b32_e32 v0, v176
	v_mov_b32_e32 v1, v177
	s_waitcnt vmcnt(18)
	v_mov_b32_e32 v2, v124
	v_mov_b32_e32 v3, v125
	ds_write2_b64 v13, v[0:1], v[2:3] offset0:32 offset1:33
	s_waitcnt vmcnt(17)
	v_mov_b32_e32 v0, v174
	v_mov_b32_e32 v1, v175
	s_waitcnt vmcnt(16)
	v_mov_b32_e32 v2, v122
	v_mov_b32_e32 v3, v123
	ds_write2_b64 v13, v[0:1], v[2:3] offset0:34 offset1:35
	s_waitcnt vmcnt(15)
	v_mov_b32_e32 v0, v172
	v_mov_b32_e32 v1, v173
	s_waitcnt vmcnt(14)
	v_mov_b32_e32 v2, v120
	v_mov_b32_e32 v3, v121
	ds_write2_b64 v13, v[0:1], v[2:3] offset0:36 offset1:37
	s_waitcnt vmcnt(13)
	v_mov_b32_e32 v0, v170
	v_mov_b32_e32 v1, v171
	s_waitcnt vmcnt(12)
	v_mov_b32_e32 v2, v118
	v_mov_b32_e32 v3, v119
	ds_write2_b64 v13, v[0:1], v[2:3] offset0:38 offset1:39
	s_waitcnt vmcnt(11)
	v_mov_b32_e32 v0, v168
	v_mov_b32_e32 v1, v169
	s_waitcnt vmcnt(10)
	v_mov_b32_e32 v2, v116
	v_mov_b32_e32 v3, v117
	ds_write2_b64 v13, v[0:1], v[2:3] offset0:40 offset1:41
	s_waitcnt vmcnt(9)
	v_mov_b32_e32 v0, v166
	v_mov_b32_e32 v1, v167
	s_waitcnt vmcnt(8)
	v_mov_b32_e32 v2, v114
	v_mov_b32_e32 v3, v115
	ds_write2_b64 v13, v[0:1], v[2:3] offset0:42 offset1:43
	s_waitcnt vmcnt(7)
	v_mov_b32_e32 v0, v164
	v_mov_b32_e32 v1, v165
	s_waitcnt vmcnt(6)
	v_mov_b32_e32 v2, v112
	v_mov_b32_e32 v3, v113
	ds_write2_b64 v13, v[0:1], v[2:3] offset0:44 offset1:45
	s_waitcnt vmcnt(5)
	v_mov_b32_e32 v0, v162
	v_mov_b32_e32 v1, v163
	s_waitcnt vmcnt(4)
	v_mov_b32_e32 v2, v110
	v_mov_b32_e32 v3, v111
	ds_write2_b64 v13, v[0:1], v[2:3] offset0:46 offset1:47
	s_waitcnt vmcnt(3)
	v_mov_b32_e32 v0, v160
	v_mov_b32_e32 v1, v161
	s_waitcnt vmcnt(2)
	v_mov_b32_e32 v2, v108
	v_mov_b32_e32 v3, v109
	ds_write2_b64 v13, v[0:1], v[2:3] offset0:48 offset1:49
	s_waitcnt vmcnt(1)
	v_mov_b32_e32 v0, v158
	v_mov_b32_e32 v1, v159
	s_waitcnt vmcnt(0)
	ds_write2_b64 v13, v[0:1], v[208:209] offset0:50 offset1:51
	ds_read_b64 v[0:1], v12
	s_waitcnt lgkmcnt(0)
	v_cmp_neq_f64_e32 vcc, 0, v[0:1]
	s_and_b64 exec, exec, vcc
	s_cbranch_execz .LBB103_79
; %bb.78:
	v_div_scale_f64 v[2:3], s[6:7], v[0:1], v[0:1], 1.0
	v_rcp_f64_e32 v[4:5], v[2:3]
	v_div_scale_f64 v[6:7], vcc, 1.0, v[0:1], 1.0
	v_fma_f64 v[8:9], -v[2:3], v[4:5], 1.0
	v_fmac_f64_e32 v[4:5], v[4:5], v[8:9]
	v_fma_f64 v[8:9], -v[2:3], v[4:5], 1.0
	v_fmac_f64_e32 v[4:5], v[4:5], v[8:9]
	v_mul_f64 v[8:9], v[6:7], v[4:5]
	v_fma_f64 v[2:3], -v[2:3], v[8:9], v[6:7]
	v_div_fmas_f64 v[2:3], v[2:3], v[4:5], v[8:9]
	v_div_fixup_f64 v[0:1], v[2:3], v[0:1], 1.0
	ds_write_b64 v12, v[0:1]
.LBB103_79:
	s_or_b64 exec, exec, s[2:3]
	s_waitcnt lgkmcnt(0)
	s_barrier
	ds_read_b64 v[236:237], v12
	v_cmp_lt_u32_e32 vcc, 15, v14
	s_and_saveexec_b64 s[2:3], vcc
	s_cbranch_execz .LBB103_81
; %bb.80:
	ds_read2_b64 v[0:3], v13 offset0:16 offset1:17
	s_waitcnt vmcnt(36) lgkmcnt(1)
	v_mul_f64 v[142:143], v[236:237], v[142:143]
	s_waitcnt vmcnt(35) lgkmcnt(0)
	v_fma_f64 v[192:193], -v[142:143], v[0:1], v[192:193]
	s_waitcnt vmcnt(34)
	v_fma_f64 v[140:141], -v[142:143], v[2:3], v[140:141]
	ds_read2_b64 v[0:3], v13 offset0:18 offset1:19
	s_waitcnt vmcnt(33) lgkmcnt(0)
	v_fma_f64 v[190:191], -v[142:143], v[0:1], v[190:191]
	s_waitcnt vmcnt(32)
	v_fma_f64 v[138:139], -v[142:143], v[2:3], v[138:139]
	ds_read2_b64 v[0:3], v13 offset0:20 offset1:21
	;; [unrolled: 5-line block ×17, first 2 shown]
	s_waitcnt vmcnt(1) lgkmcnt(0)
	v_fma_f64 v[158:159], -v[142:143], v[0:1], v[158:159]
	s_waitcnt vmcnt(0)
	v_fma_f64 v[208:209], -v[142:143], v[2:3], v[208:209]
.LBB103_81:
	s_or_b64 exec, exec, s[2:3]
	v_cmp_eq_u32_e32 vcc, 16, v14
	s_waitcnt lgkmcnt(0)
	s_barrier
	s_and_saveexec_b64 s[2:3], vcc
	s_cbranch_execz .LBB103_84
; %bb.82:
	s_waitcnt vmcnt(35)
	ds_write_b64 v12, v[192:193]
	s_waitcnt vmcnt(33)
	ds_write2_b64 v13, v[140:141], v[190:191] offset0:17 offset1:18
	s_waitcnt vmcnt(31)
	ds_write2_b64 v13, v[138:139], v[188:189] offset0:19 offset1:20
	;; [unrolled: 2-line block ×17, first 2 shown]
	s_waitcnt vmcnt(0)
	ds_write_b64 v13, v[208:209] offset:408
	ds_read_b64 v[0:1], v12
	s_waitcnt lgkmcnt(0)
	v_cmp_neq_f64_e32 vcc, 0, v[0:1]
	s_and_b64 exec, exec, vcc
	s_cbranch_execz .LBB103_84
; %bb.83:
	v_div_scale_f64 v[2:3], s[6:7], v[0:1], v[0:1], 1.0
	v_rcp_f64_e32 v[4:5], v[2:3]
	v_div_scale_f64 v[6:7], vcc, 1.0, v[0:1], 1.0
	v_fma_f64 v[8:9], -v[2:3], v[4:5], 1.0
	v_fmac_f64_e32 v[4:5], v[4:5], v[8:9]
	v_fma_f64 v[8:9], -v[2:3], v[4:5], 1.0
	v_fmac_f64_e32 v[4:5], v[4:5], v[8:9]
	v_mul_f64 v[8:9], v[6:7], v[4:5]
	v_fma_f64 v[2:3], -v[2:3], v[8:9], v[6:7]
	v_div_fmas_f64 v[2:3], v[2:3], v[4:5], v[8:9]
	v_div_fixup_f64 v[0:1], v[2:3], v[0:1], 1.0
	ds_write_b64 v12, v[0:1]
.LBB103_84:
	s_or_b64 exec, exec, s[2:3]
	s_waitcnt lgkmcnt(0)
	s_barrier
	ds_read_b64 v[238:239], v12
	v_cmp_lt_u32_e32 vcc, 16, v14
	s_and_saveexec_b64 s[2:3], vcc
	s_cbranch_execz .LBB103_86
; %bb.85:
	ds_read2_b64 v[0:3], v13 offset0:17 offset1:18
	s_waitcnt vmcnt(35) lgkmcnt(1)
	v_mul_f64 v[192:193], v[238:239], v[192:193]
	s_waitcnt vmcnt(34) lgkmcnt(0)
	v_fma_f64 v[140:141], -v[192:193], v[0:1], v[140:141]
	s_waitcnt vmcnt(33)
	v_fma_f64 v[190:191], -v[192:193], v[2:3], v[190:191]
	ds_read2_b64 v[0:3], v13 offset0:19 offset1:20
	s_waitcnt vmcnt(32) lgkmcnt(0)
	v_fma_f64 v[138:139], -v[192:193], v[0:1], v[138:139]
	s_waitcnt vmcnt(31)
	v_fma_f64 v[188:189], -v[192:193], v[2:3], v[188:189]
	ds_read2_b64 v[0:3], v13 offset0:21 offset1:22
	;; [unrolled: 5-line block ×16, first 2 shown]
	s_waitcnt vmcnt(2) lgkmcnt(0)
	v_fma_f64 v[108:109], -v[192:193], v[0:1], v[108:109]
	ds_read_b64 v[0:1], v13 offset:408
	s_waitcnt vmcnt(1)
	v_fma_f64 v[158:159], -v[192:193], v[2:3], v[158:159]
	s_waitcnt vmcnt(0) lgkmcnt(0)
	v_fma_f64 v[208:209], -v[192:193], v[0:1], v[208:209]
.LBB103_86:
	s_or_b64 exec, exec, s[2:3]
	v_cmp_eq_u32_e32 vcc, 17, v14
	s_waitcnt lgkmcnt(0)
	s_barrier
	s_and_saveexec_b64 s[2:3], vcc
	s_cbranch_execz .LBB103_89
; %bb.87:
	s_waitcnt vmcnt(33)
	v_mov_b32_e32 v0, v190
	v_mov_b32_e32 v1, v191
	s_waitcnt vmcnt(32)
	v_mov_b32_e32 v2, v138
	v_mov_b32_e32 v3, v139
	ds_write_b64 v12, v[140:141]
	ds_write2_b64 v13, v[0:1], v[2:3] offset0:18 offset1:19
	s_waitcnt vmcnt(31)
	v_mov_b32_e32 v0, v188
	v_mov_b32_e32 v1, v189
	s_waitcnt vmcnt(30)
	v_mov_b32_e32 v2, v136
	v_mov_b32_e32 v3, v137
	ds_write2_b64 v13, v[0:1], v[2:3] offset0:20 offset1:21
	s_waitcnt vmcnt(29)
	v_mov_b32_e32 v0, v186
	v_mov_b32_e32 v1, v187
	s_waitcnt vmcnt(28)
	v_mov_b32_e32 v2, v134
	v_mov_b32_e32 v3, v135
	;; [unrolled: 7-line block ×15, first 2 shown]
	ds_write2_b64 v13, v[0:1], v[2:3] offset0:48 offset1:49
	s_waitcnt vmcnt(1)
	v_mov_b32_e32 v0, v158
	v_mov_b32_e32 v1, v159
	s_waitcnt vmcnt(0)
	ds_write2_b64 v13, v[0:1], v[208:209] offset0:50 offset1:51
	ds_read_b64 v[0:1], v12
	s_waitcnt lgkmcnt(0)
	v_cmp_neq_f64_e32 vcc, 0, v[0:1]
	s_and_b64 exec, exec, vcc
	s_cbranch_execz .LBB103_89
; %bb.88:
	v_div_scale_f64 v[2:3], s[6:7], v[0:1], v[0:1], 1.0
	v_rcp_f64_e32 v[4:5], v[2:3]
	v_div_scale_f64 v[6:7], vcc, 1.0, v[0:1], 1.0
	v_fma_f64 v[8:9], -v[2:3], v[4:5], 1.0
	v_fmac_f64_e32 v[4:5], v[4:5], v[8:9]
	v_fma_f64 v[8:9], -v[2:3], v[4:5], 1.0
	v_fmac_f64_e32 v[4:5], v[4:5], v[8:9]
	v_mul_f64 v[8:9], v[6:7], v[4:5]
	v_fma_f64 v[2:3], -v[2:3], v[8:9], v[6:7]
	v_div_fmas_f64 v[2:3], v[2:3], v[4:5], v[8:9]
	v_div_fixup_f64 v[0:1], v[2:3], v[0:1], 1.0
	ds_write_b64 v12, v[0:1]
.LBB103_89:
	s_or_b64 exec, exec, s[2:3]
	s_waitcnt lgkmcnt(0)
	s_barrier
	ds_read_b64 v[240:241], v12
	v_cmp_lt_u32_e32 vcc, 17, v14
	s_and_saveexec_b64 s[2:3], vcc
	s_cbranch_execz .LBB103_91
; %bb.90:
	ds_read2_b64 v[0:3], v13 offset0:18 offset1:19
	s_waitcnt vmcnt(34) lgkmcnt(1)
	v_mul_f64 v[140:141], v[240:241], v[140:141]
	s_waitcnt vmcnt(33) lgkmcnt(0)
	v_fma_f64 v[190:191], -v[140:141], v[0:1], v[190:191]
	s_waitcnt vmcnt(32)
	v_fma_f64 v[138:139], -v[140:141], v[2:3], v[138:139]
	ds_read2_b64 v[0:3], v13 offset0:20 offset1:21
	s_waitcnt vmcnt(31) lgkmcnt(0)
	v_fma_f64 v[188:189], -v[140:141], v[0:1], v[188:189]
	s_waitcnt vmcnt(30)
	v_fma_f64 v[136:137], -v[140:141], v[2:3], v[136:137]
	ds_read2_b64 v[0:3], v13 offset0:22 offset1:23
	;; [unrolled: 5-line block ×16, first 2 shown]
	s_waitcnt vmcnt(1) lgkmcnt(0)
	v_fma_f64 v[158:159], -v[140:141], v[0:1], v[158:159]
	s_waitcnt vmcnt(0)
	v_fma_f64 v[208:209], -v[140:141], v[2:3], v[208:209]
.LBB103_91:
	s_or_b64 exec, exec, s[2:3]
	v_cmp_eq_u32_e32 vcc, 18, v14
	s_waitcnt lgkmcnt(0)
	s_barrier
	s_and_saveexec_b64 s[2:3], vcc
	s_cbranch_execz .LBB103_94
; %bb.92:
	s_waitcnt vmcnt(33)
	ds_write_b64 v12, v[190:191]
	s_waitcnt vmcnt(31)
	ds_write2_b64 v13, v[138:139], v[188:189] offset0:19 offset1:20
	s_waitcnt vmcnt(29)
	ds_write2_b64 v13, v[136:137], v[186:187] offset0:21 offset1:22
	;; [unrolled: 2-line block ×16, first 2 shown]
	s_waitcnt vmcnt(0)
	ds_write_b64 v13, v[208:209] offset:408
	ds_read_b64 v[0:1], v12
	s_waitcnt lgkmcnt(0)
	v_cmp_neq_f64_e32 vcc, 0, v[0:1]
	s_and_b64 exec, exec, vcc
	s_cbranch_execz .LBB103_94
; %bb.93:
	v_div_scale_f64 v[2:3], s[6:7], v[0:1], v[0:1], 1.0
	v_rcp_f64_e32 v[4:5], v[2:3]
	v_div_scale_f64 v[6:7], vcc, 1.0, v[0:1], 1.0
	v_fma_f64 v[8:9], -v[2:3], v[4:5], 1.0
	v_fmac_f64_e32 v[4:5], v[4:5], v[8:9]
	v_fma_f64 v[8:9], -v[2:3], v[4:5], 1.0
	v_fmac_f64_e32 v[4:5], v[4:5], v[8:9]
	v_mul_f64 v[8:9], v[6:7], v[4:5]
	v_fma_f64 v[2:3], -v[2:3], v[8:9], v[6:7]
	v_div_fmas_f64 v[2:3], v[2:3], v[4:5], v[8:9]
	v_div_fixup_f64 v[0:1], v[2:3], v[0:1], 1.0
	ds_write_b64 v12, v[0:1]
.LBB103_94:
	s_or_b64 exec, exec, s[2:3]
	s_waitcnt lgkmcnt(0)
	s_barrier
	ds_read_b64 v[242:243], v12
	v_cmp_lt_u32_e32 vcc, 18, v14
	s_and_saveexec_b64 s[2:3], vcc
	s_cbranch_execz .LBB103_96
; %bb.95:
	ds_read2_b64 v[0:3], v13 offset0:19 offset1:20
	s_waitcnt vmcnt(33) lgkmcnt(1)
	v_mul_f64 v[190:191], v[242:243], v[190:191]
	s_waitcnt vmcnt(32) lgkmcnt(0)
	v_fma_f64 v[138:139], -v[190:191], v[0:1], v[138:139]
	s_waitcnt vmcnt(31)
	v_fma_f64 v[188:189], -v[190:191], v[2:3], v[188:189]
	ds_read2_b64 v[0:3], v13 offset0:21 offset1:22
	s_waitcnt vmcnt(30) lgkmcnt(0)
	v_fma_f64 v[136:137], -v[190:191], v[0:1], v[136:137]
	s_waitcnt vmcnt(29)
	v_fma_f64 v[186:187], -v[190:191], v[2:3], v[186:187]
	ds_read2_b64 v[0:3], v13 offset0:23 offset1:24
	;; [unrolled: 5-line block ×15, first 2 shown]
	s_waitcnt vmcnt(2) lgkmcnt(0)
	v_fma_f64 v[108:109], -v[190:191], v[0:1], v[108:109]
	ds_read_b64 v[0:1], v13 offset:408
	s_waitcnt vmcnt(1)
	v_fma_f64 v[158:159], -v[190:191], v[2:3], v[158:159]
	s_waitcnt vmcnt(0) lgkmcnt(0)
	v_fma_f64 v[208:209], -v[190:191], v[0:1], v[208:209]
.LBB103_96:
	s_or_b64 exec, exec, s[2:3]
	v_cmp_eq_u32_e32 vcc, 19, v14
	s_waitcnt lgkmcnt(0)
	s_barrier
	s_and_saveexec_b64 s[2:3], vcc
	s_cbranch_execz .LBB103_99
; %bb.97:
	s_waitcnt vmcnt(31)
	v_mov_b32_e32 v0, v188
	v_mov_b32_e32 v1, v189
	s_waitcnt vmcnt(30)
	v_mov_b32_e32 v2, v136
	v_mov_b32_e32 v3, v137
	ds_write_b64 v12, v[138:139]
	ds_write2_b64 v13, v[0:1], v[2:3] offset0:20 offset1:21
	s_waitcnt vmcnt(29)
	v_mov_b32_e32 v0, v186
	v_mov_b32_e32 v1, v187
	s_waitcnt vmcnt(28)
	v_mov_b32_e32 v2, v134
	v_mov_b32_e32 v3, v135
	ds_write2_b64 v13, v[0:1], v[2:3] offset0:22 offset1:23
	s_waitcnt vmcnt(27)
	v_mov_b32_e32 v0, v184
	v_mov_b32_e32 v1, v185
	s_waitcnt vmcnt(26)
	v_mov_b32_e32 v2, v132
	v_mov_b32_e32 v3, v133
	;; [unrolled: 7-line block ×14, first 2 shown]
	ds_write2_b64 v13, v[0:1], v[2:3] offset0:48 offset1:49
	s_waitcnt vmcnt(1)
	v_mov_b32_e32 v0, v158
	v_mov_b32_e32 v1, v159
	s_waitcnt vmcnt(0)
	ds_write2_b64 v13, v[0:1], v[208:209] offset0:50 offset1:51
	ds_read_b64 v[0:1], v12
	s_waitcnt lgkmcnt(0)
	v_cmp_neq_f64_e32 vcc, 0, v[0:1]
	s_and_b64 exec, exec, vcc
	s_cbranch_execz .LBB103_99
; %bb.98:
	v_div_scale_f64 v[2:3], s[6:7], v[0:1], v[0:1], 1.0
	v_rcp_f64_e32 v[4:5], v[2:3]
	v_div_scale_f64 v[6:7], vcc, 1.0, v[0:1], 1.0
	v_fma_f64 v[8:9], -v[2:3], v[4:5], 1.0
	v_fmac_f64_e32 v[4:5], v[4:5], v[8:9]
	v_fma_f64 v[8:9], -v[2:3], v[4:5], 1.0
	v_fmac_f64_e32 v[4:5], v[4:5], v[8:9]
	v_mul_f64 v[8:9], v[6:7], v[4:5]
	v_fma_f64 v[2:3], -v[2:3], v[8:9], v[6:7]
	v_div_fmas_f64 v[2:3], v[2:3], v[4:5], v[8:9]
	v_div_fixup_f64 v[0:1], v[2:3], v[0:1], 1.0
	ds_write_b64 v12, v[0:1]
.LBB103_99:
	s_or_b64 exec, exec, s[2:3]
	s_waitcnt lgkmcnt(0)
	s_barrier
	ds_read_b64 v[20:21], v12
	v_cmp_lt_u32_e32 vcc, 19, v14
	s_and_saveexec_b64 s[2:3], vcc
	s_cbranch_execz .LBB103_101
; %bb.100:
	ds_read2_b64 v[0:3], v13 offset0:20 offset1:21
	s_waitcnt vmcnt(32) lgkmcnt(1)
	v_mul_f64 v[138:139], v[20:21], v[138:139]
	s_waitcnt vmcnt(31) lgkmcnt(0)
	v_fma_f64 v[188:189], -v[138:139], v[0:1], v[188:189]
	s_waitcnt vmcnt(30)
	v_fma_f64 v[136:137], -v[138:139], v[2:3], v[136:137]
	ds_read2_b64 v[0:3], v13 offset0:22 offset1:23
	s_waitcnt vmcnt(29) lgkmcnt(0)
	v_fma_f64 v[186:187], -v[138:139], v[0:1], v[186:187]
	s_waitcnt vmcnt(28)
	v_fma_f64 v[134:135], -v[138:139], v[2:3], v[134:135]
	ds_read2_b64 v[0:3], v13 offset0:24 offset1:25
	;; [unrolled: 5-line block ×15, first 2 shown]
	s_waitcnt vmcnt(1) lgkmcnt(0)
	v_fma_f64 v[158:159], -v[138:139], v[0:1], v[158:159]
	s_waitcnt vmcnt(0)
	v_fma_f64 v[208:209], -v[138:139], v[2:3], v[208:209]
.LBB103_101:
	s_or_b64 exec, exec, s[2:3]
	v_cmp_eq_u32_e32 vcc, 20, v14
	s_waitcnt lgkmcnt(0)
	s_barrier
	s_and_saveexec_b64 s[2:3], vcc
	s_cbranch_execz .LBB103_104
; %bb.102:
	s_waitcnt vmcnt(31)
	ds_write_b64 v12, v[188:189]
	s_waitcnt vmcnt(29)
	ds_write2_b64 v13, v[136:137], v[186:187] offset0:21 offset1:22
	s_waitcnt vmcnt(27)
	ds_write2_b64 v13, v[134:135], v[184:185] offset0:23 offset1:24
	;; [unrolled: 2-line block ×15, first 2 shown]
	s_waitcnt vmcnt(0)
	ds_write_b64 v13, v[208:209] offset:408
	ds_read_b64 v[0:1], v12
	s_waitcnt lgkmcnt(0)
	v_cmp_neq_f64_e32 vcc, 0, v[0:1]
	s_and_b64 exec, exec, vcc
	s_cbranch_execz .LBB103_104
; %bb.103:
	v_div_scale_f64 v[2:3], s[6:7], v[0:1], v[0:1], 1.0
	v_rcp_f64_e32 v[4:5], v[2:3]
	v_div_scale_f64 v[6:7], vcc, 1.0, v[0:1], 1.0
	v_fma_f64 v[8:9], -v[2:3], v[4:5], 1.0
	v_fmac_f64_e32 v[4:5], v[4:5], v[8:9]
	v_fma_f64 v[8:9], -v[2:3], v[4:5], 1.0
	v_fmac_f64_e32 v[4:5], v[4:5], v[8:9]
	v_mul_f64 v[8:9], v[6:7], v[4:5]
	v_fma_f64 v[2:3], -v[2:3], v[8:9], v[6:7]
	v_div_fmas_f64 v[2:3], v[2:3], v[4:5], v[8:9]
	v_div_fixup_f64 v[0:1], v[2:3], v[0:1], 1.0
	ds_write_b64 v12, v[0:1]
.LBB103_104:
	s_or_b64 exec, exec, s[2:3]
	s_waitcnt lgkmcnt(0)
	s_barrier
	ds_read_b64 v[244:245], v12
	v_cmp_lt_u32_e32 vcc, 20, v14
	s_and_saveexec_b64 s[2:3], vcc
	s_cbranch_execz .LBB103_106
; %bb.105:
	ds_read2_b64 v[0:3], v13 offset0:21 offset1:22
	s_waitcnt vmcnt(31) lgkmcnt(1)
	v_mul_f64 v[188:189], v[244:245], v[188:189]
	s_waitcnt vmcnt(30) lgkmcnt(0)
	v_fma_f64 v[136:137], -v[188:189], v[0:1], v[136:137]
	s_waitcnt vmcnt(29)
	v_fma_f64 v[186:187], -v[188:189], v[2:3], v[186:187]
	ds_read2_b64 v[0:3], v13 offset0:23 offset1:24
	s_waitcnt vmcnt(28) lgkmcnt(0)
	v_fma_f64 v[134:135], -v[188:189], v[0:1], v[134:135]
	s_waitcnt vmcnt(27)
	v_fma_f64 v[184:185], -v[188:189], v[2:3], v[184:185]
	ds_read2_b64 v[0:3], v13 offset0:25 offset1:26
	;; [unrolled: 5-line block ×14, first 2 shown]
	s_waitcnt vmcnt(2) lgkmcnt(0)
	v_fma_f64 v[108:109], -v[188:189], v[0:1], v[108:109]
	ds_read_b64 v[0:1], v13 offset:408
	s_waitcnt vmcnt(1)
	v_fma_f64 v[158:159], -v[188:189], v[2:3], v[158:159]
	s_waitcnt vmcnt(0) lgkmcnt(0)
	v_fma_f64 v[208:209], -v[188:189], v[0:1], v[208:209]
.LBB103_106:
	s_or_b64 exec, exec, s[2:3]
	v_cmp_eq_u32_e32 vcc, 21, v14
	s_waitcnt lgkmcnt(0)
	s_barrier
	s_and_saveexec_b64 s[2:3], vcc
	s_cbranch_execz .LBB103_109
; %bb.107:
	s_waitcnt vmcnt(29)
	v_mov_b32_e32 v0, v186
	v_mov_b32_e32 v1, v187
	s_waitcnt vmcnt(28)
	v_mov_b32_e32 v2, v134
	v_mov_b32_e32 v3, v135
	ds_write_b64 v12, v[136:137]
	ds_write2_b64 v13, v[0:1], v[2:3] offset0:22 offset1:23
	s_waitcnt vmcnt(27)
	v_mov_b32_e32 v0, v184
	v_mov_b32_e32 v1, v185
	s_waitcnt vmcnt(26)
	v_mov_b32_e32 v2, v132
	v_mov_b32_e32 v3, v133
	ds_write2_b64 v13, v[0:1], v[2:3] offset0:24 offset1:25
	s_waitcnt vmcnt(25)
	v_mov_b32_e32 v0, v182
	v_mov_b32_e32 v1, v183
	s_waitcnt vmcnt(24)
	v_mov_b32_e32 v2, v130
	v_mov_b32_e32 v3, v131
	;; [unrolled: 7-line block ×13, first 2 shown]
	ds_write2_b64 v13, v[0:1], v[2:3] offset0:48 offset1:49
	s_waitcnt vmcnt(1)
	v_mov_b32_e32 v0, v158
	v_mov_b32_e32 v1, v159
	s_waitcnt vmcnt(0)
	ds_write2_b64 v13, v[0:1], v[208:209] offset0:50 offset1:51
	ds_read_b64 v[0:1], v12
	s_waitcnt lgkmcnt(0)
	v_cmp_neq_f64_e32 vcc, 0, v[0:1]
	s_and_b64 exec, exec, vcc
	s_cbranch_execz .LBB103_109
; %bb.108:
	v_div_scale_f64 v[2:3], s[6:7], v[0:1], v[0:1], 1.0
	v_rcp_f64_e32 v[4:5], v[2:3]
	v_div_scale_f64 v[6:7], vcc, 1.0, v[0:1], 1.0
	v_fma_f64 v[8:9], -v[2:3], v[4:5], 1.0
	v_fmac_f64_e32 v[4:5], v[4:5], v[8:9]
	v_fma_f64 v[8:9], -v[2:3], v[4:5], 1.0
	v_fmac_f64_e32 v[4:5], v[4:5], v[8:9]
	v_mul_f64 v[8:9], v[6:7], v[4:5]
	v_fma_f64 v[2:3], -v[2:3], v[8:9], v[6:7]
	v_div_fmas_f64 v[2:3], v[2:3], v[4:5], v[8:9]
	v_div_fixup_f64 v[0:1], v[2:3], v[0:1], 1.0
	ds_write_b64 v12, v[0:1]
.LBB103_109:
	s_or_b64 exec, exec, s[2:3]
	s_waitcnt lgkmcnt(0)
	s_barrier
	ds_read_b64 v[246:247], v12
	v_cmp_lt_u32_e32 vcc, 21, v14
	s_and_saveexec_b64 s[2:3], vcc
	s_cbranch_execz .LBB103_111
; %bb.110:
	ds_read2_b64 v[0:3], v13 offset0:22 offset1:23
	s_waitcnt vmcnt(30) lgkmcnt(1)
	v_mul_f64 v[136:137], v[246:247], v[136:137]
	s_waitcnt vmcnt(29) lgkmcnt(0)
	v_fma_f64 v[186:187], -v[136:137], v[0:1], v[186:187]
	s_waitcnt vmcnt(28)
	v_fma_f64 v[134:135], -v[136:137], v[2:3], v[134:135]
	ds_read2_b64 v[0:3], v13 offset0:24 offset1:25
	s_waitcnt vmcnt(27) lgkmcnt(0)
	v_fma_f64 v[184:185], -v[136:137], v[0:1], v[184:185]
	s_waitcnt vmcnt(26)
	v_fma_f64 v[132:133], -v[136:137], v[2:3], v[132:133]
	ds_read2_b64 v[0:3], v13 offset0:26 offset1:27
	;; [unrolled: 5-line block ×14, first 2 shown]
	s_waitcnt vmcnt(1) lgkmcnt(0)
	v_fma_f64 v[158:159], -v[136:137], v[0:1], v[158:159]
	s_waitcnt vmcnt(0)
	v_fma_f64 v[208:209], -v[136:137], v[2:3], v[208:209]
.LBB103_111:
	s_or_b64 exec, exec, s[2:3]
	v_cmp_eq_u32_e32 vcc, 22, v14
	s_waitcnt lgkmcnt(0)
	s_barrier
	s_and_saveexec_b64 s[2:3], vcc
	s_cbranch_execz .LBB103_114
; %bb.112:
	s_waitcnt vmcnt(29)
	ds_write_b64 v12, v[186:187]
	s_waitcnt vmcnt(27)
	ds_write2_b64 v13, v[134:135], v[184:185] offset0:23 offset1:24
	s_waitcnt vmcnt(25)
	ds_write2_b64 v13, v[132:133], v[182:183] offset0:25 offset1:26
	;; [unrolled: 2-line block ×14, first 2 shown]
	s_waitcnt vmcnt(0)
	ds_write_b64 v13, v[208:209] offset:408
	ds_read_b64 v[0:1], v12
	s_waitcnt lgkmcnt(0)
	v_cmp_neq_f64_e32 vcc, 0, v[0:1]
	s_and_b64 exec, exec, vcc
	s_cbranch_execz .LBB103_114
; %bb.113:
	v_div_scale_f64 v[2:3], s[6:7], v[0:1], v[0:1], 1.0
	v_rcp_f64_e32 v[4:5], v[2:3]
	v_div_scale_f64 v[6:7], vcc, 1.0, v[0:1], 1.0
	v_fma_f64 v[8:9], -v[2:3], v[4:5], 1.0
	v_fmac_f64_e32 v[4:5], v[4:5], v[8:9]
	v_fma_f64 v[8:9], -v[2:3], v[4:5], 1.0
	v_fmac_f64_e32 v[4:5], v[4:5], v[8:9]
	v_mul_f64 v[8:9], v[6:7], v[4:5]
	v_fma_f64 v[2:3], -v[2:3], v[8:9], v[6:7]
	v_div_fmas_f64 v[2:3], v[2:3], v[4:5], v[8:9]
	v_div_fixup_f64 v[0:1], v[2:3], v[0:1], 1.0
	ds_write_b64 v12, v[0:1]
.LBB103_114:
	s_or_b64 exec, exec, s[2:3]
	s_waitcnt lgkmcnt(0)
	s_barrier
	ds_read_b64 v[248:249], v12
	v_cmp_lt_u32_e32 vcc, 22, v14
	s_and_saveexec_b64 s[2:3], vcc
	s_cbranch_execz .LBB103_116
; %bb.115:
	ds_read2_b64 v[0:3], v13 offset0:23 offset1:24
	s_waitcnt vmcnt(29) lgkmcnt(1)
	v_mul_f64 v[186:187], v[248:249], v[186:187]
	s_waitcnt vmcnt(28) lgkmcnt(0)
	v_fma_f64 v[134:135], -v[186:187], v[0:1], v[134:135]
	s_waitcnt vmcnt(27)
	v_fma_f64 v[184:185], -v[186:187], v[2:3], v[184:185]
	ds_read2_b64 v[0:3], v13 offset0:25 offset1:26
	s_waitcnt vmcnt(26) lgkmcnt(0)
	v_fma_f64 v[132:133], -v[186:187], v[0:1], v[132:133]
	s_waitcnt vmcnt(25)
	v_fma_f64 v[182:183], -v[186:187], v[2:3], v[182:183]
	ds_read2_b64 v[0:3], v13 offset0:27 offset1:28
	;; [unrolled: 5-line block ×13, first 2 shown]
	s_waitcnt vmcnt(2) lgkmcnt(0)
	v_fma_f64 v[108:109], -v[186:187], v[0:1], v[108:109]
	ds_read_b64 v[0:1], v13 offset:408
	s_waitcnt vmcnt(1)
	v_fma_f64 v[158:159], -v[186:187], v[2:3], v[158:159]
	s_waitcnt vmcnt(0) lgkmcnt(0)
	v_fma_f64 v[208:209], -v[186:187], v[0:1], v[208:209]
.LBB103_116:
	s_or_b64 exec, exec, s[2:3]
	v_cmp_eq_u32_e32 vcc, 23, v14
	s_waitcnt lgkmcnt(0)
	s_barrier
	s_and_saveexec_b64 s[2:3], vcc
	s_cbranch_execz .LBB103_119
; %bb.117:
	s_waitcnt vmcnt(27)
	v_mov_b32_e32 v0, v184
	v_mov_b32_e32 v1, v185
	s_waitcnt vmcnt(26)
	v_mov_b32_e32 v2, v132
	v_mov_b32_e32 v3, v133
	ds_write_b64 v12, v[134:135]
	ds_write2_b64 v13, v[0:1], v[2:3] offset0:24 offset1:25
	s_waitcnt vmcnt(25)
	v_mov_b32_e32 v0, v182
	v_mov_b32_e32 v1, v183
	s_waitcnt vmcnt(24)
	v_mov_b32_e32 v2, v130
	v_mov_b32_e32 v3, v131
	ds_write2_b64 v13, v[0:1], v[2:3] offset0:26 offset1:27
	s_waitcnt vmcnt(23)
	v_mov_b32_e32 v0, v180
	v_mov_b32_e32 v1, v181
	s_waitcnt vmcnt(22)
	v_mov_b32_e32 v2, v128
	v_mov_b32_e32 v3, v129
	;; [unrolled: 7-line block ×12, first 2 shown]
	ds_write2_b64 v13, v[0:1], v[2:3] offset0:48 offset1:49
	s_waitcnt vmcnt(1)
	v_mov_b32_e32 v0, v158
	v_mov_b32_e32 v1, v159
	s_waitcnt vmcnt(0)
	ds_write2_b64 v13, v[0:1], v[208:209] offset0:50 offset1:51
	ds_read_b64 v[0:1], v12
	s_waitcnt lgkmcnt(0)
	v_cmp_neq_f64_e32 vcc, 0, v[0:1]
	s_and_b64 exec, exec, vcc
	s_cbranch_execz .LBB103_119
; %bb.118:
	v_div_scale_f64 v[2:3], s[6:7], v[0:1], v[0:1], 1.0
	v_rcp_f64_e32 v[4:5], v[2:3]
	v_div_scale_f64 v[6:7], vcc, 1.0, v[0:1], 1.0
	v_fma_f64 v[8:9], -v[2:3], v[4:5], 1.0
	v_fmac_f64_e32 v[4:5], v[4:5], v[8:9]
	v_fma_f64 v[8:9], -v[2:3], v[4:5], 1.0
	v_fmac_f64_e32 v[4:5], v[4:5], v[8:9]
	v_mul_f64 v[8:9], v[6:7], v[4:5]
	v_fma_f64 v[2:3], -v[2:3], v[8:9], v[6:7]
	v_div_fmas_f64 v[2:3], v[2:3], v[4:5], v[8:9]
	v_div_fixup_f64 v[0:1], v[2:3], v[0:1], 1.0
	ds_write_b64 v12, v[0:1]
.LBB103_119:
	s_or_b64 exec, exec, s[2:3]
	s_waitcnt lgkmcnt(0)
	s_barrier
	ds_read_b64 v[250:251], v12
	v_cmp_lt_u32_e32 vcc, 23, v14
	s_and_saveexec_b64 s[2:3], vcc
	s_cbranch_execz .LBB103_121
; %bb.120:
	ds_read2_b64 v[0:3], v13 offset0:24 offset1:25
	s_waitcnt vmcnt(28) lgkmcnt(1)
	v_mul_f64 v[134:135], v[250:251], v[134:135]
	s_waitcnt vmcnt(27) lgkmcnt(0)
	v_fma_f64 v[184:185], -v[134:135], v[0:1], v[184:185]
	s_waitcnt vmcnt(26)
	v_fma_f64 v[132:133], -v[134:135], v[2:3], v[132:133]
	ds_read2_b64 v[0:3], v13 offset0:26 offset1:27
	s_waitcnt vmcnt(25) lgkmcnt(0)
	v_fma_f64 v[182:183], -v[134:135], v[0:1], v[182:183]
	s_waitcnt vmcnt(24)
	v_fma_f64 v[130:131], -v[134:135], v[2:3], v[130:131]
	ds_read2_b64 v[0:3], v13 offset0:28 offset1:29
	;; [unrolled: 5-line block ×13, first 2 shown]
	s_waitcnt vmcnt(1) lgkmcnt(0)
	v_fma_f64 v[158:159], -v[134:135], v[0:1], v[158:159]
	s_waitcnt vmcnt(0)
	v_fma_f64 v[208:209], -v[134:135], v[2:3], v[208:209]
.LBB103_121:
	s_or_b64 exec, exec, s[2:3]
	v_cmp_eq_u32_e32 vcc, 24, v14
	s_waitcnt lgkmcnt(0)
	s_barrier
	s_and_saveexec_b64 s[2:3], vcc
	s_cbranch_execz .LBB103_124
; %bb.122:
	s_waitcnt vmcnt(27)
	ds_write_b64 v12, v[184:185]
	s_waitcnt vmcnt(25)
	ds_write2_b64 v13, v[132:133], v[182:183] offset0:25 offset1:26
	s_waitcnt vmcnt(23)
	ds_write2_b64 v13, v[130:131], v[180:181] offset0:27 offset1:28
	;; [unrolled: 2-line block ×13, first 2 shown]
	s_waitcnt vmcnt(0)
	ds_write_b64 v13, v[208:209] offset:408
	ds_read_b64 v[0:1], v12
	s_waitcnt lgkmcnt(0)
	v_cmp_neq_f64_e32 vcc, 0, v[0:1]
	s_and_b64 exec, exec, vcc
	s_cbranch_execz .LBB103_124
; %bb.123:
	v_div_scale_f64 v[2:3], s[6:7], v[0:1], v[0:1], 1.0
	v_rcp_f64_e32 v[4:5], v[2:3]
	v_div_scale_f64 v[6:7], vcc, 1.0, v[0:1], 1.0
	v_fma_f64 v[8:9], -v[2:3], v[4:5], 1.0
	v_fmac_f64_e32 v[4:5], v[4:5], v[8:9]
	v_fma_f64 v[8:9], -v[2:3], v[4:5], 1.0
	v_fmac_f64_e32 v[4:5], v[4:5], v[8:9]
	v_mul_f64 v[8:9], v[6:7], v[4:5]
	v_fma_f64 v[2:3], -v[2:3], v[8:9], v[6:7]
	v_div_fmas_f64 v[2:3], v[2:3], v[4:5], v[8:9]
	v_div_fixup_f64 v[0:1], v[2:3], v[0:1], 1.0
	ds_write_b64 v12, v[0:1]
.LBB103_124:
	s_or_b64 exec, exec, s[2:3]
	s_waitcnt lgkmcnt(0)
	s_barrier
	ds_read_b64 v[252:253], v12
	v_cmp_lt_u32_e32 vcc, 24, v14
	s_and_saveexec_b64 s[2:3], vcc
	s_cbranch_execz .LBB103_126
; %bb.125:
	ds_read2_b64 v[0:3], v13 offset0:25 offset1:26
	s_waitcnt vmcnt(27) lgkmcnt(1)
	v_mul_f64 v[184:185], v[252:253], v[184:185]
	s_waitcnt vmcnt(26) lgkmcnt(0)
	v_fma_f64 v[132:133], -v[184:185], v[0:1], v[132:133]
	s_waitcnt vmcnt(25)
	v_fma_f64 v[182:183], -v[184:185], v[2:3], v[182:183]
	ds_read2_b64 v[0:3], v13 offset0:27 offset1:28
	s_waitcnt vmcnt(24) lgkmcnt(0)
	v_fma_f64 v[130:131], -v[184:185], v[0:1], v[130:131]
	s_waitcnt vmcnt(23)
	v_fma_f64 v[180:181], -v[184:185], v[2:3], v[180:181]
	ds_read2_b64 v[0:3], v13 offset0:29 offset1:30
	;; [unrolled: 5-line block ×12, first 2 shown]
	s_waitcnt vmcnt(2) lgkmcnt(0)
	v_fma_f64 v[108:109], -v[184:185], v[0:1], v[108:109]
	ds_read_b64 v[0:1], v13 offset:408
	s_waitcnt vmcnt(1)
	v_fma_f64 v[158:159], -v[184:185], v[2:3], v[158:159]
	s_waitcnt vmcnt(0) lgkmcnt(0)
	v_fma_f64 v[208:209], -v[184:185], v[0:1], v[208:209]
.LBB103_126:
	s_or_b64 exec, exec, s[2:3]
	v_cmp_eq_u32_e32 vcc, 25, v14
	s_waitcnt lgkmcnt(0)
	s_barrier
	s_and_saveexec_b64 s[2:3], vcc
	s_cbranch_execz .LBB103_129
; %bb.127:
	s_waitcnt vmcnt(25)
	v_mov_b32_e32 v0, v182
	v_mov_b32_e32 v1, v183
	s_waitcnt vmcnt(24)
	v_mov_b32_e32 v2, v130
	v_mov_b32_e32 v3, v131
	ds_write_b64 v12, v[132:133]
	ds_write2_b64 v13, v[0:1], v[2:3] offset0:26 offset1:27
	s_waitcnt vmcnt(23)
	v_mov_b32_e32 v0, v180
	v_mov_b32_e32 v1, v181
	s_waitcnt vmcnt(22)
	v_mov_b32_e32 v2, v128
	v_mov_b32_e32 v3, v129
	ds_write2_b64 v13, v[0:1], v[2:3] offset0:28 offset1:29
	s_waitcnt vmcnt(21)
	v_mov_b32_e32 v0, v178
	v_mov_b32_e32 v1, v179
	s_waitcnt vmcnt(20)
	v_mov_b32_e32 v2, v126
	v_mov_b32_e32 v3, v127
	;; [unrolled: 7-line block ×11, first 2 shown]
	ds_write2_b64 v13, v[0:1], v[2:3] offset0:48 offset1:49
	s_waitcnt vmcnt(1)
	v_mov_b32_e32 v0, v158
	v_mov_b32_e32 v1, v159
	s_waitcnt vmcnt(0)
	ds_write2_b64 v13, v[0:1], v[208:209] offset0:50 offset1:51
	ds_read_b64 v[0:1], v12
	s_waitcnt lgkmcnt(0)
	v_cmp_neq_f64_e32 vcc, 0, v[0:1]
	s_and_b64 exec, exec, vcc
	s_cbranch_execz .LBB103_129
; %bb.128:
	v_div_scale_f64 v[2:3], s[6:7], v[0:1], v[0:1], 1.0
	v_rcp_f64_e32 v[4:5], v[2:3]
	v_div_scale_f64 v[6:7], vcc, 1.0, v[0:1], 1.0
	v_fma_f64 v[8:9], -v[2:3], v[4:5], 1.0
	v_fmac_f64_e32 v[4:5], v[4:5], v[8:9]
	v_fma_f64 v[8:9], -v[2:3], v[4:5], 1.0
	v_fmac_f64_e32 v[4:5], v[4:5], v[8:9]
	v_mul_f64 v[8:9], v[6:7], v[4:5]
	v_fma_f64 v[2:3], -v[2:3], v[8:9], v[6:7]
	v_div_fmas_f64 v[2:3], v[2:3], v[4:5], v[8:9]
	v_div_fixup_f64 v[0:1], v[2:3], v[0:1], 1.0
	ds_write_b64 v12, v[0:1]
.LBB103_129:
	s_or_b64 exec, exec, s[2:3]
	s_waitcnt lgkmcnt(0)
	s_barrier
	ds_read_b64 v[0:1], v12
	v_cmp_lt_u32_e32 vcc, 25, v14
	s_waitcnt lgkmcnt(0)
	buffer_store_dword v0, off, s[16:19], 0 offset:88 ; 4-byte Folded Spill
	s_nop 0
	buffer_store_dword v1, off, s[16:19], 0 offset:92 ; 4-byte Folded Spill
	s_and_saveexec_b64 s[2:3], vcc
	s_cbranch_execz .LBB103_131
; %bb.130:
	buffer_load_dword v0, off, s[16:19], 0 offset:88 ; 4-byte Folded Reload
	buffer_load_dword v1, off, s[16:19], 0 offset:92 ; 4-byte Folded Reload
	s_waitcnt vmcnt(0)
	v_mul_f64 v[132:133], v[0:1], v[132:133]
	ds_read2_b64 v[0:3], v13 offset0:26 offset1:27
	s_waitcnt lgkmcnt(0)
	v_fma_f64 v[182:183], -v[132:133], v[0:1], v[182:183]
	v_fma_f64 v[130:131], -v[132:133], v[2:3], v[130:131]
	ds_read2_b64 v[0:3], v13 offset0:28 offset1:29
	s_waitcnt lgkmcnt(0)
	v_fma_f64 v[180:181], -v[132:133], v[0:1], v[180:181]
	v_fma_f64 v[128:129], -v[132:133], v[2:3], v[128:129]
	;; [unrolled: 4-line block ×13, first 2 shown]
.LBB103_131:
	s_or_b64 exec, exec, s[2:3]
	v_cmp_eq_u32_e32 vcc, 26, v14
	s_waitcnt vmcnt(63) expcnt(7) lgkmcnt(15)
	s_barrier
	s_and_saveexec_b64 s[2:3], vcc
	s_cbranch_execz .LBB103_134
; %bb.132:
	s_waitcnt vmcnt(27)
	ds_write_b64 v12, v[182:183]
	s_waitcnt vmcnt(25)
	ds_write2_b64 v13, v[130:131], v[180:181] offset0:27 offset1:28
	s_waitcnt vmcnt(23)
	ds_write2_b64 v13, v[128:129], v[178:179] offset0:29 offset1:30
	;; [unrolled: 2-line block ×12, first 2 shown]
	s_waitcnt vmcnt(2)
	ds_write_b64 v13, v[208:209] offset:408
	ds_read_b64 v[0:1], v12
	s_waitcnt lgkmcnt(0)
	v_cmp_neq_f64_e32 vcc, 0, v[0:1]
	s_and_b64 exec, exec, vcc
	s_cbranch_execz .LBB103_134
; %bb.133:
	v_div_scale_f64 v[2:3], s[6:7], v[0:1], v[0:1], 1.0
	v_rcp_f64_e32 v[4:5], v[2:3]
	v_div_scale_f64 v[6:7], vcc, 1.0, v[0:1], 1.0
	v_fma_f64 v[8:9], -v[2:3], v[4:5], 1.0
	v_fmac_f64_e32 v[4:5], v[4:5], v[8:9]
	v_fma_f64 v[8:9], -v[2:3], v[4:5], 1.0
	v_fmac_f64_e32 v[4:5], v[4:5], v[8:9]
	v_mul_f64 v[8:9], v[6:7], v[4:5]
	v_fma_f64 v[2:3], -v[2:3], v[8:9], v[6:7]
	v_div_fmas_f64 v[2:3], v[2:3], v[4:5], v[8:9]
	v_div_fixup_f64 v[0:1], v[2:3], v[0:1], 1.0
	ds_write_b64 v12, v[0:1]
.LBB103_134:
	s_or_b64 exec, exec, s[2:3]
	s_waitcnt lgkmcnt(0)
	s_barrier
	ds_read_b64 v[0:1], v12
	v_cmp_lt_u32_e32 vcc, 26, v14
	s_waitcnt lgkmcnt(0)
	buffer_store_dword v0, off, s[16:19], 0 offset:96 ; 4-byte Folded Spill
	s_nop 0
	buffer_store_dword v1, off, s[16:19], 0 offset:100 ; 4-byte Folded Spill
	s_and_saveexec_b64 s[2:3], vcc
	s_cbranch_execz .LBB103_136
; %bb.135:
	buffer_load_dword v0, off, s[16:19], 0 offset:96 ; 4-byte Folded Reload
	buffer_load_dword v1, off, s[16:19], 0 offset:100 ; 4-byte Folded Reload
	s_waitcnt vmcnt(0)
	v_mul_f64 v[182:183], v[0:1], v[182:183]
	ds_read2_b64 v[0:3], v13 offset0:27 offset1:28
	s_waitcnt lgkmcnt(0)
	v_fma_f64 v[130:131], -v[182:183], v[0:1], v[130:131]
	v_fma_f64 v[180:181], -v[182:183], v[2:3], v[180:181]
	ds_read2_b64 v[0:3], v13 offset0:29 offset1:30
	s_waitcnt lgkmcnt(0)
	v_fma_f64 v[128:129], -v[182:183], v[0:1], v[128:129]
	v_fma_f64 v[178:179], -v[182:183], v[2:3], v[178:179]
	;; [unrolled: 4-line block ×11, first 2 shown]
	ds_read2_b64 v[0:3], v13 offset0:49 offset1:50
	s_waitcnt lgkmcnt(0)
	v_fma_f64 v[108:109], -v[182:183], v[0:1], v[108:109]
	ds_read_b64 v[0:1], v13 offset:408
	v_fma_f64 v[158:159], -v[182:183], v[2:3], v[158:159]
	s_waitcnt lgkmcnt(0)
	v_fma_f64 v[208:209], -v[182:183], v[0:1], v[208:209]
.LBB103_136:
	s_or_b64 exec, exec, s[2:3]
	v_cmp_eq_u32_e32 vcc, 27, v14
	s_waitcnt vmcnt(63) expcnt(7) lgkmcnt(15)
	s_barrier
	s_and_saveexec_b64 s[2:3], vcc
	s_cbranch_execz .LBB103_139
; %bb.137:
	s_waitcnt vmcnt(27)
	v_mov_b32_e32 v0, v180
	v_mov_b32_e32 v1, v181
	s_waitcnt vmcnt(26)
	v_mov_b32_e32 v2, v128
	v_mov_b32_e32 v3, v129
	ds_write_b64 v12, v[130:131]
	ds_write2_b64 v13, v[0:1], v[2:3] offset0:28 offset1:29
	s_waitcnt vmcnt(25)
	v_mov_b32_e32 v0, v178
	v_mov_b32_e32 v1, v179
	s_waitcnt vmcnt(24)
	v_mov_b32_e32 v2, v126
	v_mov_b32_e32 v3, v127
	ds_write2_b64 v13, v[0:1], v[2:3] offset0:30 offset1:31
	s_waitcnt vmcnt(23)
	v_mov_b32_e32 v0, v176
	v_mov_b32_e32 v1, v177
	s_waitcnt vmcnt(22)
	v_mov_b32_e32 v2, v124
	v_mov_b32_e32 v3, v125
	;; [unrolled: 7-line block ×10, first 2 shown]
	ds_write2_b64 v13, v[0:1], v[2:3] offset0:48 offset1:49
	s_waitcnt vmcnt(5)
	v_mov_b32_e32 v0, v158
	v_mov_b32_e32 v1, v159
	s_waitcnt vmcnt(4)
	ds_write2_b64 v13, v[0:1], v[208:209] offset0:50 offset1:51
	ds_read_b64 v[0:1], v12
	s_waitcnt lgkmcnt(0)
	v_cmp_neq_f64_e32 vcc, 0, v[0:1]
	s_and_b64 exec, exec, vcc
	s_cbranch_execz .LBB103_139
; %bb.138:
	v_div_scale_f64 v[2:3], s[6:7], v[0:1], v[0:1], 1.0
	v_rcp_f64_e32 v[4:5], v[2:3]
	v_div_scale_f64 v[6:7], vcc, 1.0, v[0:1], 1.0
	v_fma_f64 v[8:9], -v[2:3], v[4:5], 1.0
	v_fmac_f64_e32 v[4:5], v[4:5], v[8:9]
	v_fma_f64 v[8:9], -v[2:3], v[4:5], 1.0
	v_fmac_f64_e32 v[4:5], v[4:5], v[8:9]
	v_mul_f64 v[8:9], v[6:7], v[4:5]
	v_fma_f64 v[2:3], -v[2:3], v[8:9], v[6:7]
	v_div_fmas_f64 v[2:3], v[2:3], v[4:5], v[8:9]
	v_div_fixup_f64 v[0:1], v[2:3], v[0:1], 1.0
	ds_write_b64 v12, v[0:1]
.LBB103_139:
	s_or_b64 exec, exec, s[2:3]
	s_waitcnt lgkmcnt(0)
	s_barrier
	ds_read_b64 v[0:1], v12
	v_cmp_lt_u32_e32 vcc, 27, v14
	s_waitcnt lgkmcnt(0)
	buffer_store_dword v0, off, s[16:19], 0 offset:104 ; 4-byte Folded Spill
	s_nop 0
	buffer_store_dword v1, off, s[16:19], 0 offset:108 ; 4-byte Folded Spill
	s_and_saveexec_b64 s[2:3], vcc
	s_cbranch_execz .LBB103_141
; %bb.140:
	buffer_load_dword v0, off, s[16:19], 0 offset:104 ; 4-byte Folded Reload
	buffer_load_dword v1, off, s[16:19], 0 offset:108 ; 4-byte Folded Reload
	s_waitcnt vmcnt(0)
	v_mul_f64 v[130:131], v[0:1], v[130:131]
	ds_read2_b64 v[0:3], v13 offset0:28 offset1:29
	s_waitcnt lgkmcnt(0)
	v_fma_f64 v[180:181], -v[130:131], v[0:1], v[180:181]
	v_fma_f64 v[128:129], -v[130:131], v[2:3], v[128:129]
	ds_read2_b64 v[0:3], v13 offset0:30 offset1:31
	s_waitcnt lgkmcnt(0)
	v_fma_f64 v[178:179], -v[130:131], v[0:1], v[178:179]
	v_fma_f64 v[126:127], -v[130:131], v[2:3], v[126:127]
	;; [unrolled: 4-line block ×12, first 2 shown]
.LBB103_141:
	s_or_b64 exec, exec, s[2:3]
	v_cmp_eq_u32_e32 vcc, 28, v14
	s_waitcnt vmcnt(63) expcnt(7) lgkmcnt(15)
	s_barrier
	s_and_saveexec_b64 s[2:3], vcc
	s_cbranch_execz .LBB103_144
; %bb.142:
	s_waitcnt vmcnt(29)
	ds_write_b64 v12, v[180:181]
	s_waitcnt vmcnt(27)
	ds_write2_b64 v13, v[128:129], v[178:179] offset0:29 offset1:30
	s_waitcnt vmcnt(25)
	ds_write2_b64 v13, v[126:127], v[176:177] offset0:31 offset1:32
	;; [unrolled: 2-line block ×11, first 2 shown]
	s_waitcnt vmcnt(6)
	ds_write_b64 v13, v[208:209] offset:408
	ds_read_b64 v[0:1], v12
	s_waitcnt lgkmcnt(0)
	v_cmp_neq_f64_e32 vcc, 0, v[0:1]
	s_and_b64 exec, exec, vcc
	s_cbranch_execz .LBB103_144
; %bb.143:
	v_div_scale_f64 v[2:3], s[6:7], v[0:1], v[0:1], 1.0
	v_rcp_f64_e32 v[4:5], v[2:3]
	v_div_scale_f64 v[6:7], vcc, 1.0, v[0:1], 1.0
	v_fma_f64 v[8:9], -v[2:3], v[4:5], 1.0
	v_fmac_f64_e32 v[4:5], v[4:5], v[8:9]
	v_fma_f64 v[8:9], -v[2:3], v[4:5], 1.0
	v_fmac_f64_e32 v[4:5], v[4:5], v[8:9]
	v_mul_f64 v[8:9], v[6:7], v[4:5]
	v_fma_f64 v[2:3], -v[2:3], v[8:9], v[6:7]
	v_div_fmas_f64 v[2:3], v[2:3], v[4:5], v[8:9]
	v_div_fixup_f64 v[0:1], v[2:3], v[0:1], 1.0
	ds_write_b64 v12, v[0:1]
.LBB103_144:
	s_or_b64 exec, exec, s[2:3]
	s_waitcnt lgkmcnt(0)
	s_barrier
	ds_read_b64 v[0:1], v12
	v_cmp_lt_u32_e32 vcc, 28, v14
	s_waitcnt lgkmcnt(0)
	buffer_store_dword v0, off, s[16:19], 0 offset:112 ; 4-byte Folded Spill
	s_nop 0
	buffer_store_dword v1, off, s[16:19], 0 offset:116 ; 4-byte Folded Spill
	s_and_saveexec_b64 s[2:3], vcc
	s_cbranch_execz .LBB103_146
; %bb.145:
	buffer_load_dword v0, off, s[16:19], 0 offset:112 ; 4-byte Folded Reload
	buffer_load_dword v1, off, s[16:19], 0 offset:116 ; 4-byte Folded Reload
	s_waitcnt vmcnt(0)
	v_mul_f64 v[180:181], v[0:1], v[180:181]
	ds_read2_b64 v[0:3], v13 offset0:29 offset1:30
	s_waitcnt lgkmcnt(0)
	v_fma_f64 v[128:129], -v[180:181], v[0:1], v[128:129]
	v_fma_f64 v[178:179], -v[180:181], v[2:3], v[178:179]
	ds_read2_b64 v[0:3], v13 offset0:31 offset1:32
	s_waitcnt lgkmcnt(0)
	v_fma_f64 v[126:127], -v[180:181], v[0:1], v[126:127]
	v_fma_f64 v[176:177], -v[180:181], v[2:3], v[176:177]
	;; [unrolled: 4-line block ×10, first 2 shown]
	ds_read2_b64 v[0:3], v13 offset0:49 offset1:50
	s_waitcnt lgkmcnt(0)
	v_fma_f64 v[108:109], -v[180:181], v[0:1], v[108:109]
	ds_read_b64 v[0:1], v13 offset:408
	v_fma_f64 v[158:159], -v[180:181], v[2:3], v[158:159]
	s_waitcnt lgkmcnt(0)
	v_fma_f64 v[208:209], -v[180:181], v[0:1], v[208:209]
.LBB103_146:
	s_or_b64 exec, exec, s[2:3]
	v_cmp_eq_u32_e32 vcc, 29, v14
	s_waitcnt vmcnt(63) expcnt(7) lgkmcnt(15)
	s_barrier
	s_and_saveexec_b64 s[2:3], vcc
	s_cbranch_execz .LBB103_149
; %bb.147:
	s_waitcnt vmcnt(29)
	v_mov_b32_e32 v0, v178
	v_mov_b32_e32 v1, v179
	s_waitcnt vmcnt(28)
	v_mov_b32_e32 v2, v126
	v_mov_b32_e32 v3, v127
	ds_write_b64 v12, v[128:129]
	ds_write2_b64 v13, v[0:1], v[2:3] offset0:30 offset1:31
	s_waitcnt vmcnt(27)
	v_mov_b32_e32 v0, v176
	v_mov_b32_e32 v1, v177
	s_waitcnt vmcnt(26)
	v_mov_b32_e32 v2, v124
	v_mov_b32_e32 v3, v125
	ds_write2_b64 v13, v[0:1], v[2:3] offset0:32 offset1:33
	s_waitcnt vmcnt(25)
	v_mov_b32_e32 v0, v174
	v_mov_b32_e32 v1, v175
	s_waitcnt vmcnt(24)
	v_mov_b32_e32 v2, v122
	v_mov_b32_e32 v3, v123
	;; [unrolled: 7-line block ×9, first 2 shown]
	ds_write2_b64 v13, v[0:1], v[2:3] offset0:48 offset1:49
	s_waitcnt vmcnt(9)
	v_mov_b32_e32 v0, v158
	v_mov_b32_e32 v1, v159
	s_waitcnt vmcnt(8)
	ds_write2_b64 v13, v[0:1], v[208:209] offset0:50 offset1:51
	ds_read_b64 v[0:1], v12
	s_waitcnt lgkmcnt(0)
	v_cmp_neq_f64_e32 vcc, 0, v[0:1]
	s_and_b64 exec, exec, vcc
	s_cbranch_execz .LBB103_149
; %bb.148:
	v_div_scale_f64 v[2:3], s[6:7], v[0:1], v[0:1], 1.0
	v_rcp_f64_e32 v[4:5], v[2:3]
	v_div_scale_f64 v[6:7], vcc, 1.0, v[0:1], 1.0
	v_fma_f64 v[8:9], -v[2:3], v[4:5], 1.0
	v_fmac_f64_e32 v[4:5], v[4:5], v[8:9]
	v_fma_f64 v[8:9], -v[2:3], v[4:5], 1.0
	v_fmac_f64_e32 v[4:5], v[4:5], v[8:9]
	v_mul_f64 v[8:9], v[6:7], v[4:5]
	v_fma_f64 v[2:3], -v[2:3], v[8:9], v[6:7]
	v_div_fmas_f64 v[2:3], v[2:3], v[4:5], v[8:9]
	v_div_fixup_f64 v[0:1], v[2:3], v[0:1], 1.0
	ds_write_b64 v12, v[0:1]
.LBB103_149:
	s_or_b64 exec, exec, s[2:3]
	s_waitcnt lgkmcnt(0)
	s_barrier
	ds_read_b64 v[0:1], v12
	v_cmp_lt_u32_e32 vcc, 29, v14
	s_waitcnt lgkmcnt(0)
	buffer_store_dword v0, off, s[16:19], 0 offset:120 ; 4-byte Folded Spill
	s_nop 0
	buffer_store_dword v1, off, s[16:19], 0 offset:124 ; 4-byte Folded Spill
	s_and_saveexec_b64 s[2:3], vcc
	s_cbranch_execz .LBB103_151
; %bb.150:
	buffer_load_dword v0, off, s[16:19], 0 offset:120 ; 4-byte Folded Reload
	buffer_load_dword v1, off, s[16:19], 0 offset:124 ; 4-byte Folded Reload
	s_waitcnt vmcnt(0)
	v_mul_f64 v[128:129], v[0:1], v[128:129]
	ds_read2_b64 v[0:3], v13 offset0:30 offset1:31
	s_waitcnt lgkmcnt(0)
	v_fma_f64 v[178:179], -v[128:129], v[0:1], v[178:179]
	v_fma_f64 v[126:127], -v[128:129], v[2:3], v[126:127]
	ds_read2_b64 v[0:3], v13 offset0:32 offset1:33
	s_waitcnt lgkmcnt(0)
	v_fma_f64 v[176:177], -v[128:129], v[0:1], v[176:177]
	v_fma_f64 v[124:125], -v[128:129], v[2:3], v[124:125]
	;; [unrolled: 4-line block ×11, first 2 shown]
.LBB103_151:
	s_or_b64 exec, exec, s[2:3]
	v_cmp_eq_u32_e32 vcc, 30, v14
	s_waitcnt vmcnt(63) expcnt(7) lgkmcnt(15)
	s_barrier
	s_and_saveexec_b64 s[2:3], vcc
	s_cbranch_execz .LBB103_154
; %bb.152:
	s_waitcnt vmcnt(31)
	ds_write_b64 v12, v[178:179]
	s_waitcnt vmcnt(29)
	ds_write2_b64 v13, v[126:127], v[176:177] offset0:31 offset1:32
	s_waitcnt vmcnt(27)
	ds_write2_b64 v13, v[124:125], v[174:175] offset0:33 offset1:34
	;; [unrolled: 2-line block ×10, first 2 shown]
	s_waitcnt vmcnt(10)
	ds_write_b64 v13, v[208:209] offset:408
	ds_read_b64 v[0:1], v12
	s_waitcnt lgkmcnt(0)
	v_cmp_neq_f64_e32 vcc, 0, v[0:1]
	s_and_b64 exec, exec, vcc
	s_cbranch_execz .LBB103_154
; %bb.153:
	v_div_scale_f64 v[2:3], s[6:7], v[0:1], v[0:1], 1.0
	v_rcp_f64_e32 v[4:5], v[2:3]
	v_div_scale_f64 v[6:7], vcc, 1.0, v[0:1], 1.0
	v_fma_f64 v[8:9], -v[2:3], v[4:5], 1.0
	v_fmac_f64_e32 v[4:5], v[4:5], v[8:9]
	v_fma_f64 v[8:9], -v[2:3], v[4:5], 1.0
	v_fmac_f64_e32 v[4:5], v[4:5], v[8:9]
	v_mul_f64 v[8:9], v[6:7], v[4:5]
	v_fma_f64 v[2:3], -v[2:3], v[8:9], v[6:7]
	v_div_fmas_f64 v[2:3], v[2:3], v[4:5], v[8:9]
	v_div_fixup_f64 v[0:1], v[2:3], v[0:1], 1.0
	ds_write_b64 v12, v[0:1]
.LBB103_154:
	s_or_b64 exec, exec, s[2:3]
	s_waitcnt lgkmcnt(0)
	s_barrier
	ds_read_b64 v[0:1], v12
	v_cmp_lt_u32_e32 vcc, 30, v14
	s_waitcnt lgkmcnt(0)
	buffer_store_dword v0, off, s[16:19], 0 offset:128 ; 4-byte Folded Spill
	s_nop 0
	buffer_store_dword v1, off, s[16:19], 0 offset:132 ; 4-byte Folded Spill
	s_and_saveexec_b64 s[2:3], vcc
	s_cbranch_execz .LBB103_156
; %bb.155:
	buffer_load_dword v0, off, s[16:19], 0 offset:128 ; 4-byte Folded Reload
	buffer_load_dword v1, off, s[16:19], 0 offset:132 ; 4-byte Folded Reload
	s_waitcnt vmcnt(0)
	v_mul_f64 v[178:179], v[0:1], v[178:179]
	ds_read2_b64 v[0:3], v13 offset0:31 offset1:32
	s_waitcnt lgkmcnt(0)
	v_fma_f64 v[126:127], -v[178:179], v[0:1], v[126:127]
	v_fma_f64 v[176:177], -v[178:179], v[2:3], v[176:177]
	ds_read2_b64 v[0:3], v13 offset0:33 offset1:34
	s_waitcnt lgkmcnt(0)
	v_fma_f64 v[124:125], -v[178:179], v[0:1], v[124:125]
	v_fma_f64 v[174:175], -v[178:179], v[2:3], v[174:175]
	;; [unrolled: 4-line block ×9, first 2 shown]
	ds_read2_b64 v[0:3], v13 offset0:49 offset1:50
	s_waitcnt lgkmcnt(0)
	v_fma_f64 v[108:109], -v[178:179], v[0:1], v[108:109]
	ds_read_b64 v[0:1], v13 offset:408
	v_fma_f64 v[158:159], -v[178:179], v[2:3], v[158:159]
	s_waitcnt lgkmcnt(0)
	v_fma_f64 v[208:209], -v[178:179], v[0:1], v[208:209]
.LBB103_156:
	s_or_b64 exec, exec, s[2:3]
	v_cmp_eq_u32_e32 vcc, 31, v14
	s_waitcnt vmcnt(63) expcnt(7) lgkmcnt(15)
	s_barrier
	s_and_saveexec_b64 s[2:3], vcc
	s_cbranch_execz .LBB103_159
; %bb.157:
	s_waitcnt vmcnt(31)
	v_mov_b32_e32 v0, v176
	v_mov_b32_e32 v1, v177
	s_waitcnt vmcnt(30)
	v_mov_b32_e32 v2, v124
	v_mov_b32_e32 v3, v125
	ds_write_b64 v12, v[126:127]
	ds_write2_b64 v13, v[0:1], v[2:3] offset0:32 offset1:33
	s_waitcnt vmcnt(29)
	v_mov_b32_e32 v0, v174
	v_mov_b32_e32 v1, v175
	s_waitcnt vmcnt(28)
	v_mov_b32_e32 v2, v122
	v_mov_b32_e32 v3, v123
	ds_write2_b64 v13, v[0:1], v[2:3] offset0:34 offset1:35
	s_waitcnt vmcnt(27)
	v_mov_b32_e32 v0, v172
	v_mov_b32_e32 v1, v173
	s_waitcnt vmcnt(26)
	v_mov_b32_e32 v2, v120
	v_mov_b32_e32 v3, v121
	;; [unrolled: 7-line block ×8, first 2 shown]
	ds_write2_b64 v13, v[0:1], v[2:3] offset0:48 offset1:49
	s_waitcnt vmcnt(13)
	v_mov_b32_e32 v0, v158
	v_mov_b32_e32 v1, v159
	s_waitcnt vmcnt(12)
	ds_write2_b64 v13, v[0:1], v[208:209] offset0:50 offset1:51
	ds_read_b64 v[0:1], v12
	s_waitcnt lgkmcnt(0)
	v_cmp_neq_f64_e32 vcc, 0, v[0:1]
	s_and_b64 exec, exec, vcc
	s_cbranch_execz .LBB103_159
; %bb.158:
	v_div_scale_f64 v[2:3], s[6:7], v[0:1], v[0:1], 1.0
	v_rcp_f64_e32 v[4:5], v[2:3]
	v_div_scale_f64 v[6:7], vcc, 1.0, v[0:1], 1.0
	v_fma_f64 v[8:9], -v[2:3], v[4:5], 1.0
	v_fmac_f64_e32 v[4:5], v[4:5], v[8:9]
	v_fma_f64 v[8:9], -v[2:3], v[4:5], 1.0
	v_fmac_f64_e32 v[4:5], v[4:5], v[8:9]
	v_mul_f64 v[8:9], v[6:7], v[4:5]
	v_fma_f64 v[2:3], -v[2:3], v[8:9], v[6:7]
	v_div_fmas_f64 v[2:3], v[2:3], v[4:5], v[8:9]
	v_div_fixup_f64 v[0:1], v[2:3], v[0:1], 1.0
	ds_write_b64 v12, v[0:1]
.LBB103_159:
	s_or_b64 exec, exec, s[2:3]
	s_waitcnt lgkmcnt(0)
	s_barrier
	ds_read_b64 v[0:1], v12
	v_cmp_lt_u32_e32 vcc, 31, v14
	s_waitcnt lgkmcnt(0)
	buffer_store_dword v0, off, s[16:19], 0 offset:136 ; 4-byte Folded Spill
	s_nop 0
	buffer_store_dword v1, off, s[16:19], 0 offset:140 ; 4-byte Folded Spill
	s_and_saveexec_b64 s[2:3], vcc
	s_cbranch_execz .LBB103_161
; %bb.160:
	buffer_load_dword v0, off, s[16:19], 0 offset:136 ; 4-byte Folded Reload
	buffer_load_dword v1, off, s[16:19], 0 offset:140 ; 4-byte Folded Reload
	s_waitcnt vmcnt(0)
	v_mul_f64 v[126:127], v[0:1], v[126:127]
	ds_read2_b64 v[0:3], v13 offset0:32 offset1:33
	s_waitcnt lgkmcnt(0)
	v_fma_f64 v[176:177], -v[126:127], v[0:1], v[176:177]
	v_fma_f64 v[124:125], -v[126:127], v[2:3], v[124:125]
	ds_read2_b64 v[0:3], v13 offset0:34 offset1:35
	s_waitcnt lgkmcnt(0)
	v_fma_f64 v[174:175], -v[126:127], v[0:1], v[174:175]
	v_fma_f64 v[122:123], -v[126:127], v[2:3], v[122:123]
	ds_read2_b64 v[0:3], v13 offset0:36 offset1:37
	s_waitcnt lgkmcnt(0)
	v_fma_f64 v[172:173], -v[126:127], v[0:1], v[172:173]
	v_fma_f64 v[120:121], -v[126:127], v[2:3], v[120:121]
	ds_read2_b64 v[0:3], v13 offset0:38 offset1:39
	s_waitcnt lgkmcnt(0)
	v_fma_f64 v[170:171], -v[126:127], v[0:1], v[170:171]
	v_fma_f64 v[118:119], -v[126:127], v[2:3], v[118:119]
	ds_read2_b64 v[0:3], v13 offset0:40 offset1:41
	s_waitcnt lgkmcnt(0)
	v_fma_f64 v[168:169], -v[126:127], v[0:1], v[168:169]
	v_fma_f64 v[116:117], -v[126:127], v[2:3], v[116:117]
	ds_read2_b64 v[0:3], v13 offset0:42 offset1:43
	s_waitcnt lgkmcnt(0)
	v_fma_f64 v[166:167], -v[126:127], v[0:1], v[166:167]
	v_fma_f64 v[114:115], -v[126:127], v[2:3], v[114:115]
	ds_read2_b64 v[0:3], v13 offset0:44 offset1:45
	s_waitcnt lgkmcnt(0)
	v_fma_f64 v[164:165], -v[126:127], v[0:1], v[164:165]
	v_fma_f64 v[112:113], -v[126:127], v[2:3], v[112:113]
	ds_read2_b64 v[0:3], v13 offset0:46 offset1:47
	s_waitcnt lgkmcnt(0)
	v_fma_f64 v[162:163], -v[126:127], v[0:1], v[162:163]
	v_fma_f64 v[110:111], -v[126:127], v[2:3], v[110:111]
	ds_read2_b64 v[0:3], v13 offset0:48 offset1:49
	s_waitcnt lgkmcnt(0)
	v_fma_f64 v[160:161], -v[126:127], v[0:1], v[160:161]
	v_fma_f64 v[108:109], -v[126:127], v[2:3], v[108:109]
	ds_read2_b64 v[0:3], v13 offset0:50 offset1:51
	s_waitcnt lgkmcnt(0)
	v_fma_f64 v[158:159], -v[126:127], v[0:1], v[158:159]
	v_fma_f64 v[208:209], -v[126:127], v[2:3], v[208:209]
.LBB103_161:
	s_or_b64 exec, exec, s[2:3]
	v_cmp_eq_u32_e32 vcc, 32, v14
	s_waitcnt vmcnt(63) expcnt(7) lgkmcnt(15)
	s_barrier
	s_and_saveexec_b64 s[2:3], vcc
	s_cbranch_execz .LBB103_164
; %bb.162:
	s_waitcnt vmcnt(33)
	ds_write_b64 v12, v[176:177]
	s_waitcnt vmcnt(31)
	ds_write2_b64 v13, v[124:125], v[174:175] offset0:33 offset1:34
	s_waitcnt vmcnt(29)
	ds_write2_b64 v13, v[122:123], v[172:173] offset0:35 offset1:36
	s_waitcnt vmcnt(27)
	ds_write2_b64 v13, v[120:121], v[170:171] offset0:37 offset1:38
	s_waitcnt vmcnt(25)
	ds_write2_b64 v13, v[118:119], v[168:169] offset0:39 offset1:40
	s_waitcnt vmcnt(23)
	ds_write2_b64 v13, v[116:117], v[166:167] offset0:41 offset1:42
	s_waitcnt vmcnt(21)
	ds_write2_b64 v13, v[114:115], v[164:165] offset0:43 offset1:44
	s_waitcnt vmcnt(19)
	ds_write2_b64 v13, v[112:113], v[162:163] offset0:45 offset1:46
	s_waitcnt vmcnt(17)
	ds_write2_b64 v13, v[110:111], v[160:161] offset0:47 offset1:48
	s_waitcnt vmcnt(15)
	ds_write2_b64 v13, v[108:109], v[158:159] offset0:49 offset1:50
	s_waitcnt vmcnt(14)
	ds_write_b64 v13, v[208:209] offset:408
	ds_read_b64 v[0:1], v12
	s_waitcnt lgkmcnt(0)
	v_cmp_neq_f64_e32 vcc, 0, v[0:1]
	s_and_b64 exec, exec, vcc
	s_cbranch_execz .LBB103_164
; %bb.163:
	v_div_scale_f64 v[2:3], s[6:7], v[0:1], v[0:1], 1.0
	v_rcp_f64_e32 v[4:5], v[2:3]
	v_div_scale_f64 v[6:7], vcc, 1.0, v[0:1], 1.0
	v_fma_f64 v[8:9], -v[2:3], v[4:5], 1.0
	v_fmac_f64_e32 v[4:5], v[4:5], v[8:9]
	v_fma_f64 v[8:9], -v[2:3], v[4:5], 1.0
	v_fmac_f64_e32 v[4:5], v[4:5], v[8:9]
	v_mul_f64 v[8:9], v[6:7], v[4:5]
	v_fma_f64 v[2:3], -v[2:3], v[8:9], v[6:7]
	v_div_fmas_f64 v[2:3], v[2:3], v[4:5], v[8:9]
	v_div_fixup_f64 v[0:1], v[2:3], v[0:1], 1.0
	ds_write_b64 v12, v[0:1]
.LBB103_164:
	s_or_b64 exec, exec, s[2:3]
	s_waitcnt lgkmcnt(0)
	s_barrier
	ds_read_b64 v[0:1], v12
	v_cmp_lt_u32_e32 vcc, 32, v14
	s_waitcnt lgkmcnt(0)
	buffer_store_dword v0, off, s[16:19], 0 offset:144 ; 4-byte Folded Spill
	s_nop 0
	buffer_store_dword v1, off, s[16:19], 0 offset:148 ; 4-byte Folded Spill
	s_and_saveexec_b64 s[2:3], vcc
	s_cbranch_execz .LBB103_166
; %bb.165:
	buffer_load_dword v0, off, s[16:19], 0 offset:144 ; 4-byte Folded Reload
	buffer_load_dword v1, off, s[16:19], 0 offset:148 ; 4-byte Folded Reload
	s_waitcnt vmcnt(0)
	v_mul_f64 v[176:177], v[0:1], v[176:177]
	ds_read2_b64 v[0:3], v13 offset0:33 offset1:34
	s_waitcnt lgkmcnt(0)
	v_fma_f64 v[124:125], -v[176:177], v[0:1], v[124:125]
	v_fma_f64 v[174:175], -v[176:177], v[2:3], v[174:175]
	ds_read2_b64 v[0:3], v13 offset0:35 offset1:36
	s_waitcnt lgkmcnt(0)
	v_fma_f64 v[122:123], -v[176:177], v[0:1], v[122:123]
	v_fma_f64 v[172:173], -v[176:177], v[2:3], v[172:173]
	;; [unrolled: 4-line block ×8, first 2 shown]
	ds_read2_b64 v[0:3], v13 offset0:49 offset1:50
	s_waitcnt lgkmcnt(0)
	v_fma_f64 v[108:109], -v[176:177], v[0:1], v[108:109]
	ds_read_b64 v[0:1], v13 offset:408
	v_fma_f64 v[158:159], -v[176:177], v[2:3], v[158:159]
	s_waitcnt lgkmcnt(0)
	v_fma_f64 v[208:209], -v[176:177], v[0:1], v[208:209]
.LBB103_166:
	s_or_b64 exec, exec, s[2:3]
	v_cmp_eq_u32_e32 vcc, 33, v14
	s_waitcnt vmcnt(63) expcnt(7) lgkmcnt(15)
	s_barrier
	s_and_saveexec_b64 s[2:3], vcc
	s_cbranch_execz .LBB103_169
; %bb.167:
	s_waitcnt vmcnt(33)
	v_mov_b32_e32 v0, v174
	v_mov_b32_e32 v1, v175
	s_waitcnt vmcnt(32)
	v_mov_b32_e32 v2, v122
	v_mov_b32_e32 v3, v123
	ds_write_b64 v12, v[124:125]
	ds_write2_b64 v13, v[0:1], v[2:3] offset0:34 offset1:35
	s_waitcnt vmcnt(31)
	v_mov_b32_e32 v0, v172
	v_mov_b32_e32 v1, v173
	s_waitcnt vmcnt(30)
	v_mov_b32_e32 v2, v120
	v_mov_b32_e32 v3, v121
	ds_write2_b64 v13, v[0:1], v[2:3] offset0:36 offset1:37
	s_waitcnt vmcnt(29)
	v_mov_b32_e32 v0, v170
	v_mov_b32_e32 v1, v171
	s_waitcnt vmcnt(28)
	v_mov_b32_e32 v2, v118
	v_mov_b32_e32 v3, v119
	;; [unrolled: 7-line block ×7, first 2 shown]
	ds_write2_b64 v13, v[0:1], v[2:3] offset0:48 offset1:49
	s_waitcnt vmcnt(17)
	v_mov_b32_e32 v0, v158
	v_mov_b32_e32 v1, v159
	s_waitcnt vmcnt(16)
	ds_write2_b64 v13, v[0:1], v[208:209] offset0:50 offset1:51
	ds_read_b64 v[0:1], v12
	s_waitcnt lgkmcnt(0)
	v_cmp_neq_f64_e32 vcc, 0, v[0:1]
	s_and_b64 exec, exec, vcc
	s_cbranch_execz .LBB103_169
; %bb.168:
	v_div_scale_f64 v[2:3], s[6:7], v[0:1], v[0:1], 1.0
	v_rcp_f64_e32 v[4:5], v[2:3]
	v_div_scale_f64 v[6:7], vcc, 1.0, v[0:1], 1.0
	v_fma_f64 v[8:9], -v[2:3], v[4:5], 1.0
	v_fmac_f64_e32 v[4:5], v[4:5], v[8:9]
	v_fma_f64 v[8:9], -v[2:3], v[4:5], 1.0
	v_fmac_f64_e32 v[4:5], v[4:5], v[8:9]
	v_mul_f64 v[8:9], v[6:7], v[4:5]
	v_fma_f64 v[2:3], -v[2:3], v[8:9], v[6:7]
	v_div_fmas_f64 v[2:3], v[2:3], v[4:5], v[8:9]
	v_div_fixup_f64 v[0:1], v[2:3], v[0:1], 1.0
	ds_write_b64 v12, v[0:1]
.LBB103_169:
	s_or_b64 exec, exec, s[2:3]
	s_waitcnt lgkmcnt(0)
	s_barrier
	ds_read_b64 v[0:1], v12
	v_cmp_lt_u32_e32 vcc, 33, v14
	s_waitcnt lgkmcnt(0)
	buffer_store_dword v0, off, s[16:19], 0 offset:152 ; 4-byte Folded Spill
	s_nop 0
	buffer_store_dword v1, off, s[16:19], 0 offset:156 ; 4-byte Folded Spill
	s_and_saveexec_b64 s[2:3], vcc
	s_cbranch_execz .LBB103_171
; %bb.170:
	buffer_load_dword v0, off, s[16:19], 0 offset:152 ; 4-byte Folded Reload
	buffer_load_dword v1, off, s[16:19], 0 offset:156 ; 4-byte Folded Reload
	s_waitcnt vmcnt(0)
	v_mul_f64 v[124:125], v[0:1], v[124:125]
	ds_read2_b64 v[0:3], v13 offset0:34 offset1:35
	s_waitcnt lgkmcnt(0)
	v_fma_f64 v[174:175], -v[124:125], v[0:1], v[174:175]
	v_fma_f64 v[122:123], -v[124:125], v[2:3], v[122:123]
	ds_read2_b64 v[0:3], v13 offset0:36 offset1:37
	s_waitcnt lgkmcnt(0)
	v_fma_f64 v[172:173], -v[124:125], v[0:1], v[172:173]
	v_fma_f64 v[120:121], -v[124:125], v[2:3], v[120:121]
	;; [unrolled: 4-line block ×9, first 2 shown]
.LBB103_171:
	s_or_b64 exec, exec, s[2:3]
	v_cmp_eq_u32_e32 vcc, 34, v14
	s_waitcnt vmcnt(63) expcnt(7) lgkmcnt(15)
	s_barrier
	s_and_saveexec_b64 s[2:3], vcc
	s_cbranch_execz .LBB103_174
; %bb.172:
	s_waitcnt vmcnt(35)
	ds_write_b64 v12, v[174:175]
	s_waitcnt vmcnt(33)
	ds_write2_b64 v13, v[122:123], v[172:173] offset0:35 offset1:36
	s_waitcnt vmcnt(31)
	ds_write2_b64 v13, v[120:121], v[170:171] offset0:37 offset1:38
	;; [unrolled: 2-line block ×8, first 2 shown]
	s_waitcnt vmcnt(18)
	ds_write_b64 v13, v[208:209] offset:408
	ds_read_b64 v[0:1], v12
	s_waitcnt lgkmcnt(0)
	v_cmp_neq_f64_e32 vcc, 0, v[0:1]
	s_and_b64 exec, exec, vcc
	s_cbranch_execz .LBB103_174
; %bb.173:
	v_div_scale_f64 v[2:3], s[6:7], v[0:1], v[0:1], 1.0
	v_rcp_f64_e32 v[4:5], v[2:3]
	v_div_scale_f64 v[6:7], vcc, 1.0, v[0:1], 1.0
	v_fma_f64 v[8:9], -v[2:3], v[4:5], 1.0
	v_fmac_f64_e32 v[4:5], v[4:5], v[8:9]
	v_fma_f64 v[8:9], -v[2:3], v[4:5], 1.0
	v_fmac_f64_e32 v[4:5], v[4:5], v[8:9]
	v_mul_f64 v[8:9], v[6:7], v[4:5]
	v_fma_f64 v[2:3], -v[2:3], v[8:9], v[6:7]
	v_div_fmas_f64 v[2:3], v[2:3], v[4:5], v[8:9]
	v_div_fixup_f64 v[0:1], v[2:3], v[0:1], 1.0
	ds_write_b64 v12, v[0:1]
.LBB103_174:
	s_or_b64 exec, exec, s[2:3]
	s_waitcnt lgkmcnt(0)
	s_barrier
	ds_read_b64 v[0:1], v12
	v_cmp_lt_u32_e32 vcc, 34, v14
	s_waitcnt lgkmcnt(0)
	buffer_store_dword v0, off, s[16:19], 0 offset:160 ; 4-byte Folded Spill
	s_nop 0
	buffer_store_dword v1, off, s[16:19], 0 offset:164 ; 4-byte Folded Spill
	s_and_saveexec_b64 s[2:3], vcc
	s_cbranch_execz .LBB103_176
; %bb.175:
	buffer_load_dword v0, off, s[16:19], 0 offset:160 ; 4-byte Folded Reload
	buffer_load_dword v1, off, s[16:19], 0 offset:164 ; 4-byte Folded Reload
	s_waitcnt vmcnt(0)
	v_mul_f64 v[174:175], v[0:1], v[174:175]
	ds_read2_b64 v[0:3], v13 offset0:35 offset1:36
	s_waitcnt lgkmcnt(0)
	v_fma_f64 v[122:123], -v[174:175], v[0:1], v[122:123]
	v_fma_f64 v[172:173], -v[174:175], v[2:3], v[172:173]
	ds_read2_b64 v[0:3], v13 offset0:37 offset1:38
	s_waitcnt lgkmcnt(0)
	v_fma_f64 v[120:121], -v[174:175], v[0:1], v[120:121]
	v_fma_f64 v[170:171], -v[174:175], v[2:3], v[170:171]
	ds_read2_b64 v[0:3], v13 offset0:39 offset1:40
	s_waitcnt lgkmcnt(0)
	v_fma_f64 v[118:119], -v[174:175], v[0:1], v[118:119]
	v_fma_f64 v[168:169], -v[174:175], v[2:3], v[168:169]
	ds_read2_b64 v[0:3], v13 offset0:41 offset1:42
	s_waitcnt lgkmcnt(0)
	v_fma_f64 v[116:117], -v[174:175], v[0:1], v[116:117]
	v_fma_f64 v[166:167], -v[174:175], v[2:3], v[166:167]
	ds_read2_b64 v[0:3], v13 offset0:43 offset1:44
	s_waitcnt lgkmcnt(0)
	v_fma_f64 v[114:115], -v[174:175], v[0:1], v[114:115]
	v_fma_f64 v[164:165], -v[174:175], v[2:3], v[164:165]
	ds_read2_b64 v[0:3], v13 offset0:45 offset1:46
	s_waitcnt lgkmcnt(0)
	v_fma_f64 v[112:113], -v[174:175], v[0:1], v[112:113]
	v_fma_f64 v[162:163], -v[174:175], v[2:3], v[162:163]
	ds_read2_b64 v[0:3], v13 offset0:47 offset1:48
	s_waitcnt lgkmcnt(0)
	v_fma_f64 v[110:111], -v[174:175], v[0:1], v[110:111]
	v_fma_f64 v[160:161], -v[174:175], v[2:3], v[160:161]
	ds_read2_b64 v[0:3], v13 offset0:49 offset1:50
	s_waitcnt lgkmcnt(0)
	v_fma_f64 v[108:109], -v[174:175], v[0:1], v[108:109]
	ds_read_b64 v[0:1], v13 offset:408
	v_fma_f64 v[158:159], -v[174:175], v[2:3], v[158:159]
	s_waitcnt lgkmcnt(0)
	v_fma_f64 v[208:209], -v[174:175], v[0:1], v[208:209]
.LBB103_176:
	s_or_b64 exec, exec, s[2:3]
	v_cmp_eq_u32_e32 vcc, 35, v14
	s_waitcnt vmcnt(63) expcnt(7) lgkmcnt(15)
	s_barrier
	s_and_saveexec_b64 s[2:3], vcc
	s_cbranch_execz .LBB103_179
; %bb.177:
	s_waitcnt vmcnt(35)
	v_mov_b32_e32 v0, v172
	v_mov_b32_e32 v1, v173
	s_waitcnt vmcnt(34)
	v_mov_b32_e32 v2, v120
	v_mov_b32_e32 v3, v121
	ds_write_b64 v12, v[122:123]
	ds_write2_b64 v13, v[0:1], v[2:3] offset0:36 offset1:37
	s_waitcnt vmcnt(33)
	v_mov_b32_e32 v0, v170
	v_mov_b32_e32 v1, v171
	s_waitcnt vmcnt(32)
	v_mov_b32_e32 v2, v118
	v_mov_b32_e32 v3, v119
	ds_write2_b64 v13, v[0:1], v[2:3] offset0:38 offset1:39
	s_waitcnt vmcnt(31)
	v_mov_b32_e32 v0, v168
	v_mov_b32_e32 v1, v169
	s_waitcnt vmcnt(30)
	v_mov_b32_e32 v2, v116
	v_mov_b32_e32 v3, v117
	;; [unrolled: 7-line block ×6, first 2 shown]
	ds_write2_b64 v13, v[0:1], v[2:3] offset0:48 offset1:49
	s_waitcnt vmcnt(21)
	v_mov_b32_e32 v0, v158
	v_mov_b32_e32 v1, v159
	s_waitcnt vmcnt(20)
	ds_write2_b64 v13, v[0:1], v[208:209] offset0:50 offset1:51
	ds_read_b64 v[0:1], v12
	s_waitcnt lgkmcnt(0)
	v_cmp_neq_f64_e32 vcc, 0, v[0:1]
	s_and_b64 exec, exec, vcc
	s_cbranch_execz .LBB103_179
; %bb.178:
	v_div_scale_f64 v[2:3], s[6:7], v[0:1], v[0:1], 1.0
	v_rcp_f64_e32 v[4:5], v[2:3]
	v_div_scale_f64 v[6:7], vcc, 1.0, v[0:1], 1.0
	v_fma_f64 v[8:9], -v[2:3], v[4:5], 1.0
	v_fmac_f64_e32 v[4:5], v[4:5], v[8:9]
	v_fma_f64 v[8:9], -v[2:3], v[4:5], 1.0
	v_fmac_f64_e32 v[4:5], v[4:5], v[8:9]
	v_mul_f64 v[8:9], v[6:7], v[4:5]
	v_fma_f64 v[2:3], -v[2:3], v[8:9], v[6:7]
	v_div_fmas_f64 v[2:3], v[2:3], v[4:5], v[8:9]
	v_div_fixup_f64 v[0:1], v[2:3], v[0:1], 1.0
	ds_write_b64 v12, v[0:1]
.LBB103_179:
	s_or_b64 exec, exec, s[2:3]
	s_waitcnt lgkmcnt(0)
	s_barrier
	ds_read_b64 v[0:1], v12
	v_cmp_lt_u32_e32 vcc, 35, v14
	s_waitcnt lgkmcnt(0)
	buffer_store_dword v0, off, s[16:19], 0 offset:168 ; 4-byte Folded Spill
	s_nop 0
	buffer_store_dword v1, off, s[16:19], 0 offset:172 ; 4-byte Folded Spill
	s_and_saveexec_b64 s[2:3], vcc
	s_cbranch_execz .LBB103_181
; %bb.180:
	buffer_load_dword v0, off, s[16:19], 0 offset:168 ; 4-byte Folded Reload
	buffer_load_dword v1, off, s[16:19], 0 offset:172 ; 4-byte Folded Reload
	s_waitcnt vmcnt(0)
	v_mul_f64 v[122:123], v[0:1], v[122:123]
	ds_read2_b64 v[0:3], v13 offset0:36 offset1:37
	s_waitcnt lgkmcnt(0)
	v_fma_f64 v[172:173], -v[122:123], v[0:1], v[172:173]
	v_fma_f64 v[120:121], -v[122:123], v[2:3], v[120:121]
	ds_read2_b64 v[0:3], v13 offset0:38 offset1:39
	s_waitcnt lgkmcnt(0)
	v_fma_f64 v[170:171], -v[122:123], v[0:1], v[170:171]
	v_fma_f64 v[118:119], -v[122:123], v[2:3], v[118:119]
	;; [unrolled: 4-line block ×8, first 2 shown]
.LBB103_181:
	s_or_b64 exec, exec, s[2:3]
	v_cmp_eq_u32_e32 vcc, 36, v14
	s_waitcnt vmcnt(63) expcnt(7) lgkmcnt(15)
	s_barrier
	s_and_saveexec_b64 s[2:3], vcc
	s_cbranch_execz .LBB103_184
; %bb.182:
	s_waitcnt vmcnt(37)
	ds_write_b64 v12, v[172:173]
	s_waitcnt vmcnt(35)
	ds_write2_b64 v13, v[120:121], v[170:171] offset0:37 offset1:38
	s_waitcnt vmcnt(33)
	ds_write2_b64 v13, v[118:119], v[168:169] offset0:39 offset1:40
	;; [unrolled: 2-line block ×7, first 2 shown]
	s_waitcnt vmcnt(22)
	ds_write_b64 v13, v[208:209] offset:408
	ds_read_b64 v[0:1], v12
	s_waitcnt lgkmcnt(0)
	v_cmp_neq_f64_e32 vcc, 0, v[0:1]
	s_and_b64 exec, exec, vcc
	s_cbranch_execz .LBB103_184
; %bb.183:
	v_div_scale_f64 v[2:3], s[6:7], v[0:1], v[0:1], 1.0
	v_rcp_f64_e32 v[4:5], v[2:3]
	v_div_scale_f64 v[6:7], vcc, 1.0, v[0:1], 1.0
	v_fma_f64 v[8:9], -v[2:3], v[4:5], 1.0
	v_fmac_f64_e32 v[4:5], v[4:5], v[8:9]
	v_fma_f64 v[8:9], -v[2:3], v[4:5], 1.0
	v_fmac_f64_e32 v[4:5], v[4:5], v[8:9]
	v_mul_f64 v[8:9], v[6:7], v[4:5]
	v_fma_f64 v[2:3], -v[2:3], v[8:9], v[6:7]
	v_div_fmas_f64 v[2:3], v[2:3], v[4:5], v[8:9]
	v_div_fixup_f64 v[0:1], v[2:3], v[0:1], 1.0
	ds_write_b64 v12, v[0:1]
.LBB103_184:
	s_or_b64 exec, exec, s[2:3]
	s_waitcnt lgkmcnt(0)
	s_barrier
	ds_read_b64 v[0:1], v12
	v_cmp_lt_u32_e32 vcc, 36, v14
	s_waitcnt lgkmcnt(0)
	buffer_store_dword v0, off, s[16:19], 0 offset:176 ; 4-byte Folded Spill
	s_nop 0
	buffer_store_dword v1, off, s[16:19], 0 offset:180 ; 4-byte Folded Spill
	s_and_saveexec_b64 s[2:3], vcc
	s_cbranch_execz .LBB103_186
; %bb.185:
	buffer_load_dword v0, off, s[16:19], 0 offset:176 ; 4-byte Folded Reload
	buffer_load_dword v1, off, s[16:19], 0 offset:180 ; 4-byte Folded Reload
	s_waitcnt vmcnt(0)
	v_mul_f64 v[172:173], v[0:1], v[172:173]
	ds_read2_b64 v[0:3], v13 offset0:37 offset1:38
	s_waitcnt lgkmcnt(0)
	v_fma_f64 v[120:121], -v[172:173], v[0:1], v[120:121]
	v_fma_f64 v[170:171], -v[172:173], v[2:3], v[170:171]
	ds_read2_b64 v[0:3], v13 offset0:39 offset1:40
	s_waitcnt lgkmcnt(0)
	v_fma_f64 v[118:119], -v[172:173], v[0:1], v[118:119]
	v_fma_f64 v[168:169], -v[172:173], v[2:3], v[168:169]
	ds_read2_b64 v[0:3], v13 offset0:41 offset1:42
	s_waitcnt lgkmcnt(0)
	v_fma_f64 v[116:117], -v[172:173], v[0:1], v[116:117]
	v_fma_f64 v[166:167], -v[172:173], v[2:3], v[166:167]
	ds_read2_b64 v[0:3], v13 offset0:43 offset1:44
	s_waitcnt lgkmcnt(0)
	v_fma_f64 v[114:115], -v[172:173], v[0:1], v[114:115]
	v_fma_f64 v[164:165], -v[172:173], v[2:3], v[164:165]
	ds_read2_b64 v[0:3], v13 offset0:45 offset1:46
	s_waitcnt lgkmcnt(0)
	v_fma_f64 v[112:113], -v[172:173], v[0:1], v[112:113]
	v_fma_f64 v[162:163], -v[172:173], v[2:3], v[162:163]
	ds_read2_b64 v[0:3], v13 offset0:47 offset1:48
	s_waitcnt lgkmcnt(0)
	v_fma_f64 v[110:111], -v[172:173], v[0:1], v[110:111]
	v_fma_f64 v[160:161], -v[172:173], v[2:3], v[160:161]
	ds_read2_b64 v[0:3], v13 offset0:49 offset1:50
	s_waitcnt lgkmcnt(0)
	v_fma_f64 v[108:109], -v[172:173], v[0:1], v[108:109]
	ds_read_b64 v[0:1], v13 offset:408
	v_fma_f64 v[158:159], -v[172:173], v[2:3], v[158:159]
	s_waitcnt lgkmcnt(0)
	v_fma_f64 v[208:209], -v[172:173], v[0:1], v[208:209]
.LBB103_186:
	s_or_b64 exec, exec, s[2:3]
	v_cmp_eq_u32_e32 vcc, 37, v14
	s_waitcnt vmcnt(63) expcnt(7) lgkmcnt(15)
	s_barrier
	s_and_saveexec_b64 s[2:3], vcc
	s_cbranch_execz .LBB103_189
; %bb.187:
	s_waitcnt vmcnt(37)
	v_mov_b32_e32 v0, v170
	v_mov_b32_e32 v1, v171
	s_waitcnt vmcnt(36)
	v_mov_b32_e32 v2, v118
	v_mov_b32_e32 v3, v119
	ds_write_b64 v12, v[120:121]
	ds_write2_b64 v13, v[0:1], v[2:3] offset0:38 offset1:39
	s_waitcnt vmcnt(35)
	v_mov_b32_e32 v0, v168
	v_mov_b32_e32 v1, v169
	s_waitcnt vmcnt(34)
	v_mov_b32_e32 v2, v116
	v_mov_b32_e32 v3, v117
	ds_write2_b64 v13, v[0:1], v[2:3] offset0:40 offset1:41
	s_waitcnt vmcnt(33)
	v_mov_b32_e32 v0, v166
	v_mov_b32_e32 v1, v167
	s_waitcnt vmcnt(32)
	v_mov_b32_e32 v2, v114
	v_mov_b32_e32 v3, v115
	;; [unrolled: 7-line block ×5, first 2 shown]
	ds_write2_b64 v13, v[0:1], v[2:3] offset0:48 offset1:49
	s_waitcnt vmcnt(25)
	v_mov_b32_e32 v0, v158
	v_mov_b32_e32 v1, v159
	s_waitcnt vmcnt(24)
	ds_write2_b64 v13, v[0:1], v[208:209] offset0:50 offset1:51
	ds_read_b64 v[0:1], v12
	s_waitcnt lgkmcnt(0)
	v_cmp_neq_f64_e32 vcc, 0, v[0:1]
	s_and_b64 exec, exec, vcc
	s_cbranch_execz .LBB103_189
; %bb.188:
	v_div_scale_f64 v[2:3], s[6:7], v[0:1], v[0:1], 1.0
	v_rcp_f64_e32 v[4:5], v[2:3]
	v_div_scale_f64 v[6:7], vcc, 1.0, v[0:1], 1.0
	v_fma_f64 v[8:9], -v[2:3], v[4:5], 1.0
	v_fmac_f64_e32 v[4:5], v[4:5], v[8:9]
	v_fma_f64 v[8:9], -v[2:3], v[4:5], 1.0
	v_fmac_f64_e32 v[4:5], v[4:5], v[8:9]
	v_mul_f64 v[8:9], v[6:7], v[4:5]
	v_fma_f64 v[2:3], -v[2:3], v[8:9], v[6:7]
	v_div_fmas_f64 v[2:3], v[2:3], v[4:5], v[8:9]
	v_div_fixup_f64 v[0:1], v[2:3], v[0:1], 1.0
	ds_write_b64 v12, v[0:1]
.LBB103_189:
	s_or_b64 exec, exec, s[2:3]
	s_waitcnt lgkmcnt(0)
	s_barrier
	ds_read_b64 v[0:1], v12
	v_cmp_lt_u32_e32 vcc, 37, v14
	s_waitcnt lgkmcnt(0)
	buffer_store_dword v0, off, s[16:19], 0 offset:184 ; 4-byte Folded Spill
	s_nop 0
	buffer_store_dword v1, off, s[16:19], 0 offset:188 ; 4-byte Folded Spill
	s_and_saveexec_b64 s[2:3], vcc
	s_cbranch_execz .LBB103_191
; %bb.190:
	buffer_load_dword v0, off, s[16:19], 0 offset:184 ; 4-byte Folded Reload
	buffer_load_dword v1, off, s[16:19], 0 offset:188 ; 4-byte Folded Reload
	s_waitcnt vmcnt(0)
	v_mul_f64 v[120:121], v[0:1], v[120:121]
	ds_read2_b64 v[0:3], v13 offset0:38 offset1:39
	s_waitcnt lgkmcnt(0)
	v_fma_f64 v[170:171], -v[120:121], v[0:1], v[170:171]
	v_fma_f64 v[118:119], -v[120:121], v[2:3], v[118:119]
	ds_read2_b64 v[0:3], v13 offset0:40 offset1:41
	s_waitcnt lgkmcnt(0)
	v_fma_f64 v[168:169], -v[120:121], v[0:1], v[168:169]
	v_fma_f64 v[116:117], -v[120:121], v[2:3], v[116:117]
	;; [unrolled: 4-line block ×7, first 2 shown]
.LBB103_191:
	s_or_b64 exec, exec, s[2:3]
	v_cmp_eq_u32_e32 vcc, 38, v14
	s_waitcnt vmcnt(63) expcnt(7) lgkmcnt(15)
	s_barrier
	s_and_saveexec_b64 s[2:3], vcc
	s_cbranch_execz .LBB103_194
; %bb.192:
	s_waitcnt vmcnt(39)
	ds_write_b64 v12, v[170:171]
	s_waitcnt vmcnt(37)
	ds_write2_b64 v13, v[118:119], v[168:169] offset0:39 offset1:40
	s_waitcnt vmcnt(35)
	ds_write2_b64 v13, v[116:117], v[166:167] offset0:41 offset1:42
	s_waitcnt vmcnt(33)
	ds_write2_b64 v13, v[114:115], v[164:165] offset0:43 offset1:44
	s_waitcnt vmcnt(31)
	ds_write2_b64 v13, v[112:113], v[162:163] offset0:45 offset1:46
	s_waitcnt vmcnt(29)
	ds_write2_b64 v13, v[110:111], v[160:161] offset0:47 offset1:48
	s_waitcnt vmcnt(27)
	ds_write2_b64 v13, v[108:109], v[158:159] offset0:49 offset1:50
	s_waitcnt vmcnt(26)
	ds_write_b64 v13, v[208:209] offset:408
	ds_read_b64 v[0:1], v12
	s_waitcnt lgkmcnt(0)
	v_cmp_neq_f64_e32 vcc, 0, v[0:1]
	s_and_b64 exec, exec, vcc
	s_cbranch_execz .LBB103_194
; %bb.193:
	v_div_scale_f64 v[2:3], s[6:7], v[0:1], v[0:1], 1.0
	v_rcp_f64_e32 v[4:5], v[2:3]
	v_div_scale_f64 v[6:7], vcc, 1.0, v[0:1], 1.0
	v_fma_f64 v[8:9], -v[2:3], v[4:5], 1.0
	v_fmac_f64_e32 v[4:5], v[4:5], v[8:9]
	v_fma_f64 v[8:9], -v[2:3], v[4:5], 1.0
	v_fmac_f64_e32 v[4:5], v[4:5], v[8:9]
	v_mul_f64 v[8:9], v[6:7], v[4:5]
	v_fma_f64 v[2:3], -v[2:3], v[8:9], v[6:7]
	v_div_fmas_f64 v[2:3], v[2:3], v[4:5], v[8:9]
	v_div_fixup_f64 v[0:1], v[2:3], v[0:1], 1.0
	ds_write_b64 v12, v[0:1]
.LBB103_194:
	s_or_b64 exec, exec, s[2:3]
	s_waitcnt lgkmcnt(0)
	s_barrier
	ds_read_b64 v[0:1], v12
	v_cmp_lt_u32_e32 vcc, 38, v14
	s_waitcnt lgkmcnt(0)
	buffer_store_dword v0, off, s[16:19], 0 offset:192 ; 4-byte Folded Spill
	s_nop 0
	buffer_store_dword v1, off, s[16:19], 0 offset:196 ; 4-byte Folded Spill
	s_and_saveexec_b64 s[2:3], vcc
	s_cbranch_execz .LBB103_196
; %bb.195:
	buffer_load_dword v0, off, s[16:19], 0 offset:192 ; 4-byte Folded Reload
	buffer_load_dword v1, off, s[16:19], 0 offset:196 ; 4-byte Folded Reload
	s_waitcnt vmcnt(0)
	v_mul_f64 v[170:171], v[0:1], v[170:171]
	ds_read2_b64 v[0:3], v13 offset0:39 offset1:40
	s_waitcnt lgkmcnt(0)
	v_fma_f64 v[118:119], -v[170:171], v[0:1], v[118:119]
	v_fma_f64 v[168:169], -v[170:171], v[2:3], v[168:169]
	ds_read2_b64 v[0:3], v13 offset0:41 offset1:42
	s_waitcnt lgkmcnt(0)
	v_fma_f64 v[116:117], -v[170:171], v[0:1], v[116:117]
	v_fma_f64 v[166:167], -v[170:171], v[2:3], v[166:167]
	;; [unrolled: 4-line block ×5, first 2 shown]
	ds_read2_b64 v[0:3], v13 offset0:49 offset1:50
	s_waitcnt lgkmcnt(0)
	v_fma_f64 v[108:109], -v[170:171], v[0:1], v[108:109]
	ds_read_b64 v[0:1], v13 offset:408
	v_fma_f64 v[158:159], -v[170:171], v[2:3], v[158:159]
	s_waitcnt lgkmcnt(0)
	v_fma_f64 v[208:209], -v[170:171], v[0:1], v[208:209]
.LBB103_196:
	s_or_b64 exec, exec, s[2:3]
	v_cmp_eq_u32_e32 vcc, 39, v14
	s_waitcnt vmcnt(63) expcnt(7) lgkmcnt(15)
	s_barrier
	s_and_saveexec_b64 s[2:3], vcc
	s_cbranch_execz .LBB103_199
; %bb.197:
	s_waitcnt vmcnt(39)
	v_mov_b32_e32 v0, v168
	v_mov_b32_e32 v1, v169
	s_waitcnt vmcnt(38)
	v_mov_b32_e32 v2, v116
	v_mov_b32_e32 v3, v117
	ds_write_b64 v12, v[118:119]
	ds_write2_b64 v13, v[0:1], v[2:3] offset0:40 offset1:41
	s_waitcnt vmcnt(37)
	v_mov_b32_e32 v0, v166
	v_mov_b32_e32 v1, v167
	s_waitcnt vmcnt(36)
	v_mov_b32_e32 v2, v114
	v_mov_b32_e32 v3, v115
	ds_write2_b64 v13, v[0:1], v[2:3] offset0:42 offset1:43
	s_waitcnt vmcnt(35)
	v_mov_b32_e32 v0, v164
	v_mov_b32_e32 v1, v165
	s_waitcnt vmcnt(34)
	v_mov_b32_e32 v2, v112
	v_mov_b32_e32 v3, v113
	;; [unrolled: 7-line block ×4, first 2 shown]
	ds_write2_b64 v13, v[0:1], v[2:3] offset0:48 offset1:49
	s_waitcnt vmcnt(29)
	v_mov_b32_e32 v0, v158
	v_mov_b32_e32 v1, v159
	s_waitcnt vmcnt(28)
	ds_write2_b64 v13, v[0:1], v[208:209] offset0:50 offset1:51
	ds_read_b64 v[0:1], v12
	s_waitcnt lgkmcnt(0)
	v_cmp_neq_f64_e32 vcc, 0, v[0:1]
	s_and_b64 exec, exec, vcc
	s_cbranch_execz .LBB103_199
; %bb.198:
	v_div_scale_f64 v[2:3], s[6:7], v[0:1], v[0:1], 1.0
	v_rcp_f64_e32 v[4:5], v[2:3]
	v_div_scale_f64 v[6:7], vcc, 1.0, v[0:1], 1.0
	v_fma_f64 v[8:9], -v[2:3], v[4:5], 1.0
	v_fmac_f64_e32 v[4:5], v[4:5], v[8:9]
	v_fma_f64 v[8:9], -v[2:3], v[4:5], 1.0
	v_fmac_f64_e32 v[4:5], v[4:5], v[8:9]
	v_mul_f64 v[8:9], v[6:7], v[4:5]
	v_fma_f64 v[2:3], -v[2:3], v[8:9], v[6:7]
	v_div_fmas_f64 v[2:3], v[2:3], v[4:5], v[8:9]
	v_div_fixup_f64 v[0:1], v[2:3], v[0:1], 1.0
	ds_write_b64 v12, v[0:1]
.LBB103_199:
	s_or_b64 exec, exec, s[2:3]
	s_waitcnt lgkmcnt(0)
	s_barrier
	ds_read_b64 v[0:1], v12
	v_cmp_lt_u32_e32 vcc, 39, v14
	s_waitcnt lgkmcnt(0)
	buffer_store_dword v0, off, s[16:19], 0 offset:200 ; 4-byte Folded Spill
	s_nop 0
	buffer_store_dword v1, off, s[16:19], 0 offset:204 ; 4-byte Folded Spill
	s_and_saveexec_b64 s[2:3], vcc
	s_cbranch_execz .LBB103_201
; %bb.200:
	buffer_load_dword v0, off, s[16:19], 0 offset:200 ; 4-byte Folded Reload
	buffer_load_dword v1, off, s[16:19], 0 offset:204 ; 4-byte Folded Reload
	s_waitcnt vmcnt(0)
	v_mul_f64 v[118:119], v[0:1], v[118:119]
	ds_read2_b64 v[0:3], v13 offset0:40 offset1:41
	s_waitcnt lgkmcnt(0)
	v_fma_f64 v[168:169], -v[118:119], v[0:1], v[168:169]
	v_fma_f64 v[116:117], -v[118:119], v[2:3], v[116:117]
	ds_read2_b64 v[0:3], v13 offset0:42 offset1:43
	s_waitcnt lgkmcnt(0)
	v_fma_f64 v[166:167], -v[118:119], v[0:1], v[166:167]
	v_fma_f64 v[114:115], -v[118:119], v[2:3], v[114:115]
	;; [unrolled: 4-line block ×6, first 2 shown]
.LBB103_201:
	s_or_b64 exec, exec, s[2:3]
	v_cmp_eq_u32_e32 vcc, 40, v14
	s_waitcnt vmcnt(63) expcnt(7) lgkmcnt(15)
	s_barrier
	s_and_saveexec_b64 s[2:3], vcc
	s_cbranch_execz .LBB103_204
; %bb.202:
	s_waitcnt vmcnt(41)
	ds_write_b64 v12, v[168:169]
	s_waitcnt vmcnt(39)
	ds_write2_b64 v13, v[116:117], v[166:167] offset0:41 offset1:42
	s_waitcnt vmcnt(37)
	ds_write2_b64 v13, v[114:115], v[164:165] offset0:43 offset1:44
	;; [unrolled: 2-line block ×5, first 2 shown]
	s_waitcnt vmcnt(30)
	ds_write_b64 v13, v[208:209] offset:408
	ds_read_b64 v[0:1], v12
	s_waitcnt lgkmcnt(0)
	v_cmp_neq_f64_e32 vcc, 0, v[0:1]
	s_and_b64 exec, exec, vcc
	s_cbranch_execz .LBB103_204
; %bb.203:
	v_div_scale_f64 v[2:3], s[6:7], v[0:1], v[0:1], 1.0
	v_rcp_f64_e32 v[4:5], v[2:3]
	v_div_scale_f64 v[6:7], vcc, 1.0, v[0:1], 1.0
	v_fma_f64 v[8:9], -v[2:3], v[4:5], 1.0
	v_fmac_f64_e32 v[4:5], v[4:5], v[8:9]
	v_fma_f64 v[8:9], -v[2:3], v[4:5], 1.0
	v_fmac_f64_e32 v[4:5], v[4:5], v[8:9]
	v_mul_f64 v[8:9], v[6:7], v[4:5]
	v_fma_f64 v[2:3], -v[2:3], v[8:9], v[6:7]
	v_div_fmas_f64 v[2:3], v[2:3], v[4:5], v[8:9]
	v_div_fixup_f64 v[0:1], v[2:3], v[0:1], 1.0
	ds_write_b64 v12, v[0:1]
.LBB103_204:
	s_or_b64 exec, exec, s[2:3]
	s_waitcnt lgkmcnt(0)
	s_barrier
	ds_read_b64 v[2:3], v12
	v_cmp_lt_u32_e32 vcc, 40, v14
	s_and_saveexec_b64 s[2:3], vcc
	s_cbranch_execz .LBB103_206
; %bb.205:
	ds_read2_b64 v[4:7], v13 offset0:41 offset1:42
	ds_read_b64 v[0:1], v13 offset:408
	s_waitcnt vmcnt(41) lgkmcnt(2)
	v_mul_f64 v[168:169], v[2:3], v[168:169]
	s_waitcnt vmcnt(40) lgkmcnt(1)
	v_fma_f64 v[116:117], -v[168:169], v[4:5], v[116:117]
	s_waitcnt vmcnt(39)
	v_fma_f64 v[166:167], -v[168:169], v[6:7], v[166:167]
	ds_read2_b64 v[4:7], v13 offset0:43 offset1:44
	s_waitcnt vmcnt(30) lgkmcnt(1)
	v_fma_f64 v[208:209], -v[168:169], v[0:1], v[208:209]
	s_waitcnt lgkmcnt(0)
	v_fma_f64 v[114:115], -v[168:169], v[4:5], v[114:115]
	v_fma_f64 v[164:165], -v[168:169], v[6:7], v[164:165]
	ds_read2_b64 v[4:7], v13 offset0:45 offset1:46
	s_waitcnt lgkmcnt(0)
	v_fma_f64 v[112:113], -v[168:169], v[4:5], v[112:113]
	v_fma_f64 v[162:163], -v[168:169], v[6:7], v[162:163]
	ds_read2_b64 v[4:7], v13 offset0:47 offset1:48
	;; [unrolled: 4-line block ×3, first 2 shown]
	s_waitcnt lgkmcnt(0)
	v_fma_f64 v[108:109], -v[168:169], v[4:5], v[108:109]
	v_fma_f64 v[158:159], -v[168:169], v[6:7], v[158:159]
.LBB103_206:
	s_or_b64 exec, exec, s[2:3]
	v_cmp_eq_u32_e32 vcc, 41, v14
	s_waitcnt lgkmcnt(0)
	s_barrier
	s_and_saveexec_b64 s[2:3], vcc
	s_cbranch_execz .LBB103_209
; %bb.207:
	s_waitcnt vmcnt(39)
	v_mov_b32_e32 v0, v166
	v_mov_b32_e32 v1, v167
	s_waitcnt vmcnt(38)
	v_mov_b32_e32 v4, v114
	v_mov_b32_e32 v5, v115
	ds_write_b64 v12, v[116:117]
	ds_write2_b64 v13, v[0:1], v[4:5] offset0:42 offset1:43
	s_waitcnt vmcnt(37)
	v_mov_b32_e32 v0, v164
	v_mov_b32_e32 v1, v165
	s_waitcnt vmcnt(36)
	v_mov_b32_e32 v4, v112
	v_mov_b32_e32 v5, v113
	ds_write2_b64 v13, v[0:1], v[4:5] offset0:44 offset1:45
	s_waitcnt vmcnt(35)
	v_mov_b32_e32 v0, v162
	v_mov_b32_e32 v1, v163
	s_waitcnt vmcnt(34)
	v_mov_b32_e32 v4, v110
	v_mov_b32_e32 v5, v111
	;; [unrolled: 7-line block ×3, first 2 shown]
	ds_write2_b64 v13, v[0:1], v[4:5] offset0:48 offset1:49
	s_waitcnt vmcnt(31)
	v_mov_b32_e32 v0, v158
	v_mov_b32_e32 v1, v159
	s_waitcnt vmcnt(30)
	ds_write2_b64 v13, v[0:1], v[208:209] offset0:50 offset1:51
	ds_read_b64 v[0:1], v12
	s_waitcnt lgkmcnt(0)
	v_cmp_neq_f64_e32 vcc, 0, v[0:1]
	s_and_b64 exec, exec, vcc
	s_cbranch_execz .LBB103_209
; %bb.208:
	v_div_scale_f64 v[4:5], s[6:7], v[0:1], v[0:1], 1.0
	v_rcp_f64_e32 v[6:7], v[4:5]
	v_div_scale_f64 v[8:9], vcc, 1.0, v[0:1], 1.0
	v_fma_f64 v[10:11], -v[4:5], v[6:7], 1.0
	v_fmac_f64_e32 v[6:7], v[6:7], v[10:11]
	v_fma_f64 v[10:11], -v[4:5], v[6:7], 1.0
	v_fmac_f64_e32 v[6:7], v[6:7], v[10:11]
	v_mul_f64 v[10:11], v[8:9], v[6:7]
	v_fma_f64 v[4:5], -v[4:5], v[10:11], v[8:9]
	v_div_fmas_f64 v[4:5], v[4:5], v[6:7], v[10:11]
	v_div_fixup_f64 v[0:1], v[4:5], v[0:1], 1.0
	ds_write_b64 v12, v[0:1]
.LBB103_209:
	s_or_b64 exec, exec, s[2:3]
	s_waitcnt lgkmcnt(0)
	s_barrier
	ds_read_b64 v[0:1], v12
	v_cmp_lt_u32_e32 vcc, 41, v14
	s_and_saveexec_b64 s[2:3], vcc
	s_cbranch_execz .LBB103_211
; %bb.210:
	ds_read2_b64 v[4:7], v13 offset0:42 offset1:43
	s_waitcnt vmcnt(40) lgkmcnt(1)
	v_mul_f64 v[116:117], v[0:1], v[116:117]
	s_waitcnt vmcnt(39) lgkmcnt(0)
	v_fma_f64 v[166:167], -v[116:117], v[4:5], v[166:167]
	s_waitcnt vmcnt(38)
	v_fma_f64 v[114:115], -v[116:117], v[6:7], v[114:115]
	ds_read2_b64 v[4:7], v13 offset0:44 offset1:45
	s_waitcnt vmcnt(37) lgkmcnt(0)
	v_fma_f64 v[164:165], -v[116:117], v[4:5], v[164:165]
	s_waitcnt vmcnt(36)
	v_fma_f64 v[112:113], -v[116:117], v[6:7], v[112:113]
	ds_read2_b64 v[4:7], v13 offset0:46 offset1:47
	;; [unrolled: 5-line block ×4, first 2 shown]
	s_waitcnt vmcnt(31) lgkmcnt(0)
	v_fma_f64 v[158:159], -v[116:117], v[4:5], v[158:159]
	s_waitcnt vmcnt(30)
	v_fma_f64 v[208:209], -v[116:117], v[6:7], v[208:209]
.LBB103_211:
	s_or_b64 exec, exec, s[2:3]
	v_cmp_eq_u32_e32 vcc, 42, v14
	s_waitcnt lgkmcnt(0)
	buffer_store_dword v0, off, s[16:19], 0 offset:240 ; 4-byte Folded Spill
	s_nop 0
	buffer_store_dword v1, off, s[16:19], 0 offset:244 ; 4-byte Folded Spill
	s_waitcnt vmcnt(63) expcnt(7) lgkmcnt(15)
	s_barrier
	s_and_saveexec_b64 s[2:3], vcc
	s_cbranch_execz .LBB103_214
; %bb.212:
	s_waitcnt vmcnt(41)
	ds_write_b64 v12, v[166:167]
	s_waitcnt vmcnt(39)
	ds_write2_b64 v13, v[114:115], v[164:165] offset0:43 offset1:44
	s_waitcnt vmcnt(37)
	ds_write2_b64 v13, v[112:113], v[162:163] offset0:45 offset1:46
	;; [unrolled: 2-line block ×4, first 2 shown]
	s_waitcnt vmcnt(32)
	ds_write_b64 v13, v[208:209] offset:408
	ds_read_b64 v[0:1], v12
	s_waitcnt lgkmcnt(0)
	v_cmp_neq_f64_e32 vcc, 0, v[0:1]
	s_and_b64 exec, exec, vcc
	s_cbranch_execz .LBB103_214
; %bb.213:
	v_div_scale_f64 v[4:5], s[6:7], v[0:1], v[0:1], 1.0
	v_rcp_f64_e32 v[6:7], v[4:5]
	v_div_scale_f64 v[8:9], vcc, 1.0, v[0:1], 1.0
	v_fma_f64 v[10:11], -v[4:5], v[6:7], 1.0
	v_fmac_f64_e32 v[6:7], v[6:7], v[10:11]
	v_fma_f64 v[10:11], -v[4:5], v[6:7], 1.0
	v_fmac_f64_e32 v[6:7], v[6:7], v[10:11]
	v_mul_f64 v[10:11], v[8:9], v[6:7]
	v_fma_f64 v[4:5], -v[4:5], v[10:11], v[8:9]
	v_div_fmas_f64 v[4:5], v[4:5], v[6:7], v[10:11]
	v_div_fixup_f64 v[0:1], v[4:5], v[0:1], 1.0
	ds_write_b64 v12, v[0:1]
.LBB103_214:
	s_or_b64 exec, exec, s[2:3]
	s_waitcnt lgkmcnt(0)
	s_barrier
	ds_read_b64 v[0:1], v12
	v_cmp_lt_u32_e32 vcc, 42, v14
	s_waitcnt lgkmcnt(0)
	buffer_store_dword v0, off, s[16:19], 0 offset:208 ; 4-byte Folded Spill
	s_nop 0
	buffer_store_dword v1, off, s[16:19], 0 offset:212 ; 4-byte Folded Spill
	s_and_saveexec_b64 s[2:3], vcc
	s_cbranch_execz .LBB103_216
; %bb.215:
	buffer_load_dword v0, off, s[16:19], 0 offset:208 ; 4-byte Folded Reload
	buffer_load_dword v1, off, s[16:19], 0 offset:212 ; 4-byte Folded Reload
	ds_read2_b64 v[4:7], v13 offset0:43 offset1:44
	s_waitcnt vmcnt(0)
	v_mul_f64 v[166:167], v[0:1], v[166:167]
	ds_read_b64 v[0:1], v13 offset:408
	s_waitcnt lgkmcnt(1)
	v_fma_f64 v[114:115], -v[166:167], v[4:5], v[114:115]
	v_fma_f64 v[164:165], -v[166:167], v[6:7], v[164:165]
	ds_read2_b64 v[4:7], v13 offset0:45 offset1:46
	s_waitcnt lgkmcnt(1)
	v_fma_f64 v[208:209], -v[166:167], v[0:1], v[208:209]
	s_waitcnt lgkmcnt(0)
	v_fma_f64 v[112:113], -v[166:167], v[4:5], v[112:113]
	v_fma_f64 v[162:163], -v[166:167], v[6:7], v[162:163]
	ds_read2_b64 v[4:7], v13 offset0:47 offset1:48
	s_waitcnt lgkmcnt(0)
	v_fma_f64 v[110:111], -v[166:167], v[4:5], v[110:111]
	v_fma_f64 v[160:161], -v[166:167], v[6:7], v[160:161]
	ds_read2_b64 v[4:7], v13 offset0:49 offset1:50
	s_waitcnt lgkmcnt(0)
	v_fma_f64 v[108:109], -v[166:167], v[4:5], v[108:109]
	v_fma_f64 v[158:159], -v[166:167], v[6:7], v[158:159]
.LBB103_216:
	s_or_b64 exec, exec, s[2:3]
	v_cmp_eq_u32_e32 vcc, 43, v14
	s_waitcnt vmcnt(63) expcnt(7) lgkmcnt(15)
	s_barrier
	s_and_saveexec_b64 s[2:3], vcc
	s_cbranch_execz .LBB103_219
; %bb.217:
	s_waitcnt vmcnt(41)
	v_mov_b32_e32 v0, v164
	v_mov_b32_e32 v1, v165
	s_waitcnt vmcnt(40)
	v_mov_b32_e32 v4, v112
	v_mov_b32_e32 v5, v113
	ds_write_b64 v12, v[114:115]
	ds_write2_b64 v13, v[0:1], v[4:5] offset0:44 offset1:45
	s_waitcnt vmcnt(39)
	v_mov_b32_e32 v0, v162
	v_mov_b32_e32 v1, v163
	s_waitcnt vmcnt(38)
	v_mov_b32_e32 v4, v110
	v_mov_b32_e32 v5, v111
	ds_write2_b64 v13, v[0:1], v[4:5] offset0:46 offset1:47
	s_waitcnt vmcnt(37)
	v_mov_b32_e32 v0, v160
	v_mov_b32_e32 v1, v161
	s_waitcnt vmcnt(36)
	v_mov_b32_e32 v4, v108
	v_mov_b32_e32 v5, v109
	ds_write2_b64 v13, v[0:1], v[4:5] offset0:48 offset1:49
	s_waitcnt vmcnt(35)
	v_mov_b32_e32 v0, v158
	v_mov_b32_e32 v1, v159
	s_waitcnt vmcnt(34)
	ds_write2_b64 v13, v[0:1], v[208:209] offset0:50 offset1:51
	ds_read_b64 v[0:1], v12
	s_waitcnt lgkmcnt(0)
	v_cmp_neq_f64_e32 vcc, 0, v[0:1]
	s_and_b64 exec, exec, vcc
	s_cbranch_execz .LBB103_219
; %bb.218:
	v_div_scale_f64 v[4:5], s[6:7], v[0:1], v[0:1], 1.0
	v_rcp_f64_e32 v[6:7], v[4:5]
	v_div_scale_f64 v[8:9], vcc, 1.0, v[0:1], 1.0
	v_fma_f64 v[10:11], -v[4:5], v[6:7], 1.0
	v_fmac_f64_e32 v[6:7], v[6:7], v[10:11]
	v_fma_f64 v[10:11], -v[4:5], v[6:7], 1.0
	v_fmac_f64_e32 v[6:7], v[6:7], v[10:11]
	v_mul_f64 v[10:11], v[8:9], v[6:7]
	v_fma_f64 v[4:5], -v[4:5], v[10:11], v[8:9]
	v_div_fmas_f64 v[4:5], v[4:5], v[6:7], v[10:11]
	v_div_fixup_f64 v[0:1], v[4:5], v[0:1], 1.0
	ds_write_b64 v12, v[0:1]
.LBB103_219:
	s_or_b64 exec, exec, s[2:3]
	s_waitcnt lgkmcnt(0)
	s_barrier
	ds_read_b64 v[0:1], v12
	v_cmp_lt_u32_e32 vcc, 43, v14
	s_and_saveexec_b64 s[2:3], vcc
	s_cbranch_execz .LBB103_221
; %bb.220:
	ds_read2_b64 v[4:7], v13 offset0:44 offset1:45
	s_waitcnt vmcnt(42) lgkmcnt(1)
	v_mul_f64 v[114:115], v[0:1], v[114:115]
	s_waitcnt vmcnt(41) lgkmcnt(0)
	v_fma_f64 v[164:165], -v[114:115], v[4:5], v[164:165]
	s_waitcnt vmcnt(40)
	v_fma_f64 v[112:113], -v[114:115], v[6:7], v[112:113]
	ds_read2_b64 v[4:7], v13 offset0:46 offset1:47
	s_waitcnt vmcnt(39) lgkmcnt(0)
	v_fma_f64 v[162:163], -v[114:115], v[4:5], v[162:163]
	s_waitcnt vmcnt(38)
	v_fma_f64 v[110:111], -v[114:115], v[6:7], v[110:111]
	ds_read2_b64 v[4:7], v13 offset0:48 offset1:49
	;; [unrolled: 5-line block ×3, first 2 shown]
	s_waitcnt vmcnt(35) lgkmcnt(0)
	v_fma_f64 v[158:159], -v[114:115], v[4:5], v[158:159]
	s_waitcnt vmcnt(34)
	v_fma_f64 v[208:209], -v[114:115], v[6:7], v[208:209]
.LBB103_221:
	s_or_b64 exec, exec, s[2:3]
	v_cmp_eq_u32_e32 vcc, 44, v14
	s_waitcnt lgkmcnt(0)
	buffer_store_dword v0, off, s[16:19], 0 offset:248 ; 4-byte Folded Spill
	s_nop 0
	buffer_store_dword v1, off, s[16:19], 0 offset:252 ; 4-byte Folded Spill
	s_waitcnt vmcnt(63) expcnt(7) lgkmcnt(15)
	s_barrier
	s_and_saveexec_b64 s[2:3], vcc
	s_cbranch_execz .LBB103_224
; %bb.222:
	s_waitcnt vmcnt(43)
	ds_write_b64 v12, v[164:165]
	s_waitcnt vmcnt(41)
	ds_write2_b64 v13, v[112:113], v[162:163] offset0:45 offset1:46
	s_waitcnt vmcnt(39)
	ds_write2_b64 v13, v[110:111], v[160:161] offset0:47 offset1:48
	;; [unrolled: 2-line block ×3, first 2 shown]
	s_waitcnt vmcnt(36)
	ds_write_b64 v13, v[208:209] offset:408
	ds_read_b64 v[0:1], v12
	s_waitcnt lgkmcnt(0)
	v_cmp_neq_f64_e32 vcc, 0, v[0:1]
	s_and_b64 exec, exec, vcc
	s_cbranch_execz .LBB103_224
; %bb.223:
	v_div_scale_f64 v[4:5], s[6:7], v[0:1], v[0:1], 1.0
	v_rcp_f64_e32 v[6:7], v[4:5]
	v_div_scale_f64 v[8:9], vcc, 1.0, v[0:1], 1.0
	v_fma_f64 v[10:11], -v[4:5], v[6:7], 1.0
	v_fmac_f64_e32 v[6:7], v[6:7], v[10:11]
	v_fma_f64 v[10:11], -v[4:5], v[6:7], 1.0
	v_fmac_f64_e32 v[6:7], v[6:7], v[10:11]
	v_mul_f64 v[10:11], v[8:9], v[6:7]
	v_fma_f64 v[4:5], -v[4:5], v[10:11], v[8:9]
	v_div_fmas_f64 v[4:5], v[4:5], v[6:7], v[10:11]
	v_div_fixup_f64 v[0:1], v[4:5], v[0:1], 1.0
	ds_write_b64 v12, v[0:1]
.LBB103_224:
	s_or_b64 exec, exec, s[2:3]
	s_waitcnt lgkmcnt(0)
	s_barrier
	ds_read_b64 v[0:1], v12
	v_cmp_lt_u32_e32 vcc, 44, v14
	s_waitcnt lgkmcnt(0)
	buffer_store_dword v0, off, s[16:19], 0 offset:216 ; 4-byte Folded Spill
	s_nop 0
	buffer_store_dword v1, off, s[16:19], 0 offset:220 ; 4-byte Folded Spill
	s_and_saveexec_b64 s[2:3], vcc
	s_cbranch_execz .LBB103_226
; %bb.225:
	buffer_load_dword v0, off, s[16:19], 0 offset:216 ; 4-byte Folded Reload
	buffer_load_dword v1, off, s[16:19], 0 offset:220 ; 4-byte Folded Reload
	ds_read2_b64 v[4:7], v13 offset0:45 offset1:46
	s_waitcnt vmcnt(0)
	v_mul_f64 v[164:165], v[0:1], v[164:165]
	ds_read_b64 v[0:1], v13 offset:408
	s_waitcnt lgkmcnt(1)
	v_fma_f64 v[112:113], -v[164:165], v[4:5], v[112:113]
	v_fma_f64 v[162:163], -v[164:165], v[6:7], v[162:163]
	ds_read2_b64 v[4:7], v13 offset0:47 offset1:48
	s_waitcnt lgkmcnt(1)
	v_fma_f64 v[208:209], -v[164:165], v[0:1], v[208:209]
	s_waitcnt lgkmcnt(0)
	v_fma_f64 v[110:111], -v[164:165], v[4:5], v[110:111]
	v_fma_f64 v[160:161], -v[164:165], v[6:7], v[160:161]
	ds_read2_b64 v[4:7], v13 offset0:49 offset1:50
	s_waitcnt lgkmcnt(0)
	v_fma_f64 v[108:109], -v[164:165], v[4:5], v[108:109]
	v_fma_f64 v[158:159], -v[164:165], v[6:7], v[158:159]
.LBB103_226:
	s_or_b64 exec, exec, s[2:3]
	v_cmp_eq_u32_e32 vcc, 45, v14
	s_waitcnt vmcnt(63) expcnt(7) lgkmcnt(15)
	s_barrier
	s_and_saveexec_b64 s[2:3], vcc
	s_cbranch_execz .LBB103_229
; %bb.227:
	s_waitcnt vmcnt(43)
	v_mov_b32_e32 v0, v162
	v_mov_b32_e32 v1, v163
	s_waitcnt vmcnt(42)
	v_mov_b32_e32 v4, v110
	v_mov_b32_e32 v5, v111
	ds_write_b64 v12, v[112:113]
	ds_write2_b64 v13, v[0:1], v[4:5] offset0:46 offset1:47
	s_waitcnt vmcnt(41)
	v_mov_b32_e32 v0, v160
	v_mov_b32_e32 v1, v161
	s_waitcnt vmcnt(40)
	v_mov_b32_e32 v4, v108
	v_mov_b32_e32 v5, v109
	ds_write2_b64 v13, v[0:1], v[4:5] offset0:48 offset1:49
	s_waitcnt vmcnt(39)
	v_mov_b32_e32 v0, v158
	v_mov_b32_e32 v1, v159
	s_waitcnt vmcnt(38)
	ds_write2_b64 v13, v[0:1], v[208:209] offset0:50 offset1:51
	ds_read_b64 v[0:1], v12
	s_waitcnt lgkmcnt(0)
	v_cmp_neq_f64_e32 vcc, 0, v[0:1]
	s_and_b64 exec, exec, vcc
	s_cbranch_execz .LBB103_229
; %bb.228:
	v_div_scale_f64 v[4:5], s[6:7], v[0:1], v[0:1], 1.0
	v_rcp_f64_e32 v[6:7], v[4:5]
	v_div_scale_f64 v[8:9], vcc, 1.0, v[0:1], 1.0
	v_fma_f64 v[10:11], -v[4:5], v[6:7], 1.0
	v_fmac_f64_e32 v[6:7], v[6:7], v[10:11]
	v_fma_f64 v[10:11], -v[4:5], v[6:7], 1.0
	v_fmac_f64_e32 v[6:7], v[6:7], v[10:11]
	v_mul_f64 v[10:11], v[8:9], v[6:7]
	v_fma_f64 v[4:5], -v[4:5], v[10:11], v[8:9]
	v_div_fmas_f64 v[4:5], v[4:5], v[6:7], v[10:11]
	v_div_fixup_f64 v[0:1], v[4:5], v[0:1], 1.0
	ds_write_b64 v12, v[0:1]
.LBB103_229:
	s_or_b64 exec, exec, s[2:3]
	s_waitcnt lgkmcnt(0)
	s_barrier
	ds_read_b64 v[0:1], v12
	v_cmp_lt_u32_e32 vcc, 45, v14
	s_and_saveexec_b64 s[2:3], vcc
	s_cbranch_execz .LBB103_231
; %bb.230:
	ds_read2_b64 v[4:7], v13 offset0:46 offset1:47
	s_waitcnt vmcnt(44) lgkmcnt(1)
	v_mul_f64 v[112:113], v[0:1], v[112:113]
	s_waitcnt vmcnt(43) lgkmcnt(0)
	v_fma_f64 v[162:163], -v[112:113], v[4:5], v[162:163]
	s_waitcnt vmcnt(42)
	v_fma_f64 v[110:111], -v[112:113], v[6:7], v[110:111]
	ds_read2_b64 v[4:7], v13 offset0:48 offset1:49
	s_waitcnt vmcnt(41) lgkmcnt(0)
	v_fma_f64 v[160:161], -v[112:113], v[4:5], v[160:161]
	s_waitcnt vmcnt(40)
	v_fma_f64 v[108:109], -v[112:113], v[6:7], v[108:109]
	ds_read2_b64 v[4:7], v13 offset0:50 offset1:51
	s_waitcnt vmcnt(39) lgkmcnt(0)
	v_fma_f64 v[158:159], -v[112:113], v[4:5], v[158:159]
	s_waitcnt vmcnt(38)
	v_fma_f64 v[208:209], -v[112:113], v[6:7], v[208:209]
.LBB103_231:
	s_or_b64 exec, exec, s[2:3]
	v_cmp_eq_u32_e32 vcc, 46, v14
	s_waitcnt lgkmcnt(0)
	buffer_store_dword v0, off, s[16:19], 0 offset:256 ; 4-byte Folded Spill
	s_nop 0
	buffer_store_dword v1, off, s[16:19], 0 offset:260 ; 4-byte Folded Spill
	s_waitcnt vmcnt(63) expcnt(7) lgkmcnt(15)
	s_barrier
	s_and_saveexec_b64 s[2:3], vcc
	s_cbranch_execz .LBB103_234
; %bb.232:
	s_waitcnt vmcnt(45)
	ds_write_b64 v12, v[162:163]
	s_waitcnt vmcnt(43)
	ds_write2_b64 v13, v[110:111], v[160:161] offset0:47 offset1:48
	s_waitcnt vmcnt(41)
	ds_write2_b64 v13, v[108:109], v[158:159] offset0:49 offset1:50
	s_waitcnt vmcnt(40)
	ds_write_b64 v13, v[208:209] offset:408
	ds_read_b64 v[0:1], v12
	s_waitcnt lgkmcnt(0)
	v_cmp_neq_f64_e32 vcc, 0, v[0:1]
	s_and_b64 exec, exec, vcc
	s_cbranch_execz .LBB103_234
; %bb.233:
	v_div_scale_f64 v[4:5], s[6:7], v[0:1], v[0:1], 1.0
	v_rcp_f64_e32 v[6:7], v[4:5]
	v_div_scale_f64 v[8:9], vcc, 1.0, v[0:1], 1.0
	v_fma_f64 v[10:11], -v[4:5], v[6:7], 1.0
	v_fmac_f64_e32 v[6:7], v[6:7], v[10:11]
	v_fma_f64 v[10:11], -v[4:5], v[6:7], 1.0
	v_fmac_f64_e32 v[6:7], v[6:7], v[10:11]
	v_mul_f64 v[10:11], v[8:9], v[6:7]
	v_fma_f64 v[4:5], -v[4:5], v[10:11], v[8:9]
	v_div_fmas_f64 v[4:5], v[4:5], v[6:7], v[10:11]
	v_div_fixup_f64 v[0:1], v[4:5], v[0:1], 1.0
	ds_write_b64 v12, v[0:1]
.LBB103_234:
	s_or_b64 exec, exec, s[2:3]
	s_waitcnt lgkmcnt(0)
	s_barrier
	ds_read_b64 v[0:1], v12
	v_cmp_lt_u32_e32 vcc, 46, v14
	s_waitcnt lgkmcnt(0)
	buffer_store_dword v0, off, s[16:19], 0 offset:224 ; 4-byte Folded Spill
	s_nop 0
	buffer_store_dword v1, off, s[16:19], 0 offset:228 ; 4-byte Folded Spill
	s_and_saveexec_b64 s[2:3], vcc
	s_cbranch_execz .LBB103_236
; %bb.235:
	buffer_load_dword v0, off, s[16:19], 0 offset:224 ; 4-byte Folded Reload
	buffer_load_dword v1, off, s[16:19], 0 offset:228 ; 4-byte Folded Reload
	ds_read2_b64 v[4:7], v13 offset0:47 offset1:48
	s_waitcnt vmcnt(0)
	v_mul_f64 v[162:163], v[0:1], v[162:163]
	s_waitcnt lgkmcnt(0)
	v_fma_f64 v[110:111], -v[162:163], v[4:5], v[110:111]
	v_fma_f64 v[160:161], -v[162:163], v[6:7], v[160:161]
	ds_read2_b64 v[4:7], v13 offset0:49 offset1:50
	s_waitcnt lgkmcnt(0)
	v_fma_f64 v[108:109], -v[162:163], v[4:5], v[108:109]
	ds_read_b64 v[4:5], v13 offset:408
	v_fma_f64 v[158:159], -v[162:163], v[6:7], v[158:159]
	s_waitcnt lgkmcnt(0)
	v_fma_f64 v[208:209], -v[162:163], v[4:5], v[208:209]
.LBB103_236:
	s_or_b64 exec, exec, s[2:3]
	v_cmp_eq_u32_e32 vcc, 47, v14
	s_waitcnt vmcnt(63) expcnt(7) lgkmcnt(15)
	s_barrier
	s_and_saveexec_b64 s[2:3], vcc
	s_cbranch_execz .LBB103_239
; %bb.237:
	s_waitcnt vmcnt(45)
	v_mov_b32_e32 v4, v160
	v_mov_b32_e32 v5, v161
	s_waitcnt vmcnt(44)
	v_mov_b32_e32 v6, v108
	v_mov_b32_e32 v7, v109
	ds_write_b64 v12, v[110:111]
	ds_write2_b64 v13, v[4:5], v[6:7] offset0:48 offset1:49
	s_waitcnt vmcnt(43)
	v_mov_b32_e32 v4, v158
	v_mov_b32_e32 v5, v159
	s_waitcnt vmcnt(42)
	ds_write2_b64 v13, v[4:5], v[208:209] offset0:50 offset1:51
	ds_read_b64 v[4:5], v12
	s_waitcnt lgkmcnt(0)
	v_cmp_neq_f64_e32 vcc, 0, v[4:5]
	s_and_b64 exec, exec, vcc
	s_cbranch_execz .LBB103_239
; %bb.238:
	v_div_scale_f64 v[6:7], s[6:7], v[4:5], v[4:5], 1.0
	v_rcp_f64_e32 v[8:9], v[6:7]
	v_div_scale_f64 v[10:11], vcc, 1.0, v[4:5], 1.0
	v_fma_f64 v[16:17], -v[6:7], v[8:9], 1.0
	v_fmac_f64_e32 v[8:9], v[8:9], v[16:17]
	v_fma_f64 v[16:17], -v[6:7], v[8:9], 1.0
	v_fmac_f64_e32 v[8:9], v[8:9], v[16:17]
	v_mul_f64 v[16:17], v[10:11], v[8:9]
	v_fma_f64 v[6:7], -v[6:7], v[16:17], v[10:11]
	v_div_fmas_f64 v[6:7], v[6:7], v[8:9], v[16:17]
	v_div_fixup_f64 v[4:5], v[6:7], v[4:5], 1.0
	ds_write_b64 v12, v[4:5]
.LBB103_239:
	s_or_b64 exec, exec, s[2:3]
	s_waitcnt lgkmcnt(0)
	s_barrier
	ds_read_b64 v[4:5], v12
	v_cmp_lt_u32_e32 vcc, 47, v14
	s_and_saveexec_b64 s[2:3], vcc
	s_cbranch_execz .LBB103_241
; %bb.240:
	ds_read2_b64 v[6:9], v13 offset0:48 offset1:49
	s_waitcnt vmcnt(46) lgkmcnt(1)
	v_mul_f64 v[110:111], v[4:5], v[110:111]
	s_waitcnt vmcnt(45) lgkmcnt(0)
	v_fma_f64 v[160:161], -v[110:111], v[6:7], v[160:161]
	s_waitcnt vmcnt(44)
	v_fma_f64 v[108:109], -v[110:111], v[8:9], v[108:109]
	ds_read2_b64 v[6:9], v13 offset0:50 offset1:51
	s_waitcnt vmcnt(43) lgkmcnt(0)
	v_fma_f64 v[158:159], -v[110:111], v[6:7], v[158:159]
	s_waitcnt vmcnt(42)
	v_fma_f64 v[208:209], -v[110:111], v[8:9], v[208:209]
.LBB103_241:
	s_or_b64 exec, exec, s[2:3]
	v_cmp_eq_u32_e32 vcc, 48, v14
	s_waitcnt lgkmcnt(0)
	s_barrier
	s_and_saveexec_b64 s[2:3], vcc
	s_cbranch_execz .LBB103_244
; %bb.242:
	s_waitcnt vmcnt(45)
	ds_write_b64 v12, v[160:161]
	s_waitcnt vmcnt(43)
	ds_write2_b64 v13, v[108:109], v[158:159] offset0:49 offset1:50
	s_waitcnt vmcnt(42)
	ds_write_b64 v13, v[208:209] offset:408
	ds_read_b64 v[6:7], v12
	s_waitcnt lgkmcnt(0)
	v_cmp_neq_f64_e32 vcc, 0, v[6:7]
	s_and_b64 exec, exec, vcc
	s_cbranch_execz .LBB103_244
; %bb.243:
	v_div_scale_f64 v[8:9], s[6:7], v[6:7], v[6:7], 1.0
	v_rcp_f64_e32 v[10:11], v[8:9]
	v_div_scale_f64 v[16:17], vcc, 1.0, v[6:7], 1.0
	v_fma_f64 v[18:19], -v[8:9], v[10:11], 1.0
	v_fmac_f64_e32 v[10:11], v[10:11], v[18:19]
	v_fma_f64 v[18:19], -v[8:9], v[10:11], 1.0
	v_fmac_f64_e32 v[10:11], v[10:11], v[18:19]
	v_mul_f64 v[18:19], v[16:17], v[10:11]
	v_fma_f64 v[8:9], -v[8:9], v[18:19], v[16:17]
	v_div_fmas_f64 v[8:9], v[8:9], v[10:11], v[18:19]
	v_div_fixup_f64 v[6:7], v[8:9], v[6:7], 1.0
	ds_write_b64 v12, v[6:7]
.LBB103_244:
	s_or_b64 exec, exec, s[2:3]
	s_waitcnt lgkmcnt(0)
	s_barrier
	ds_read_b64 v[6:7], v12
	v_cmp_lt_u32_e32 vcc, 48, v14
	s_and_saveexec_b64 s[2:3], vcc
	s_cbranch_execz .LBB103_246
; %bb.245:
	ds_read2_b64 v[8:11], v13 offset0:49 offset1:50
	s_waitcnt vmcnt(45) lgkmcnt(1)
	v_mul_f64 v[160:161], v[6:7], v[160:161]
	s_waitcnt vmcnt(44) lgkmcnt(0)
	v_fma_f64 v[108:109], -v[160:161], v[8:9], v[108:109]
	ds_read_b64 v[8:9], v13 offset:408
	s_waitcnt vmcnt(43)
	v_fma_f64 v[158:159], -v[160:161], v[10:11], v[158:159]
	s_waitcnt vmcnt(42) lgkmcnt(0)
	v_fma_f64 v[208:209], -v[160:161], v[8:9], v[208:209]
.LBB103_246:
	s_or_b64 exec, exec, s[2:3]
	v_cmp_eq_u32_e32 vcc, 49, v14
	s_waitcnt lgkmcnt(0)
	s_barrier
	s_and_saveexec_b64 s[2:3], vcc
	s_cbranch_execz .LBB103_249
; %bb.247:
	s_waitcnt vmcnt(43)
	v_mov_b32_e32 v8, v158
	v_mov_b32_e32 v9, v159
	ds_write_b64 v12, v[108:109]
	s_waitcnt vmcnt(42)
	ds_write2_b64 v13, v[8:9], v[208:209] offset0:50 offset1:51
	ds_read_b64 v[8:9], v12
	s_waitcnt lgkmcnt(0)
	v_cmp_neq_f64_e32 vcc, 0, v[8:9]
	s_and_b64 exec, exec, vcc
	s_cbranch_execz .LBB103_249
; %bb.248:
	v_div_scale_f64 v[10:11], s[6:7], v[8:9], v[8:9], 1.0
	v_rcp_f64_e32 v[16:17], v[10:11]
	v_pk_mov_b32 v[0:1], v[2:3], v[2:3] op_sel:[0,1]
	v_pk_mov_b32 v[2:3], v[20:21], v[20:21] op_sel:[0,1]
	v_div_scale_f64 v[18:19], vcc, 1.0, v[8:9], 1.0
	v_fma_f64 v[20:21], -v[10:11], v[16:17], 1.0
	v_fmac_f64_e32 v[16:17], v[16:17], v[20:21]
	v_fma_f64 v[20:21], -v[10:11], v[16:17], 1.0
	v_fmac_f64_e32 v[16:17], v[16:17], v[20:21]
	v_mul_f64 v[20:21], v[18:19], v[16:17]
	v_fma_f64 v[10:11], -v[10:11], v[20:21], v[18:19]
	v_div_fmas_f64 v[10:11], v[10:11], v[16:17], v[20:21]
	v_pk_mov_b32 v[20:21], v[2:3], v[2:3] op_sel:[0,1]
	v_pk_mov_b32 v[2:3], v[0:1], v[0:1] op_sel:[0,1]
	v_div_fixup_f64 v[8:9], v[10:11], v[8:9], 1.0
	ds_write_b64 v12, v[8:9]
.LBB103_249:
	s_or_b64 exec, exec, s[2:3]
	s_waitcnt lgkmcnt(0)
	s_barrier
	ds_read_b64 v[8:9], v12
	v_cmp_lt_u32_e32 vcc, 49, v14
	s_and_saveexec_b64 s[2:3], vcc
	s_cbranch_execz .LBB103_251
; %bb.250:
	ds_read2_b64 v[16:19], v13 offset0:50 offset1:51
	s_waitcnt vmcnt(44) lgkmcnt(1)
	v_mul_f64 v[108:109], v[8:9], v[108:109]
	s_waitcnt vmcnt(43) lgkmcnt(0)
	v_fma_f64 v[158:159], -v[108:109], v[16:17], v[158:159]
	s_waitcnt vmcnt(42)
	v_fma_f64 v[208:209], -v[108:109], v[18:19], v[208:209]
.LBB103_251:
	s_or_b64 exec, exec, s[2:3]
	v_cmp_eq_u32_e32 vcc, 50, v14
	s_waitcnt lgkmcnt(0)
	s_barrier
	s_and_saveexec_b64 s[2:3], vcc
	s_cbranch_execz .LBB103_254
; %bb.252:
	s_waitcnt vmcnt(43)
	ds_write_b64 v12, v[158:159]
	s_waitcnt vmcnt(42)
	ds_write_b64 v13, v[208:209] offset:408
	ds_read_b64 v[10:11], v12
	s_waitcnt lgkmcnt(0)
	v_cmp_neq_f64_e32 vcc, 0, v[10:11]
	s_and_b64 exec, exec, vcc
	s_cbranch_execz .LBB103_254
; %bb.253:
	v_div_scale_f64 v[16:17], s[6:7], v[10:11], v[10:11], 1.0
	v_rcp_f64_e32 v[18:19], v[16:17]
	v_pk_mov_b32 v[0:1], v[124:125], v[124:125] op_sel:[0,1]
	v_pk_mov_b32 v[124:125], v[176:177], v[176:177] op_sel:[0,1]
	;; [unrolled: 1-line block ×69, first 2 shown]
	v_fma_f64 v[22:23], -v[16:17], v[18:19], 1.0
	v_fmac_f64_e32 v[18:19], v[18:19], v[22:23]
	v_fma_f64 v[22:23], -v[16:17], v[18:19], 1.0
	buffer_store_dword v12, off, s[16:19], 0 offset:264 ; 4-byte Folded Spill
	v_mov_b32_e32 v12, v14
	v_pk_mov_b32 v[14:15], v[190:191], v[190:191] op_sel:[0,1]
	v_pk_mov_b32 v[190:191], v[252:253], v[252:253] op_sel:[0,1]
	;; [unrolled: 1-line block ×25, first 2 shown]
	v_div_scale_f64 v[20:21], vcc, 1.0, v[10:11], 1.0
	v_fmac_f64_e32 v[18:19], v[18:19], v[22:23]
	v_mul_f64 v[22:23], v[20:21], v[18:19]
	v_fma_f64 v[16:17], -v[16:17], v[22:23], v[20:21]
	v_pk_mov_b32 v[20:21], v[244:245], v[244:245] op_sel:[0,1]
	v_pk_mov_b32 v[244:245], v[106:107], v[106:107] op_sel:[0,1]
	;; [unrolled: 1-line block ×25, first 2 shown]
	v_mov_b32_e32 v14, v12
	buffer_load_dword v12, off, s[16:19], 0 offset:264 ; 4-byte Folded Reload
	v_div_fmas_f64 v[16:17], v[16:17], v[18:19], v[22:23]
	v_pk_mov_b32 v[22:23], v[24:25], v[24:25] op_sel:[0,1]
	v_pk_mov_b32 v[24:25], v[26:27], v[26:27] op_sel:[0,1]
	;; [unrolled: 1-line block ×69, first 2 shown]
	v_div_fixup_f64 v[10:11], v[16:17], v[10:11], 1.0
	s_waitcnt vmcnt(0)
	ds_write_b64 v12, v[10:11]
.LBB103_254:
	s_or_b64 exec, exec, s[2:3]
	s_waitcnt lgkmcnt(0)
	s_barrier
	ds_read_b64 v[10:11], v12
	v_cmp_lt_u32_e32 vcc, 50, v14
	s_and_saveexec_b64 s[2:3], vcc
	s_cbranch_execz .LBB103_256
; %bb.255:
	ds_read_b64 v[16:17], v13 offset:408
	s_waitcnt vmcnt(43) lgkmcnt(1)
	v_mul_f64 v[158:159], v[10:11], v[158:159]
	s_waitcnt vmcnt(42) lgkmcnt(0)
	v_fma_f64 v[208:209], -v[158:159], v[16:17], v[208:209]
.LBB103_256:
	s_or_b64 exec, exec, s[2:3]
	v_cmp_eq_u32_e32 vcc, 51, v14
	s_waitcnt lgkmcnt(0)
	s_barrier
	s_and_saveexec_b64 s[2:3], vcc
	s_cbranch_execz .LBB103_259
; %bb.257:
	s_waitcnt vmcnt(42)
	v_cmp_neq_f64_e32 vcc, 0, v[208:209]
	ds_write_b64 v12, v[208:209]
	s_and_b64 exec, exec, vcc
	s_cbranch_execz .LBB103_259
; %bb.258:
	v_div_scale_f64 v[16:17], s[6:7], v[208:209], v[208:209], 1.0
	v_rcp_f64_e32 v[18:19], v[16:17]
	v_pk_mov_b32 v[0:1], v[2:3], v[2:3] op_sel:[0,1]
	v_pk_mov_b32 v[2:3], v[242:243], v[242:243] op_sel:[0,1]
	;; [unrolled: 1-line block ×61, first 2 shown]
	v_fma_f64 v[22:23], -v[16:17], v[18:19], 1.0
	v_fmac_f64_e32 v[18:19], v[18:19], v[22:23]
	v_fma_f64 v[22:23], -v[16:17], v[18:19], 1.0
	v_mov_b32_e32 v13, v14
	v_pk_mov_b32 v[14:15], v[190:191], v[190:191] op_sel:[0,1]
	v_pk_mov_b32 v[190:191], v[252:253], v[252:253] op_sel:[0,1]
	;; [unrolled: 1-line block ×25, first 2 shown]
	v_div_scale_f64 v[20:21], vcc, 1.0, v[208:209], 1.0
	v_fmac_f64_e32 v[18:19], v[18:19], v[22:23]
	v_mul_f64 v[22:23], v[20:21], v[18:19]
	v_fma_f64 v[16:17], -v[16:17], v[22:23], v[20:21]
	s_nop 0
	v_div_fmas_f64 v[16:17], v[16:17], v[18:19], v[22:23]
	v_pk_mov_b32 v[20:21], v[244:245], v[244:245] op_sel:[0,1]
	v_pk_mov_b32 v[244:245], v[106:107], v[106:107] op_sel:[0,1]
	;; [unrolled: 1-line block ×25, first 2 shown]
	v_mov_b32_e32 v14, v13
	v_pk_mov_b32 v[22:23], v[24:25], v[24:25] op_sel:[0,1]
	v_pk_mov_b32 v[24:25], v[26:27], v[26:27] op_sel:[0,1]
	;; [unrolled: 1-line block ×61, first 2 shown]
	v_div_fixup_f64 v[16:17], v[16:17], v[208:209], 1.0
	ds_write_b64 v12, v[16:17]
.LBB103_259:
	s_or_b64 exec, exec, s[2:3]
	s_waitcnt lgkmcnt(0)
	s_barrier
	ds_read_b64 v[12:13], v12
	s_waitcnt lgkmcnt(0)
	s_barrier
	s_and_saveexec_b64 s[2:3], s[0:1]
	s_cbranch_execz .LBB103_262
; %bb.260:
	buffer_load_dword v0, off, s[16:19], 0 offset:88 ; 4-byte Folded Reload
	buffer_load_dword v1, off, s[16:19], 0 offset:92 ; 4-byte Folded Reload
	v_cmp_eq_f64_e32 vcc, 0, v[22:23]
	v_cmp_neq_f64_e64 s[0:1], 0, v[254:255]
	v_cndmask_b32_e64 v15, 0, 1, vcc
	s_or_b64 vcc, s[0:1], vcc
	v_cndmask_b32_e32 v15, 2, v15, vcc
	v_cmp_eq_f64_e32 vcc, 0, v[210:211]
	v_cmp_eq_u32_e64 s[0:1], 0, v15
	s_and_b64 s[0:1], vcc, s[0:1]
	v_cndmask_b32_e64 v15, v15, 3, s[0:1]
	v_cmp_eq_f64_e32 vcc, 0, v[212:213]
	v_cmp_eq_u32_e64 s[0:1], 0, v15
	s_and_b64 s[0:1], vcc, s[0:1]
	v_cndmask_b32_e64 v15, v15, 4, s[0:1]
	;; [unrolled: 4-line block ×22, first 2 shown]
	v_cmp_eq_f64_e32 vcc, 0, v[252:253]
	v_cmp_eq_u32_e64 s[0:1], 0, v15
	s_and_b64 s[0:1], vcc, s[0:1]
	s_waitcnt vmcnt(0)
	v_cmp_eq_f64_e32 vcc, 0, v[0:1]
	buffer_load_dword v0, off, s[16:19], 0 offset:96 ; 4-byte Folded Reload
	buffer_load_dword v1, off, s[16:19], 0 offset:100 ; 4-byte Folded Reload
	v_cndmask_b32_e64 v15, v15, 25, s[0:1]
	v_cmp_eq_u32_e64 s[0:1], 0, v15
	s_and_b64 s[0:1], vcc, s[0:1]
	v_cndmask_b32_e64 v15, v15, 26, s[0:1]
	v_cmp_eq_u32_e64 s[0:1], 0, v15
	s_load_dwordx2 s[4:5], s[4:5], 0x28
	s_waitcnt lgkmcnt(0)
	v_mov_b32_e32 v18, s5
	s_waitcnt vmcnt(0)
	v_cmp_eq_f64_e32 vcc, 0, v[0:1]
	buffer_load_dword v0, off, s[16:19], 0 offset:104 ; 4-byte Folded Reload
	buffer_load_dword v1, off, s[16:19], 0 offset:108 ; 4-byte Folded Reload
	s_and_b64 s[0:1], vcc, s[0:1]
	v_cndmask_b32_e64 v15, v15, 27, s[0:1]
	v_cmp_eq_u32_e64 s[0:1], 0, v15
	s_waitcnt vmcnt(0)
	v_cmp_eq_f64_e32 vcc, 0, v[0:1]
	buffer_load_dword v0, off, s[16:19], 0 offset:112 ; 4-byte Folded Reload
	buffer_load_dword v1, off, s[16:19], 0 offset:116 ; 4-byte Folded Reload
	s_and_b64 s[0:1], vcc, s[0:1]
	v_cndmask_b32_e64 v15, v15, 28, s[0:1]
	v_cmp_eq_u32_e64 s[0:1], 0, v15
	;; [unrolled: 7-line block ×5, first 2 shown]
	s_waitcnt vmcnt(0)
	v_cmp_eq_f64_e32 vcc, 0, v[0:1]
	buffer_load_dword v0, off, s[16:19], 0 offset:144 ; 4-byte Folded Reload
	buffer_load_dword v1, off, s[16:19], 0 offset:148 ; 4-byte Folded Reload
	;; [unrolled: 1-line block ×4, first 2 shown]
	s_and_b64 s[0:1], vcc, s[0:1]
	v_cndmask_b32_e64 v15, v15, 32, s[0:1]
	s_waitcnt vmcnt(2)
	v_cmp_eq_f64_e32 vcc, 0, v[0:1]
	s_waitcnt vmcnt(0)
	v_lshlrev_b64 v[16:17], 2, v[16:17]
	v_add_co_u32_e64 v210, s[0:1], s4, v16
	v_addc_co_u32_e64 v211, s[0:1], v18, v17, s[0:1]
	global_load_dword v16, v[210:211], off
	buffer_load_dword v0, off, s[16:19], 0 offset:152 ; 4-byte Folded Reload
	buffer_load_dword v1, off, s[16:19], 0 offset:156 ; 4-byte Folded Reload
	v_cmp_eq_u32_e64 s[0:1], 0, v15
	s_and_b64 s[0:1], vcc, s[0:1]
	v_cndmask_b32_e64 v15, v15, 33, s[0:1]
	v_cmp_eq_u32_e64 s[0:1], 0, v15
	s_waitcnt vmcnt(0)
	v_cmp_eq_f64_e32 vcc, 0, v[0:1]
	buffer_load_dword v0, off, s[16:19], 0 offset:160 ; 4-byte Folded Reload
	buffer_load_dword v1, off, s[16:19], 0 offset:164 ; 4-byte Folded Reload
	s_and_b64 s[0:1], vcc, s[0:1]
	v_cndmask_b32_e64 v15, v15, 34, s[0:1]
	v_cmp_eq_u32_e64 s[0:1], 0, v15
	s_waitcnt vmcnt(0)
	v_cmp_eq_f64_e32 vcc, 0, v[0:1]
	buffer_load_dword v0, off, s[16:19], 0 offset:168 ; 4-byte Folded Reload
	buffer_load_dword v1, off, s[16:19], 0 offset:172 ; 4-byte Folded Reload
	;; [unrolled: 7-line block ×7, first 2 shown]
	s_and_b64 s[0:1], vcc, s[0:1]
	v_cndmask_b32_e64 v15, v15, 40, s[0:1]
	v_cmp_eq_f64_e32 vcc, 0, v[2:3]
	v_cmp_eq_u32_e64 s[0:1], 0, v15
	s_and_b64 s[0:1], vcc, s[0:1]
	v_cndmask_b32_e64 v2, v15, 41, s[0:1]
	v_cmp_eq_u32_e64 s[0:1], 0, v2
	s_waitcnt vmcnt(0)
	v_cmp_eq_f64_e32 vcc, 0, v[0:1]
	buffer_load_dword v0, off, s[16:19], 0 offset:208 ; 4-byte Folded Reload
	buffer_load_dword v1, off, s[16:19], 0 offset:212 ; 4-byte Folded Reload
	s_and_b64 s[0:1], vcc, s[0:1]
	v_cndmask_b32_e64 v2, v2, 42, s[0:1]
	v_cmp_eq_u32_e64 s[0:1], 0, v2
	s_waitcnt vmcnt(0)
	v_cmp_eq_f64_e32 vcc, 0, v[0:1]
	buffer_load_dword v0, off, s[16:19], 0 offset:248 ; 4-byte Folded Reload
	buffer_load_dword v1, off, s[16:19], 0 offset:252 ; 4-byte Folded Reload
	;; [unrolled: 7-line block ×5, first 2 shown]
	s_and_b64 s[0:1], vcc, s[0:1]
	v_cndmask_b32_e64 v2, v2, 46, s[0:1]
	v_cmp_eq_u32_e64 s[0:1], 0, v2
	s_waitcnt vmcnt(0)
	v_cmp_eq_f64_e32 vcc, 0, v[0:1]
	s_and_b64 s[0:1], vcc, s[0:1]
	v_cndmask_b32_e64 v0, v2, 47, s[0:1]
	v_cmp_eq_f64_e32 vcc, 0, v[4:5]
	v_cmp_eq_u32_e64 s[0:1], 0, v0
	s_and_b64 s[0:1], vcc, s[0:1]
	v_cndmask_b32_e64 v0, v0, 48, s[0:1]
	v_cmp_eq_f64_e32 vcc, 0, v[6:7]
	v_cmp_eq_u32_e64 s[0:1], 0, v0
	;; [unrolled: 4-line block ×5, first 2 shown]
	s_and_b64 s[0:1], vcc, s[0:1]
	v_cndmask_b32_e64 v0, v0, 52, s[0:1]
	v_cmp_eq_u32_e32 vcc, 0, v16
	v_cmp_ne_u32_e64 s[0:1], 0, v0
	s_and_b64 s[0:1], vcc, s[0:1]
	s_and_b64 exec, exec, s[0:1]
	s_cbranch_execz .LBB103_262
; %bb.261:
	v_add_u32_e32 v0, s9, v0
	global_store_dword v[210:211], v0, off
.LBB103_262:
	s_or_b64 exec, exec, s[2:3]
	global_store_dwordx2 v[102:103], v[106:107], off
	global_store_dwordx2 v[104:105], v[156:157], off
	buffer_load_dword v2, off, s[16:19], 0  ; 4-byte Folded Reload
	buffer_load_dword v3, off, s[16:19], 0 offset:4 ; 4-byte Folded Reload
	s_waitcnt vmcnt(46)
	v_mul_f64 v[0:1], v[12:13], v[208:209]
	v_cmp_lt_u32_e32 vcc, 51, v14
	v_cndmask_b32_e32 v1, v209, v1, vcc
	v_cndmask_b32_e32 v0, v208, v0, vcc
	s_waitcnt vmcnt(0)
	global_store_dwordx2 v[2:3], v[206:207], off
	buffer_load_dword v2, off, s[16:19], 0 offset:8 ; 4-byte Folded Reload
	s_nop 0
	buffer_load_dword v3, off, s[16:19], 0 offset:12 ; 4-byte Folded Reload
	s_waitcnt vmcnt(0)
	global_store_dwordx2 v[2:3], v[154:155], off
	buffer_load_dword v2, off, s[16:19], 0 offset:16 ; 4-byte Folded Reload
	s_nop 0
	buffer_load_dword v3, off, s[16:19], 0 offset:20 ; 4-byte Folded Reload
	;; [unrolled: 5-line block ×10, first 2 shown]
	s_waitcnt vmcnt(0)
	global_store_dwordx2 v[2:3], v[196:197], off
	global_store_dwordx2 v[24:25], v[144:145], off
	;; [unrolled: 1-line block ×40, first 2 shown]
.LBB103_263:
	s_endpgm
	.section	.rodata,"a",@progbits
	.p2align	6, 0x0
	.amdhsa_kernel _ZN9rocsolver6v33100L23getf2_npvt_small_kernelILi52EdiiPKPdEEvT1_T3_lS5_lPT2_S5_S5_
		.amdhsa_group_segment_fixed_size 0
		.amdhsa_private_segment_fixed_size 272
		.amdhsa_kernarg_size 312
		.amdhsa_user_sgpr_count 6
		.amdhsa_user_sgpr_private_segment_buffer 1
		.amdhsa_user_sgpr_dispatch_ptr 0
		.amdhsa_user_sgpr_queue_ptr 0
		.amdhsa_user_sgpr_kernarg_segment_ptr 1
		.amdhsa_user_sgpr_dispatch_id 0
		.amdhsa_user_sgpr_flat_scratch_init 0
		.amdhsa_user_sgpr_kernarg_preload_length 0
		.amdhsa_user_sgpr_kernarg_preload_offset 0
		.amdhsa_user_sgpr_private_segment_size 0
		.amdhsa_uses_dynamic_stack 0
		.amdhsa_system_sgpr_private_segment_wavefront_offset 1
		.amdhsa_system_sgpr_workgroup_id_x 1
		.amdhsa_system_sgpr_workgroup_id_y 1
		.amdhsa_system_sgpr_workgroup_id_z 0
		.amdhsa_system_sgpr_workgroup_info 0
		.amdhsa_system_vgpr_workitem_id 1
		.amdhsa_next_free_vgpr 256
		.amdhsa_next_free_sgpr 20
		.amdhsa_accum_offset 256
		.amdhsa_reserve_vcc 1
		.amdhsa_reserve_flat_scratch 0
		.amdhsa_float_round_mode_32 0
		.amdhsa_float_round_mode_16_64 0
		.amdhsa_float_denorm_mode_32 3
		.amdhsa_float_denorm_mode_16_64 3
		.amdhsa_dx10_clamp 1
		.amdhsa_ieee_mode 1
		.amdhsa_fp16_overflow 0
		.amdhsa_tg_split 0
		.amdhsa_exception_fp_ieee_invalid_op 0
		.amdhsa_exception_fp_denorm_src 0
		.amdhsa_exception_fp_ieee_div_zero 0
		.amdhsa_exception_fp_ieee_overflow 0
		.amdhsa_exception_fp_ieee_underflow 0
		.amdhsa_exception_fp_ieee_inexact 0
		.amdhsa_exception_int_div_zero 0
	.end_amdhsa_kernel
	.section	.text._ZN9rocsolver6v33100L23getf2_npvt_small_kernelILi52EdiiPKPdEEvT1_T3_lS5_lPT2_S5_S5_,"axG",@progbits,_ZN9rocsolver6v33100L23getf2_npvt_small_kernelILi52EdiiPKPdEEvT1_T3_lS5_lPT2_S5_S5_,comdat
.Lfunc_end103:
	.size	_ZN9rocsolver6v33100L23getf2_npvt_small_kernelILi52EdiiPKPdEEvT1_T3_lS5_lPT2_S5_S5_, .Lfunc_end103-_ZN9rocsolver6v33100L23getf2_npvt_small_kernelILi52EdiiPKPdEEvT1_T3_lS5_lPT2_S5_S5_
                                        ; -- End function
	.section	.AMDGPU.csdata,"",@progbits
; Kernel info:
; codeLenInByte = 53040
; NumSgprs: 24
; NumVgprs: 256
; NumAgprs: 0
; TotalNumVgprs: 256
; ScratchSize: 272
; MemoryBound: 0
; FloatMode: 240
; IeeeMode: 1
; LDSByteSize: 0 bytes/workgroup (compile time only)
; SGPRBlocks: 2
; VGPRBlocks: 31
; NumSGPRsForWavesPerEU: 24
; NumVGPRsForWavesPerEU: 256
; AccumOffset: 256
; Occupancy: 2
; WaveLimiterHint : 1
; COMPUTE_PGM_RSRC2:SCRATCH_EN: 1
; COMPUTE_PGM_RSRC2:USER_SGPR: 6
; COMPUTE_PGM_RSRC2:TRAP_HANDLER: 0
; COMPUTE_PGM_RSRC2:TGID_X_EN: 1
; COMPUTE_PGM_RSRC2:TGID_Y_EN: 1
; COMPUTE_PGM_RSRC2:TGID_Z_EN: 0
; COMPUTE_PGM_RSRC2:TIDIG_COMP_CNT: 1
; COMPUTE_PGM_RSRC3_GFX90A:ACCUM_OFFSET: 63
; COMPUTE_PGM_RSRC3_GFX90A:TG_SPLIT: 0
	.section	.text._ZN9rocsolver6v33100L18getf2_small_kernelILi53EdiiPKPdEEvT1_T3_lS5_lPS5_llPT2_S5_S5_S7_l,"axG",@progbits,_ZN9rocsolver6v33100L18getf2_small_kernelILi53EdiiPKPdEEvT1_T3_lS5_lPS5_llPT2_S5_S5_S7_l,comdat
	.globl	_ZN9rocsolver6v33100L18getf2_small_kernelILi53EdiiPKPdEEvT1_T3_lS5_lPS5_llPT2_S5_S5_S7_l ; -- Begin function _ZN9rocsolver6v33100L18getf2_small_kernelILi53EdiiPKPdEEvT1_T3_lS5_lPS5_llPT2_S5_S5_S7_l
	.p2align	8
	.type	_ZN9rocsolver6v33100L18getf2_small_kernelILi53EdiiPKPdEEvT1_T3_lS5_lPS5_llPT2_S5_S5_S7_l,@function
_ZN9rocsolver6v33100L18getf2_small_kernelILi53EdiiPKPdEEvT1_T3_lS5_lPS5_llPT2_S5_S5_S7_l: ; @_ZN9rocsolver6v33100L18getf2_small_kernelILi53EdiiPKPdEEvT1_T3_lS5_lPS5_llPT2_S5_S5_S7_l
; %bb.0:
	s_load_dword s0, s[4:5], 0x6c
	s_load_dwordx2 s[12:13], s[4:5], 0x48
	v_bfe_u32 v110, v0, 10, 10
	s_waitcnt lgkmcnt(0)
	s_lshr_b32 s0, s0, 16
	s_mul_i32 s7, s7, s0
	v_add_u32_e32 v2, s7, v110
	v_cmp_gt_i32_e32 vcc, s12, v2
	s_and_saveexec_b64 s[0:1], vcc
	s_cbranch_execz .LBB104_898
; %bb.1:
	s_load_dwordx4 s[0:3], s[4:5], 0x8
	s_load_dwordx4 s[8:11], s[4:5], 0x50
	v_ashrrev_i32_e32 v3, 31, v2
	v_lshlrev_b64 v[4:5], 3, v[2:3]
	s_waitcnt lgkmcnt(0)
	v_mov_b32_e32 v1, s1
	v_add_co_u32_e32 v4, vcc, s0, v4
	v_addc_co_u32_e32 v5, vcc, v1, v5, vcc
	global_load_dwordx2 v[6:7], v[4:5], off
	s_cmp_eq_u64 s[8:9], 0
	s_cselect_b64 s[6:7], -1, 0
	s_and_b64 vcc, exec, s[6:7]
	v_pk_mov_b32 v[4:5], 0, 0
	s_cbranch_vccnz .LBB104_3
; %bb.2:
	v_mul_lo_u32 v1, v3, s10
	v_mul_lo_u32 v8, v2, s11
	v_mad_u64_u32 v[4:5], s[0:1], v2, s10, 0
	v_add3_u32 v5, v5, v8, v1
	v_lshlrev_b64 v[4:5], 2, v[4:5]
	v_mov_b32_e32 v1, s9
	v_add_co_u32_e32 v4, vcc, s8, v4
	v_addc_co_u32_e32 v5, vcc, v1, v5, vcc
.LBB104_3:
	s_load_dword s8, s[4:5], 0x18
	s_load_dword s18, s[4:5], 0x0
	s_lshl_b64 s[0:1], s[2:3], 3
	v_and_b32_e32 v118, 0x3ff, v0
	v_mov_b32_e32 v1, s1
	s_waitcnt lgkmcnt(0)
	s_add_i32 s12, s8, s8
	s_waitcnt vmcnt(0)
	v_add_co_u32_e32 v116, vcc, s0, v6
	v_add_u32_e32 v6, s12, v118
	v_addc_co_u32_e32 v117, vcc, v7, v1, vcc
	v_ashrrev_i32_e32 v7, 31, v6
	v_lshlrev_b64 v[0:1], 3, v[6:7]
	v_add_u32_e32 v8, s8, v6
	v_add_co_u32_e32 v0, vcc, v116, v0
	v_ashrrev_i32_e32 v9, 31, v8
	v_addc_co_u32_e32 v1, vcc, v117, v1, vcc
	v_lshlrev_b64 v[6:7], 3, v[8:9]
	v_add_u32_e32 v10, s8, v8
	v_add_co_u32_e32 v6, vcc, v116, v6
	v_ashrrev_i32_e32 v11, 31, v10
	v_addc_co_u32_e32 v7, vcc, v117, v7, vcc
	;; [unrolled: 5-line block ×3, first 2 shown]
	v_lshlrev_b64 v[12:13], 3, v[10:11]
	v_add_co_u32_e32 v14, vcc, v116, v12
	v_add_u32_e32 v12, s8, v10
	v_addc_co_u32_e32 v15, vcc, v117, v13, vcc
	v_ashrrev_i32_e32 v13, 31, v12
	v_lshlrev_b64 v[10:11], 3, v[12:13]
	v_add_u32_e32 v16, s8, v12
	v_add_co_u32_e32 v10, vcc, v116, v10
	v_ashrrev_i32_e32 v17, 31, v16
	v_addc_co_u32_e32 v11, vcc, v117, v11, vcc
	v_lshlrev_b64 v[12:13], 3, v[16:17]
	v_add_u32_e32 v18, s8, v16
	v_add_co_u32_e32 v12, vcc, v116, v12
	v_ashrrev_i32_e32 v19, 31, v18
	v_addc_co_u32_e32 v13, vcc, v117, v13, vcc
	;; [unrolled: 5-line block ×46, first 2 shown]
	v_lshlrev_b64 v[18:19], 3, v[18:19]
	v_add_co_u32_e32 v170, vcc, v116, v18
	v_addc_co_u32_e32 v171, vcc, v117, v19, vcc
	v_lshlrev_b32_e32 v111, 3, v118
	v_add_co_u32_e32 v18, vcc, v116, v111
	s_ashr_i32 s9, s8, 31
	v_addc_co_u32_e32 v19, vcc, 0, v117, vcc
	s_lshl_b64 s[10:11], s[8:9], 3
	v_mov_b32_e32 v51, s11
	v_add_co_u32_e32 v50, vcc, s10, v18
	v_addc_co_u32_e32 v51, vcc, v19, v51, vcc
	s_max_i32 s0, s18, 53
	global_load_dwordx2 v[106:107], v[18:19], off
	global_load_dwordx2 v[104:105], v[50:51], off
	;; [unrolled: 1-line block ×6, first 2 shown]
                                        ; kill: killed $vgpr6 killed $vgpr7
                                        ; kill: killed $vgpr14 killed $vgpr15
                                        ; kill: killed $vgpr18 killed $vgpr19
                                        ; kill: killed $vgpr0 killed $vgpr1
                                        ; kill: killed $vgpr50 killed $vgpr51
                                        ; kill: killed $vgpr8 killed $vgpr9
	global_load_dwordx2 v[94:95], v[10:11], off
	global_load_dwordx2 v[92:93], v[12:13], off
	;; [unrolled: 1-line block ×6, first 2 shown]
                                        ; kill: killed $vgpr12 killed $vgpr13
                                        ; kill: killed $vgpr20 killed $vgpr21
                                        ; kill: killed $vgpr24 killed $vgpr25
                                        ; kill: killed $vgpr10 killed $vgpr11
                                        ; kill: killed $vgpr16 killed $vgpr17
                                        ; kill: killed $vgpr22 killed $vgpr23
	global_load_dwordx2 v[82:83], v[26:27], off
	global_load_dwordx2 v[80:81], v[28:29], off
	;; [unrolled: 1-line block ×6, first 2 shown]
                                        ; kill: killed $vgpr30 killed $vgpr31
                                        ; kill: killed $vgpr34 killed $vgpr35
                                        ; kill: killed $vgpr28 killed $vgpr29
                                        ; kill: killed $vgpr32 killed $vgpr33
                                        ; kill: killed $vgpr36 killed $vgpr37
                                        ; kill: killed $vgpr26 killed $vgpr27
	global_load_dwordx2 v[70:71], v[38:39], off
	global_load_dwordx2 v[68:69], v[40:41], off
	;; [unrolled: 1-line block ×6, first 2 shown]
                                        ; kill: killed $vgpr38 killed $vgpr39
                                        ; kill: killed $vgpr42 killed $vgpr43
                                        ; kill: killed $vgpr46 killed $vgpr47
                                        ; kill: killed $vgpr40 killed $vgpr41
                                        ; kill: killed $vgpr44 killed $vgpr45
                                        ; kill: killed $vgpr48 killed $vgpr49
	global_load_dwordx2 v[58:59], v[108:109], off
	global_load_dwordx2 v[56:57], v[112:113], off
	;; [unrolled: 1-line block ×6, first 2 shown]
                                        ; kill: killed $vgpr124 killed $vgpr125
                                        ; kill: killed $vgpr108 killed $vgpr109
                                        ; kill: killed $vgpr114 killed $vgpr115
                                        ; kill: killed $vgpr122 killed $vgpr123
                                        ; kill: killed $vgpr112 killed $vgpr113
                                        ; kill: killed $vgpr120 killed $vgpr121
	global_load_dwordx2 v[46:47], v[126:127], off
	global_load_dwordx2 v[44:45], v[128:129], off
	;; [unrolled: 1-line block ×6, first 2 shown]
                                        ; kill: killed $vgpr128 killed $vgpr129
                                        ; kill: killed $vgpr132 killed $vgpr133
                                        ; kill: killed $vgpr136 killed $vgpr137
                                        ; kill: killed $vgpr126 killed $vgpr127
                                        ; kill: killed $vgpr130 killed $vgpr131
                                        ; kill: killed $vgpr134 killed $vgpr135
	global_load_dwordx2 v[34:35], v[138:139], off
	global_load_dwordx2 v[32:33], v[140:141], off
	;; [unrolled: 1-line block ×6, first 2 shown]
                                        ; kill: killed $vgpr140 killed $vgpr141
                                        ; kill: killed $vgpr144 killed $vgpr145
                                        ; kill: killed $vgpr148 killed $vgpr149
                                        ; kill: killed $vgpr138 killed $vgpr139
                                        ; kill: killed $vgpr142 killed $vgpr143
                                        ; kill: killed $vgpr146 killed $vgpr147
	global_load_dwordx2 v[22:23], v[150:151], off
	global_load_dwordx2 v[20:21], v[152:153], off
	;; [unrolled: 1-line block ×6, first 2 shown]
                                        ; kill: killed $vgpr158 killed $vgpr159
                                        ; kill: killed $vgpr152 killed $vgpr153
                                        ; kill: killed $vgpr156 killed $vgpr157
                                        ; kill: killed $vgpr160 killed $vgpr161
                                        ; kill: killed $vgpr150 killed $vgpr151
                                        ; kill: killed $vgpr154 killed $vgpr155
	global_load_dwordx2 v[10:11], v[162:163], off
	global_load_dwordx2 v[8:9], v[164:165], off
	;; [unrolled: 1-line block ×5, first 2 shown]
	v_mul_lo_u32 v112, s0, v110
	v_lshl_add_u32 v114, v112, 3, 0
	v_add_u32_e32 v110, v114, v111
	s_waitcnt vmcnt(52)
	ds_write_b64 v110, v[106:107]
	s_waitcnt lgkmcnt(0)
	s_barrier
	ds_read_b64 v[110:111], v114
	s_cmp_lt_i32 s18, 2
	v_lshlrev_b32_e32 v119, 3, v112
	v_mov_b32_e32 v112, 0
	s_cbranch_scc1 .LBB104_6
; %bb.4:
	v_add3_u32 v113, v119, 0, 8
	s_mov_b32 s0, 1
	v_mov_b32_e32 v112, 0
.LBB104_5:                              ; =>This Inner Loop Header: Depth=1
	ds_read_b64 v[120:121], v113
	v_mov_b32_e32 v115, s0
	s_add_i32 s0, s0, 1
	v_add_u32_e32 v113, 8, v113
	s_cmp_eq_u32 s18, s0
	s_waitcnt lgkmcnt(0)
	v_cmp_lt_f64_e64 vcc, |v[110:111]|, |v[120:121]|
	v_cndmask_b32_e32 v111, v111, v121, vcc
	v_cndmask_b32_e32 v110, v110, v120, vcc
	;; [unrolled: 1-line block ×3, first 2 shown]
	s_cbranch_scc0 .LBB104_5
.LBB104_6:
	v_cmp_ne_u32_e32 vcc, v118, v112
                                        ; implicit-def: $vgpr115
	s_and_saveexec_b64 s[0:1], vcc
	s_xor_b64 s[0:1], exec, s[0:1]
	s_cbranch_execz .LBB104_12
; %bb.7:
	v_cmp_eq_u32_e32 vcc, 0, v118
	s_and_saveexec_b64 s[2:3], vcc
	s_cbranch_execz .LBB104_11
; %bb.8:
	v_cmp_ne_u32_e32 vcc, 0, v112
	s_xor_b64 s[14:15], s[6:7], -1
	s_and_b64 s[16:17], s[14:15], vcc
	s_and_saveexec_b64 s[14:15], s[16:17]
	s_cbranch_execz .LBB104_10
; %bb.9:
	v_ashrrev_i32_e32 v113, 31, v112
	v_lshlrev_b64 v[120:121], 2, v[112:113]
	v_add_co_u32_e32 v120, vcc, v4, v120
	v_addc_co_u32_e32 v121, vcc, v5, v121, vcc
	flat_load_dword v113, v[120:121]
	flat_load_dword v115, v[4:5]
	s_waitcnt vmcnt(0) lgkmcnt(0)
	flat_store_dword v[4:5], v113
	flat_store_dword v[120:121], v115
.LBB104_10:
	s_or_b64 exec, exec, s[14:15]
	v_mov_b32_e32 v118, v112
.LBB104_11:
	s_or_b64 exec, exec, s[2:3]
	v_mov_b32_e32 v115, v118
                                        ; implicit-def: $vgpr118
.LBB104_12:
	s_or_saveexec_b64 s[0:1], s[0:1]
	v_mov_b32_e32 v113, v115
	s_xor_b64 exec, exec, s[0:1]
	s_cbranch_execz .LBB104_14
; %bb.13:
	v_mov_b32_e32 v115, 0
	v_mov_b32_e32 v113, v118
	s_waitcnt vmcnt(0)
	ds_write2_b64 v114, v[104:105], v[102:103] offset0:1 offset1:2
	ds_write2_b64 v114, v[100:101], v[98:99] offset0:3 offset1:4
	;; [unrolled: 1-line block ×26, first 2 shown]
.LBB104_14:
	s_or_b64 exec, exec, s[0:1]
	s_waitcnt lgkmcnt(0)
	v_cmp_eq_f64_e64 s[0:1], 0, v[110:111]
	v_cmp_lt_i32_e32 vcc, 0, v115
	s_barrier
	s_and_saveexec_b64 s[2:3], vcc
	s_cbranch_execz .LBB104_16
; %bb.15:
	v_div_scale_f64 v[120:121], s[14:15], v[110:111], v[110:111], 1.0
	v_rcp_f64_e32 v[122:123], v[120:121]
	v_div_scale_f64 v[124:125], vcc, 1.0, v[110:111], 1.0
	ds_read2_b64 v[128:131], v114 offset0:5 offset1:6
	v_fma_f64 v[126:127], -v[120:121], v[122:123], 1.0
	v_fmac_f64_e32 v[122:123], v[122:123], v[126:127]
	v_fma_f64 v[126:127], -v[120:121], v[122:123], 1.0
	v_fmac_f64_e32 v[122:123], v[122:123], v[126:127]
	v_mul_f64 v[126:127], v[124:125], v[122:123]
	v_fma_f64 v[120:121], -v[120:121], v[126:127], v[124:125]
	v_div_fmas_f64 v[120:121], v[120:121], v[122:123], v[126:127]
	v_div_fixup_f64 v[124:125], v[120:121], v[110:111], 1.0
	ds_read2_b64 v[120:123], v114 offset0:1 offset1:2
	v_cndmask_b32_e64 v111, v125, v111, s[0:1]
	v_cndmask_b32_e64 v110, v124, v110, s[0:1]
	ds_read2_b64 v[124:127], v114 offset0:3 offset1:4
	v_mul_f64 v[106:107], v[110:111], v[106:107]
	s_waitcnt vmcnt(0) lgkmcnt(0)
	v_fma_f64 v[104:105], -v[106:107], v[120:121], v[104:105]
	v_fma_f64 v[102:103], -v[106:107], v[122:123], v[102:103]
	ds_read2_b64 v[120:123], v114 offset0:7 offset1:8
	v_fma_f64 v[100:101], -v[106:107], v[124:125], v[100:101]
	v_fma_f64 v[98:99], -v[106:107], v[126:127], v[98:99]
	ds_read2_b64 v[124:127], v114 offset0:9 offset1:10
	;; [unrolled: 3-line block ×3, first 2 shown]
	s_waitcnt lgkmcnt(2)
	v_fma_f64 v[92:93], -v[106:107], v[120:121], v[92:93]
	v_fma_f64 v[90:91], -v[106:107], v[122:123], v[90:91]
	s_waitcnt lgkmcnt(1)
	v_fma_f64 v[88:89], -v[106:107], v[124:125], v[88:89]
	ds_read2_b64 v[120:123], v114 offset0:13 offset1:14
	v_fma_f64 v[86:87], -v[106:107], v[126:127], v[86:87]
	ds_read2_b64 v[124:127], v114 offset0:15 offset1:16
	s_waitcnt lgkmcnt(2)
	v_fma_f64 v[84:85], -v[106:107], v[128:129], v[84:85]
	v_fma_f64 v[82:83], -v[106:107], v[130:131], v[82:83]
	s_waitcnt lgkmcnt(1)
	v_fma_f64 v[80:81], -v[106:107], v[120:121], v[80:81]
	ds_read2_b64 v[128:131], v114 offset0:17 offset1:18
	v_fma_f64 v[78:79], -v[106:107], v[122:123], v[78:79]
	ds_read2_b64 v[120:123], v114 offset0:19 offset1:20
	s_waitcnt lgkmcnt(2)
	v_fma_f64 v[76:77], -v[106:107], v[124:125], v[76:77]
	v_fma_f64 v[74:75], -v[106:107], v[126:127], v[74:75]
	ds_read2_b64 v[124:127], v114 offset0:21 offset1:22
	s_waitcnt lgkmcnt(2)
	v_fma_f64 v[72:73], -v[106:107], v[128:129], v[72:73]
	;; [unrolled: 4-line block ×3, first 2 shown]
	v_fma_f64 v[66:67], -v[106:107], v[122:123], v[66:67]
	s_waitcnt lgkmcnt(1)
	v_fma_f64 v[64:65], -v[106:107], v[124:125], v[64:65]
	ds_read2_b64 v[120:123], v114 offset0:25 offset1:26
	v_fma_f64 v[62:63], -v[106:107], v[126:127], v[62:63]
	ds_read2_b64 v[124:127], v114 offset0:27 offset1:28
	s_waitcnt lgkmcnt(2)
	v_fma_f64 v[60:61], -v[106:107], v[128:129], v[60:61]
	v_fma_f64 v[58:59], -v[106:107], v[130:131], v[58:59]
	s_waitcnt lgkmcnt(1)
	v_fma_f64 v[56:57], -v[106:107], v[120:121], v[56:57]
	ds_read2_b64 v[128:131], v114 offset0:29 offset1:30
	v_fma_f64 v[54:55], -v[106:107], v[122:123], v[54:55]
	ds_read2_b64 v[120:123], v114 offset0:31 offset1:32
	s_waitcnt lgkmcnt(2)
	v_fma_f64 v[52:53], -v[106:107], v[124:125], v[52:53]
	v_fma_f64 v[50:51], -v[106:107], v[126:127], v[50:51]
	ds_read2_b64 v[124:127], v114 offset0:33 offset1:34
	s_waitcnt lgkmcnt(2)
	v_fma_f64 v[48:49], -v[106:107], v[128:129], v[48:49]
	;; [unrolled: 4-line block ×3, first 2 shown]
	v_fma_f64 v[42:43], -v[106:107], v[122:123], v[42:43]
	s_waitcnt lgkmcnt(1)
	v_fma_f64 v[40:41], -v[106:107], v[124:125], v[40:41]
	ds_read2_b64 v[120:123], v114 offset0:37 offset1:38
	v_fma_f64 v[38:39], -v[106:107], v[126:127], v[38:39]
	ds_read2_b64 v[124:127], v114 offset0:39 offset1:40
	s_waitcnt lgkmcnt(2)
	v_fma_f64 v[36:37], -v[106:107], v[128:129], v[36:37]
	v_fma_f64 v[34:35], -v[106:107], v[130:131], v[34:35]
	s_waitcnt lgkmcnt(1)
	v_fma_f64 v[32:33], -v[106:107], v[120:121], v[32:33]
	ds_read2_b64 v[128:131], v114 offset0:41 offset1:42
	v_fma_f64 v[30:31], -v[106:107], v[122:123], v[30:31]
	ds_read2_b64 v[120:123], v114 offset0:43 offset1:44
	s_waitcnt lgkmcnt(2)
	v_fma_f64 v[28:29], -v[106:107], v[124:125], v[28:29]
	v_fma_f64 v[26:27], -v[106:107], v[126:127], v[26:27]
	ds_read2_b64 v[124:127], v114 offset0:45 offset1:46
	s_waitcnt lgkmcnt(2)
	v_fma_f64 v[24:25], -v[106:107], v[128:129], v[24:25]
	v_fma_f64 v[22:23], -v[106:107], v[130:131], v[22:23]
	s_waitcnt lgkmcnt(1)
	v_fma_f64 v[20:21], -v[106:107], v[120:121], v[20:21]
	v_fma_f64 v[18:19], -v[106:107], v[122:123], v[18:19]
	ds_read2_b64 v[120:123], v114 offset0:47 offset1:48
	s_waitcnt lgkmcnt(1)
	v_fma_f64 v[16:17], -v[106:107], v[124:125], v[16:17]
	ds_read2_b64 v[128:131], v114 offset0:49 offset1:50
	v_fma_f64 v[14:15], -v[106:107], v[126:127], v[14:15]
	ds_read2_b64 v[124:127], v114 offset0:51 offset1:52
	s_waitcnt lgkmcnt(2)
	v_fma_f64 v[12:13], -v[106:107], v[120:121], v[12:13]
	v_fma_f64 v[10:11], -v[106:107], v[122:123], v[10:11]
	s_waitcnt lgkmcnt(1)
	v_fma_f64 v[8:9], -v[106:107], v[128:129], v[8:9]
	v_fma_f64 v[6:7], -v[106:107], v[130:131], v[6:7]
	;; [unrolled: 3-line block ×3, first 2 shown]
.LBB104_16:
	s_or_b64 exec, exec, s[2:3]
	v_lshl_add_u32 v110, v115, 3, v114
	s_barrier
	s_waitcnt vmcnt(0)
	ds_write_b64 v110, v[104:105]
	s_waitcnt lgkmcnt(0)
	s_barrier
	ds_read_b64 v[110:111], v114 offset:8
	s_cmp_lt_i32 s18, 3
	v_mov_b32_e32 v112, 1
	s_cbranch_scc1 .LBB104_19
; %bb.17:
	v_add3_u32 v118, v119, 0, 16
	s_mov_b32 s2, 2
	v_mov_b32_e32 v112, 1
.LBB104_18:                             ; =>This Inner Loop Header: Depth=1
	ds_read_b64 v[120:121], v118
	v_mov_b32_e32 v122, s2
	s_add_i32 s2, s2, 1
	v_add_u32_e32 v118, 8, v118
	s_cmp_lg_u32 s18, s2
	s_waitcnt lgkmcnt(0)
	v_cmp_lt_f64_e64 vcc, |v[110:111]|, |v[120:121]|
	v_cndmask_b32_e32 v111, v111, v121, vcc
	v_cndmask_b32_e32 v110, v110, v120, vcc
	;; [unrolled: 1-line block ×3, first 2 shown]
	s_cbranch_scc1 .LBB104_18
.LBB104_19:
	v_cmp_ne_u32_e32 vcc, v115, v112
	s_and_saveexec_b64 s[2:3], vcc
	s_xor_b64 s[2:3], exec, s[2:3]
	s_cbranch_execz .LBB104_25
; %bb.20:
	v_cmp_eq_u32_e32 vcc, 1, v115
	s_and_saveexec_b64 s[14:15], vcc
	s_cbranch_execz .LBB104_24
; %bb.21:
	v_cmp_ne_u32_e32 vcc, 1, v112
	s_xor_b64 s[16:17], s[6:7], -1
	s_and_b64 s[20:21], s[16:17], vcc
	s_and_saveexec_b64 s[16:17], s[20:21]
	s_cbranch_execz .LBB104_23
; %bb.22:
	v_ashrrev_i32_e32 v113, 31, v112
	v_lshlrev_b64 v[120:121], 2, v[112:113]
	v_add_co_u32_e32 v120, vcc, v4, v120
	v_addc_co_u32_e32 v121, vcc, v5, v121, vcc
	flat_load_dword v113, v[120:121]
	flat_load_dword v115, v[4:5] offset:4
	s_waitcnt vmcnt(0) lgkmcnt(0)
	flat_store_dword v[4:5], v113 offset:4
	flat_store_dword v[120:121], v115
.LBB104_23:
	s_or_b64 exec, exec, s[16:17]
	v_mov_b32_e32 v113, v112
	v_mov_b32_e32 v115, v112
.LBB104_24:
	s_or_b64 exec, exec, s[14:15]
.LBB104_25:
	s_andn2_saveexec_b64 s[2:3], s[2:3]
	s_cbranch_execz .LBB104_27
; %bb.26:
	v_mov_b32_e32 v120, v102
	v_mov_b32_e32 v121, v103
	v_mov_b32_e32 v122, v100
	v_mov_b32_e32 v123, v101
	ds_write2_b64 v114, v[120:121], v[122:123] offset0:2 offset1:3
	v_mov_b32_e32 v120, v98
	v_mov_b32_e32 v121, v99
	v_mov_b32_e32 v122, v96
	v_mov_b32_e32 v123, v97
	ds_write2_b64 v114, v[120:121], v[122:123] offset0:4 offset1:5
	;; [unrolled: 5-line block ×24, first 2 shown]
	v_mov_b32_e32 v120, v6
	v_mov_b32_e32 v121, v7
	;; [unrolled: 1-line block ×5, first 2 shown]
	ds_write2_b64 v114, v[120:121], v[122:123] offset0:50 offset1:51
	ds_write_b64 v114, v[108:109] offset:416
.LBB104_27:
	s_or_b64 exec, exec, s[2:3]
	s_waitcnt lgkmcnt(0)
	v_cmp_neq_f64_e64 s[2:3], 0, v[110:111]
	v_cmp_lt_i32_e32 vcc, 1, v115
	s_barrier
	s_and_saveexec_b64 s[14:15], vcc
	s_cbranch_execz .LBB104_29
; %bb.28:
	v_div_scale_f64 v[120:121], s[16:17], v[110:111], v[110:111], 1.0
	v_rcp_f64_e32 v[122:123], v[120:121]
	v_div_scale_f64 v[124:125], vcc, 1.0, v[110:111], 1.0
	ds_read2_b64 v[128:131], v114 offset0:6 offset1:7
	v_fma_f64 v[126:127], -v[120:121], v[122:123], 1.0
	v_fmac_f64_e32 v[122:123], v[122:123], v[126:127]
	v_fma_f64 v[126:127], -v[120:121], v[122:123], 1.0
	v_fmac_f64_e32 v[122:123], v[122:123], v[126:127]
	v_mul_f64 v[126:127], v[124:125], v[122:123]
	v_fma_f64 v[120:121], -v[120:121], v[126:127], v[124:125]
	v_div_fmas_f64 v[120:121], v[120:121], v[122:123], v[126:127]
	v_div_fixup_f64 v[124:125], v[120:121], v[110:111], 1.0
	ds_read2_b64 v[120:123], v114 offset0:2 offset1:3
	v_cndmask_b32_e64 v111, v111, v125, s[2:3]
	v_cndmask_b32_e64 v110, v110, v124, s[2:3]
	ds_read2_b64 v[124:127], v114 offset0:4 offset1:5
	v_mul_f64 v[104:105], v[110:111], v[104:105]
	s_waitcnt lgkmcnt(0)
	v_fma_f64 v[102:103], -v[104:105], v[120:121], v[102:103]
	v_fma_f64 v[100:101], -v[104:105], v[122:123], v[100:101]
	ds_read2_b64 v[120:123], v114 offset0:8 offset1:9
	v_fma_f64 v[98:99], -v[104:105], v[124:125], v[98:99]
	v_fma_f64 v[96:97], -v[104:105], v[126:127], v[96:97]
	;; [unrolled: 1-line block ×3, first 2 shown]
	ds_read2_b64 v[124:127], v114 offset0:10 offset1:11
	v_fma_f64 v[92:93], -v[104:105], v[130:131], v[92:93]
	ds_read2_b64 v[128:131], v114 offset0:12 offset1:13
	s_waitcnt lgkmcnt(0)
	v_fma_f64 v[90:91], -v[104:105], v[120:121], v[90:91]
	v_fma_f64 v[88:89], -v[104:105], v[122:123], v[88:89]
	ds_read2_b64 v[120:123], v114 offset0:14 offset1:15
	v_fma_f64 v[86:87], -v[104:105], v[124:125], v[86:87]
	v_fma_f64 v[84:85], -v[104:105], v[126:127], v[84:85]
	ds_read2_b64 v[124:127], v114 offset0:16 offset1:17
	v_fma_f64 v[82:83], -v[104:105], v[128:129], v[82:83]
	v_fma_f64 v[80:81], -v[104:105], v[130:131], v[80:81]
	s_waitcnt lgkmcnt(0)
	v_fma_f64 v[78:79], -v[104:105], v[120:121], v[78:79]
	ds_read2_b64 v[128:131], v114 offset0:18 offset1:19
	v_fma_f64 v[76:77], -v[104:105], v[122:123], v[76:77]
	ds_read2_b64 v[120:123], v114 offset0:20 offset1:21
	v_fma_f64 v[74:75], -v[104:105], v[124:125], v[74:75]
	v_fma_f64 v[72:73], -v[104:105], v[126:127], v[72:73]
	s_waitcnt lgkmcnt(0)
	v_fma_f64 v[70:71], -v[104:105], v[128:129], v[70:71]
	ds_read2_b64 v[124:127], v114 offset0:22 offset1:23
	v_fma_f64 v[68:69], -v[104:105], v[130:131], v[68:69]
	ds_read2_b64 v[128:131], v114 offset0:24 offset1:25
	v_fma_f64 v[66:67], -v[104:105], v[120:121], v[66:67]
	v_fma_f64 v[64:65], -v[104:105], v[122:123], v[64:65]
	ds_read2_b64 v[120:123], v114 offset0:26 offset1:27
	s_waitcnt lgkmcnt(0)
	v_fma_f64 v[62:63], -v[104:105], v[124:125], v[62:63]
	v_fma_f64 v[60:61], -v[104:105], v[126:127], v[60:61]
	ds_read2_b64 v[124:127], v114 offset0:28 offset1:29
	v_fma_f64 v[58:59], -v[104:105], v[128:129], v[58:59]
	v_fma_f64 v[56:57], -v[104:105], v[130:131], v[56:57]
	;; [unrolled: 1-line block ×3, first 2 shown]
	ds_read2_b64 v[128:131], v114 offset0:30 offset1:31
	v_fma_f64 v[52:53], -v[104:105], v[122:123], v[52:53]
	ds_read2_b64 v[120:123], v114 offset0:32 offset1:33
	s_waitcnt lgkmcnt(0)
	v_fma_f64 v[50:51], -v[104:105], v[124:125], v[50:51]
	v_fma_f64 v[48:49], -v[104:105], v[126:127], v[48:49]
	;; [unrolled: 1-line block ×3, first 2 shown]
	ds_read2_b64 v[124:127], v114 offset0:34 offset1:35
	v_fma_f64 v[44:45], -v[104:105], v[130:131], v[44:45]
	ds_read2_b64 v[128:131], v114 offset0:36 offset1:37
	v_fma_f64 v[42:43], -v[104:105], v[120:121], v[42:43]
	v_fma_f64 v[40:41], -v[104:105], v[122:123], v[40:41]
	ds_read2_b64 v[120:123], v114 offset0:38 offset1:39
	s_waitcnt lgkmcnt(0)
	v_fma_f64 v[38:39], -v[104:105], v[124:125], v[38:39]
	v_fma_f64 v[36:37], -v[104:105], v[126:127], v[36:37]
	ds_read2_b64 v[124:127], v114 offset0:40 offset1:41
	v_fma_f64 v[34:35], -v[104:105], v[128:129], v[34:35]
	v_fma_f64 v[32:33], -v[104:105], v[130:131], v[32:33]
	;; [unrolled: 1-line block ×3, first 2 shown]
	ds_read2_b64 v[128:131], v114 offset0:42 offset1:43
	v_fma_f64 v[28:29], -v[104:105], v[122:123], v[28:29]
	ds_read2_b64 v[120:123], v114 offset0:44 offset1:45
	s_waitcnt lgkmcnt(0)
	v_fma_f64 v[26:27], -v[104:105], v[124:125], v[26:27]
	v_fma_f64 v[24:25], -v[104:105], v[126:127], v[24:25]
	;; [unrolled: 1-line block ×3, first 2 shown]
	ds_read2_b64 v[124:127], v114 offset0:46 offset1:47
	v_fma_f64 v[20:21], -v[104:105], v[130:131], v[20:21]
	v_fma_f64 v[18:19], -v[104:105], v[120:121], v[18:19]
	;; [unrolled: 1-line block ×3, first 2 shown]
	ds_read2_b64 v[120:123], v114 offset0:48 offset1:49
	ds_read2_b64 v[128:131], v114 offset0:50 offset1:51
	ds_read_b64 v[110:111], v114 offset:416
	s_waitcnt lgkmcnt(0)
	v_fma_f64 v[14:15], -v[104:105], v[124:125], v[14:15]
	v_fma_f64 v[12:13], -v[104:105], v[126:127], v[12:13]
	;; [unrolled: 1-line block ×7, first 2 shown]
.LBB104_29:
	s_or_b64 exec, exec, s[14:15]
	v_lshl_add_u32 v110, v115, 3, v114
	s_barrier
	ds_write_b64 v110, v[102:103]
	s_waitcnt lgkmcnt(0)
	s_barrier
	ds_read_b64 v[110:111], v114 offset:16
	s_mov_b32 s9, 3
	s_cmp_lt_i32 s18, 4
	v_mov_b32_e32 v112, 2
	s_cbranch_scc1 .LBB104_32
; %bb.30:
	v_add3_u32 v118, v119, 0, 24
	v_mov_b32_e32 v112, 2
.LBB104_31:                             ; =>This Inner Loop Header: Depth=1
	ds_read_b64 v[120:121], v118
	v_mov_b32_e32 v122, s9
	s_add_i32 s9, s9, 1
	v_add_u32_e32 v118, 8, v118
	s_cmp_lg_u32 s18, s9
	s_waitcnt lgkmcnt(0)
	v_cmp_lt_f64_e64 vcc, |v[110:111]|, |v[120:121]|
	v_cndmask_b32_e32 v111, v111, v121, vcc
	v_cndmask_b32_e32 v110, v110, v120, vcc
	;; [unrolled: 1-line block ×3, first 2 shown]
	s_cbranch_scc1 .LBB104_31
.LBB104_32:
	v_cndmask_b32_e64 v118, 2, 1, s[0:1]
	v_cndmask_b32_e64 v120, 0, 1, s[0:1]
	;; [unrolled: 1-line block ×3, first 2 shown]
	s_waitcnt lgkmcnt(0)
	v_cmp_eq_f64_e32 vcc, 0, v[110:111]
	s_and_saveexec_b64 s[0:1], vcc
	s_xor_b64 s[0:1], exec, s[0:1]
; %bb.33:
	v_cmp_ne_u32_e32 vcc, 0, v118
	v_cndmask_b32_e32 v118, 3, v118, vcc
; %bb.34:
	s_andn2_saveexec_b64 s[0:1], s[0:1]
; %bb.35:
	v_div_scale_f64 v[120:121], s[2:3], v[110:111], v[110:111], 1.0
	v_rcp_f64_e32 v[122:123], v[120:121]
	v_div_scale_f64 v[124:125], vcc, 1.0, v[110:111], 1.0
	v_fma_f64 v[126:127], -v[120:121], v[122:123], 1.0
	v_fmac_f64_e32 v[122:123], v[122:123], v[126:127]
	v_fma_f64 v[126:127], -v[120:121], v[122:123], 1.0
	v_fmac_f64_e32 v[122:123], v[122:123], v[126:127]
	v_mul_f64 v[126:127], v[124:125], v[122:123]
	v_fma_f64 v[120:121], -v[120:121], v[126:127], v[124:125]
	v_div_fmas_f64 v[120:121], v[120:121], v[122:123], v[126:127]
	v_div_fixup_f64 v[110:111], v[120:121], v[110:111], 1.0
; %bb.36:
	s_or_b64 exec, exec, s[0:1]
	v_cmp_ne_u32_e32 vcc, v115, v112
	s_and_saveexec_b64 s[0:1], vcc
	s_xor_b64 s[0:1], exec, s[0:1]
	s_cbranch_execz .LBB104_42
; %bb.37:
	v_cmp_eq_u32_e32 vcc, 2, v115
	s_and_saveexec_b64 s[2:3], vcc
	s_cbranch_execz .LBB104_41
; %bb.38:
	v_cmp_ne_u32_e32 vcc, 2, v112
	s_xor_b64 s[14:15], s[6:7], -1
	s_and_b64 s[16:17], s[14:15], vcc
	s_and_saveexec_b64 s[14:15], s[16:17]
	s_cbranch_execz .LBB104_40
; %bb.39:
	v_ashrrev_i32_e32 v113, 31, v112
	v_lshlrev_b64 v[120:121], 2, v[112:113]
	v_add_co_u32_e32 v120, vcc, v4, v120
	v_addc_co_u32_e32 v121, vcc, v5, v121, vcc
	flat_load_dword v113, v[120:121]
	flat_load_dword v115, v[4:5] offset:8
	s_waitcnt vmcnt(0) lgkmcnt(0)
	flat_store_dword v[4:5], v113 offset:8
	flat_store_dword v[120:121], v115
.LBB104_40:
	s_or_b64 exec, exec, s[14:15]
	v_mov_b32_e32 v113, v112
	v_mov_b32_e32 v115, v112
.LBB104_41:
	s_or_b64 exec, exec, s[2:3]
.LBB104_42:
	s_andn2_saveexec_b64 s[0:1], s[0:1]
	s_cbranch_execz .LBB104_44
; %bb.43:
	v_mov_b32_e32 v115, 2
	ds_write2_b64 v114, v[100:101], v[98:99] offset0:3 offset1:4
	ds_write2_b64 v114, v[96:97], v[94:95] offset0:5 offset1:6
	;; [unrolled: 1-line block ×25, first 2 shown]
.LBB104_44:
	s_or_b64 exec, exec, s[0:1]
	v_cmp_lt_i32_e32 vcc, 2, v115
	s_waitcnt lgkmcnt(0)
	s_barrier
	s_and_saveexec_b64 s[0:1], vcc
	s_cbranch_execz .LBB104_46
; %bb.45:
	ds_read2_b64 v[120:123], v114 offset0:3 offset1:4
	ds_read2_b64 v[124:127], v114 offset0:5 offset1:6
	v_mul_f64 v[102:103], v[110:111], v[102:103]
	ds_read2_b64 v[128:131], v114 offset0:7 offset1:8
	s_waitcnt lgkmcnt(0)
	v_fma_f64 v[100:101], -v[102:103], v[120:121], v[100:101]
	v_fma_f64 v[98:99], -v[102:103], v[122:123], v[98:99]
	ds_read2_b64 v[120:123], v114 offset0:9 offset1:10
	v_fma_f64 v[96:97], -v[102:103], v[124:125], v[96:97]
	v_fma_f64 v[94:95], -v[102:103], v[126:127], v[94:95]
	v_fma_f64 v[92:93], -v[102:103], v[128:129], v[92:93]
	ds_read2_b64 v[124:127], v114 offset0:11 offset1:12
	v_fma_f64 v[90:91], -v[102:103], v[130:131], v[90:91]
	ds_read2_b64 v[128:131], v114 offset0:13 offset1:14
	s_waitcnt lgkmcnt(0)
	v_fma_f64 v[88:89], -v[102:103], v[120:121], v[88:89]
	v_fma_f64 v[86:87], -v[102:103], v[122:123], v[86:87]
	ds_read2_b64 v[120:123], v114 offset0:15 offset1:16
	v_fma_f64 v[84:85], -v[102:103], v[124:125], v[84:85]
	v_fma_f64 v[82:83], -v[102:103], v[126:127], v[82:83]
	ds_read2_b64 v[124:127], v114 offset0:17 offset1:18
	v_fma_f64 v[80:81], -v[102:103], v[128:129], v[80:81]
	v_fma_f64 v[78:79], -v[102:103], v[130:131], v[78:79]
	s_waitcnt lgkmcnt(0)
	v_fma_f64 v[76:77], -v[102:103], v[120:121], v[76:77]
	ds_read2_b64 v[128:131], v114 offset0:19 offset1:20
	v_fma_f64 v[74:75], -v[102:103], v[122:123], v[74:75]
	ds_read2_b64 v[120:123], v114 offset0:21 offset1:22
	v_fma_f64 v[72:73], -v[102:103], v[124:125], v[72:73]
	v_fma_f64 v[70:71], -v[102:103], v[126:127], v[70:71]
	s_waitcnt lgkmcnt(0)
	v_fma_f64 v[68:69], -v[102:103], v[128:129], v[68:69]
	ds_read2_b64 v[124:127], v114 offset0:23 offset1:24
	v_fma_f64 v[66:67], -v[102:103], v[130:131], v[66:67]
	ds_read2_b64 v[128:131], v114 offset0:25 offset1:26
	v_fma_f64 v[64:65], -v[102:103], v[120:121], v[64:65]
	v_fma_f64 v[62:63], -v[102:103], v[122:123], v[62:63]
	ds_read2_b64 v[120:123], v114 offset0:27 offset1:28
	s_waitcnt lgkmcnt(0)
	v_fma_f64 v[60:61], -v[102:103], v[124:125], v[60:61]
	v_fma_f64 v[58:59], -v[102:103], v[126:127], v[58:59]
	ds_read2_b64 v[124:127], v114 offset0:29 offset1:30
	v_fma_f64 v[56:57], -v[102:103], v[128:129], v[56:57]
	v_fma_f64 v[54:55], -v[102:103], v[130:131], v[54:55]
	;; [unrolled: 1-line block ×3, first 2 shown]
	ds_read2_b64 v[128:131], v114 offset0:31 offset1:32
	v_fma_f64 v[50:51], -v[102:103], v[122:123], v[50:51]
	ds_read2_b64 v[120:123], v114 offset0:33 offset1:34
	s_waitcnt lgkmcnt(0)
	v_fma_f64 v[48:49], -v[102:103], v[124:125], v[48:49]
	v_fma_f64 v[46:47], -v[102:103], v[126:127], v[46:47]
	;; [unrolled: 1-line block ×3, first 2 shown]
	ds_read2_b64 v[124:127], v114 offset0:35 offset1:36
	v_fma_f64 v[42:43], -v[102:103], v[130:131], v[42:43]
	ds_read2_b64 v[128:131], v114 offset0:37 offset1:38
	v_fma_f64 v[40:41], -v[102:103], v[120:121], v[40:41]
	v_fma_f64 v[38:39], -v[102:103], v[122:123], v[38:39]
	ds_read2_b64 v[120:123], v114 offset0:39 offset1:40
	s_waitcnt lgkmcnt(0)
	v_fma_f64 v[36:37], -v[102:103], v[124:125], v[36:37]
	v_fma_f64 v[34:35], -v[102:103], v[126:127], v[34:35]
	ds_read2_b64 v[124:127], v114 offset0:41 offset1:42
	v_fma_f64 v[32:33], -v[102:103], v[128:129], v[32:33]
	v_fma_f64 v[30:31], -v[102:103], v[130:131], v[30:31]
	;; [unrolled: 1-line block ×3, first 2 shown]
	ds_read2_b64 v[128:131], v114 offset0:43 offset1:44
	v_fma_f64 v[26:27], -v[102:103], v[122:123], v[26:27]
	ds_read2_b64 v[120:123], v114 offset0:45 offset1:46
	s_waitcnt lgkmcnt(0)
	v_fma_f64 v[24:25], -v[102:103], v[124:125], v[24:25]
	v_fma_f64 v[22:23], -v[102:103], v[126:127], v[22:23]
	;; [unrolled: 1-line block ×4, first 2 shown]
	ds_read2_b64 v[124:127], v114 offset0:47 offset1:48
	ds_read2_b64 v[128:131], v114 offset0:49 offset1:50
	v_fma_f64 v[16:17], -v[102:103], v[120:121], v[16:17]
	v_fma_f64 v[14:15], -v[102:103], v[122:123], v[14:15]
	ds_read2_b64 v[120:123], v114 offset0:51 offset1:52
	s_waitcnt lgkmcnt(0)
	v_fma_f64 v[12:13], -v[102:103], v[124:125], v[12:13]
	v_fma_f64 v[10:11], -v[102:103], v[126:127], v[10:11]
	;; [unrolled: 1-line block ×6, first 2 shown]
.LBB104_46:
	s_or_b64 exec, exec, s[0:1]
	v_lshl_add_u32 v110, v115, 3, v114
	s_barrier
	ds_write_b64 v110, v[100:101]
	s_waitcnt lgkmcnt(0)
	s_barrier
	ds_read_b64 v[110:111], v114 offset:24
	s_cmp_lt_i32 s18, 5
	v_mov_b32_e32 v112, 3
	s_cbranch_scc1 .LBB104_49
; %bb.47:
	v_add3_u32 v120, v119, 0, 32
	s_mov_b32 s0, 4
	v_mov_b32_e32 v112, 3
.LBB104_48:                             ; =>This Inner Loop Header: Depth=1
	ds_read_b64 v[122:123], v120
	v_mov_b32_e32 v121, s0
	s_add_i32 s0, s0, 1
	v_add_u32_e32 v120, 8, v120
	s_cmp_lg_u32 s18, s0
	s_waitcnt lgkmcnt(0)
	v_cmp_lt_f64_e64 vcc, |v[110:111]|, |v[122:123]|
	v_cndmask_b32_e32 v111, v111, v123, vcc
	v_cndmask_b32_e32 v110, v110, v122, vcc
	;; [unrolled: 1-line block ×3, first 2 shown]
	s_cbranch_scc1 .LBB104_48
.LBB104_49:
	s_waitcnt lgkmcnt(0)
	v_cmp_eq_f64_e32 vcc, 0, v[110:111]
	s_and_saveexec_b64 s[0:1], vcc
	s_xor_b64 s[0:1], exec, s[0:1]
; %bb.50:
	v_cmp_ne_u32_e32 vcc, 0, v118
	v_cndmask_b32_e32 v118, 4, v118, vcc
; %bb.51:
	s_andn2_saveexec_b64 s[0:1], s[0:1]
; %bb.52:
	v_div_scale_f64 v[120:121], s[2:3], v[110:111], v[110:111], 1.0
	v_rcp_f64_e32 v[122:123], v[120:121]
	v_div_scale_f64 v[124:125], vcc, 1.0, v[110:111], 1.0
	v_fma_f64 v[126:127], -v[120:121], v[122:123], 1.0
	v_fmac_f64_e32 v[122:123], v[122:123], v[126:127]
	v_fma_f64 v[126:127], -v[120:121], v[122:123], 1.0
	v_fmac_f64_e32 v[122:123], v[122:123], v[126:127]
	v_mul_f64 v[126:127], v[124:125], v[122:123]
	v_fma_f64 v[120:121], -v[120:121], v[126:127], v[124:125]
	v_div_fmas_f64 v[120:121], v[120:121], v[122:123], v[126:127]
	v_div_fixup_f64 v[110:111], v[120:121], v[110:111], 1.0
; %bb.53:
	s_or_b64 exec, exec, s[0:1]
	v_cmp_ne_u32_e32 vcc, v115, v112
	s_and_saveexec_b64 s[0:1], vcc
	s_xor_b64 s[0:1], exec, s[0:1]
	s_cbranch_execz .LBB104_59
; %bb.54:
	v_cmp_eq_u32_e32 vcc, 3, v115
	s_and_saveexec_b64 s[2:3], vcc
	s_cbranch_execz .LBB104_58
; %bb.55:
	v_cmp_ne_u32_e32 vcc, 3, v112
	s_xor_b64 s[14:15], s[6:7], -1
	s_and_b64 s[16:17], s[14:15], vcc
	s_and_saveexec_b64 s[14:15], s[16:17]
	s_cbranch_execz .LBB104_57
; %bb.56:
	v_ashrrev_i32_e32 v113, 31, v112
	v_lshlrev_b64 v[120:121], 2, v[112:113]
	v_add_co_u32_e32 v120, vcc, v4, v120
	v_addc_co_u32_e32 v121, vcc, v5, v121, vcc
	flat_load_dword v113, v[120:121]
	flat_load_dword v115, v[4:5] offset:12
	s_waitcnt vmcnt(0) lgkmcnt(0)
	flat_store_dword v[4:5], v113 offset:12
	flat_store_dword v[120:121], v115
.LBB104_57:
	s_or_b64 exec, exec, s[14:15]
	v_mov_b32_e32 v113, v112
	v_mov_b32_e32 v115, v112
.LBB104_58:
	s_or_b64 exec, exec, s[2:3]
.LBB104_59:
	s_andn2_saveexec_b64 s[0:1], s[0:1]
	s_cbranch_execz .LBB104_61
; %bb.60:
	v_mov_b32_e32 v120, v98
	v_mov_b32_e32 v121, v99
	v_mov_b32_e32 v122, v96
	v_mov_b32_e32 v123, v97
	ds_write2_b64 v114, v[120:121], v[122:123] offset0:4 offset1:5
	v_mov_b32_e32 v120, v94
	v_mov_b32_e32 v121, v95
	v_mov_b32_e32 v122, v92
	v_mov_b32_e32 v123, v93
	ds_write2_b64 v114, v[120:121], v[122:123] offset0:6 offset1:7
	v_mov_b32_e32 v120, v90
	v_mov_b32_e32 v121, v91
	v_mov_b32_e32 v122, v88
	v_mov_b32_e32 v123, v89
	ds_write2_b64 v114, v[120:121], v[122:123] offset0:8 offset1:9
	v_mov_b32_e32 v120, v86
	v_mov_b32_e32 v121, v87
	v_mov_b32_e32 v122, v84
	v_mov_b32_e32 v123, v85
	ds_write2_b64 v114, v[120:121], v[122:123] offset0:10 offset1:11
	v_mov_b32_e32 v120, v82
	v_mov_b32_e32 v121, v83
	v_mov_b32_e32 v122, v80
	v_mov_b32_e32 v123, v81
	ds_write2_b64 v114, v[120:121], v[122:123] offset0:12 offset1:13
	v_mov_b32_e32 v120, v78
	v_mov_b32_e32 v121, v79
	v_mov_b32_e32 v122, v76
	v_mov_b32_e32 v123, v77
	ds_write2_b64 v114, v[120:121], v[122:123] offset0:14 offset1:15
	v_mov_b32_e32 v120, v74
	v_mov_b32_e32 v121, v75
	v_mov_b32_e32 v122, v72
	v_mov_b32_e32 v123, v73
	ds_write2_b64 v114, v[120:121], v[122:123] offset0:16 offset1:17
	v_mov_b32_e32 v120, v70
	v_mov_b32_e32 v121, v71
	v_mov_b32_e32 v122, v68
	v_mov_b32_e32 v123, v69
	ds_write2_b64 v114, v[120:121], v[122:123] offset0:18 offset1:19
	v_mov_b32_e32 v120, v66
	v_mov_b32_e32 v121, v67
	v_mov_b32_e32 v122, v64
	v_mov_b32_e32 v123, v65
	ds_write2_b64 v114, v[120:121], v[122:123] offset0:20 offset1:21
	v_mov_b32_e32 v120, v62
	v_mov_b32_e32 v121, v63
	v_mov_b32_e32 v122, v60
	v_mov_b32_e32 v123, v61
	ds_write2_b64 v114, v[120:121], v[122:123] offset0:22 offset1:23
	v_mov_b32_e32 v120, v58
	v_mov_b32_e32 v121, v59
	v_mov_b32_e32 v122, v56
	v_mov_b32_e32 v123, v57
	ds_write2_b64 v114, v[120:121], v[122:123] offset0:24 offset1:25
	v_mov_b32_e32 v120, v54
	v_mov_b32_e32 v121, v55
	v_mov_b32_e32 v122, v52
	v_mov_b32_e32 v123, v53
	ds_write2_b64 v114, v[120:121], v[122:123] offset0:26 offset1:27
	v_mov_b32_e32 v120, v50
	v_mov_b32_e32 v121, v51
	v_mov_b32_e32 v122, v48
	v_mov_b32_e32 v123, v49
	ds_write2_b64 v114, v[120:121], v[122:123] offset0:28 offset1:29
	v_mov_b32_e32 v120, v46
	v_mov_b32_e32 v121, v47
	v_mov_b32_e32 v122, v44
	v_mov_b32_e32 v123, v45
	ds_write2_b64 v114, v[120:121], v[122:123] offset0:30 offset1:31
	v_mov_b32_e32 v120, v42
	v_mov_b32_e32 v121, v43
	v_mov_b32_e32 v122, v40
	v_mov_b32_e32 v123, v41
	ds_write2_b64 v114, v[120:121], v[122:123] offset0:32 offset1:33
	v_mov_b32_e32 v120, v38
	v_mov_b32_e32 v121, v39
	v_mov_b32_e32 v122, v36
	v_mov_b32_e32 v123, v37
	ds_write2_b64 v114, v[120:121], v[122:123] offset0:34 offset1:35
	v_mov_b32_e32 v120, v34
	v_mov_b32_e32 v121, v35
	v_mov_b32_e32 v122, v32
	v_mov_b32_e32 v123, v33
	ds_write2_b64 v114, v[120:121], v[122:123] offset0:36 offset1:37
	v_mov_b32_e32 v120, v30
	v_mov_b32_e32 v121, v31
	v_mov_b32_e32 v122, v28
	v_mov_b32_e32 v123, v29
	ds_write2_b64 v114, v[120:121], v[122:123] offset0:38 offset1:39
	v_mov_b32_e32 v120, v26
	v_mov_b32_e32 v121, v27
	v_mov_b32_e32 v122, v24
	v_mov_b32_e32 v123, v25
	ds_write2_b64 v114, v[120:121], v[122:123] offset0:40 offset1:41
	v_mov_b32_e32 v120, v22
	v_mov_b32_e32 v121, v23
	v_mov_b32_e32 v122, v20
	v_mov_b32_e32 v123, v21
	ds_write2_b64 v114, v[120:121], v[122:123] offset0:42 offset1:43
	v_mov_b32_e32 v120, v18
	v_mov_b32_e32 v121, v19
	v_mov_b32_e32 v122, v16
	v_mov_b32_e32 v123, v17
	ds_write2_b64 v114, v[120:121], v[122:123] offset0:44 offset1:45
	v_mov_b32_e32 v120, v14
	v_mov_b32_e32 v121, v15
	v_mov_b32_e32 v122, v12
	v_mov_b32_e32 v123, v13
	ds_write2_b64 v114, v[120:121], v[122:123] offset0:46 offset1:47
	v_mov_b32_e32 v120, v10
	v_mov_b32_e32 v121, v11
	v_mov_b32_e32 v122, v8
	v_mov_b32_e32 v123, v9
	ds_write2_b64 v114, v[120:121], v[122:123] offset0:48 offset1:49
	v_mov_b32_e32 v120, v6
	v_mov_b32_e32 v121, v7
	;; [unrolled: 1-line block ×5, first 2 shown]
	ds_write2_b64 v114, v[120:121], v[122:123] offset0:50 offset1:51
	ds_write_b64 v114, v[108:109] offset:416
.LBB104_61:
	s_or_b64 exec, exec, s[0:1]
	v_cmp_lt_i32_e32 vcc, 3, v115
	s_waitcnt lgkmcnt(0)
	s_barrier
	s_and_saveexec_b64 s[0:1], vcc
	s_cbranch_execz .LBB104_63
; %bb.62:
	ds_read2_b64 v[120:123], v114 offset0:4 offset1:5
	ds_read2_b64 v[124:127], v114 offset0:6 offset1:7
	;; [unrolled: 1-line block ×3, first 2 shown]
	v_mul_f64 v[100:101], v[110:111], v[100:101]
	ds_read_b64 v[110:111], v114 offset:416
	s_waitcnt lgkmcnt(0)
	v_fma_f64 v[98:99], -v[100:101], v[120:121], v[98:99]
	v_fma_f64 v[96:97], -v[100:101], v[122:123], v[96:97]
	ds_read2_b64 v[120:123], v114 offset0:10 offset1:11
	v_fma_f64 v[94:95], -v[100:101], v[124:125], v[94:95]
	v_fma_f64 v[92:93], -v[100:101], v[126:127], v[92:93]
	v_fma_f64 v[90:91], -v[100:101], v[128:129], v[90:91]
	ds_read2_b64 v[124:127], v114 offset0:12 offset1:13
	v_fma_f64 v[88:89], -v[100:101], v[130:131], v[88:89]
	ds_read2_b64 v[128:131], v114 offset0:14 offset1:15
	s_waitcnt lgkmcnt(0)
	v_fma_f64 v[86:87], -v[100:101], v[120:121], v[86:87]
	v_fma_f64 v[84:85], -v[100:101], v[122:123], v[84:85]
	v_fma_f64 v[82:83], -v[100:101], v[124:125], v[82:83]
	ds_read2_b64 v[120:123], v114 offset0:16 offset1:17
	v_fma_f64 v[80:81], -v[100:101], v[126:127], v[80:81]
	ds_read2_b64 v[124:127], v114 offset0:18 offset1:19
	v_fma_f64 v[78:79], -v[100:101], v[128:129], v[78:79]
	v_fma_f64 v[76:77], -v[100:101], v[130:131], v[76:77]
	ds_read2_b64 v[128:131], v114 offset0:20 offset1:21
	s_waitcnt lgkmcnt(0)
	v_fma_f64 v[74:75], -v[100:101], v[120:121], v[74:75]
	v_fma_f64 v[72:73], -v[100:101], v[122:123], v[72:73]
	ds_read2_b64 v[120:123], v114 offset0:22 offset1:23
	v_fma_f64 v[70:71], -v[100:101], v[124:125], v[70:71]
	v_fma_f64 v[68:69], -v[100:101], v[126:127], v[68:69]
	v_fma_f64 v[66:67], -v[100:101], v[128:129], v[66:67]
	ds_read2_b64 v[124:127], v114 offset0:24 offset1:25
	v_fma_f64 v[64:65], -v[100:101], v[130:131], v[64:65]
	ds_read2_b64 v[128:131], v114 offset0:26 offset1:27
	s_waitcnt lgkmcnt(0)
	v_fma_f64 v[62:63], -v[100:101], v[120:121], v[62:63]
	v_fma_f64 v[60:61], -v[100:101], v[122:123], v[60:61]
	v_fma_f64 v[58:59], -v[100:101], v[124:125], v[58:59]
	ds_read2_b64 v[120:123], v114 offset0:28 offset1:29
	v_fma_f64 v[56:57], -v[100:101], v[126:127], v[56:57]
	ds_read2_b64 v[124:127], v114 offset0:30 offset1:31
	v_fma_f64 v[54:55], -v[100:101], v[128:129], v[54:55]
	v_fma_f64 v[52:53], -v[100:101], v[130:131], v[52:53]
	ds_read2_b64 v[128:131], v114 offset0:32 offset1:33
	;; [unrolled: 20-line block ×3, first 2 shown]
	s_waitcnt lgkmcnt(0)
	v_fma_f64 v[26:27], -v[100:101], v[120:121], v[26:27]
	v_fma_f64 v[24:25], -v[100:101], v[122:123], v[24:25]
	ds_read2_b64 v[120:123], v114 offset0:46 offset1:47
	v_fma_f64 v[22:23], -v[100:101], v[124:125], v[22:23]
	v_fma_f64 v[20:21], -v[100:101], v[126:127], v[20:21]
	;; [unrolled: 1-line block ×4, first 2 shown]
	ds_read2_b64 v[124:127], v114 offset0:48 offset1:49
	ds_read2_b64 v[128:131], v114 offset0:50 offset1:51
	s_waitcnt lgkmcnt(0)
	v_fma_f64 v[14:15], -v[100:101], v[120:121], v[14:15]
	v_fma_f64 v[12:13], -v[100:101], v[122:123], v[12:13]
	;; [unrolled: 1-line block ×7, first 2 shown]
.LBB104_63:
	s_or_b64 exec, exec, s[0:1]
	v_lshl_add_u32 v110, v115, 3, v114
	s_barrier
	ds_write_b64 v110, v[98:99]
	s_waitcnt lgkmcnt(0)
	s_barrier
	ds_read_b64 v[110:111], v114 offset:32
	s_cmp_lt_i32 s18, 6
	v_mov_b32_e32 v112, 4
	s_cbranch_scc1 .LBB104_66
; %bb.64:
	v_add3_u32 v120, v119, 0, 40
	s_mov_b32 s0, 5
	v_mov_b32_e32 v112, 4
.LBB104_65:                             ; =>This Inner Loop Header: Depth=1
	ds_read_b64 v[122:123], v120
	v_mov_b32_e32 v121, s0
	s_add_i32 s0, s0, 1
	v_add_u32_e32 v120, 8, v120
	s_cmp_lg_u32 s18, s0
	s_waitcnt lgkmcnt(0)
	v_cmp_lt_f64_e64 vcc, |v[110:111]|, |v[122:123]|
	v_cndmask_b32_e32 v111, v111, v123, vcc
	v_cndmask_b32_e32 v110, v110, v122, vcc
	;; [unrolled: 1-line block ×3, first 2 shown]
	s_cbranch_scc1 .LBB104_65
.LBB104_66:
	s_waitcnt lgkmcnt(0)
	v_cmp_eq_f64_e32 vcc, 0, v[110:111]
	s_and_saveexec_b64 s[0:1], vcc
	s_xor_b64 s[0:1], exec, s[0:1]
; %bb.67:
	v_cmp_ne_u32_e32 vcc, 0, v118
	v_cndmask_b32_e32 v118, 5, v118, vcc
; %bb.68:
	s_andn2_saveexec_b64 s[0:1], s[0:1]
; %bb.69:
	v_div_scale_f64 v[120:121], s[2:3], v[110:111], v[110:111], 1.0
	v_rcp_f64_e32 v[122:123], v[120:121]
	v_div_scale_f64 v[124:125], vcc, 1.0, v[110:111], 1.0
	v_fma_f64 v[126:127], -v[120:121], v[122:123], 1.0
	v_fmac_f64_e32 v[122:123], v[122:123], v[126:127]
	v_fma_f64 v[126:127], -v[120:121], v[122:123], 1.0
	v_fmac_f64_e32 v[122:123], v[122:123], v[126:127]
	v_mul_f64 v[126:127], v[124:125], v[122:123]
	v_fma_f64 v[120:121], -v[120:121], v[126:127], v[124:125]
	v_div_fmas_f64 v[120:121], v[120:121], v[122:123], v[126:127]
	v_div_fixup_f64 v[110:111], v[120:121], v[110:111], 1.0
; %bb.70:
	s_or_b64 exec, exec, s[0:1]
	v_cmp_ne_u32_e32 vcc, v115, v112
	s_and_saveexec_b64 s[0:1], vcc
	s_xor_b64 s[0:1], exec, s[0:1]
	s_cbranch_execz .LBB104_76
; %bb.71:
	v_cmp_eq_u32_e32 vcc, 4, v115
	s_and_saveexec_b64 s[2:3], vcc
	s_cbranch_execz .LBB104_75
; %bb.72:
	v_cmp_ne_u32_e32 vcc, 4, v112
	s_xor_b64 s[14:15], s[6:7], -1
	s_and_b64 s[16:17], s[14:15], vcc
	s_and_saveexec_b64 s[14:15], s[16:17]
	s_cbranch_execz .LBB104_74
; %bb.73:
	v_ashrrev_i32_e32 v113, 31, v112
	v_lshlrev_b64 v[120:121], 2, v[112:113]
	v_add_co_u32_e32 v120, vcc, v4, v120
	v_addc_co_u32_e32 v121, vcc, v5, v121, vcc
	flat_load_dword v113, v[120:121]
	flat_load_dword v115, v[4:5] offset:16
	s_waitcnt vmcnt(0) lgkmcnt(0)
	flat_store_dword v[4:5], v113 offset:16
	flat_store_dword v[120:121], v115
.LBB104_74:
	s_or_b64 exec, exec, s[14:15]
	v_mov_b32_e32 v113, v112
	v_mov_b32_e32 v115, v112
.LBB104_75:
	s_or_b64 exec, exec, s[2:3]
.LBB104_76:
	s_andn2_saveexec_b64 s[0:1], s[0:1]
	s_cbranch_execz .LBB104_78
; %bb.77:
	v_mov_b32_e32 v115, 4
	ds_write2_b64 v114, v[96:97], v[94:95] offset0:5 offset1:6
	ds_write2_b64 v114, v[92:93], v[90:91] offset0:7 offset1:8
	;; [unrolled: 1-line block ×24, first 2 shown]
.LBB104_78:
	s_or_b64 exec, exec, s[0:1]
	v_cmp_lt_i32_e32 vcc, 4, v115
	s_waitcnt lgkmcnt(0)
	s_barrier
	s_and_saveexec_b64 s[0:1], vcc
	s_cbranch_execz .LBB104_80
; %bb.79:
	ds_read2_b64 v[120:123], v114 offset0:5 offset1:6
	ds_read2_b64 v[124:127], v114 offset0:7 offset1:8
	;; [unrolled: 1-line block ×3, first 2 shown]
	v_mul_f64 v[98:99], v[110:111], v[98:99]
	s_waitcnt lgkmcnt(0)
	v_fma_f64 v[96:97], -v[98:99], v[120:121], v[96:97]
	v_fma_f64 v[94:95], -v[98:99], v[122:123], v[94:95]
	ds_read2_b64 v[120:123], v114 offset0:11 offset1:12
	v_fma_f64 v[92:93], -v[98:99], v[124:125], v[92:93]
	v_fma_f64 v[90:91], -v[98:99], v[126:127], v[90:91]
	v_fma_f64 v[88:89], -v[98:99], v[128:129], v[88:89]
	ds_read2_b64 v[124:127], v114 offset0:13 offset1:14
	v_fma_f64 v[86:87], -v[98:99], v[130:131], v[86:87]
	ds_read2_b64 v[128:131], v114 offset0:15 offset1:16
	s_waitcnt lgkmcnt(0)
	v_fma_f64 v[84:85], -v[98:99], v[120:121], v[84:85]
	v_fma_f64 v[82:83], -v[98:99], v[122:123], v[82:83]
	v_fma_f64 v[80:81], -v[98:99], v[124:125], v[80:81]
	ds_read2_b64 v[120:123], v114 offset0:17 offset1:18
	v_fma_f64 v[78:79], -v[98:99], v[126:127], v[78:79]
	ds_read2_b64 v[124:127], v114 offset0:19 offset1:20
	v_fma_f64 v[76:77], -v[98:99], v[128:129], v[76:77]
	v_fma_f64 v[74:75], -v[98:99], v[130:131], v[74:75]
	ds_read2_b64 v[128:131], v114 offset0:21 offset1:22
	s_waitcnt lgkmcnt(0)
	v_fma_f64 v[72:73], -v[98:99], v[120:121], v[72:73]
	v_fma_f64 v[70:71], -v[98:99], v[122:123], v[70:71]
	ds_read2_b64 v[120:123], v114 offset0:23 offset1:24
	v_fma_f64 v[68:69], -v[98:99], v[124:125], v[68:69]
	v_fma_f64 v[66:67], -v[98:99], v[126:127], v[66:67]
	v_fma_f64 v[64:65], -v[98:99], v[128:129], v[64:65]
	ds_read2_b64 v[124:127], v114 offset0:25 offset1:26
	v_fma_f64 v[62:63], -v[98:99], v[130:131], v[62:63]
	ds_read2_b64 v[128:131], v114 offset0:27 offset1:28
	s_waitcnt lgkmcnt(0)
	v_fma_f64 v[60:61], -v[98:99], v[120:121], v[60:61]
	v_fma_f64 v[58:59], -v[98:99], v[122:123], v[58:59]
	v_fma_f64 v[56:57], -v[98:99], v[124:125], v[56:57]
	ds_read2_b64 v[120:123], v114 offset0:29 offset1:30
	v_fma_f64 v[54:55], -v[98:99], v[126:127], v[54:55]
	ds_read2_b64 v[124:127], v114 offset0:31 offset1:32
	v_fma_f64 v[52:53], -v[98:99], v[128:129], v[52:53]
	v_fma_f64 v[50:51], -v[98:99], v[130:131], v[50:51]
	ds_read2_b64 v[128:131], v114 offset0:33 offset1:34
	;; [unrolled: 20-line block ×3, first 2 shown]
	s_waitcnt lgkmcnt(0)
	v_fma_f64 v[24:25], -v[98:99], v[120:121], v[24:25]
	v_fma_f64 v[22:23], -v[98:99], v[122:123], v[22:23]
	ds_read2_b64 v[120:123], v114 offset0:47 offset1:48
	v_fma_f64 v[20:21], -v[98:99], v[124:125], v[20:21]
	v_fma_f64 v[18:19], -v[98:99], v[126:127], v[18:19]
	;; [unrolled: 1-line block ×3, first 2 shown]
	ds_read2_b64 v[124:127], v114 offset0:49 offset1:50
	v_fma_f64 v[14:15], -v[98:99], v[130:131], v[14:15]
	ds_read2_b64 v[128:131], v114 offset0:51 offset1:52
	s_waitcnt lgkmcnt(0)
	v_fma_f64 v[12:13], -v[98:99], v[120:121], v[12:13]
	v_fma_f64 v[10:11], -v[98:99], v[122:123], v[10:11]
	;; [unrolled: 1-line block ×6, first 2 shown]
.LBB104_80:
	s_or_b64 exec, exec, s[0:1]
	v_lshl_add_u32 v110, v115, 3, v114
	s_barrier
	ds_write_b64 v110, v[96:97]
	s_waitcnt lgkmcnt(0)
	s_barrier
	ds_read_b64 v[110:111], v114 offset:40
	s_cmp_lt_i32 s18, 7
	v_mov_b32_e32 v112, 5
	s_cbranch_scc1 .LBB104_83
; %bb.81:
	v_add3_u32 v120, v119, 0, 48
	s_mov_b32 s0, 6
	v_mov_b32_e32 v112, 5
.LBB104_82:                             ; =>This Inner Loop Header: Depth=1
	ds_read_b64 v[122:123], v120
	v_mov_b32_e32 v121, s0
	s_add_i32 s0, s0, 1
	v_add_u32_e32 v120, 8, v120
	s_cmp_lg_u32 s18, s0
	s_waitcnt lgkmcnt(0)
	v_cmp_lt_f64_e64 vcc, |v[110:111]|, |v[122:123]|
	v_cndmask_b32_e32 v111, v111, v123, vcc
	v_cndmask_b32_e32 v110, v110, v122, vcc
	;; [unrolled: 1-line block ×3, first 2 shown]
	s_cbranch_scc1 .LBB104_82
.LBB104_83:
	s_waitcnt lgkmcnt(0)
	v_cmp_eq_f64_e32 vcc, 0, v[110:111]
	s_and_saveexec_b64 s[0:1], vcc
	s_xor_b64 s[0:1], exec, s[0:1]
; %bb.84:
	v_cmp_ne_u32_e32 vcc, 0, v118
	v_cndmask_b32_e32 v118, 6, v118, vcc
; %bb.85:
	s_andn2_saveexec_b64 s[0:1], s[0:1]
; %bb.86:
	v_div_scale_f64 v[120:121], s[2:3], v[110:111], v[110:111], 1.0
	v_rcp_f64_e32 v[122:123], v[120:121]
	v_div_scale_f64 v[124:125], vcc, 1.0, v[110:111], 1.0
	v_fma_f64 v[126:127], -v[120:121], v[122:123], 1.0
	v_fmac_f64_e32 v[122:123], v[122:123], v[126:127]
	v_fma_f64 v[126:127], -v[120:121], v[122:123], 1.0
	v_fmac_f64_e32 v[122:123], v[122:123], v[126:127]
	v_mul_f64 v[126:127], v[124:125], v[122:123]
	v_fma_f64 v[120:121], -v[120:121], v[126:127], v[124:125]
	v_div_fmas_f64 v[120:121], v[120:121], v[122:123], v[126:127]
	v_div_fixup_f64 v[110:111], v[120:121], v[110:111], 1.0
; %bb.87:
	s_or_b64 exec, exec, s[0:1]
	v_cmp_ne_u32_e32 vcc, v115, v112
	s_and_saveexec_b64 s[0:1], vcc
	s_xor_b64 s[0:1], exec, s[0:1]
	s_cbranch_execz .LBB104_93
; %bb.88:
	v_cmp_eq_u32_e32 vcc, 5, v115
	s_and_saveexec_b64 s[2:3], vcc
	s_cbranch_execz .LBB104_92
; %bb.89:
	v_cmp_ne_u32_e32 vcc, 5, v112
	s_xor_b64 s[14:15], s[6:7], -1
	s_and_b64 s[16:17], s[14:15], vcc
	s_and_saveexec_b64 s[14:15], s[16:17]
	s_cbranch_execz .LBB104_91
; %bb.90:
	v_ashrrev_i32_e32 v113, 31, v112
	v_lshlrev_b64 v[120:121], 2, v[112:113]
	v_add_co_u32_e32 v120, vcc, v4, v120
	v_addc_co_u32_e32 v121, vcc, v5, v121, vcc
	flat_load_dword v113, v[120:121]
	flat_load_dword v115, v[4:5] offset:20
	s_waitcnt vmcnt(0) lgkmcnt(0)
	flat_store_dword v[4:5], v113 offset:20
	flat_store_dword v[120:121], v115
.LBB104_91:
	s_or_b64 exec, exec, s[14:15]
	v_mov_b32_e32 v113, v112
	v_mov_b32_e32 v115, v112
.LBB104_92:
	s_or_b64 exec, exec, s[2:3]
.LBB104_93:
	s_andn2_saveexec_b64 s[0:1], s[0:1]
	s_cbranch_execz .LBB104_95
; %bb.94:
	v_mov_b32_e32 v120, v94
	v_mov_b32_e32 v121, v95
	v_mov_b32_e32 v122, v92
	v_mov_b32_e32 v123, v93
	ds_write2_b64 v114, v[120:121], v[122:123] offset0:6 offset1:7
	v_mov_b32_e32 v120, v90
	v_mov_b32_e32 v121, v91
	v_mov_b32_e32 v122, v88
	v_mov_b32_e32 v123, v89
	ds_write2_b64 v114, v[120:121], v[122:123] offset0:8 offset1:9
	;; [unrolled: 5-line block ×22, first 2 shown]
	v_mov_b32_e32 v120, v6
	v_mov_b32_e32 v121, v7
	;; [unrolled: 1-line block ×5, first 2 shown]
	ds_write2_b64 v114, v[120:121], v[122:123] offset0:50 offset1:51
	ds_write_b64 v114, v[108:109] offset:416
.LBB104_95:
	s_or_b64 exec, exec, s[0:1]
	v_cmp_lt_i32_e32 vcc, 5, v115
	s_waitcnt lgkmcnt(0)
	s_barrier
	s_and_saveexec_b64 s[0:1], vcc
	s_cbranch_execz .LBB104_97
; %bb.96:
	ds_read2_b64 v[120:123], v114 offset0:6 offset1:7
	ds_read2_b64 v[124:127], v114 offset0:8 offset1:9
	v_mul_f64 v[96:97], v[110:111], v[96:97]
	ds_read2_b64 v[128:131], v114 offset0:10 offset1:11
	ds_read_b64 v[110:111], v114 offset:416
	s_waitcnt lgkmcnt(0)
	v_fma_f64 v[94:95], -v[96:97], v[120:121], v[94:95]
	v_fma_f64 v[92:93], -v[96:97], v[122:123], v[92:93]
	ds_read2_b64 v[120:123], v114 offset0:12 offset1:13
	v_fma_f64 v[90:91], -v[96:97], v[124:125], v[90:91]
	v_fma_f64 v[88:89], -v[96:97], v[126:127], v[88:89]
	ds_read2_b64 v[124:127], v114 offset0:14 offset1:15
	;; [unrolled: 3-line block ×3, first 2 shown]
	s_waitcnt lgkmcnt(0)
	v_fma_f64 v[82:83], -v[96:97], v[120:121], v[82:83]
	v_fma_f64 v[80:81], -v[96:97], v[122:123], v[80:81]
	;; [unrolled: 1-line block ×3, first 2 shown]
	ds_read2_b64 v[120:123], v114 offset0:18 offset1:19
	v_fma_f64 v[76:77], -v[96:97], v[126:127], v[76:77]
	ds_read2_b64 v[124:127], v114 offset0:20 offset1:21
	v_fma_f64 v[74:75], -v[96:97], v[128:129], v[74:75]
	v_fma_f64 v[72:73], -v[96:97], v[130:131], v[72:73]
	s_waitcnt lgkmcnt(0)
	v_fma_f64 v[70:71], -v[96:97], v[120:121], v[70:71]
	ds_read2_b64 v[128:131], v114 offset0:22 offset1:23
	v_fma_f64 v[68:69], -v[96:97], v[122:123], v[68:69]
	ds_read2_b64 v[120:123], v114 offset0:24 offset1:25
	v_fma_f64 v[66:67], -v[96:97], v[124:125], v[66:67]
	v_fma_f64 v[64:65], -v[96:97], v[126:127], v[64:65]
	ds_read2_b64 v[124:127], v114 offset0:26 offset1:27
	s_waitcnt lgkmcnt(0)
	v_fma_f64 v[62:63], -v[96:97], v[128:129], v[62:63]
	v_fma_f64 v[60:61], -v[96:97], v[130:131], v[60:61]
	ds_read2_b64 v[128:131], v114 offset0:28 offset1:29
	v_fma_f64 v[58:59], -v[96:97], v[120:121], v[58:59]
	v_fma_f64 v[56:57], -v[96:97], v[122:123], v[56:57]
	;; [unrolled: 1-line block ×3, first 2 shown]
	ds_read2_b64 v[120:123], v114 offset0:30 offset1:31
	v_fma_f64 v[52:53], -v[96:97], v[126:127], v[52:53]
	ds_read2_b64 v[124:127], v114 offset0:32 offset1:33
	s_waitcnt lgkmcnt(0)
	v_fma_f64 v[50:51], -v[96:97], v[128:129], v[50:51]
	v_fma_f64 v[48:49], -v[96:97], v[130:131], v[48:49]
	;; [unrolled: 1-line block ×3, first 2 shown]
	ds_read2_b64 v[128:131], v114 offset0:34 offset1:35
	v_fma_f64 v[44:45], -v[96:97], v[122:123], v[44:45]
	ds_read2_b64 v[120:123], v114 offset0:36 offset1:37
	v_fma_f64 v[42:43], -v[96:97], v[124:125], v[42:43]
	v_fma_f64 v[40:41], -v[96:97], v[126:127], v[40:41]
	ds_read2_b64 v[124:127], v114 offset0:38 offset1:39
	s_waitcnt lgkmcnt(0)
	v_fma_f64 v[38:39], -v[96:97], v[128:129], v[38:39]
	v_fma_f64 v[36:37], -v[96:97], v[130:131], v[36:37]
	ds_read2_b64 v[128:131], v114 offset0:40 offset1:41
	v_fma_f64 v[34:35], -v[96:97], v[120:121], v[34:35]
	v_fma_f64 v[32:33], -v[96:97], v[122:123], v[32:33]
	;; [unrolled: 1-line block ×3, first 2 shown]
	ds_read2_b64 v[120:123], v114 offset0:42 offset1:43
	v_fma_f64 v[28:29], -v[96:97], v[126:127], v[28:29]
	ds_read2_b64 v[124:127], v114 offset0:44 offset1:45
	s_waitcnt lgkmcnt(0)
	v_fma_f64 v[26:27], -v[96:97], v[128:129], v[26:27]
	v_fma_f64 v[24:25], -v[96:97], v[130:131], v[24:25]
	;; [unrolled: 1-line block ×3, first 2 shown]
	ds_read2_b64 v[128:131], v114 offset0:46 offset1:47
	v_fma_f64 v[20:21], -v[96:97], v[122:123], v[20:21]
	ds_read2_b64 v[120:123], v114 offset0:48 offset1:49
	v_fma_f64 v[18:19], -v[96:97], v[124:125], v[18:19]
	v_fma_f64 v[16:17], -v[96:97], v[126:127], v[16:17]
	ds_read2_b64 v[124:127], v114 offset0:50 offset1:51
	s_waitcnt lgkmcnt(0)
	v_fma_f64 v[14:15], -v[96:97], v[128:129], v[14:15]
	v_fma_f64 v[12:13], -v[96:97], v[130:131], v[12:13]
	;; [unrolled: 1-line block ×7, first 2 shown]
.LBB104_97:
	s_or_b64 exec, exec, s[0:1]
	v_lshl_add_u32 v110, v115, 3, v114
	s_barrier
	ds_write_b64 v110, v[94:95]
	s_waitcnt lgkmcnt(0)
	s_barrier
	ds_read_b64 v[110:111], v114 offset:48
	s_cmp_lt_i32 s18, 8
	v_mov_b32_e32 v112, 6
	s_cbranch_scc1 .LBB104_100
; %bb.98:
	v_add3_u32 v120, v119, 0, 56
	s_mov_b32 s0, 7
	v_mov_b32_e32 v112, 6
.LBB104_99:                             ; =>This Inner Loop Header: Depth=1
	ds_read_b64 v[122:123], v120
	v_mov_b32_e32 v121, s0
	s_add_i32 s0, s0, 1
	v_add_u32_e32 v120, 8, v120
	s_cmp_lg_u32 s18, s0
	s_waitcnt lgkmcnt(0)
	v_cmp_lt_f64_e64 vcc, |v[110:111]|, |v[122:123]|
	v_cndmask_b32_e32 v111, v111, v123, vcc
	v_cndmask_b32_e32 v110, v110, v122, vcc
	;; [unrolled: 1-line block ×3, first 2 shown]
	s_cbranch_scc1 .LBB104_99
.LBB104_100:
	s_waitcnt lgkmcnt(0)
	v_cmp_eq_f64_e32 vcc, 0, v[110:111]
	s_and_saveexec_b64 s[0:1], vcc
	s_xor_b64 s[0:1], exec, s[0:1]
; %bb.101:
	v_cmp_ne_u32_e32 vcc, 0, v118
	v_cndmask_b32_e32 v118, 7, v118, vcc
; %bb.102:
	s_andn2_saveexec_b64 s[0:1], s[0:1]
; %bb.103:
	v_div_scale_f64 v[120:121], s[2:3], v[110:111], v[110:111], 1.0
	v_rcp_f64_e32 v[122:123], v[120:121]
	v_div_scale_f64 v[124:125], vcc, 1.0, v[110:111], 1.0
	v_fma_f64 v[126:127], -v[120:121], v[122:123], 1.0
	v_fmac_f64_e32 v[122:123], v[122:123], v[126:127]
	v_fma_f64 v[126:127], -v[120:121], v[122:123], 1.0
	v_fmac_f64_e32 v[122:123], v[122:123], v[126:127]
	v_mul_f64 v[126:127], v[124:125], v[122:123]
	v_fma_f64 v[120:121], -v[120:121], v[126:127], v[124:125]
	v_div_fmas_f64 v[120:121], v[120:121], v[122:123], v[126:127]
	v_div_fixup_f64 v[110:111], v[120:121], v[110:111], 1.0
; %bb.104:
	s_or_b64 exec, exec, s[0:1]
	v_cmp_ne_u32_e32 vcc, v115, v112
	s_and_saveexec_b64 s[0:1], vcc
	s_xor_b64 s[0:1], exec, s[0:1]
	s_cbranch_execz .LBB104_110
; %bb.105:
	v_cmp_eq_u32_e32 vcc, 6, v115
	s_and_saveexec_b64 s[2:3], vcc
	s_cbranch_execz .LBB104_109
; %bb.106:
	v_cmp_ne_u32_e32 vcc, 6, v112
	s_xor_b64 s[14:15], s[6:7], -1
	s_and_b64 s[16:17], s[14:15], vcc
	s_and_saveexec_b64 s[14:15], s[16:17]
	s_cbranch_execz .LBB104_108
; %bb.107:
	v_ashrrev_i32_e32 v113, 31, v112
	v_lshlrev_b64 v[120:121], 2, v[112:113]
	v_add_co_u32_e32 v120, vcc, v4, v120
	v_addc_co_u32_e32 v121, vcc, v5, v121, vcc
	flat_load_dword v113, v[120:121]
	flat_load_dword v115, v[4:5] offset:24
	s_waitcnt vmcnt(0) lgkmcnt(0)
	flat_store_dword v[4:5], v113 offset:24
	flat_store_dword v[120:121], v115
.LBB104_108:
	s_or_b64 exec, exec, s[14:15]
	v_mov_b32_e32 v113, v112
	v_mov_b32_e32 v115, v112
.LBB104_109:
	s_or_b64 exec, exec, s[2:3]
.LBB104_110:
	s_andn2_saveexec_b64 s[0:1], s[0:1]
	s_cbranch_execz .LBB104_112
; %bb.111:
	v_mov_b32_e32 v115, 6
	ds_write2_b64 v114, v[92:93], v[90:91] offset0:7 offset1:8
	ds_write2_b64 v114, v[88:89], v[86:87] offset0:9 offset1:10
	;; [unrolled: 1-line block ×23, first 2 shown]
.LBB104_112:
	s_or_b64 exec, exec, s[0:1]
	v_cmp_lt_i32_e32 vcc, 6, v115
	s_waitcnt lgkmcnt(0)
	s_barrier
	s_and_saveexec_b64 s[0:1], vcc
	s_cbranch_execz .LBB104_114
; %bb.113:
	ds_read2_b64 v[120:123], v114 offset0:7 offset1:8
	ds_read2_b64 v[124:127], v114 offset0:9 offset1:10
	v_mul_f64 v[94:95], v[110:111], v[94:95]
	ds_read2_b64 v[128:131], v114 offset0:11 offset1:12
	s_waitcnt lgkmcnt(0)
	v_fma_f64 v[92:93], -v[94:95], v[120:121], v[92:93]
	v_fma_f64 v[90:91], -v[94:95], v[122:123], v[90:91]
	ds_read2_b64 v[120:123], v114 offset0:13 offset1:14
	v_fma_f64 v[88:89], -v[94:95], v[124:125], v[88:89]
	v_fma_f64 v[86:87], -v[94:95], v[126:127], v[86:87]
	ds_read2_b64 v[124:127], v114 offset0:15 offset1:16
	v_fma_f64 v[84:85], -v[94:95], v[128:129], v[84:85]
	v_fma_f64 v[82:83], -v[94:95], v[130:131], v[82:83]
	ds_read2_b64 v[128:131], v114 offset0:17 offset1:18
	s_waitcnt lgkmcnt(0)
	v_fma_f64 v[80:81], -v[94:95], v[120:121], v[80:81]
	v_fma_f64 v[78:79], -v[94:95], v[122:123], v[78:79]
	;; [unrolled: 1-line block ×3, first 2 shown]
	ds_read2_b64 v[120:123], v114 offset0:19 offset1:20
	v_fma_f64 v[74:75], -v[94:95], v[126:127], v[74:75]
	ds_read2_b64 v[124:127], v114 offset0:21 offset1:22
	v_fma_f64 v[72:73], -v[94:95], v[128:129], v[72:73]
	v_fma_f64 v[70:71], -v[94:95], v[130:131], v[70:71]
	s_waitcnt lgkmcnt(0)
	v_fma_f64 v[68:69], -v[94:95], v[120:121], v[68:69]
	ds_read2_b64 v[128:131], v114 offset0:23 offset1:24
	v_fma_f64 v[66:67], -v[94:95], v[122:123], v[66:67]
	ds_read2_b64 v[120:123], v114 offset0:25 offset1:26
	v_fma_f64 v[64:65], -v[94:95], v[124:125], v[64:65]
	v_fma_f64 v[62:63], -v[94:95], v[126:127], v[62:63]
	ds_read2_b64 v[124:127], v114 offset0:27 offset1:28
	s_waitcnt lgkmcnt(0)
	v_fma_f64 v[60:61], -v[94:95], v[128:129], v[60:61]
	v_fma_f64 v[58:59], -v[94:95], v[130:131], v[58:59]
	ds_read2_b64 v[128:131], v114 offset0:29 offset1:30
	v_fma_f64 v[56:57], -v[94:95], v[120:121], v[56:57]
	v_fma_f64 v[54:55], -v[94:95], v[122:123], v[54:55]
	;; [unrolled: 1-line block ×3, first 2 shown]
	ds_read2_b64 v[120:123], v114 offset0:31 offset1:32
	v_fma_f64 v[50:51], -v[94:95], v[126:127], v[50:51]
	ds_read2_b64 v[124:127], v114 offset0:33 offset1:34
	s_waitcnt lgkmcnt(0)
	v_fma_f64 v[48:49], -v[94:95], v[128:129], v[48:49]
	v_fma_f64 v[46:47], -v[94:95], v[130:131], v[46:47]
	;; [unrolled: 1-line block ×3, first 2 shown]
	ds_read2_b64 v[128:131], v114 offset0:35 offset1:36
	v_fma_f64 v[42:43], -v[94:95], v[122:123], v[42:43]
	ds_read2_b64 v[120:123], v114 offset0:37 offset1:38
	v_fma_f64 v[40:41], -v[94:95], v[124:125], v[40:41]
	v_fma_f64 v[38:39], -v[94:95], v[126:127], v[38:39]
	ds_read2_b64 v[124:127], v114 offset0:39 offset1:40
	s_waitcnt lgkmcnt(0)
	v_fma_f64 v[36:37], -v[94:95], v[128:129], v[36:37]
	v_fma_f64 v[34:35], -v[94:95], v[130:131], v[34:35]
	ds_read2_b64 v[128:131], v114 offset0:41 offset1:42
	v_fma_f64 v[32:33], -v[94:95], v[120:121], v[32:33]
	v_fma_f64 v[30:31], -v[94:95], v[122:123], v[30:31]
	;; [unrolled: 1-line block ×3, first 2 shown]
	ds_read2_b64 v[120:123], v114 offset0:43 offset1:44
	v_fma_f64 v[26:27], -v[94:95], v[126:127], v[26:27]
	ds_read2_b64 v[124:127], v114 offset0:45 offset1:46
	s_waitcnt lgkmcnt(0)
	v_fma_f64 v[24:25], -v[94:95], v[128:129], v[24:25]
	v_fma_f64 v[22:23], -v[94:95], v[130:131], v[22:23]
	;; [unrolled: 1-line block ×4, first 2 shown]
	ds_read2_b64 v[120:123], v114 offset0:47 offset1:48
	ds_read2_b64 v[128:131], v114 offset0:49 offset1:50
	v_fma_f64 v[16:17], -v[94:95], v[124:125], v[16:17]
	v_fma_f64 v[14:15], -v[94:95], v[126:127], v[14:15]
	ds_read2_b64 v[124:127], v114 offset0:51 offset1:52
	s_waitcnt lgkmcnt(0)
	v_fma_f64 v[12:13], -v[94:95], v[120:121], v[12:13]
	v_fma_f64 v[10:11], -v[94:95], v[122:123], v[10:11]
	;; [unrolled: 1-line block ×6, first 2 shown]
.LBB104_114:
	s_or_b64 exec, exec, s[0:1]
	v_lshl_add_u32 v110, v115, 3, v114
	s_barrier
	ds_write_b64 v110, v[92:93]
	s_waitcnt lgkmcnt(0)
	s_barrier
	ds_read_b64 v[110:111], v114 offset:56
	s_cmp_lt_i32 s18, 9
	v_mov_b32_e32 v112, 7
	s_cbranch_scc1 .LBB104_117
; %bb.115:
	v_add3_u32 v119, v119, 0, 64
	s_mov_b32 s0, 8
	v_mov_b32_e32 v112, 7
.LBB104_116:                            ; =>This Inner Loop Header: Depth=1
	ds_read_b64 v[120:121], v119
	v_mov_b32_e32 v122, s0
	s_add_i32 s0, s0, 1
	v_add_u32_e32 v119, 8, v119
	s_cmp_lg_u32 s18, s0
	s_waitcnt lgkmcnt(0)
	v_cmp_lt_f64_e64 vcc, |v[110:111]|, |v[120:121]|
	v_cndmask_b32_e32 v111, v111, v121, vcc
	v_cndmask_b32_e32 v110, v110, v120, vcc
	;; [unrolled: 1-line block ×3, first 2 shown]
	s_cbranch_scc1 .LBB104_116
.LBB104_117:
	s_waitcnt lgkmcnt(0)
	v_cmp_eq_f64_e32 vcc, 0, v[110:111]
	s_and_saveexec_b64 s[0:1], vcc
	s_xor_b64 s[0:1], exec, s[0:1]
; %bb.118:
	v_cmp_ne_u32_e32 vcc, 0, v118
	v_cndmask_b32_e32 v118, 8, v118, vcc
; %bb.119:
	s_andn2_saveexec_b64 s[0:1], s[0:1]
; %bb.120:
	v_div_scale_f64 v[120:121], s[2:3], v[110:111], v[110:111], 1.0
	v_rcp_f64_e32 v[122:123], v[120:121]
	v_div_scale_f64 v[124:125], vcc, 1.0, v[110:111], 1.0
	v_fma_f64 v[126:127], -v[120:121], v[122:123], 1.0
	v_fmac_f64_e32 v[122:123], v[122:123], v[126:127]
	v_fma_f64 v[126:127], -v[120:121], v[122:123], 1.0
	v_fmac_f64_e32 v[122:123], v[122:123], v[126:127]
	v_mul_f64 v[126:127], v[124:125], v[122:123]
	v_fma_f64 v[120:121], -v[120:121], v[126:127], v[124:125]
	v_div_fmas_f64 v[120:121], v[120:121], v[122:123], v[126:127]
	v_div_fixup_f64 v[110:111], v[120:121], v[110:111], 1.0
; %bb.121:
	s_or_b64 exec, exec, s[0:1]
	v_cmp_ne_u32_e32 vcc, v115, v112
	s_and_saveexec_b64 s[0:1], vcc
	s_xor_b64 s[0:1], exec, s[0:1]
	s_cbranch_execz .LBB104_127
; %bb.122:
	v_cmp_eq_u32_e32 vcc, 7, v115
	s_and_saveexec_b64 s[2:3], vcc
	s_cbranch_execz .LBB104_126
; %bb.123:
	v_cmp_ne_u32_e32 vcc, 7, v112
	s_xor_b64 s[14:15], s[6:7], -1
	s_and_b64 s[16:17], s[14:15], vcc
	s_and_saveexec_b64 s[14:15], s[16:17]
	s_cbranch_execz .LBB104_125
; %bb.124:
	v_ashrrev_i32_e32 v113, 31, v112
	v_lshlrev_b64 v[120:121], 2, v[112:113]
	v_add_co_u32_e32 v120, vcc, v4, v120
	v_addc_co_u32_e32 v121, vcc, v5, v121, vcc
	flat_load_dword v113, v[120:121]
	flat_load_dword v115, v[4:5] offset:28
	s_waitcnt vmcnt(0) lgkmcnt(0)
	flat_store_dword v[4:5], v113 offset:28
	flat_store_dword v[120:121], v115
.LBB104_125:
	s_or_b64 exec, exec, s[14:15]
	v_mov_b32_e32 v113, v112
	v_mov_b32_e32 v115, v112
.LBB104_126:
	s_or_b64 exec, exec, s[2:3]
.LBB104_127:
	s_andn2_saveexec_b64 s[0:1], s[0:1]
	s_cbranch_execz .LBB104_129
; %bb.128:
	v_mov_b32_e32 v120, v90
	v_mov_b32_e32 v121, v91
	v_mov_b32_e32 v122, v88
	v_mov_b32_e32 v123, v89
	ds_write2_b64 v114, v[120:121], v[122:123] offset0:8 offset1:9
	v_mov_b32_e32 v120, v86
	v_mov_b32_e32 v121, v87
	v_mov_b32_e32 v122, v84
	v_mov_b32_e32 v123, v85
	ds_write2_b64 v114, v[120:121], v[122:123] offset0:10 offset1:11
	;; [unrolled: 5-line block ×21, first 2 shown]
	v_mov_b32_e32 v120, v6
	v_mov_b32_e32 v121, v7
	v_mov_b32_e32 v122, v0
	v_mov_b32_e32 v123, v1
	v_mov_b32_e32 v115, 7
	ds_write2_b64 v114, v[120:121], v[122:123] offset0:50 offset1:51
	ds_write_b64 v114, v[108:109] offset:416
.LBB104_129:
	s_or_b64 exec, exec, s[0:1]
	v_cmp_lt_i32_e32 vcc, 7, v115
	s_waitcnt lgkmcnt(0)
	s_barrier
	s_and_saveexec_b64 s[0:1], vcc
	s_cbranch_execz .LBB104_131
; %bb.130:
	ds_read2_b64 v[120:123], v114 offset0:8 offset1:9
	ds_read2_b64 v[124:127], v114 offset0:10 offset1:11
	v_mul_f64 v[92:93], v[110:111], v[92:93]
	ds_read2_b64 v[128:131], v114 offset0:12 offset1:13
	ds_read_b64 v[110:111], v114 offset:416
	s_waitcnt lgkmcnt(0)
	v_fma_f64 v[90:91], -v[92:93], v[120:121], v[90:91]
	v_fma_f64 v[88:89], -v[92:93], v[122:123], v[88:89]
	ds_read2_b64 v[120:123], v114 offset0:14 offset1:15
	v_fma_f64 v[86:87], -v[92:93], v[124:125], v[86:87]
	v_fma_f64 v[84:85], -v[92:93], v[126:127], v[84:85]
	;; [unrolled: 1-line block ×3, first 2 shown]
	ds_read2_b64 v[124:127], v114 offset0:16 offset1:17
	v_fma_f64 v[80:81], -v[92:93], v[130:131], v[80:81]
	ds_read2_b64 v[128:131], v114 offset0:18 offset1:19
	s_waitcnt lgkmcnt(0)
	v_fma_f64 v[78:79], -v[92:93], v[120:121], v[78:79]
	v_fma_f64 v[76:77], -v[92:93], v[122:123], v[76:77]
	ds_read2_b64 v[120:123], v114 offset0:20 offset1:21
	v_fma_f64 v[74:75], -v[92:93], v[124:125], v[74:75]
	v_fma_f64 v[72:73], -v[92:93], v[126:127], v[72:73]
	ds_read2_b64 v[124:127], v114 offset0:22 offset1:23
	v_fma_f64 v[70:71], -v[92:93], v[128:129], v[70:71]
	v_fma_f64 v[68:69], -v[92:93], v[130:131], v[68:69]
	s_waitcnt lgkmcnt(0)
	v_fma_f64 v[66:67], -v[92:93], v[120:121], v[66:67]
	ds_read2_b64 v[128:131], v114 offset0:24 offset1:25
	v_fma_f64 v[64:65], -v[92:93], v[122:123], v[64:65]
	ds_read2_b64 v[120:123], v114 offset0:26 offset1:27
	v_fma_f64 v[62:63], -v[92:93], v[124:125], v[62:63]
	v_fma_f64 v[60:61], -v[92:93], v[126:127], v[60:61]
	s_waitcnt lgkmcnt(0)
	v_fma_f64 v[58:59], -v[92:93], v[128:129], v[58:59]
	ds_read2_b64 v[124:127], v114 offset0:28 offset1:29
	v_fma_f64 v[56:57], -v[92:93], v[130:131], v[56:57]
	ds_read2_b64 v[128:131], v114 offset0:30 offset1:31
	v_fma_f64 v[54:55], -v[92:93], v[120:121], v[54:55]
	v_fma_f64 v[52:53], -v[92:93], v[122:123], v[52:53]
	ds_read2_b64 v[120:123], v114 offset0:32 offset1:33
	s_waitcnt lgkmcnt(0)
	v_fma_f64 v[50:51], -v[92:93], v[124:125], v[50:51]
	v_fma_f64 v[48:49], -v[92:93], v[126:127], v[48:49]
	ds_read2_b64 v[124:127], v114 offset0:34 offset1:35
	v_fma_f64 v[46:47], -v[92:93], v[128:129], v[46:47]
	v_fma_f64 v[44:45], -v[92:93], v[130:131], v[44:45]
	;; [unrolled: 1-line block ×3, first 2 shown]
	ds_read2_b64 v[128:131], v114 offset0:36 offset1:37
	v_fma_f64 v[40:41], -v[92:93], v[122:123], v[40:41]
	ds_read2_b64 v[120:123], v114 offset0:38 offset1:39
	s_waitcnt lgkmcnt(0)
	v_fma_f64 v[38:39], -v[92:93], v[124:125], v[38:39]
	v_fma_f64 v[36:37], -v[92:93], v[126:127], v[36:37]
	;; [unrolled: 1-line block ×3, first 2 shown]
	ds_read2_b64 v[124:127], v114 offset0:40 offset1:41
	v_fma_f64 v[32:33], -v[92:93], v[130:131], v[32:33]
	ds_read2_b64 v[128:131], v114 offset0:42 offset1:43
	v_fma_f64 v[30:31], -v[92:93], v[120:121], v[30:31]
	v_fma_f64 v[28:29], -v[92:93], v[122:123], v[28:29]
	ds_read2_b64 v[120:123], v114 offset0:44 offset1:45
	s_waitcnt lgkmcnt(0)
	v_fma_f64 v[26:27], -v[92:93], v[124:125], v[26:27]
	v_fma_f64 v[24:25], -v[92:93], v[126:127], v[24:25]
	ds_read2_b64 v[124:127], v114 offset0:46 offset1:47
	v_fma_f64 v[22:23], -v[92:93], v[128:129], v[22:23]
	v_fma_f64 v[20:21], -v[92:93], v[130:131], v[20:21]
	;; [unrolled: 1-line block ×4, first 2 shown]
	ds_read2_b64 v[120:123], v114 offset0:48 offset1:49
	ds_read2_b64 v[128:131], v114 offset0:50 offset1:51
	s_waitcnt lgkmcnt(0)
	v_fma_f64 v[14:15], -v[92:93], v[124:125], v[14:15]
	v_fma_f64 v[12:13], -v[92:93], v[126:127], v[12:13]
	;; [unrolled: 1-line block ×7, first 2 shown]
.LBB104_131:
	s_or_b64 exec, exec, s[0:1]
	v_lshl_add_u32 v110, v115, 3, v114
	s_barrier
	ds_write_b64 v110, v[90:91]
	s_waitcnt lgkmcnt(0)
	s_barrier
	ds_read_b64 v[110:111], v114 offset:64
	s_cmp_lt_i32 s18, 10
	v_mov_b32_e32 v112, 8
	s_cbranch_scc1 .LBB104_134
; %bb.132:
	v_add_u32_e32 v119, 0x48, v114
	s_mov_b32 s0, 9
	v_mov_b32_e32 v112, 8
.LBB104_133:                            ; =>This Inner Loop Header: Depth=1
	ds_read_b64 v[120:121], v119
	v_mov_b32_e32 v122, s0
	s_add_i32 s0, s0, 1
	v_add_u32_e32 v119, 8, v119
	s_cmp_lg_u32 s18, s0
	s_waitcnt lgkmcnt(0)
	v_cmp_lt_f64_e64 vcc, |v[110:111]|, |v[120:121]|
	v_cndmask_b32_e32 v111, v111, v121, vcc
	v_cndmask_b32_e32 v110, v110, v120, vcc
	;; [unrolled: 1-line block ×3, first 2 shown]
	s_cbranch_scc1 .LBB104_133
.LBB104_134:
	s_waitcnt lgkmcnt(0)
	v_cmp_eq_f64_e32 vcc, 0, v[110:111]
	s_and_saveexec_b64 s[0:1], vcc
	s_xor_b64 s[0:1], exec, s[0:1]
; %bb.135:
	v_cmp_ne_u32_e32 vcc, 0, v118
	v_cndmask_b32_e32 v118, 9, v118, vcc
; %bb.136:
	s_andn2_saveexec_b64 s[0:1], s[0:1]
; %bb.137:
	v_div_scale_f64 v[120:121], s[2:3], v[110:111], v[110:111], 1.0
	v_rcp_f64_e32 v[122:123], v[120:121]
	v_div_scale_f64 v[124:125], vcc, 1.0, v[110:111], 1.0
	v_fma_f64 v[126:127], -v[120:121], v[122:123], 1.0
	v_fmac_f64_e32 v[122:123], v[122:123], v[126:127]
	v_fma_f64 v[126:127], -v[120:121], v[122:123], 1.0
	v_fmac_f64_e32 v[122:123], v[122:123], v[126:127]
	v_mul_f64 v[126:127], v[124:125], v[122:123]
	v_fma_f64 v[120:121], -v[120:121], v[126:127], v[124:125]
	v_div_fmas_f64 v[120:121], v[120:121], v[122:123], v[126:127]
	v_div_fixup_f64 v[110:111], v[120:121], v[110:111], 1.0
; %bb.138:
	s_or_b64 exec, exec, s[0:1]
	v_cmp_ne_u32_e32 vcc, v115, v112
	s_and_saveexec_b64 s[0:1], vcc
	s_xor_b64 s[0:1], exec, s[0:1]
	s_cbranch_execz .LBB104_144
; %bb.139:
	v_cmp_eq_u32_e32 vcc, 8, v115
	s_and_saveexec_b64 s[2:3], vcc
	s_cbranch_execz .LBB104_143
; %bb.140:
	v_cmp_ne_u32_e32 vcc, 8, v112
	s_xor_b64 s[14:15], s[6:7], -1
	s_and_b64 s[16:17], s[14:15], vcc
	s_and_saveexec_b64 s[14:15], s[16:17]
	s_cbranch_execz .LBB104_142
; %bb.141:
	v_ashrrev_i32_e32 v113, 31, v112
	v_lshlrev_b64 v[120:121], 2, v[112:113]
	v_add_co_u32_e32 v120, vcc, v4, v120
	v_addc_co_u32_e32 v121, vcc, v5, v121, vcc
	flat_load_dword v113, v[120:121]
	flat_load_dword v115, v[4:5] offset:32
	s_waitcnt vmcnt(0) lgkmcnt(0)
	flat_store_dword v[4:5], v113 offset:32
	flat_store_dword v[120:121], v115
.LBB104_142:
	s_or_b64 exec, exec, s[14:15]
	v_mov_b32_e32 v113, v112
	v_mov_b32_e32 v115, v112
.LBB104_143:
	s_or_b64 exec, exec, s[2:3]
.LBB104_144:
	s_andn2_saveexec_b64 s[0:1], s[0:1]
	s_cbranch_execz .LBB104_146
; %bb.145:
	v_mov_b32_e32 v115, 8
	ds_write2_b64 v114, v[88:89], v[86:87] offset0:9 offset1:10
	ds_write2_b64 v114, v[84:85], v[82:83] offset0:11 offset1:12
	;; [unrolled: 1-line block ×22, first 2 shown]
.LBB104_146:
	s_or_b64 exec, exec, s[0:1]
	v_cmp_lt_i32_e32 vcc, 8, v115
	s_waitcnt lgkmcnt(0)
	s_barrier
	s_and_saveexec_b64 s[0:1], vcc
	s_cbranch_execz .LBB104_148
; %bb.147:
	ds_read2_b64 v[120:123], v114 offset0:9 offset1:10
	ds_read2_b64 v[124:127], v114 offset0:11 offset1:12
	v_mul_f64 v[90:91], v[110:111], v[90:91]
	ds_read2_b64 v[128:131], v114 offset0:13 offset1:14
	s_waitcnt lgkmcnt(0)
	v_fma_f64 v[88:89], -v[90:91], v[120:121], v[88:89]
	v_fma_f64 v[86:87], -v[90:91], v[122:123], v[86:87]
	ds_read2_b64 v[120:123], v114 offset0:15 offset1:16
	v_fma_f64 v[84:85], -v[90:91], v[124:125], v[84:85]
	v_fma_f64 v[82:83], -v[90:91], v[126:127], v[82:83]
	;; [unrolled: 1-line block ×3, first 2 shown]
	ds_read2_b64 v[124:127], v114 offset0:17 offset1:18
	v_fma_f64 v[78:79], -v[90:91], v[130:131], v[78:79]
	ds_read2_b64 v[128:131], v114 offset0:19 offset1:20
	s_waitcnt lgkmcnt(0)
	v_fma_f64 v[76:77], -v[90:91], v[120:121], v[76:77]
	v_fma_f64 v[74:75], -v[90:91], v[122:123], v[74:75]
	ds_read2_b64 v[120:123], v114 offset0:21 offset1:22
	v_fma_f64 v[72:73], -v[90:91], v[124:125], v[72:73]
	v_fma_f64 v[70:71], -v[90:91], v[126:127], v[70:71]
	ds_read2_b64 v[124:127], v114 offset0:23 offset1:24
	v_fma_f64 v[68:69], -v[90:91], v[128:129], v[68:69]
	v_fma_f64 v[66:67], -v[90:91], v[130:131], v[66:67]
	s_waitcnt lgkmcnt(0)
	v_fma_f64 v[64:65], -v[90:91], v[120:121], v[64:65]
	ds_read2_b64 v[128:131], v114 offset0:25 offset1:26
	v_fma_f64 v[62:63], -v[90:91], v[122:123], v[62:63]
	ds_read2_b64 v[120:123], v114 offset0:27 offset1:28
	v_fma_f64 v[60:61], -v[90:91], v[124:125], v[60:61]
	v_fma_f64 v[58:59], -v[90:91], v[126:127], v[58:59]
	s_waitcnt lgkmcnt(0)
	v_fma_f64 v[56:57], -v[90:91], v[128:129], v[56:57]
	ds_read2_b64 v[124:127], v114 offset0:29 offset1:30
	v_fma_f64 v[54:55], -v[90:91], v[130:131], v[54:55]
	ds_read2_b64 v[128:131], v114 offset0:31 offset1:32
	v_fma_f64 v[52:53], -v[90:91], v[120:121], v[52:53]
	v_fma_f64 v[50:51], -v[90:91], v[122:123], v[50:51]
	ds_read2_b64 v[120:123], v114 offset0:33 offset1:34
	s_waitcnt lgkmcnt(0)
	v_fma_f64 v[48:49], -v[90:91], v[124:125], v[48:49]
	v_fma_f64 v[46:47], -v[90:91], v[126:127], v[46:47]
	ds_read2_b64 v[124:127], v114 offset0:35 offset1:36
	v_fma_f64 v[44:45], -v[90:91], v[128:129], v[44:45]
	v_fma_f64 v[42:43], -v[90:91], v[130:131], v[42:43]
	;; [unrolled: 1-line block ×3, first 2 shown]
	ds_read2_b64 v[128:131], v114 offset0:37 offset1:38
	v_fma_f64 v[38:39], -v[90:91], v[122:123], v[38:39]
	ds_read2_b64 v[120:123], v114 offset0:39 offset1:40
	s_waitcnt lgkmcnt(0)
	v_fma_f64 v[36:37], -v[90:91], v[124:125], v[36:37]
	v_fma_f64 v[34:35], -v[90:91], v[126:127], v[34:35]
	;; [unrolled: 1-line block ×3, first 2 shown]
	ds_read2_b64 v[124:127], v114 offset0:41 offset1:42
	v_fma_f64 v[30:31], -v[90:91], v[130:131], v[30:31]
	ds_read2_b64 v[128:131], v114 offset0:43 offset1:44
	v_fma_f64 v[28:29], -v[90:91], v[120:121], v[28:29]
	v_fma_f64 v[26:27], -v[90:91], v[122:123], v[26:27]
	ds_read2_b64 v[120:123], v114 offset0:45 offset1:46
	s_waitcnt lgkmcnt(0)
	v_fma_f64 v[24:25], -v[90:91], v[124:125], v[24:25]
	v_fma_f64 v[22:23], -v[90:91], v[126:127], v[22:23]
	ds_read2_b64 v[124:127], v114 offset0:47 offset1:48
	v_fma_f64 v[20:21], -v[90:91], v[128:129], v[20:21]
	v_fma_f64 v[18:19], -v[90:91], v[130:131], v[18:19]
	;; [unrolled: 1-line block ×3, first 2 shown]
	ds_read2_b64 v[128:131], v114 offset0:49 offset1:50
	v_fma_f64 v[14:15], -v[90:91], v[122:123], v[14:15]
	ds_read2_b64 v[120:123], v114 offset0:51 offset1:52
	s_waitcnt lgkmcnt(0)
	v_fma_f64 v[12:13], -v[90:91], v[124:125], v[12:13]
	v_fma_f64 v[10:11], -v[90:91], v[126:127], v[10:11]
	;; [unrolled: 1-line block ×6, first 2 shown]
.LBB104_148:
	s_or_b64 exec, exec, s[0:1]
	v_lshl_add_u32 v110, v115, 3, v114
	s_barrier
	ds_write_b64 v110, v[88:89]
	s_waitcnt lgkmcnt(0)
	s_barrier
	ds_read_b64 v[110:111], v114 offset:72
	s_cmp_lt_i32 s18, 11
	v_mov_b32_e32 v112, 9
	s_cbranch_scc1 .LBB104_151
; %bb.149:
	v_add_u32_e32 v119, 0x50, v114
	s_mov_b32 s0, 10
	v_mov_b32_e32 v112, 9
.LBB104_150:                            ; =>This Inner Loop Header: Depth=1
	ds_read_b64 v[120:121], v119
	v_mov_b32_e32 v122, s0
	s_add_i32 s0, s0, 1
	v_add_u32_e32 v119, 8, v119
	s_cmp_lg_u32 s18, s0
	s_waitcnt lgkmcnt(0)
	v_cmp_lt_f64_e64 vcc, |v[110:111]|, |v[120:121]|
	v_cndmask_b32_e32 v111, v111, v121, vcc
	v_cndmask_b32_e32 v110, v110, v120, vcc
	;; [unrolled: 1-line block ×3, first 2 shown]
	s_cbranch_scc1 .LBB104_150
.LBB104_151:
	s_waitcnt lgkmcnt(0)
	v_cmp_eq_f64_e32 vcc, 0, v[110:111]
	s_and_saveexec_b64 s[0:1], vcc
	s_xor_b64 s[0:1], exec, s[0:1]
; %bb.152:
	v_cmp_ne_u32_e32 vcc, 0, v118
	v_cndmask_b32_e32 v118, 10, v118, vcc
; %bb.153:
	s_andn2_saveexec_b64 s[0:1], s[0:1]
; %bb.154:
	v_div_scale_f64 v[120:121], s[2:3], v[110:111], v[110:111], 1.0
	v_rcp_f64_e32 v[122:123], v[120:121]
	v_div_scale_f64 v[124:125], vcc, 1.0, v[110:111], 1.0
	v_fma_f64 v[126:127], -v[120:121], v[122:123], 1.0
	v_fmac_f64_e32 v[122:123], v[122:123], v[126:127]
	v_fma_f64 v[126:127], -v[120:121], v[122:123], 1.0
	v_fmac_f64_e32 v[122:123], v[122:123], v[126:127]
	v_mul_f64 v[126:127], v[124:125], v[122:123]
	v_fma_f64 v[120:121], -v[120:121], v[126:127], v[124:125]
	v_div_fmas_f64 v[120:121], v[120:121], v[122:123], v[126:127]
	v_div_fixup_f64 v[110:111], v[120:121], v[110:111], 1.0
; %bb.155:
	s_or_b64 exec, exec, s[0:1]
	v_cmp_ne_u32_e32 vcc, v115, v112
	s_and_saveexec_b64 s[0:1], vcc
	s_xor_b64 s[0:1], exec, s[0:1]
	s_cbranch_execz .LBB104_161
; %bb.156:
	v_cmp_eq_u32_e32 vcc, 9, v115
	s_and_saveexec_b64 s[2:3], vcc
	s_cbranch_execz .LBB104_160
; %bb.157:
	v_cmp_ne_u32_e32 vcc, 9, v112
	s_xor_b64 s[14:15], s[6:7], -1
	s_and_b64 s[16:17], s[14:15], vcc
	s_and_saveexec_b64 s[14:15], s[16:17]
	s_cbranch_execz .LBB104_159
; %bb.158:
	v_ashrrev_i32_e32 v113, 31, v112
	v_lshlrev_b64 v[120:121], 2, v[112:113]
	v_add_co_u32_e32 v120, vcc, v4, v120
	v_addc_co_u32_e32 v121, vcc, v5, v121, vcc
	flat_load_dword v113, v[120:121]
	flat_load_dword v115, v[4:5] offset:36
	s_waitcnt vmcnt(0) lgkmcnt(0)
	flat_store_dword v[4:5], v113 offset:36
	flat_store_dword v[120:121], v115
.LBB104_159:
	s_or_b64 exec, exec, s[14:15]
	v_mov_b32_e32 v113, v112
	v_mov_b32_e32 v115, v112
.LBB104_160:
	s_or_b64 exec, exec, s[2:3]
.LBB104_161:
	s_andn2_saveexec_b64 s[0:1], s[0:1]
	s_cbranch_execz .LBB104_163
; %bb.162:
	v_mov_b32_e32 v120, v86
	v_mov_b32_e32 v121, v87
	v_mov_b32_e32 v122, v84
	v_mov_b32_e32 v123, v85
	ds_write2_b64 v114, v[120:121], v[122:123] offset0:10 offset1:11
	v_mov_b32_e32 v120, v82
	v_mov_b32_e32 v121, v83
	v_mov_b32_e32 v122, v80
	v_mov_b32_e32 v123, v81
	ds_write2_b64 v114, v[120:121], v[122:123] offset0:12 offset1:13
	;; [unrolled: 5-line block ×20, first 2 shown]
	v_mov_b32_e32 v120, v6
	v_mov_b32_e32 v121, v7
	v_mov_b32_e32 v122, v0
	v_mov_b32_e32 v123, v1
	v_mov_b32_e32 v115, 9
	ds_write2_b64 v114, v[120:121], v[122:123] offset0:50 offset1:51
	ds_write_b64 v114, v[108:109] offset:416
.LBB104_163:
	s_or_b64 exec, exec, s[0:1]
	v_cmp_lt_i32_e32 vcc, 9, v115
	s_waitcnt lgkmcnt(0)
	s_barrier
	s_and_saveexec_b64 s[0:1], vcc
	s_cbranch_execz .LBB104_165
; %bb.164:
	ds_read2_b64 v[120:123], v114 offset0:10 offset1:11
	ds_read2_b64 v[124:127], v114 offset0:12 offset1:13
	;; [unrolled: 1-line block ×3, first 2 shown]
	v_mul_f64 v[88:89], v[110:111], v[88:89]
	ds_read_b64 v[110:111], v114 offset:416
	s_waitcnt lgkmcnt(0)
	v_fma_f64 v[86:87], -v[88:89], v[120:121], v[86:87]
	v_fma_f64 v[84:85], -v[88:89], v[122:123], v[84:85]
	ds_read2_b64 v[120:123], v114 offset0:16 offset1:17
	v_fma_f64 v[82:83], -v[88:89], v[124:125], v[82:83]
	v_fma_f64 v[80:81], -v[88:89], v[126:127], v[80:81]
	v_fma_f64 v[78:79], -v[88:89], v[128:129], v[78:79]
	ds_read2_b64 v[124:127], v114 offset0:18 offset1:19
	v_fma_f64 v[76:77], -v[88:89], v[130:131], v[76:77]
	ds_read2_b64 v[128:131], v114 offset0:20 offset1:21
	s_waitcnt lgkmcnt(0)
	v_fma_f64 v[74:75], -v[88:89], v[120:121], v[74:75]
	v_fma_f64 v[72:73], -v[88:89], v[122:123], v[72:73]
	v_fma_f64 v[70:71], -v[88:89], v[124:125], v[70:71]
	ds_read2_b64 v[120:123], v114 offset0:22 offset1:23
	v_fma_f64 v[68:69], -v[88:89], v[126:127], v[68:69]
	ds_read2_b64 v[124:127], v114 offset0:24 offset1:25
	v_fma_f64 v[66:67], -v[88:89], v[128:129], v[66:67]
	v_fma_f64 v[64:65], -v[88:89], v[130:131], v[64:65]
	ds_read2_b64 v[128:131], v114 offset0:26 offset1:27
	s_waitcnt lgkmcnt(0)
	v_fma_f64 v[62:63], -v[88:89], v[120:121], v[62:63]
	v_fma_f64 v[60:61], -v[88:89], v[122:123], v[60:61]
	ds_read2_b64 v[120:123], v114 offset0:28 offset1:29
	v_fma_f64 v[58:59], -v[88:89], v[124:125], v[58:59]
	v_fma_f64 v[56:57], -v[88:89], v[126:127], v[56:57]
	v_fma_f64 v[54:55], -v[88:89], v[128:129], v[54:55]
	ds_read2_b64 v[124:127], v114 offset0:30 offset1:31
	v_fma_f64 v[52:53], -v[88:89], v[130:131], v[52:53]
	ds_read2_b64 v[128:131], v114 offset0:32 offset1:33
	s_waitcnt lgkmcnt(0)
	v_fma_f64 v[50:51], -v[88:89], v[120:121], v[50:51]
	v_fma_f64 v[48:49], -v[88:89], v[122:123], v[48:49]
	v_fma_f64 v[46:47], -v[88:89], v[124:125], v[46:47]
	ds_read2_b64 v[120:123], v114 offset0:34 offset1:35
	v_fma_f64 v[44:45], -v[88:89], v[126:127], v[44:45]
	ds_read2_b64 v[124:127], v114 offset0:36 offset1:37
	v_fma_f64 v[42:43], -v[88:89], v[128:129], v[42:43]
	v_fma_f64 v[40:41], -v[88:89], v[130:131], v[40:41]
	ds_read2_b64 v[128:131], v114 offset0:38 offset1:39
	;; [unrolled: 20-line block ×3, first 2 shown]
	s_waitcnt lgkmcnt(0)
	v_fma_f64 v[14:15], -v[88:89], v[120:121], v[14:15]
	v_fma_f64 v[12:13], -v[88:89], v[122:123], v[12:13]
	;; [unrolled: 1-line block ×7, first 2 shown]
.LBB104_165:
	s_or_b64 exec, exec, s[0:1]
	v_lshl_add_u32 v110, v115, 3, v114
	s_barrier
	ds_write_b64 v110, v[86:87]
	s_waitcnt lgkmcnt(0)
	s_barrier
	ds_read_b64 v[110:111], v114 offset:80
	s_cmp_lt_i32 s18, 12
	v_mov_b32_e32 v112, 10
	s_cbranch_scc1 .LBB104_168
; %bb.166:
	v_add_u32_e32 v119, 0x58, v114
	s_mov_b32 s0, 11
	v_mov_b32_e32 v112, 10
.LBB104_167:                            ; =>This Inner Loop Header: Depth=1
	ds_read_b64 v[120:121], v119
	v_mov_b32_e32 v122, s0
	s_add_i32 s0, s0, 1
	v_add_u32_e32 v119, 8, v119
	s_cmp_lg_u32 s18, s0
	s_waitcnt lgkmcnt(0)
	v_cmp_lt_f64_e64 vcc, |v[110:111]|, |v[120:121]|
	v_cndmask_b32_e32 v111, v111, v121, vcc
	v_cndmask_b32_e32 v110, v110, v120, vcc
	;; [unrolled: 1-line block ×3, first 2 shown]
	s_cbranch_scc1 .LBB104_167
.LBB104_168:
	s_waitcnt lgkmcnt(0)
	v_cmp_eq_f64_e32 vcc, 0, v[110:111]
	s_and_saveexec_b64 s[0:1], vcc
	s_xor_b64 s[0:1], exec, s[0:1]
; %bb.169:
	v_cmp_ne_u32_e32 vcc, 0, v118
	v_cndmask_b32_e32 v118, 11, v118, vcc
; %bb.170:
	s_andn2_saveexec_b64 s[0:1], s[0:1]
; %bb.171:
	v_div_scale_f64 v[120:121], s[2:3], v[110:111], v[110:111], 1.0
	v_rcp_f64_e32 v[122:123], v[120:121]
	v_div_scale_f64 v[124:125], vcc, 1.0, v[110:111], 1.0
	v_fma_f64 v[126:127], -v[120:121], v[122:123], 1.0
	v_fmac_f64_e32 v[122:123], v[122:123], v[126:127]
	v_fma_f64 v[126:127], -v[120:121], v[122:123], 1.0
	v_fmac_f64_e32 v[122:123], v[122:123], v[126:127]
	v_mul_f64 v[126:127], v[124:125], v[122:123]
	v_fma_f64 v[120:121], -v[120:121], v[126:127], v[124:125]
	v_div_fmas_f64 v[120:121], v[120:121], v[122:123], v[126:127]
	v_div_fixup_f64 v[110:111], v[120:121], v[110:111], 1.0
; %bb.172:
	s_or_b64 exec, exec, s[0:1]
	v_cmp_ne_u32_e32 vcc, v115, v112
	s_and_saveexec_b64 s[0:1], vcc
	s_xor_b64 s[0:1], exec, s[0:1]
	s_cbranch_execz .LBB104_178
; %bb.173:
	v_cmp_eq_u32_e32 vcc, 10, v115
	s_and_saveexec_b64 s[2:3], vcc
	s_cbranch_execz .LBB104_177
; %bb.174:
	v_cmp_ne_u32_e32 vcc, 10, v112
	s_xor_b64 s[14:15], s[6:7], -1
	s_and_b64 s[16:17], s[14:15], vcc
	s_and_saveexec_b64 s[14:15], s[16:17]
	s_cbranch_execz .LBB104_176
; %bb.175:
	v_ashrrev_i32_e32 v113, 31, v112
	v_lshlrev_b64 v[120:121], 2, v[112:113]
	v_add_co_u32_e32 v120, vcc, v4, v120
	v_addc_co_u32_e32 v121, vcc, v5, v121, vcc
	flat_load_dword v113, v[120:121]
	flat_load_dword v115, v[4:5] offset:40
	s_waitcnt vmcnt(0) lgkmcnt(0)
	flat_store_dword v[4:5], v113 offset:40
	flat_store_dword v[120:121], v115
.LBB104_176:
	s_or_b64 exec, exec, s[14:15]
	v_mov_b32_e32 v113, v112
	v_mov_b32_e32 v115, v112
.LBB104_177:
	s_or_b64 exec, exec, s[2:3]
.LBB104_178:
	s_andn2_saveexec_b64 s[0:1], s[0:1]
	s_cbranch_execz .LBB104_180
; %bb.179:
	v_mov_b32_e32 v115, 10
	ds_write2_b64 v114, v[84:85], v[82:83] offset0:11 offset1:12
	ds_write2_b64 v114, v[80:81], v[78:79] offset0:13 offset1:14
	;; [unrolled: 1-line block ×21, first 2 shown]
.LBB104_180:
	s_or_b64 exec, exec, s[0:1]
	v_cmp_lt_i32_e32 vcc, 10, v115
	s_waitcnt lgkmcnt(0)
	s_barrier
	s_and_saveexec_b64 s[0:1], vcc
	s_cbranch_execz .LBB104_182
; %bb.181:
	ds_read2_b64 v[120:123], v114 offset0:11 offset1:12
	ds_read2_b64 v[124:127], v114 offset0:13 offset1:14
	;; [unrolled: 1-line block ×3, first 2 shown]
	v_mul_f64 v[86:87], v[110:111], v[86:87]
	s_waitcnt lgkmcnt(0)
	v_fma_f64 v[84:85], -v[86:87], v[120:121], v[84:85]
	v_fma_f64 v[82:83], -v[86:87], v[122:123], v[82:83]
	ds_read2_b64 v[120:123], v114 offset0:17 offset1:18
	v_fma_f64 v[80:81], -v[86:87], v[124:125], v[80:81]
	v_fma_f64 v[78:79], -v[86:87], v[126:127], v[78:79]
	;; [unrolled: 1-line block ×3, first 2 shown]
	ds_read2_b64 v[124:127], v114 offset0:19 offset1:20
	v_fma_f64 v[74:75], -v[86:87], v[130:131], v[74:75]
	ds_read2_b64 v[128:131], v114 offset0:21 offset1:22
	s_waitcnt lgkmcnt(0)
	v_fma_f64 v[72:73], -v[86:87], v[120:121], v[72:73]
	v_fma_f64 v[70:71], -v[86:87], v[122:123], v[70:71]
	;; [unrolled: 1-line block ×3, first 2 shown]
	ds_read2_b64 v[120:123], v114 offset0:23 offset1:24
	v_fma_f64 v[66:67], -v[86:87], v[126:127], v[66:67]
	ds_read2_b64 v[124:127], v114 offset0:25 offset1:26
	v_fma_f64 v[64:65], -v[86:87], v[128:129], v[64:65]
	v_fma_f64 v[62:63], -v[86:87], v[130:131], v[62:63]
	ds_read2_b64 v[128:131], v114 offset0:27 offset1:28
	s_waitcnt lgkmcnt(0)
	v_fma_f64 v[60:61], -v[86:87], v[120:121], v[60:61]
	v_fma_f64 v[58:59], -v[86:87], v[122:123], v[58:59]
	ds_read2_b64 v[120:123], v114 offset0:29 offset1:30
	v_fma_f64 v[56:57], -v[86:87], v[124:125], v[56:57]
	v_fma_f64 v[54:55], -v[86:87], v[126:127], v[54:55]
	;; [unrolled: 1-line block ×3, first 2 shown]
	ds_read2_b64 v[124:127], v114 offset0:31 offset1:32
	v_fma_f64 v[50:51], -v[86:87], v[130:131], v[50:51]
	ds_read2_b64 v[128:131], v114 offset0:33 offset1:34
	s_waitcnt lgkmcnt(0)
	v_fma_f64 v[48:49], -v[86:87], v[120:121], v[48:49]
	v_fma_f64 v[46:47], -v[86:87], v[122:123], v[46:47]
	;; [unrolled: 1-line block ×3, first 2 shown]
	ds_read2_b64 v[120:123], v114 offset0:35 offset1:36
	v_fma_f64 v[42:43], -v[86:87], v[126:127], v[42:43]
	ds_read2_b64 v[124:127], v114 offset0:37 offset1:38
	v_fma_f64 v[40:41], -v[86:87], v[128:129], v[40:41]
	v_fma_f64 v[38:39], -v[86:87], v[130:131], v[38:39]
	ds_read2_b64 v[128:131], v114 offset0:39 offset1:40
	s_waitcnt lgkmcnt(0)
	v_fma_f64 v[36:37], -v[86:87], v[120:121], v[36:37]
	v_fma_f64 v[34:35], -v[86:87], v[122:123], v[34:35]
	ds_read2_b64 v[120:123], v114 offset0:41 offset1:42
	v_fma_f64 v[32:33], -v[86:87], v[124:125], v[32:33]
	v_fma_f64 v[30:31], -v[86:87], v[126:127], v[30:31]
	;; [unrolled: 1-line block ×3, first 2 shown]
	ds_read2_b64 v[124:127], v114 offset0:43 offset1:44
	v_fma_f64 v[26:27], -v[86:87], v[130:131], v[26:27]
	ds_read2_b64 v[128:131], v114 offset0:45 offset1:46
	s_waitcnt lgkmcnt(0)
	v_fma_f64 v[24:25], -v[86:87], v[120:121], v[24:25]
	v_fma_f64 v[22:23], -v[86:87], v[122:123], v[22:23]
	;; [unrolled: 1-line block ×4, first 2 shown]
	ds_read2_b64 v[120:123], v114 offset0:47 offset1:48
	ds_read2_b64 v[124:127], v114 offset0:49 offset1:50
	v_fma_f64 v[16:17], -v[86:87], v[128:129], v[16:17]
	v_fma_f64 v[14:15], -v[86:87], v[130:131], v[14:15]
	ds_read2_b64 v[128:131], v114 offset0:51 offset1:52
	s_waitcnt lgkmcnt(0)
	v_fma_f64 v[12:13], -v[86:87], v[120:121], v[12:13]
	v_fma_f64 v[10:11], -v[86:87], v[122:123], v[10:11]
	;; [unrolled: 1-line block ×6, first 2 shown]
.LBB104_182:
	s_or_b64 exec, exec, s[0:1]
	v_lshl_add_u32 v110, v115, 3, v114
	s_barrier
	ds_write_b64 v110, v[84:85]
	s_waitcnt lgkmcnt(0)
	s_barrier
	ds_read_b64 v[110:111], v114 offset:88
	s_cmp_lt_i32 s18, 13
	v_mov_b32_e32 v112, 11
	s_cbranch_scc1 .LBB104_185
; %bb.183:
	v_add_u32_e32 v119, 0x60, v114
	s_mov_b32 s0, 12
	v_mov_b32_e32 v112, 11
.LBB104_184:                            ; =>This Inner Loop Header: Depth=1
	ds_read_b64 v[120:121], v119
	v_mov_b32_e32 v122, s0
	s_add_i32 s0, s0, 1
	v_add_u32_e32 v119, 8, v119
	s_cmp_lg_u32 s18, s0
	s_waitcnt lgkmcnt(0)
	v_cmp_lt_f64_e64 vcc, |v[110:111]|, |v[120:121]|
	v_cndmask_b32_e32 v111, v111, v121, vcc
	v_cndmask_b32_e32 v110, v110, v120, vcc
	;; [unrolled: 1-line block ×3, first 2 shown]
	s_cbranch_scc1 .LBB104_184
.LBB104_185:
	s_waitcnt lgkmcnt(0)
	v_cmp_eq_f64_e32 vcc, 0, v[110:111]
	s_and_saveexec_b64 s[0:1], vcc
	s_xor_b64 s[0:1], exec, s[0:1]
; %bb.186:
	v_cmp_ne_u32_e32 vcc, 0, v118
	v_cndmask_b32_e32 v118, 12, v118, vcc
; %bb.187:
	s_andn2_saveexec_b64 s[0:1], s[0:1]
; %bb.188:
	v_div_scale_f64 v[120:121], s[2:3], v[110:111], v[110:111], 1.0
	v_rcp_f64_e32 v[122:123], v[120:121]
	v_div_scale_f64 v[124:125], vcc, 1.0, v[110:111], 1.0
	v_fma_f64 v[126:127], -v[120:121], v[122:123], 1.0
	v_fmac_f64_e32 v[122:123], v[122:123], v[126:127]
	v_fma_f64 v[126:127], -v[120:121], v[122:123], 1.0
	v_fmac_f64_e32 v[122:123], v[122:123], v[126:127]
	v_mul_f64 v[126:127], v[124:125], v[122:123]
	v_fma_f64 v[120:121], -v[120:121], v[126:127], v[124:125]
	v_div_fmas_f64 v[120:121], v[120:121], v[122:123], v[126:127]
	v_div_fixup_f64 v[110:111], v[120:121], v[110:111], 1.0
; %bb.189:
	s_or_b64 exec, exec, s[0:1]
	v_cmp_ne_u32_e32 vcc, v115, v112
	s_and_saveexec_b64 s[0:1], vcc
	s_xor_b64 s[0:1], exec, s[0:1]
	s_cbranch_execz .LBB104_195
; %bb.190:
	v_cmp_eq_u32_e32 vcc, 11, v115
	s_and_saveexec_b64 s[2:3], vcc
	s_cbranch_execz .LBB104_194
; %bb.191:
	v_cmp_ne_u32_e32 vcc, 11, v112
	s_xor_b64 s[14:15], s[6:7], -1
	s_and_b64 s[16:17], s[14:15], vcc
	s_and_saveexec_b64 s[14:15], s[16:17]
	s_cbranch_execz .LBB104_193
; %bb.192:
	v_ashrrev_i32_e32 v113, 31, v112
	v_lshlrev_b64 v[120:121], 2, v[112:113]
	v_add_co_u32_e32 v120, vcc, v4, v120
	v_addc_co_u32_e32 v121, vcc, v5, v121, vcc
	flat_load_dword v113, v[120:121]
	flat_load_dword v115, v[4:5] offset:44
	s_waitcnt vmcnt(0) lgkmcnt(0)
	flat_store_dword v[4:5], v113 offset:44
	flat_store_dword v[120:121], v115
.LBB104_193:
	s_or_b64 exec, exec, s[14:15]
	v_mov_b32_e32 v113, v112
	v_mov_b32_e32 v115, v112
.LBB104_194:
	s_or_b64 exec, exec, s[2:3]
.LBB104_195:
	s_andn2_saveexec_b64 s[0:1], s[0:1]
	s_cbranch_execz .LBB104_197
; %bb.196:
	v_mov_b32_e32 v120, v82
	v_mov_b32_e32 v121, v83
	v_mov_b32_e32 v122, v80
	v_mov_b32_e32 v123, v81
	ds_write2_b64 v114, v[120:121], v[122:123] offset0:12 offset1:13
	v_mov_b32_e32 v120, v78
	v_mov_b32_e32 v121, v79
	v_mov_b32_e32 v122, v76
	v_mov_b32_e32 v123, v77
	ds_write2_b64 v114, v[120:121], v[122:123] offset0:14 offset1:15
	;; [unrolled: 5-line block ×19, first 2 shown]
	v_mov_b32_e32 v120, v6
	v_mov_b32_e32 v121, v7
	;; [unrolled: 1-line block ×5, first 2 shown]
	ds_write2_b64 v114, v[120:121], v[122:123] offset0:50 offset1:51
	ds_write_b64 v114, v[108:109] offset:416
.LBB104_197:
	s_or_b64 exec, exec, s[0:1]
	v_cmp_lt_i32_e32 vcc, 11, v115
	s_waitcnt lgkmcnt(0)
	s_barrier
	s_and_saveexec_b64 s[0:1], vcc
	s_cbranch_execz .LBB104_199
; %bb.198:
	ds_read2_b64 v[120:123], v114 offset0:12 offset1:13
	ds_read2_b64 v[124:127], v114 offset0:14 offset1:15
	v_mul_f64 v[84:85], v[110:111], v[84:85]
	ds_read2_b64 v[128:131], v114 offset0:16 offset1:17
	ds_read_b64 v[110:111], v114 offset:416
	s_waitcnt lgkmcnt(0)
	v_fma_f64 v[82:83], -v[84:85], v[120:121], v[82:83]
	v_fma_f64 v[80:81], -v[84:85], v[122:123], v[80:81]
	ds_read2_b64 v[120:123], v114 offset0:18 offset1:19
	v_fma_f64 v[78:79], -v[84:85], v[124:125], v[78:79]
	v_fma_f64 v[76:77], -v[84:85], v[126:127], v[76:77]
	ds_read2_b64 v[124:127], v114 offset0:20 offset1:21
	;; [unrolled: 3-line block ×3, first 2 shown]
	s_waitcnt lgkmcnt(0)
	v_fma_f64 v[70:71], -v[84:85], v[120:121], v[70:71]
	v_fma_f64 v[68:69], -v[84:85], v[122:123], v[68:69]
	;; [unrolled: 1-line block ×3, first 2 shown]
	ds_read2_b64 v[120:123], v114 offset0:24 offset1:25
	v_fma_f64 v[64:65], -v[84:85], v[126:127], v[64:65]
	ds_read2_b64 v[124:127], v114 offset0:26 offset1:27
	v_fma_f64 v[62:63], -v[84:85], v[128:129], v[62:63]
	v_fma_f64 v[60:61], -v[84:85], v[130:131], v[60:61]
	s_waitcnt lgkmcnt(0)
	v_fma_f64 v[58:59], -v[84:85], v[120:121], v[58:59]
	ds_read2_b64 v[128:131], v114 offset0:28 offset1:29
	v_fma_f64 v[56:57], -v[84:85], v[122:123], v[56:57]
	ds_read2_b64 v[120:123], v114 offset0:30 offset1:31
	v_fma_f64 v[54:55], -v[84:85], v[124:125], v[54:55]
	v_fma_f64 v[52:53], -v[84:85], v[126:127], v[52:53]
	ds_read2_b64 v[124:127], v114 offset0:32 offset1:33
	s_waitcnt lgkmcnt(0)
	v_fma_f64 v[50:51], -v[84:85], v[128:129], v[50:51]
	v_fma_f64 v[48:49], -v[84:85], v[130:131], v[48:49]
	ds_read2_b64 v[128:131], v114 offset0:34 offset1:35
	v_fma_f64 v[46:47], -v[84:85], v[120:121], v[46:47]
	v_fma_f64 v[44:45], -v[84:85], v[122:123], v[44:45]
	;; [unrolled: 1-line block ×3, first 2 shown]
	ds_read2_b64 v[120:123], v114 offset0:36 offset1:37
	v_fma_f64 v[40:41], -v[84:85], v[126:127], v[40:41]
	ds_read2_b64 v[124:127], v114 offset0:38 offset1:39
	s_waitcnt lgkmcnt(0)
	v_fma_f64 v[38:39], -v[84:85], v[128:129], v[38:39]
	v_fma_f64 v[36:37], -v[84:85], v[130:131], v[36:37]
	;; [unrolled: 1-line block ×3, first 2 shown]
	ds_read2_b64 v[128:131], v114 offset0:40 offset1:41
	v_fma_f64 v[32:33], -v[84:85], v[122:123], v[32:33]
	ds_read2_b64 v[120:123], v114 offset0:42 offset1:43
	v_fma_f64 v[30:31], -v[84:85], v[124:125], v[30:31]
	v_fma_f64 v[28:29], -v[84:85], v[126:127], v[28:29]
	ds_read2_b64 v[124:127], v114 offset0:44 offset1:45
	s_waitcnt lgkmcnt(0)
	v_fma_f64 v[26:27], -v[84:85], v[128:129], v[26:27]
	v_fma_f64 v[24:25], -v[84:85], v[130:131], v[24:25]
	ds_read2_b64 v[128:131], v114 offset0:46 offset1:47
	v_fma_f64 v[22:23], -v[84:85], v[120:121], v[22:23]
	v_fma_f64 v[20:21], -v[84:85], v[122:123], v[20:21]
	v_fma_f64 v[18:19], -v[84:85], v[124:125], v[18:19]
	v_fma_f64 v[16:17], -v[84:85], v[126:127], v[16:17]
	ds_read2_b64 v[120:123], v114 offset0:48 offset1:49
	ds_read2_b64 v[124:127], v114 offset0:50 offset1:51
	s_waitcnt lgkmcnt(0)
	v_fma_f64 v[14:15], -v[84:85], v[128:129], v[14:15]
	v_fma_f64 v[12:13], -v[84:85], v[130:131], v[12:13]
	;; [unrolled: 1-line block ×7, first 2 shown]
.LBB104_199:
	s_or_b64 exec, exec, s[0:1]
	v_lshl_add_u32 v110, v115, 3, v114
	s_barrier
	ds_write_b64 v110, v[82:83]
	s_waitcnt lgkmcnt(0)
	s_barrier
	ds_read_b64 v[110:111], v114 offset:96
	s_cmp_lt_i32 s18, 14
	v_mov_b32_e32 v112, 12
	s_cbranch_scc1 .LBB104_202
; %bb.200:
	v_add_u32_e32 v119, 0x68, v114
	s_mov_b32 s0, 13
	v_mov_b32_e32 v112, 12
.LBB104_201:                            ; =>This Inner Loop Header: Depth=1
	ds_read_b64 v[120:121], v119
	v_mov_b32_e32 v122, s0
	s_add_i32 s0, s0, 1
	v_add_u32_e32 v119, 8, v119
	s_cmp_lg_u32 s18, s0
	s_waitcnt lgkmcnt(0)
	v_cmp_lt_f64_e64 vcc, |v[110:111]|, |v[120:121]|
	v_cndmask_b32_e32 v111, v111, v121, vcc
	v_cndmask_b32_e32 v110, v110, v120, vcc
	;; [unrolled: 1-line block ×3, first 2 shown]
	s_cbranch_scc1 .LBB104_201
.LBB104_202:
	s_waitcnt lgkmcnt(0)
	v_cmp_eq_f64_e32 vcc, 0, v[110:111]
	s_and_saveexec_b64 s[0:1], vcc
	s_xor_b64 s[0:1], exec, s[0:1]
; %bb.203:
	v_cmp_ne_u32_e32 vcc, 0, v118
	v_cndmask_b32_e32 v118, 13, v118, vcc
; %bb.204:
	s_andn2_saveexec_b64 s[0:1], s[0:1]
; %bb.205:
	v_div_scale_f64 v[120:121], s[2:3], v[110:111], v[110:111], 1.0
	v_rcp_f64_e32 v[122:123], v[120:121]
	v_div_scale_f64 v[124:125], vcc, 1.0, v[110:111], 1.0
	v_fma_f64 v[126:127], -v[120:121], v[122:123], 1.0
	v_fmac_f64_e32 v[122:123], v[122:123], v[126:127]
	v_fma_f64 v[126:127], -v[120:121], v[122:123], 1.0
	v_fmac_f64_e32 v[122:123], v[122:123], v[126:127]
	v_mul_f64 v[126:127], v[124:125], v[122:123]
	v_fma_f64 v[120:121], -v[120:121], v[126:127], v[124:125]
	v_div_fmas_f64 v[120:121], v[120:121], v[122:123], v[126:127]
	v_div_fixup_f64 v[110:111], v[120:121], v[110:111], 1.0
; %bb.206:
	s_or_b64 exec, exec, s[0:1]
	v_cmp_ne_u32_e32 vcc, v115, v112
	s_and_saveexec_b64 s[0:1], vcc
	s_xor_b64 s[0:1], exec, s[0:1]
	s_cbranch_execz .LBB104_212
; %bb.207:
	v_cmp_eq_u32_e32 vcc, 12, v115
	s_and_saveexec_b64 s[2:3], vcc
	s_cbranch_execz .LBB104_211
; %bb.208:
	v_cmp_ne_u32_e32 vcc, 12, v112
	s_xor_b64 s[14:15], s[6:7], -1
	s_and_b64 s[16:17], s[14:15], vcc
	s_and_saveexec_b64 s[14:15], s[16:17]
	s_cbranch_execz .LBB104_210
; %bb.209:
	v_ashrrev_i32_e32 v113, 31, v112
	v_lshlrev_b64 v[120:121], 2, v[112:113]
	v_add_co_u32_e32 v120, vcc, v4, v120
	v_addc_co_u32_e32 v121, vcc, v5, v121, vcc
	flat_load_dword v113, v[120:121]
	flat_load_dword v115, v[4:5] offset:48
	s_waitcnt vmcnt(0) lgkmcnt(0)
	flat_store_dword v[4:5], v113 offset:48
	flat_store_dword v[120:121], v115
.LBB104_210:
	s_or_b64 exec, exec, s[14:15]
	v_mov_b32_e32 v113, v112
	v_mov_b32_e32 v115, v112
.LBB104_211:
	s_or_b64 exec, exec, s[2:3]
.LBB104_212:
	s_andn2_saveexec_b64 s[0:1], s[0:1]
	s_cbranch_execz .LBB104_214
; %bb.213:
	v_mov_b32_e32 v115, 12
	ds_write2_b64 v114, v[80:81], v[78:79] offset0:13 offset1:14
	ds_write2_b64 v114, v[76:77], v[74:75] offset0:15 offset1:16
	;; [unrolled: 1-line block ×20, first 2 shown]
.LBB104_214:
	s_or_b64 exec, exec, s[0:1]
	v_cmp_lt_i32_e32 vcc, 12, v115
	s_waitcnt lgkmcnt(0)
	s_barrier
	s_and_saveexec_b64 s[0:1], vcc
	s_cbranch_execz .LBB104_216
; %bb.215:
	ds_read2_b64 v[120:123], v114 offset0:13 offset1:14
	ds_read2_b64 v[124:127], v114 offset0:15 offset1:16
	v_mul_f64 v[82:83], v[110:111], v[82:83]
	ds_read2_b64 v[128:131], v114 offset0:17 offset1:18
	s_waitcnt lgkmcnt(0)
	v_fma_f64 v[80:81], -v[82:83], v[120:121], v[80:81]
	v_fma_f64 v[78:79], -v[82:83], v[122:123], v[78:79]
	ds_read2_b64 v[120:123], v114 offset0:19 offset1:20
	v_fma_f64 v[76:77], -v[82:83], v[124:125], v[76:77]
	v_fma_f64 v[74:75], -v[82:83], v[126:127], v[74:75]
	ds_read2_b64 v[124:127], v114 offset0:21 offset1:22
	;; [unrolled: 3-line block ×3, first 2 shown]
	s_waitcnt lgkmcnt(0)
	v_fma_f64 v[68:69], -v[82:83], v[120:121], v[68:69]
	v_fma_f64 v[66:67], -v[82:83], v[122:123], v[66:67]
	;; [unrolled: 1-line block ×3, first 2 shown]
	ds_read2_b64 v[120:123], v114 offset0:25 offset1:26
	v_fma_f64 v[62:63], -v[82:83], v[126:127], v[62:63]
	ds_read2_b64 v[124:127], v114 offset0:27 offset1:28
	v_fma_f64 v[60:61], -v[82:83], v[128:129], v[60:61]
	v_fma_f64 v[58:59], -v[82:83], v[130:131], v[58:59]
	s_waitcnt lgkmcnt(0)
	v_fma_f64 v[56:57], -v[82:83], v[120:121], v[56:57]
	ds_read2_b64 v[128:131], v114 offset0:29 offset1:30
	v_fma_f64 v[54:55], -v[82:83], v[122:123], v[54:55]
	ds_read2_b64 v[120:123], v114 offset0:31 offset1:32
	v_fma_f64 v[52:53], -v[82:83], v[124:125], v[52:53]
	v_fma_f64 v[50:51], -v[82:83], v[126:127], v[50:51]
	ds_read2_b64 v[124:127], v114 offset0:33 offset1:34
	s_waitcnt lgkmcnt(0)
	v_fma_f64 v[48:49], -v[82:83], v[128:129], v[48:49]
	v_fma_f64 v[46:47], -v[82:83], v[130:131], v[46:47]
	ds_read2_b64 v[128:131], v114 offset0:35 offset1:36
	v_fma_f64 v[44:45], -v[82:83], v[120:121], v[44:45]
	v_fma_f64 v[42:43], -v[82:83], v[122:123], v[42:43]
	;; [unrolled: 1-line block ×3, first 2 shown]
	ds_read2_b64 v[120:123], v114 offset0:37 offset1:38
	v_fma_f64 v[38:39], -v[82:83], v[126:127], v[38:39]
	ds_read2_b64 v[124:127], v114 offset0:39 offset1:40
	s_waitcnt lgkmcnt(0)
	v_fma_f64 v[36:37], -v[82:83], v[128:129], v[36:37]
	v_fma_f64 v[34:35], -v[82:83], v[130:131], v[34:35]
	;; [unrolled: 1-line block ×3, first 2 shown]
	ds_read2_b64 v[128:131], v114 offset0:41 offset1:42
	v_fma_f64 v[30:31], -v[82:83], v[122:123], v[30:31]
	ds_read2_b64 v[120:123], v114 offset0:43 offset1:44
	v_fma_f64 v[28:29], -v[82:83], v[124:125], v[28:29]
	v_fma_f64 v[26:27], -v[82:83], v[126:127], v[26:27]
	ds_read2_b64 v[124:127], v114 offset0:45 offset1:46
	s_waitcnt lgkmcnt(0)
	v_fma_f64 v[24:25], -v[82:83], v[128:129], v[24:25]
	v_fma_f64 v[22:23], -v[82:83], v[130:131], v[22:23]
	;; [unrolled: 1-line block ×4, first 2 shown]
	ds_read2_b64 v[120:123], v114 offset0:47 offset1:48
	v_fma_f64 v[16:17], -v[82:83], v[124:125], v[16:17]
	ds_read2_b64 v[128:131], v114 offset0:49 offset1:50
	v_fma_f64 v[14:15], -v[82:83], v[126:127], v[14:15]
	ds_read2_b64 v[124:127], v114 offset0:51 offset1:52
	s_waitcnt lgkmcnt(0)
	v_fma_f64 v[12:13], -v[82:83], v[120:121], v[12:13]
	v_fma_f64 v[10:11], -v[82:83], v[122:123], v[10:11]
	v_fma_f64 v[8:9], -v[82:83], v[128:129], v[8:9]
	v_fma_f64 v[6:7], -v[82:83], v[130:131], v[6:7]
	v_fma_f64 v[0:1], -v[82:83], v[124:125], v[0:1]
	v_fma_f64 v[108:109], -v[82:83], v[126:127], v[108:109]
.LBB104_216:
	s_or_b64 exec, exec, s[0:1]
	v_lshl_add_u32 v110, v115, 3, v114
	s_barrier
	ds_write_b64 v110, v[80:81]
	s_waitcnt lgkmcnt(0)
	s_barrier
	ds_read_b64 v[110:111], v114 offset:104
	s_cmp_lt_i32 s18, 15
	v_mov_b32_e32 v112, 13
	s_cbranch_scc1 .LBB104_219
; %bb.217:
	v_add_u32_e32 v119, 0x70, v114
	s_mov_b32 s0, 14
	v_mov_b32_e32 v112, 13
.LBB104_218:                            ; =>This Inner Loop Header: Depth=1
	ds_read_b64 v[120:121], v119
	v_mov_b32_e32 v122, s0
	s_add_i32 s0, s0, 1
	v_add_u32_e32 v119, 8, v119
	s_cmp_lg_u32 s18, s0
	s_waitcnt lgkmcnt(0)
	v_cmp_lt_f64_e64 vcc, |v[110:111]|, |v[120:121]|
	v_cndmask_b32_e32 v111, v111, v121, vcc
	v_cndmask_b32_e32 v110, v110, v120, vcc
	;; [unrolled: 1-line block ×3, first 2 shown]
	s_cbranch_scc1 .LBB104_218
.LBB104_219:
	s_waitcnt lgkmcnt(0)
	v_cmp_eq_f64_e32 vcc, 0, v[110:111]
	s_and_saveexec_b64 s[0:1], vcc
	s_xor_b64 s[0:1], exec, s[0:1]
; %bb.220:
	v_cmp_ne_u32_e32 vcc, 0, v118
	v_cndmask_b32_e32 v118, 14, v118, vcc
; %bb.221:
	s_andn2_saveexec_b64 s[0:1], s[0:1]
; %bb.222:
	v_div_scale_f64 v[120:121], s[2:3], v[110:111], v[110:111], 1.0
	v_rcp_f64_e32 v[122:123], v[120:121]
	v_div_scale_f64 v[124:125], vcc, 1.0, v[110:111], 1.0
	v_fma_f64 v[126:127], -v[120:121], v[122:123], 1.0
	v_fmac_f64_e32 v[122:123], v[122:123], v[126:127]
	v_fma_f64 v[126:127], -v[120:121], v[122:123], 1.0
	v_fmac_f64_e32 v[122:123], v[122:123], v[126:127]
	v_mul_f64 v[126:127], v[124:125], v[122:123]
	v_fma_f64 v[120:121], -v[120:121], v[126:127], v[124:125]
	v_div_fmas_f64 v[120:121], v[120:121], v[122:123], v[126:127]
	v_div_fixup_f64 v[110:111], v[120:121], v[110:111], 1.0
; %bb.223:
	s_or_b64 exec, exec, s[0:1]
	v_cmp_ne_u32_e32 vcc, v115, v112
	s_and_saveexec_b64 s[0:1], vcc
	s_xor_b64 s[0:1], exec, s[0:1]
	s_cbranch_execz .LBB104_229
; %bb.224:
	v_cmp_eq_u32_e32 vcc, 13, v115
	s_and_saveexec_b64 s[2:3], vcc
	s_cbranch_execz .LBB104_228
; %bb.225:
	v_cmp_ne_u32_e32 vcc, 13, v112
	s_xor_b64 s[14:15], s[6:7], -1
	s_and_b64 s[16:17], s[14:15], vcc
	s_and_saveexec_b64 s[14:15], s[16:17]
	s_cbranch_execz .LBB104_227
; %bb.226:
	v_ashrrev_i32_e32 v113, 31, v112
	v_lshlrev_b64 v[120:121], 2, v[112:113]
	v_add_co_u32_e32 v120, vcc, v4, v120
	v_addc_co_u32_e32 v121, vcc, v5, v121, vcc
	flat_load_dword v113, v[120:121]
	flat_load_dword v115, v[4:5] offset:52
	s_waitcnt vmcnt(0) lgkmcnt(0)
	flat_store_dword v[4:5], v113 offset:52
	flat_store_dword v[120:121], v115
.LBB104_227:
	s_or_b64 exec, exec, s[14:15]
	v_mov_b32_e32 v113, v112
	v_mov_b32_e32 v115, v112
.LBB104_228:
	s_or_b64 exec, exec, s[2:3]
.LBB104_229:
	s_andn2_saveexec_b64 s[0:1], s[0:1]
	s_cbranch_execz .LBB104_231
; %bb.230:
	v_mov_b32_e32 v120, v78
	v_mov_b32_e32 v121, v79
	v_mov_b32_e32 v122, v76
	v_mov_b32_e32 v123, v77
	ds_write2_b64 v114, v[120:121], v[122:123] offset0:14 offset1:15
	v_mov_b32_e32 v120, v74
	v_mov_b32_e32 v121, v75
	v_mov_b32_e32 v122, v72
	v_mov_b32_e32 v123, v73
	ds_write2_b64 v114, v[120:121], v[122:123] offset0:16 offset1:17
	v_mov_b32_e32 v120, v70
	v_mov_b32_e32 v121, v71
	v_mov_b32_e32 v122, v68
	v_mov_b32_e32 v123, v69
	ds_write2_b64 v114, v[120:121], v[122:123] offset0:18 offset1:19
	v_mov_b32_e32 v120, v66
	v_mov_b32_e32 v121, v67
	v_mov_b32_e32 v122, v64
	v_mov_b32_e32 v123, v65
	ds_write2_b64 v114, v[120:121], v[122:123] offset0:20 offset1:21
	v_mov_b32_e32 v120, v62
	v_mov_b32_e32 v121, v63
	v_mov_b32_e32 v122, v60
	v_mov_b32_e32 v123, v61
	ds_write2_b64 v114, v[120:121], v[122:123] offset0:22 offset1:23
	v_mov_b32_e32 v120, v58
	v_mov_b32_e32 v121, v59
	v_mov_b32_e32 v122, v56
	v_mov_b32_e32 v123, v57
	ds_write2_b64 v114, v[120:121], v[122:123] offset0:24 offset1:25
	v_mov_b32_e32 v120, v54
	v_mov_b32_e32 v121, v55
	v_mov_b32_e32 v122, v52
	v_mov_b32_e32 v123, v53
	ds_write2_b64 v114, v[120:121], v[122:123] offset0:26 offset1:27
	v_mov_b32_e32 v120, v50
	v_mov_b32_e32 v121, v51
	v_mov_b32_e32 v122, v48
	v_mov_b32_e32 v123, v49
	ds_write2_b64 v114, v[120:121], v[122:123] offset0:28 offset1:29
	v_mov_b32_e32 v120, v46
	v_mov_b32_e32 v121, v47
	v_mov_b32_e32 v122, v44
	v_mov_b32_e32 v123, v45
	ds_write2_b64 v114, v[120:121], v[122:123] offset0:30 offset1:31
	v_mov_b32_e32 v120, v42
	v_mov_b32_e32 v121, v43
	v_mov_b32_e32 v122, v40
	v_mov_b32_e32 v123, v41
	ds_write2_b64 v114, v[120:121], v[122:123] offset0:32 offset1:33
	v_mov_b32_e32 v120, v38
	v_mov_b32_e32 v121, v39
	v_mov_b32_e32 v122, v36
	v_mov_b32_e32 v123, v37
	ds_write2_b64 v114, v[120:121], v[122:123] offset0:34 offset1:35
	v_mov_b32_e32 v120, v34
	v_mov_b32_e32 v121, v35
	v_mov_b32_e32 v122, v32
	v_mov_b32_e32 v123, v33
	ds_write2_b64 v114, v[120:121], v[122:123] offset0:36 offset1:37
	v_mov_b32_e32 v120, v30
	v_mov_b32_e32 v121, v31
	v_mov_b32_e32 v122, v28
	v_mov_b32_e32 v123, v29
	ds_write2_b64 v114, v[120:121], v[122:123] offset0:38 offset1:39
	v_mov_b32_e32 v120, v26
	v_mov_b32_e32 v121, v27
	v_mov_b32_e32 v122, v24
	v_mov_b32_e32 v123, v25
	ds_write2_b64 v114, v[120:121], v[122:123] offset0:40 offset1:41
	v_mov_b32_e32 v120, v22
	v_mov_b32_e32 v121, v23
	v_mov_b32_e32 v122, v20
	v_mov_b32_e32 v123, v21
	ds_write2_b64 v114, v[120:121], v[122:123] offset0:42 offset1:43
	v_mov_b32_e32 v120, v18
	v_mov_b32_e32 v121, v19
	v_mov_b32_e32 v122, v16
	v_mov_b32_e32 v123, v17
	ds_write2_b64 v114, v[120:121], v[122:123] offset0:44 offset1:45
	v_mov_b32_e32 v120, v14
	v_mov_b32_e32 v121, v15
	v_mov_b32_e32 v122, v12
	v_mov_b32_e32 v123, v13
	ds_write2_b64 v114, v[120:121], v[122:123] offset0:46 offset1:47
	v_mov_b32_e32 v120, v10
	v_mov_b32_e32 v121, v11
	v_mov_b32_e32 v122, v8
	v_mov_b32_e32 v123, v9
	ds_write2_b64 v114, v[120:121], v[122:123] offset0:48 offset1:49
	v_mov_b32_e32 v120, v6
	v_mov_b32_e32 v121, v7
	;; [unrolled: 1-line block ×5, first 2 shown]
	ds_write2_b64 v114, v[120:121], v[122:123] offset0:50 offset1:51
	ds_write_b64 v114, v[108:109] offset:416
.LBB104_231:
	s_or_b64 exec, exec, s[0:1]
	v_cmp_lt_i32_e32 vcc, 13, v115
	s_waitcnt lgkmcnt(0)
	s_barrier
	s_and_saveexec_b64 s[0:1], vcc
	s_cbranch_execz .LBB104_233
; %bb.232:
	ds_read2_b64 v[120:123], v114 offset0:14 offset1:15
	ds_read2_b64 v[124:127], v114 offset0:16 offset1:17
	v_mul_f64 v[80:81], v[110:111], v[80:81]
	ds_read2_b64 v[128:131], v114 offset0:18 offset1:19
	ds_read_b64 v[110:111], v114 offset:416
	s_waitcnt lgkmcnt(0)
	v_fma_f64 v[78:79], -v[80:81], v[120:121], v[78:79]
	v_fma_f64 v[76:77], -v[80:81], v[122:123], v[76:77]
	ds_read2_b64 v[120:123], v114 offset0:20 offset1:21
	v_fma_f64 v[74:75], -v[80:81], v[124:125], v[74:75]
	v_fma_f64 v[72:73], -v[80:81], v[126:127], v[72:73]
	;; [unrolled: 1-line block ×3, first 2 shown]
	ds_read2_b64 v[124:127], v114 offset0:22 offset1:23
	v_fma_f64 v[68:69], -v[80:81], v[130:131], v[68:69]
	ds_read2_b64 v[128:131], v114 offset0:24 offset1:25
	s_waitcnt lgkmcnt(0)
	v_fma_f64 v[66:67], -v[80:81], v[120:121], v[66:67]
	v_fma_f64 v[64:65], -v[80:81], v[122:123], v[64:65]
	ds_read2_b64 v[120:123], v114 offset0:26 offset1:27
	v_fma_f64 v[62:63], -v[80:81], v[124:125], v[62:63]
	v_fma_f64 v[60:61], -v[80:81], v[126:127], v[60:61]
	ds_read2_b64 v[124:127], v114 offset0:28 offset1:29
	v_fma_f64 v[58:59], -v[80:81], v[128:129], v[58:59]
	v_fma_f64 v[56:57], -v[80:81], v[130:131], v[56:57]
	s_waitcnt lgkmcnt(0)
	v_fma_f64 v[54:55], -v[80:81], v[120:121], v[54:55]
	ds_read2_b64 v[128:131], v114 offset0:30 offset1:31
	v_fma_f64 v[52:53], -v[80:81], v[122:123], v[52:53]
	ds_read2_b64 v[120:123], v114 offset0:32 offset1:33
	v_fma_f64 v[50:51], -v[80:81], v[124:125], v[50:51]
	v_fma_f64 v[48:49], -v[80:81], v[126:127], v[48:49]
	s_waitcnt lgkmcnt(0)
	v_fma_f64 v[46:47], -v[80:81], v[128:129], v[46:47]
	ds_read2_b64 v[124:127], v114 offset0:34 offset1:35
	v_fma_f64 v[44:45], -v[80:81], v[130:131], v[44:45]
	ds_read2_b64 v[128:131], v114 offset0:36 offset1:37
	v_fma_f64 v[42:43], -v[80:81], v[120:121], v[42:43]
	v_fma_f64 v[40:41], -v[80:81], v[122:123], v[40:41]
	ds_read2_b64 v[120:123], v114 offset0:38 offset1:39
	s_waitcnt lgkmcnt(0)
	v_fma_f64 v[38:39], -v[80:81], v[124:125], v[38:39]
	v_fma_f64 v[36:37], -v[80:81], v[126:127], v[36:37]
	ds_read2_b64 v[124:127], v114 offset0:40 offset1:41
	v_fma_f64 v[34:35], -v[80:81], v[128:129], v[34:35]
	v_fma_f64 v[32:33], -v[80:81], v[130:131], v[32:33]
	;; [unrolled: 1-line block ×3, first 2 shown]
	ds_read2_b64 v[128:131], v114 offset0:42 offset1:43
	v_fma_f64 v[28:29], -v[80:81], v[122:123], v[28:29]
	ds_read2_b64 v[120:123], v114 offset0:44 offset1:45
	s_waitcnt lgkmcnt(0)
	v_fma_f64 v[26:27], -v[80:81], v[124:125], v[26:27]
	v_fma_f64 v[24:25], -v[80:81], v[126:127], v[24:25]
	;; [unrolled: 1-line block ×3, first 2 shown]
	ds_read2_b64 v[124:127], v114 offset0:46 offset1:47
	v_fma_f64 v[20:21], -v[80:81], v[130:131], v[20:21]
	v_fma_f64 v[18:19], -v[80:81], v[120:121], v[18:19]
	;; [unrolled: 1-line block ×3, first 2 shown]
	ds_read2_b64 v[120:123], v114 offset0:48 offset1:49
	ds_read2_b64 v[128:131], v114 offset0:50 offset1:51
	s_waitcnt lgkmcnt(0)
	v_fma_f64 v[14:15], -v[80:81], v[124:125], v[14:15]
	v_fma_f64 v[12:13], -v[80:81], v[126:127], v[12:13]
	v_fma_f64 v[108:109], -v[80:81], v[110:111], v[108:109]
	v_fma_f64 v[10:11], -v[80:81], v[120:121], v[10:11]
	v_fma_f64 v[8:9], -v[80:81], v[122:123], v[8:9]
	v_fma_f64 v[6:7], -v[80:81], v[128:129], v[6:7]
	v_fma_f64 v[0:1], -v[80:81], v[130:131], v[0:1]
.LBB104_233:
	s_or_b64 exec, exec, s[0:1]
	v_lshl_add_u32 v110, v115, 3, v114
	s_barrier
	ds_write_b64 v110, v[78:79]
	s_waitcnt lgkmcnt(0)
	s_barrier
	ds_read_b64 v[110:111], v114 offset:112
	s_cmp_lt_i32 s18, 16
	v_mov_b32_e32 v112, 14
	s_cbranch_scc1 .LBB104_236
; %bb.234:
	v_add_u32_e32 v119, 0x78, v114
	s_mov_b32 s0, 15
	v_mov_b32_e32 v112, 14
.LBB104_235:                            ; =>This Inner Loop Header: Depth=1
	ds_read_b64 v[120:121], v119
	v_mov_b32_e32 v122, s0
	s_add_i32 s0, s0, 1
	v_add_u32_e32 v119, 8, v119
	s_cmp_lg_u32 s18, s0
	s_waitcnt lgkmcnt(0)
	v_cmp_lt_f64_e64 vcc, |v[110:111]|, |v[120:121]|
	v_cndmask_b32_e32 v111, v111, v121, vcc
	v_cndmask_b32_e32 v110, v110, v120, vcc
	v_cndmask_b32_e32 v112, v112, v122, vcc
	s_cbranch_scc1 .LBB104_235
.LBB104_236:
	s_waitcnt lgkmcnt(0)
	v_cmp_eq_f64_e32 vcc, 0, v[110:111]
	s_and_saveexec_b64 s[0:1], vcc
	s_xor_b64 s[0:1], exec, s[0:1]
; %bb.237:
	v_cmp_ne_u32_e32 vcc, 0, v118
	v_cndmask_b32_e32 v118, 15, v118, vcc
; %bb.238:
	s_andn2_saveexec_b64 s[0:1], s[0:1]
; %bb.239:
	v_div_scale_f64 v[120:121], s[2:3], v[110:111], v[110:111], 1.0
	v_rcp_f64_e32 v[122:123], v[120:121]
	v_div_scale_f64 v[124:125], vcc, 1.0, v[110:111], 1.0
	v_fma_f64 v[126:127], -v[120:121], v[122:123], 1.0
	v_fmac_f64_e32 v[122:123], v[122:123], v[126:127]
	v_fma_f64 v[126:127], -v[120:121], v[122:123], 1.0
	v_fmac_f64_e32 v[122:123], v[122:123], v[126:127]
	v_mul_f64 v[126:127], v[124:125], v[122:123]
	v_fma_f64 v[120:121], -v[120:121], v[126:127], v[124:125]
	v_div_fmas_f64 v[120:121], v[120:121], v[122:123], v[126:127]
	v_div_fixup_f64 v[110:111], v[120:121], v[110:111], 1.0
; %bb.240:
	s_or_b64 exec, exec, s[0:1]
	v_cmp_ne_u32_e32 vcc, v115, v112
	s_and_saveexec_b64 s[0:1], vcc
	s_xor_b64 s[0:1], exec, s[0:1]
	s_cbranch_execz .LBB104_246
; %bb.241:
	v_cmp_eq_u32_e32 vcc, 14, v115
	s_and_saveexec_b64 s[2:3], vcc
	s_cbranch_execz .LBB104_245
; %bb.242:
	v_cmp_ne_u32_e32 vcc, 14, v112
	s_xor_b64 s[14:15], s[6:7], -1
	s_and_b64 s[16:17], s[14:15], vcc
	s_and_saveexec_b64 s[14:15], s[16:17]
	s_cbranch_execz .LBB104_244
; %bb.243:
	v_ashrrev_i32_e32 v113, 31, v112
	v_lshlrev_b64 v[120:121], 2, v[112:113]
	v_add_co_u32_e32 v120, vcc, v4, v120
	v_addc_co_u32_e32 v121, vcc, v5, v121, vcc
	flat_load_dword v113, v[120:121]
	flat_load_dword v115, v[4:5] offset:56
	s_waitcnt vmcnt(0) lgkmcnt(0)
	flat_store_dword v[4:5], v113 offset:56
	flat_store_dword v[120:121], v115
.LBB104_244:
	s_or_b64 exec, exec, s[14:15]
	v_mov_b32_e32 v113, v112
	v_mov_b32_e32 v115, v112
.LBB104_245:
	s_or_b64 exec, exec, s[2:3]
.LBB104_246:
	s_andn2_saveexec_b64 s[0:1], s[0:1]
	s_cbranch_execz .LBB104_248
; %bb.247:
	v_mov_b32_e32 v115, 14
	ds_write2_b64 v114, v[76:77], v[74:75] offset0:15 offset1:16
	ds_write2_b64 v114, v[72:73], v[70:71] offset0:17 offset1:18
	;; [unrolled: 1-line block ×19, first 2 shown]
.LBB104_248:
	s_or_b64 exec, exec, s[0:1]
	v_cmp_lt_i32_e32 vcc, 14, v115
	s_waitcnt lgkmcnt(0)
	s_barrier
	s_and_saveexec_b64 s[0:1], vcc
	s_cbranch_execz .LBB104_250
; %bb.249:
	ds_read2_b64 v[120:123], v114 offset0:15 offset1:16
	ds_read2_b64 v[124:127], v114 offset0:17 offset1:18
	v_mul_f64 v[78:79], v[110:111], v[78:79]
	ds_read2_b64 v[128:131], v114 offset0:19 offset1:20
	s_waitcnt lgkmcnt(0)
	v_fma_f64 v[76:77], -v[78:79], v[120:121], v[76:77]
	v_fma_f64 v[74:75], -v[78:79], v[122:123], v[74:75]
	ds_read2_b64 v[120:123], v114 offset0:21 offset1:22
	v_fma_f64 v[72:73], -v[78:79], v[124:125], v[72:73]
	v_fma_f64 v[70:71], -v[78:79], v[126:127], v[70:71]
	;; [unrolled: 1-line block ×3, first 2 shown]
	ds_read2_b64 v[124:127], v114 offset0:23 offset1:24
	v_fma_f64 v[66:67], -v[78:79], v[130:131], v[66:67]
	ds_read2_b64 v[128:131], v114 offset0:25 offset1:26
	s_waitcnt lgkmcnt(0)
	v_fma_f64 v[64:65], -v[78:79], v[120:121], v[64:65]
	v_fma_f64 v[62:63], -v[78:79], v[122:123], v[62:63]
	ds_read2_b64 v[120:123], v114 offset0:27 offset1:28
	v_fma_f64 v[60:61], -v[78:79], v[124:125], v[60:61]
	v_fma_f64 v[58:59], -v[78:79], v[126:127], v[58:59]
	ds_read2_b64 v[124:127], v114 offset0:29 offset1:30
	v_fma_f64 v[56:57], -v[78:79], v[128:129], v[56:57]
	v_fma_f64 v[54:55], -v[78:79], v[130:131], v[54:55]
	s_waitcnt lgkmcnt(0)
	v_fma_f64 v[52:53], -v[78:79], v[120:121], v[52:53]
	ds_read2_b64 v[128:131], v114 offset0:31 offset1:32
	v_fma_f64 v[50:51], -v[78:79], v[122:123], v[50:51]
	ds_read2_b64 v[120:123], v114 offset0:33 offset1:34
	v_fma_f64 v[48:49], -v[78:79], v[124:125], v[48:49]
	v_fma_f64 v[46:47], -v[78:79], v[126:127], v[46:47]
	s_waitcnt lgkmcnt(0)
	v_fma_f64 v[44:45], -v[78:79], v[128:129], v[44:45]
	ds_read2_b64 v[124:127], v114 offset0:35 offset1:36
	v_fma_f64 v[42:43], -v[78:79], v[130:131], v[42:43]
	ds_read2_b64 v[128:131], v114 offset0:37 offset1:38
	v_fma_f64 v[40:41], -v[78:79], v[120:121], v[40:41]
	v_fma_f64 v[38:39], -v[78:79], v[122:123], v[38:39]
	ds_read2_b64 v[120:123], v114 offset0:39 offset1:40
	s_waitcnt lgkmcnt(0)
	v_fma_f64 v[36:37], -v[78:79], v[124:125], v[36:37]
	v_fma_f64 v[34:35], -v[78:79], v[126:127], v[34:35]
	ds_read2_b64 v[124:127], v114 offset0:41 offset1:42
	v_fma_f64 v[32:33], -v[78:79], v[128:129], v[32:33]
	v_fma_f64 v[30:31], -v[78:79], v[130:131], v[30:31]
	;; [unrolled: 1-line block ×3, first 2 shown]
	ds_read2_b64 v[128:131], v114 offset0:43 offset1:44
	v_fma_f64 v[26:27], -v[78:79], v[122:123], v[26:27]
	ds_read2_b64 v[120:123], v114 offset0:45 offset1:46
	s_waitcnt lgkmcnt(0)
	v_fma_f64 v[24:25], -v[78:79], v[124:125], v[24:25]
	v_fma_f64 v[22:23], -v[78:79], v[126:127], v[22:23]
	;; [unrolled: 1-line block ×4, first 2 shown]
	ds_read2_b64 v[124:127], v114 offset0:47 offset1:48
	ds_read2_b64 v[128:131], v114 offset0:49 offset1:50
	v_fma_f64 v[16:17], -v[78:79], v[120:121], v[16:17]
	v_fma_f64 v[14:15], -v[78:79], v[122:123], v[14:15]
	ds_read2_b64 v[120:123], v114 offset0:51 offset1:52
	s_waitcnt lgkmcnt(0)
	v_fma_f64 v[12:13], -v[78:79], v[124:125], v[12:13]
	v_fma_f64 v[10:11], -v[78:79], v[126:127], v[10:11]
	;; [unrolled: 1-line block ×6, first 2 shown]
.LBB104_250:
	s_or_b64 exec, exec, s[0:1]
	v_lshl_add_u32 v110, v115, 3, v114
	s_barrier
	ds_write_b64 v110, v[76:77]
	s_waitcnt lgkmcnt(0)
	s_barrier
	ds_read_b64 v[110:111], v114 offset:120
	s_cmp_lt_i32 s18, 17
	v_mov_b32_e32 v112, 15
	s_cbranch_scc1 .LBB104_253
; %bb.251:
	v_add_u32_e32 v119, 0x80, v114
	s_mov_b32 s0, 16
	v_mov_b32_e32 v112, 15
.LBB104_252:                            ; =>This Inner Loop Header: Depth=1
	ds_read_b64 v[120:121], v119
	v_mov_b32_e32 v122, s0
	s_add_i32 s0, s0, 1
	v_add_u32_e32 v119, 8, v119
	s_cmp_lg_u32 s18, s0
	s_waitcnt lgkmcnt(0)
	v_cmp_lt_f64_e64 vcc, |v[110:111]|, |v[120:121]|
	v_cndmask_b32_e32 v111, v111, v121, vcc
	v_cndmask_b32_e32 v110, v110, v120, vcc
	;; [unrolled: 1-line block ×3, first 2 shown]
	s_cbranch_scc1 .LBB104_252
.LBB104_253:
	s_waitcnt lgkmcnt(0)
	v_cmp_eq_f64_e32 vcc, 0, v[110:111]
	s_and_saveexec_b64 s[0:1], vcc
	s_xor_b64 s[0:1], exec, s[0:1]
; %bb.254:
	v_cmp_ne_u32_e32 vcc, 0, v118
	v_cndmask_b32_e32 v118, 16, v118, vcc
; %bb.255:
	s_andn2_saveexec_b64 s[0:1], s[0:1]
; %bb.256:
	v_div_scale_f64 v[120:121], s[2:3], v[110:111], v[110:111], 1.0
	v_rcp_f64_e32 v[122:123], v[120:121]
	v_div_scale_f64 v[124:125], vcc, 1.0, v[110:111], 1.0
	v_fma_f64 v[126:127], -v[120:121], v[122:123], 1.0
	v_fmac_f64_e32 v[122:123], v[122:123], v[126:127]
	v_fma_f64 v[126:127], -v[120:121], v[122:123], 1.0
	v_fmac_f64_e32 v[122:123], v[122:123], v[126:127]
	v_mul_f64 v[126:127], v[124:125], v[122:123]
	v_fma_f64 v[120:121], -v[120:121], v[126:127], v[124:125]
	v_div_fmas_f64 v[120:121], v[120:121], v[122:123], v[126:127]
	v_div_fixup_f64 v[110:111], v[120:121], v[110:111], 1.0
; %bb.257:
	s_or_b64 exec, exec, s[0:1]
	v_cmp_ne_u32_e32 vcc, v115, v112
	s_and_saveexec_b64 s[0:1], vcc
	s_xor_b64 s[0:1], exec, s[0:1]
	s_cbranch_execz .LBB104_263
; %bb.258:
	v_cmp_eq_u32_e32 vcc, 15, v115
	s_and_saveexec_b64 s[2:3], vcc
	s_cbranch_execz .LBB104_262
; %bb.259:
	v_cmp_ne_u32_e32 vcc, 15, v112
	s_xor_b64 s[14:15], s[6:7], -1
	s_and_b64 s[16:17], s[14:15], vcc
	s_and_saveexec_b64 s[14:15], s[16:17]
	s_cbranch_execz .LBB104_261
; %bb.260:
	v_ashrrev_i32_e32 v113, 31, v112
	v_lshlrev_b64 v[120:121], 2, v[112:113]
	v_add_co_u32_e32 v120, vcc, v4, v120
	v_addc_co_u32_e32 v121, vcc, v5, v121, vcc
	flat_load_dword v113, v[120:121]
	flat_load_dword v115, v[4:5] offset:60
	s_waitcnt vmcnt(0) lgkmcnt(0)
	flat_store_dword v[4:5], v113 offset:60
	flat_store_dword v[120:121], v115
.LBB104_261:
	s_or_b64 exec, exec, s[14:15]
	v_mov_b32_e32 v113, v112
	v_mov_b32_e32 v115, v112
.LBB104_262:
	s_or_b64 exec, exec, s[2:3]
.LBB104_263:
	s_andn2_saveexec_b64 s[0:1], s[0:1]
	s_cbranch_execz .LBB104_265
; %bb.264:
	v_mov_b32_e32 v120, v74
	v_mov_b32_e32 v121, v75
	v_mov_b32_e32 v122, v72
	v_mov_b32_e32 v123, v73
	ds_write2_b64 v114, v[120:121], v[122:123] offset0:16 offset1:17
	v_mov_b32_e32 v120, v70
	v_mov_b32_e32 v121, v71
	v_mov_b32_e32 v122, v68
	v_mov_b32_e32 v123, v69
	ds_write2_b64 v114, v[120:121], v[122:123] offset0:18 offset1:19
	;; [unrolled: 5-line block ×17, first 2 shown]
	v_mov_b32_e32 v120, v6
	v_mov_b32_e32 v121, v7
	;; [unrolled: 1-line block ×5, first 2 shown]
	ds_write2_b64 v114, v[120:121], v[122:123] offset0:50 offset1:51
	ds_write_b64 v114, v[108:109] offset:416
.LBB104_265:
	s_or_b64 exec, exec, s[0:1]
	v_cmp_lt_i32_e32 vcc, 15, v115
	s_waitcnt lgkmcnt(0)
	s_barrier
	s_and_saveexec_b64 s[0:1], vcc
	s_cbranch_execz .LBB104_267
; %bb.266:
	ds_read2_b64 v[120:123], v114 offset0:16 offset1:17
	ds_read2_b64 v[124:127], v114 offset0:18 offset1:19
	;; [unrolled: 1-line block ×3, first 2 shown]
	v_mul_f64 v[76:77], v[110:111], v[76:77]
	ds_read_b64 v[110:111], v114 offset:416
	s_waitcnt lgkmcnt(0)
	v_fma_f64 v[74:75], -v[76:77], v[120:121], v[74:75]
	v_fma_f64 v[72:73], -v[76:77], v[122:123], v[72:73]
	ds_read2_b64 v[120:123], v114 offset0:22 offset1:23
	v_fma_f64 v[70:71], -v[76:77], v[124:125], v[70:71]
	v_fma_f64 v[68:69], -v[76:77], v[126:127], v[68:69]
	;; [unrolled: 1-line block ×3, first 2 shown]
	ds_read2_b64 v[124:127], v114 offset0:24 offset1:25
	v_fma_f64 v[64:65], -v[76:77], v[130:131], v[64:65]
	ds_read2_b64 v[128:131], v114 offset0:26 offset1:27
	s_waitcnt lgkmcnt(0)
	v_fma_f64 v[62:63], -v[76:77], v[120:121], v[62:63]
	v_fma_f64 v[60:61], -v[76:77], v[122:123], v[60:61]
	v_fma_f64 v[58:59], -v[76:77], v[124:125], v[58:59]
	ds_read2_b64 v[120:123], v114 offset0:28 offset1:29
	v_fma_f64 v[56:57], -v[76:77], v[126:127], v[56:57]
	ds_read2_b64 v[124:127], v114 offset0:30 offset1:31
	v_fma_f64 v[54:55], -v[76:77], v[128:129], v[54:55]
	v_fma_f64 v[52:53], -v[76:77], v[130:131], v[52:53]
	ds_read2_b64 v[128:131], v114 offset0:32 offset1:33
	s_waitcnt lgkmcnt(0)
	v_fma_f64 v[50:51], -v[76:77], v[120:121], v[50:51]
	v_fma_f64 v[48:49], -v[76:77], v[122:123], v[48:49]
	ds_read2_b64 v[120:123], v114 offset0:34 offset1:35
	v_fma_f64 v[46:47], -v[76:77], v[124:125], v[46:47]
	v_fma_f64 v[44:45], -v[76:77], v[126:127], v[44:45]
	;; [unrolled: 1-line block ×3, first 2 shown]
	ds_read2_b64 v[124:127], v114 offset0:36 offset1:37
	v_fma_f64 v[40:41], -v[76:77], v[130:131], v[40:41]
	ds_read2_b64 v[128:131], v114 offset0:38 offset1:39
	s_waitcnt lgkmcnt(0)
	v_fma_f64 v[38:39], -v[76:77], v[120:121], v[38:39]
	v_fma_f64 v[36:37], -v[76:77], v[122:123], v[36:37]
	v_fma_f64 v[34:35], -v[76:77], v[124:125], v[34:35]
	ds_read2_b64 v[120:123], v114 offset0:40 offset1:41
	v_fma_f64 v[32:33], -v[76:77], v[126:127], v[32:33]
	ds_read2_b64 v[124:127], v114 offset0:42 offset1:43
	v_fma_f64 v[30:31], -v[76:77], v[128:129], v[30:31]
	v_fma_f64 v[28:29], -v[76:77], v[130:131], v[28:29]
	ds_read2_b64 v[128:131], v114 offset0:44 offset1:45
	s_waitcnt lgkmcnt(0)
	v_fma_f64 v[26:27], -v[76:77], v[120:121], v[26:27]
	v_fma_f64 v[24:25], -v[76:77], v[122:123], v[24:25]
	ds_read2_b64 v[120:123], v114 offset0:46 offset1:47
	v_fma_f64 v[22:23], -v[76:77], v[124:125], v[22:23]
	v_fma_f64 v[20:21], -v[76:77], v[126:127], v[20:21]
	;; [unrolled: 1-line block ×4, first 2 shown]
	ds_read2_b64 v[124:127], v114 offset0:48 offset1:49
	ds_read2_b64 v[128:131], v114 offset0:50 offset1:51
	s_waitcnt lgkmcnt(0)
	v_fma_f64 v[14:15], -v[76:77], v[120:121], v[14:15]
	v_fma_f64 v[12:13], -v[76:77], v[122:123], v[12:13]
	;; [unrolled: 1-line block ×7, first 2 shown]
.LBB104_267:
	s_or_b64 exec, exec, s[0:1]
	v_lshl_add_u32 v110, v115, 3, v114
	s_barrier
	ds_write_b64 v110, v[74:75]
	s_waitcnt lgkmcnt(0)
	s_barrier
	ds_read_b64 v[110:111], v114 offset:128
	s_cmp_lt_i32 s18, 18
	v_mov_b32_e32 v112, 16
	s_cbranch_scc1 .LBB104_270
; %bb.268:
	v_add_u32_e32 v119, 0x88, v114
	s_mov_b32 s0, 17
	v_mov_b32_e32 v112, 16
.LBB104_269:                            ; =>This Inner Loop Header: Depth=1
	ds_read_b64 v[120:121], v119
	v_mov_b32_e32 v122, s0
	s_add_i32 s0, s0, 1
	v_add_u32_e32 v119, 8, v119
	s_cmp_lg_u32 s18, s0
	s_waitcnt lgkmcnt(0)
	v_cmp_lt_f64_e64 vcc, |v[110:111]|, |v[120:121]|
	v_cndmask_b32_e32 v111, v111, v121, vcc
	v_cndmask_b32_e32 v110, v110, v120, vcc
	;; [unrolled: 1-line block ×3, first 2 shown]
	s_cbranch_scc1 .LBB104_269
.LBB104_270:
	s_waitcnt lgkmcnt(0)
	v_cmp_eq_f64_e32 vcc, 0, v[110:111]
	s_and_saveexec_b64 s[0:1], vcc
	s_xor_b64 s[0:1], exec, s[0:1]
; %bb.271:
	v_cmp_ne_u32_e32 vcc, 0, v118
	v_cndmask_b32_e32 v118, 17, v118, vcc
; %bb.272:
	s_andn2_saveexec_b64 s[0:1], s[0:1]
; %bb.273:
	v_div_scale_f64 v[120:121], s[2:3], v[110:111], v[110:111], 1.0
	v_rcp_f64_e32 v[122:123], v[120:121]
	v_div_scale_f64 v[124:125], vcc, 1.0, v[110:111], 1.0
	v_fma_f64 v[126:127], -v[120:121], v[122:123], 1.0
	v_fmac_f64_e32 v[122:123], v[122:123], v[126:127]
	v_fma_f64 v[126:127], -v[120:121], v[122:123], 1.0
	v_fmac_f64_e32 v[122:123], v[122:123], v[126:127]
	v_mul_f64 v[126:127], v[124:125], v[122:123]
	v_fma_f64 v[120:121], -v[120:121], v[126:127], v[124:125]
	v_div_fmas_f64 v[120:121], v[120:121], v[122:123], v[126:127]
	v_div_fixup_f64 v[110:111], v[120:121], v[110:111], 1.0
; %bb.274:
	s_or_b64 exec, exec, s[0:1]
	v_cmp_ne_u32_e32 vcc, v115, v112
	s_and_saveexec_b64 s[0:1], vcc
	s_xor_b64 s[0:1], exec, s[0:1]
	s_cbranch_execz .LBB104_280
; %bb.275:
	v_cmp_eq_u32_e32 vcc, 16, v115
	s_and_saveexec_b64 s[2:3], vcc
	s_cbranch_execz .LBB104_279
; %bb.276:
	v_cmp_ne_u32_e32 vcc, 16, v112
	s_xor_b64 s[14:15], s[6:7], -1
	s_and_b64 s[16:17], s[14:15], vcc
	s_and_saveexec_b64 s[14:15], s[16:17]
	s_cbranch_execz .LBB104_278
; %bb.277:
	v_ashrrev_i32_e32 v113, 31, v112
	v_lshlrev_b64 v[120:121], 2, v[112:113]
	v_add_co_u32_e32 v120, vcc, v4, v120
	v_addc_co_u32_e32 v121, vcc, v5, v121, vcc
	flat_load_dword v113, v[120:121]
	flat_load_dword v115, v[4:5] offset:64
	s_waitcnt vmcnt(0) lgkmcnt(0)
	flat_store_dword v[4:5], v113 offset:64
	flat_store_dword v[120:121], v115
.LBB104_278:
	s_or_b64 exec, exec, s[14:15]
	v_mov_b32_e32 v113, v112
	v_mov_b32_e32 v115, v112
.LBB104_279:
	s_or_b64 exec, exec, s[2:3]
.LBB104_280:
	s_andn2_saveexec_b64 s[0:1], s[0:1]
	s_cbranch_execz .LBB104_282
; %bb.281:
	v_mov_b32_e32 v115, 16
	ds_write2_b64 v114, v[72:73], v[70:71] offset0:17 offset1:18
	ds_write2_b64 v114, v[68:69], v[66:67] offset0:19 offset1:20
	;; [unrolled: 1-line block ×18, first 2 shown]
.LBB104_282:
	s_or_b64 exec, exec, s[0:1]
	v_cmp_lt_i32_e32 vcc, 16, v115
	s_waitcnt lgkmcnt(0)
	s_barrier
	s_and_saveexec_b64 s[0:1], vcc
	s_cbranch_execz .LBB104_284
; %bb.283:
	ds_read2_b64 v[120:123], v114 offset0:17 offset1:18
	ds_read2_b64 v[124:127], v114 offset0:19 offset1:20
	;; [unrolled: 1-line block ×3, first 2 shown]
	v_mul_f64 v[74:75], v[110:111], v[74:75]
	s_waitcnt lgkmcnt(0)
	v_fma_f64 v[72:73], -v[74:75], v[120:121], v[72:73]
	v_fma_f64 v[70:71], -v[74:75], v[122:123], v[70:71]
	ds_read2_b64 v[120:123], v114 offset0:23 offset1:24
	v_fma_f64 v[68:69], -v[74:75], v[124:125], v[68:69]
	v_fma_f64 v[66:67], -v[74:75], v[126:127], v[66:67]
	;; [unrolled: 1-line block ×3, first 2 shown]
	ds_read2_b64 v[124:127], v114 offset0:25 offset1:26
	v_fma_f64 v[62:63], -v[74:75], v[130:131], v[62:63]
	ds_read2_b64 v[128:131], v114 offset0:27 offset1:28
	s_waitcnt lgkmcnt(0)
	v_fma_f64 v[60:61], -v[74:75], v[120:121], v[60:61]
	v_fma_f64 v[58:59], -v[74:75], v[122:123], v[58:59]
	;; [unrolled: 1-line block ×3, first 2 shown]
	ds_read2_b64 v[120:123], v114 offset0:29 offset1:30
	v_fma_f64 v[54:55], -v[74:75], v[126:127], v[54:55]
	ds_read2_b64 v[124:127], v114 offset0:31 offset1:32
	v_fma_f64 v[52:53], -v[74:75], v[128:129], v[52:53]
	v_fma_f64 v[50:51], -v[74:75], v[130:131], v[50:51]
	ds_read2_b64 v[128:131], v114 offset0:33 offset1:34
	s_waitcnt lgkmcnt(0)
	v_fma_f64 v[48:49], -v[74:75], v[120:121], v[48:49]
	v_fma_f64 v[46:47], -v[74:75], v[122:123], v[46:47]
	ds_read2_b64 v[120:123], v114 offset0:35 offset1:36
	v_fma_f64 v[44:45], -v[74:75], v[124:125], v[44:45]
	v_fma_f64 v[42:43], -v[74:75], v[126:127], v[42:43]
	;; [unrolled: 1-line block ×3, first 2 shown]
	ds_read2_b64 v[124:127], v114 offset0:37 offset1:38
	v_fma_f64 v[38:39], -v[74:75], v[130:131], v[38:39]
	ds_read2_b64 v[128:131], v114 offset0:39 offset1:40
	s_waitcnt lgkmcnt(0)
	v_fma_f64 v[36:37], -v[74:75], v[120:121], v[36:37]
	v_fma_f64 v[34:35], -v[74:75], v[122:123], v[34:35]
	;; [unrolled: 1-line block ×3, first 2 shown]
	ds_read2_b64 v[120:123], v114 offset0:41 offset1:42
	v_fma_f64 v[30:31], -v[74:75], v[126:127], v[30:31]
	ds_read2_b64 v[124:127], v114 offset0:43 offset1:44
	v_fma_f64 v[28:29], -v[74:75], v[128:129], v[28:29]
	v_fma_f64 v[26:27], -v[74:75], v[130:131], v[26:27]
	ds_read2_b64 v[128:131], v114 offset0:45 offset1:46
	s_waitcnt lgkmcnt(0)
	v_fma_f64 v[24:25], -v[74:75], v[120:121], v[24:25]
	v_fma_f64 v[22:23], -v[74:75], v[122:123], v[22:23]
	ds_read2_b64 v[120:123], v114 offset0:47 offset1:48
	v_fma_f64 v[20:21], -v[74:75], v[124:125], v[20:21]
	v_fma_f64 v[18:19], -v[74:75], v[126:127], v[18:19]
	v_fma_f64 v[16:17], -v[74:75], v[128:129], v[16:17]
	ds_read2_b64 v[124:127], v114 offset0:49 offset1:50
	v_fma_f64 v[14:15], -v[74:75], v[130:131], v[14:15]
	ds_read2_b64 v[128:131], v114 offset0:51 offset1:52
	s_waitcnt lgkmcnt(0)
	v_fma_f64 v[12:13], -v[74:75], v[120:121], v[12:13]
	v_fma_f64 v[10:11], -v[74:75], v[122:123], v[10:11]
	;; [unrolled: 1-line block ×6, first 2 shown]
.LBB104_284:
	s_or_b64 exec, exec, s[0:1]
	v_lshl_add_u32 v110, v115, 3, v114
	s_barrier
	ds_write_b64 v110, v[72:73]
	s_waitcnt lgkmcnt(0)
	s_barrier
	ds_read_b64 v[110:111], v114 offset:136
	s_cmp_lt_i32 s18, 19
	v_mov_b32_e32 v112, 17
	s_cbranch_scc1 .LBB104_287
; %bb.285:
	v_add_u32_e32 v119, 0x90, v114
	s_mov_b32 s0, 18
	v_mov_b32_e32 v112, 17
.LBB104_286:                            ; =>This Inner Loop Header: Depth=1
	ds_read_b64 v[120:121], v119
	v_mov_b32_e32 v122, s0
	s_add_i32 s0, s0, 1
	v_add_u32_e32 v119, 8, v119
	s_cmp_lg_u32 s18, s0
	s_waitcnt lgkmcnt(0)
	v_cmp_lt_f64_e64 vcc, |v[110:111]|, |v[120:121]|
	v_cndmask_b32_e32 v111, v111, v121, vcc
	v_cndmask_b32_e32 v110, v110, v120, vcc
	;; [unrolled: 1-line block ×3, first 2 shown]
	s_cbranch_scc1 .LBB104_286
.LBB104_287:
	s_waitcnt lgkmcnt(0)
	v_cmp_eq_f64_e32 vcc, 0, v[110:111]
	s_and_saveexec_b64 s[0:1], vcc
	s_xor_b64 s[0:1], exec, s[0:1]
; %bb.288:
	v_cmp_ne_u32_e32 vcc, 0, v118
	v_cndmask_b32_e32 v118, 18, v118, vcc
; %bb.289:
	s_andn2_saveexec_b64 s[0:1], s[0:1]
; %bb.290:
	v_div_scale_f64 v[120:121], s[2:3], v[110:111], v[110:111], 1.0
	v_rcp_f64_e32 v[122:123], v[120:121]
	v_div_scale_f64 v[124:125], vcc, 1.0, v[110:111], 1.0
	v_fma_f64 v[126:127], -v[120:121], v[122:123], 1.0
	v_fmac_f64_e32 v[122:123], v[122:123], v[126:127]
	v_fma_f64 v[126:127], -v[120:121], v[122:123], 1.0
	v_fmac_f64_e32 v[122:123], v[122:123], v[126:127]
	v_mul_f64 v[126:127], v[124:125], v[122:123]
	v_fma_f64 v[120:121], -v[120:121], v[126:127], v[124:125]
	v_div_fmas_f64 v[120:121], v[120:121], v[122:123], v[126:127]
	v_div_fixup_f64 v[110:111], v[120:121], v[110:111], 1.0
; %bb.291:
	s_or_b64 exec, exec, s[0:1]
	v_cmp_ne_u32_e32 vcc, v115, v112
	s_and_saveexec_b64 s[0:1], vcc
	s_xor_b64 s[0:1], exec, s[0:1]
	s_cbranch_execz .LBB104_297
; %bb.292:
	v_cmp_eq_u32_e32 vcc, 17, v115
	s_and_saveexec_b64 s[2:3], vcc
	s_cbranch_execz .LBB104_296
; %bb.293:
	v_cmp_ne_u32_e32 vcc, 17, v112
	s_xor_b64 s[14:15], s[6:7], -1
	s_and_b64 s[16:17], s[14:15], vcc
	s_and_saveexec_b64 s[14:15], s[16:17]
	s_cbranch_execz .LBB104_295
; %bb.294:
	v_ashrrev_i32_e32 v113, 31, v112
	v_lshlrev_b64 v[120:121], 2, v[112:113]
	v_add_co_u32_e32 v120, vcc, v4, v120
	v_addc_co_u32_e32 v121, vcc, v5, v121, vcc
	flat_load_dword v113, v[120:121]
	flat_load_dword v115, v[4:5] offset:68
	s_waitcnt vmcnt(0) lgkmcnt(0)
	flat_store_dword v[4:5], v113 offset:68
	flat_store_dword v[120:121], v115
.LBB104_295:
	s_or_b64 exec, exec, s[14:15]
	v_mov_b32_e32 v113, v112
	v_mov_b32_e32 v115, v112
.LBB104_296:
	s_or_b64 exec, exec, s[2:3]
.LBB104_297:
	s_andn2_saveexec_b64 s[0:1], s[0:1]
	s_cbranch_execz .LBB104_299
; %bb.298:
	v_mov_b32_e32 v120, v70
	v_mov_b32_e32 v121, v71
	v_mov_b32_e32 v122, v68
	v_mov_b32_e32 v123, v69
	ds_write2_b64 v114, v[120:121], v[122:123] offset0:18 offset1:19
	v_mov_b32_e32 v120, v66
	v_mov_b32_e32 v121, v67
	v_mov_b32_e32 v122, v64
	v_mov_b32_e32 v123, v65
	ds_write2_b64 v114, v[120:121], v[122:123] offset0:20 offset1:21
	;; [unrolled: 5-line block ×16, first 2 shown]
	v_mov_b32_e32 v120, v6
	v_mov_b32_e32 v121, v7
	;; [unrolled: 1-line block ×5, first 2 shown]
	ds_write2_b64 v114, v[120:121], v[122:123] offset0:50 offset1:51
	ds_write_b64 v114, v[108:109] offset:416
.LBB104_299:
	s_or_b64 exec, exec, s[0:1]
	v_cmp_lt_i32_e32 vcc, 17, v115
	s_waitcnt lgkmcnt(0)
	s_barrier
	s_and_saveexec_b64 s[0:1], vcc
	s_cbranch_execz .LBB104_301
; %bb.300:
	ds_read2_b64 v[120:123], v114 offset0:18 offset1:19
	ds_read2_b64 v[124:127], v114 offset0:20 offset1:21
	v_mul_f64 v[72:73], v[110:111], v[72:73]
	ds_read2_b64 v[128:131], v114 offset0:22 offset1:23
	ds_read_b64 v[110:111], v114 offset:416
	s_waitcnt lgkmcnt(0)
	v_fma_f64 v[70:71], -v[72:73], v[120:121], v[70:71]
	v_fma_f64 v[68:69], -v[72:73], v[122:123], v[68:69]
	ds_read2_b64 v[120:123], v114 offset0:24 offset1:25
	v_fma_f64 v[66:67], -v[72:73], v[124:125], v[66:67]
	v_fma_f64 v[64:65], -v[72:73], v[126:127], v[64:65]
	ds_read2_b64 v[124:127], v114 offset0:26 offset1:27
	;; [unrolled: 3-line block ×3, first 2 shown]
	s_waitcnt lgkmcnt(0)
	v_fma_f64 v[58:59], -v[72:73], v[120:121], v[58:59]
	v_fma_f64 v[56:57], -v[72:73], v[122:123], v[56:57]
	;; [unrolled: 1-line block ×3, first 2 shown]
	ds_read2_b64 v[120:123], v114 offset0:30 offset1:31
	v_fma_f64 v[52:53], -v[72:73], v[126:127], v[52:53]
	ds_read2_b64 v[124:127], v114 offset0:32 offset1:33
	v_fma_f64 v[50:51], -v[72:73], v[128:129], v[50:51]
	v_fma_f64 v[48:49], -v[72:73], v[130:131], v[48:49]
	s_waitcnt lgkmcnt(0)
	v_fma_f64 v[46:47], -v[72:73], v[120:121], v[46:47]
	ds_read2_b64 v[128:131], v114 offset0:34 offset1:35
	v_fma_f64 v[44:45], -v[72:73], v[122:123], v[44:45]
	ds_read2_b64 v[120:123], v114 offset0:36 offset1:37
	v_fma_f64 v[42:43], -v[72:73], v[124:125], v[42:43]
	v_fma_f64 v[40:41], -v[72:73], v[126:127], v[40:41]
	ds_read2_b64 v[124:127], v114 offset0:38 offset1:39
	s_waitcnt lgkmcnt(0)
	v_fma_f64 v[38:39], -v[72:73], v[128:129], v[38:39]
	v_fma_f64 v[36:37], -v[72:73], v[130:131], v[36:37]
	ds_read2_b64 v[128:131], v114 offset0:40 offset1:41
	v_fma_f64 v[34:35], -v[72:73], v[120:121], v[34:35]
	v_fma_f64 v[32:33], -v[72:73], v[122:123], v[32:33]
	;; [unrolled: 1-line block ×3, first 2 shown]
	ds_read2_b64 v[120:123], v114 offset0:42 offset1:43
	v_fma_f64 v[28:29], -v[72:73], v[126:127], v[28:29]
	ds_read2_b64 v[124:127], v114 offset0:44 offset1:45
	s_waitcnt lgkmcnt(0)
	v_fma_f64 v[26:27], -v[72:73], v[128:129], v[26:27]
	v_fma_f64 v[24:25], -v[72:73], v[130:131], v[24:25]
	;; [unrolled: 1-line block ×3, first 2 shown]
	ds_read2_b64 v[128:131], v114 offset0:46 offset1:47
	v_fma_f64 v[20:21], -v[72:73], v[122:123], v[20:21]
	ds_read2_b64 v[120:123], v114 offset0:48 offset1:49
	v_fma_f64 v[18:19], -v[72:73], v[124:125], v[18:19]
	v_fma_f64 v[16:17], -v[72:73], v[126:127], v[16:17]
	ds_read2_b64 v[124:127], v114 offset0:50 offset1:51
	s_waitcnt lgkmcnt(0)
	v_fma_f64 v[14:15], -v[72:73], v[128:129], v[14:15]
	v_fma_f64 v[12:13], -v[72:73], v[130:131], v[12:13]
	;; [unrolled: 1-line block ×7, first 2 shown]
.LBB104_301:
	s_or_b64 exec, exec, s[0:1]
	v_lshl_add_u32 v110, v115, 3, v114
	s_barrier
	ds_write_b64 v110, v[70:71]
	s_waitcnt lgkmcnt(0)
	s_barrier
	ds_read_b64 v[110:111], v114 offset:144
	s_cmp_lt_i32 s18, 20
	v_mov_b32_e32 v112, 18
	s_cbranch_scc1 .LBB104_304
; %bb.302:
	v_add_u32_e32 v119, 0x98, v114
	s_mov_b32 s0, 19
	v_mov_b32_e32 v112, 18
.LBB104_303:                            ; =>This Inner Loop Header: Depth=1
	ds_read_b64 v[120:121], v119
	v_mov_b32_e32 v122, s0
	s_add_i32 s0, s0, 1
	v_add_u32_e32 v119, 8, v119
	s_cmp_lg_u32 s18, s0
	s_waitcnt lgkmcnt(0)
	v_cmp_lt_f64_e64 vcc, |v[110:111]|, |v[120:121]|
	v_cndmask_b32_e32 v111, v111, v121, vcc
	v_cndmask_b32_e32 v110, v110, v120, vcc
	;; [unrolled: 1-line block ×3, first 2 shown]
	s_cbranch_scc1 .LBB104_303
.LBB104_304:
	s_waitcnt lgkmcnt(0)
	v_cmp_eq_f64_e32 vcc, 0, v[110:111]
	s_and_saveexec_b64 s[0:1], vcc
	s_xor_b64 s[0:1], exec, s[0:1]
; %bb.305:
	v_cmp_ne_u32_e32 vcc, 0, v118
	v_cndmask_b32_e32 v118, 19, v118, vcc
; %bb.306:
	s_andn2_saveexec_b64 s[0:1], s[0:1]
; %bb.307:
	v_div_scale_f64 v[120:121], s[2:3], v[110:111], v[110:111], 1.0
	v_rcp_f64_e32 v[122:123], v[120:121]
	v_div_scale_f64 v[124:125], vcc, 1.0, v[110:111], 1.0
	v_fma_f64 v[126:127], -v[120:121], v[122:123], 1.0
	v_fmac_f64_e32 v[122:123], v[122:123], v[126:127]
	v_fma_f64 v[126:127], -v[120:121], v[122:123], 1.0
	v_fmac_f64_e32 v[122:123], v[122:123], v[126:127]
	v_mul_f64 v[126:127], v[124:125], v[122:123]
	v_fma_f64 v[120:121], -v[120:121], v[126:127], v[124:125]
	v_div_fmas_f64 v[120:121], v[120:121], v[122:123], v[126:127]
	v_div_fixup_f64 v[110:111], v[120:121], v[110:111], 1.0
; %bb.308:
	s_or_b64 exec, exec, s[0:1]
	v_cmp_ne_u32_e32 vcc, v115, v112
	s_and_saveexec_b64 s[0:1], vcc
	s_xor_b64 s[0:1], exec, s[0:1]
	s_cbranch_execz .LBB104_314
; %bb.309:
	v_cmp_eq_u32_e32 vcc, 18, v115
	s_and_saveexec_b64 s[2:3], vcc
	s_cbranch_execz .LBB104_313
; %bb.310:
	v_cmp_ne_u32_e32 vcc, 18, v112
	s_xor_b64 s[14:15], s[6:7], -1
	s_and_b64 s[16:17], s[14:15], vcc
	s_and_saveexec_b64 s[14:15], s[16:17]
	s_cbranch_execz .LBB104_312
; %bb.311:
	v_ashrrev_i32_e32 v113, 31, v112
	v_lshlrev_b64 v[120:121], 2, v[112:113]
	v_add_co_u32_e32 v120, vcc, v4, v120
	v_addc_co_u32_e32 v121, vcc, v5, v121, vcc
	flat_load_dword v113, v[120:121]
	flat_load_dword v115, v[4:5] offset:72
	s_waitcnt vmcnt(0) lgkmcnt(0)
	flat_store_dword v[4:5], v113 offset:72
	flat_store_dword v[120:121], v115
.LBB104_312:
	s_or_b64 exec, exec, s[14:15]
	v_mov_b32_e32 v113, v112
	v_mov_b32_e32 v115, v112
.LBB104_313:
	s_or_b64 exec, exec, s[2:3]
.LBB104_314:
	s_andn2_saveexec_b64 s[0:1], s[0:1]
	s_cbranch_execz .LBB104_316
; %bb.315:
	v_mov_b32_e32 v115, 18
	ds_write2_b64 v114, v[68:69], v[66:67] offset0:19 offset1:20
	ds_write2_b64 v114, v[64:65], v[62:63] offset0:21 offset1:22
	;; [unrolled: 1-line block ×17, first 2 shown]
.LBB104_316:
	s_or_b64 exec, exec, s[0:1]
	v_cmp_lt_i32_e32 vcc, 18, v115
	s_waitcnt lgkmcnt(0)
	s_barrier
	s_and_saveexec_b64 s[0:1], vcc
	s_cbranch_execz .LBB104_318
; %bb.317:
	ds_read2_b64 v[120:123], v114 offset0:19 offset1:20
	ds_read2_b64 v[124:127], v114 offset0:21 offset1:22
	v_mul_f64 v[70:71], v[110:111], v[70:71]
	ds_read2_b64 v[128:131], v114 offset0:23 offset1:24
	s_waitcnt lgkmcnt(0)
	v_fma_f64 v[68:69], -v[70:71], v[120:121], v[68:69]
	v_fma_f64 v[66:67], -v[70:71], v[122:123], v[66:67]
	ds_read2_b64 v[120:123], v114 offset0:25 offset1:26
	v_fma_f64 v[64:65], -v[70:71], v[124:125], v[64:65]
	v_fma_f64 v[62:63], -v[70:71], v[126:127], v[62:63]
	ds_read2_b64 v[124:127], v114 offset0:27 offset1:28
	;; [unrolled: 3-line block ×3, first 2 shown]
	s_waitcnt lgkmcnt(0)
	v_fma_f64 v[56:57], -v[70:71], v[120:121], v[56:57]
	v_fma_f64 v[54:55], -v[70:71], v[122:123], v[54:55]
	;; [unrolled: 1-line block ×3, first 2 shown]
	ds_read2_b64 v[120:123], v114 offset0:31 offset1:32
	v_fma_f64 v[50:51], -v[70:71], v[126:127], v[50:51]
	ds_read2_b64 v[124:127], v114 offset0:33 offset1:34
	v_fma_f64 v[48:49], -v[70:71], v[128:129], v[48:49]
	v_fma_f64 v[46:47], -v[70:71], v[130:131], v[46:47]
	s_waitcnt lgkmcnt(0)
	v_fma_f64 v[44:45], -v[70:71], v[120:121], v[44:45]
	ds_read2_b64 v[128:131], v114 offset0:35 offset1:36
	v_fma_f64 v[42:43], -v[70:71], v[122:123], v[42:43]
	ds_read2_b64 v[120:123], v114 offset0:37 offset1:38
	v_fma_f64 v[40:41], -v[70:71], v[124:125], v[40:41]
	v_fma_f64 v[38:39], -v[70:71], v[126:127], v[38:39]
	ds_read2_b64 v[124:127], v114 offset0:39 offset1:40
	s_waitcnt lgkmcnt(0)
	v_fma_f64 v[36:37], -v[70:71], v[128:129], v[36:37]
	v_fma_f64 v[34:35], -v[70:71], v[130:131], v[34:35]
	ds_read2_b64 v[128:131], v114 offset0:41 offset1:42
	v_fma_f64 v[32:33], -v[70:71], v[120:121], v[32:33]
	v_fma_f64 v[30:31], -v[70:71], v[122:123], v[30:31]
	;; [unrolled: 1-line block ×3, first 2 shown]
	ds_read2_b64 v[120:123], v114 offset0:43 offset1:44
	v_fma_f64 v[26:27], -v[70:71], v[126:127], v[26:27]
	ds_read2_b64 v[124:127], v114 offset0:45 offset1:46
	s_waitcnt lgkmcnt(0)
	v_fma_f64 v[24:25], -v[70:71], v[128:129], v[24:25]
	v_fma_f64 v[22:23], -v[70:71], v[130:131], v[22:23]
	;; [unrolled: 1-line block ×4, first 2 shown]
	ds_read2_b64 v[120:123], v114 offset0:47 offset1:48
	ds_read2_b64 v[128:131], v114 offset0:49 offset1:50
	v_fma_f64 v[16:17], -v[70:71], v[124:125], v[16:17]
	v_fma_f64 v[14:15], -v[70:71], v[126:127], v[14:15]
	ds_read2_b64 v[124:127], v114 offset0:51 offset1:52
	s_waitcnt lgkmcnt(0)
	v_fma_f64 v[12:13], -v[70:71], v[120:121], v[12:13]
	v_fma_f64 v[10:11], -v[70:71], v[122:123], v[10:11]
	;; [unrolled: 1-line block ×6, first 2 shown]
.LBB104_318:
	s_or_b64 exec, exec, s[0:1]
	v_lshl_add_u32 v110, v115, 3, v114
	s_barrier
	ds_write_b64 v110, v[68:69]
	s_waitcnt lgkmcnt(0)
	s_barrier
	ds_read_b64 v[110:111], v114 offset:152
	s_cmp_lt_i32 s18, 21
	v_mov_b32_e32 v112, 19
	s_cbranch_scc1 .LBB104_321
; %bb.319:
	v_add_u32_e32 v119, 0xa0, v114
	s_mov_b32 s0, 20
	v_mov_b32_e32 v112, 19
.LBB104_320:                            ; =>This Inner Loop Header: Depth=1
	ds_read_b64 v[120:121], v119
	v_mov_b32_e32 v122, s0
	s_add_i32 s0, s0, 1
	v_add_u32_e32 v119, 8, v119
	s_cmp_lg_u32 s18, s0
	s_waitcnt lgkmcnt(0)
	v_cmp_lt_f64_e64 vcc, |v[110:111]|, |v[120:121]|
	v_cndmask_b32_e32 v111, v111, v121, vcc
	v_cndmask_b32_e32 v110, v110, v120, vcc
	;; [unrolled: 1-line block ×3, first 2 shown]
	s_cbranch_scc1 .LBB104_320
.LBB104_321:
	s_waitcnt lgkmcnt(0)
	v_cmp_eq_f64_e32 vcc, 0, v[110:111]
	s_and_saveexec_b64 s[0:1], vcc
	s_xor_b64 s[0:1], exec, s[0:1]
; %bb.322:
	v_cmp_ne_u32_e32 vcc, 0, v118
	v_cndmask_b32_e32 v118, 20, v118, vcc
; %bb.323:
	s_andn2_saveexec_b64 s[0:1], s[0:1]
; %bb.324:
	v_div_scale_f64 v[120:121], s[2:3], v[110:111], v[110:111], 1.0
	v_rcp_f64_e32 v[122:123], v[120:121]
	v_div_scale_f64 v[124:125], vcc, 1.0, v[110:111], 1.0
	v_fma_f64 v[126:127], -v[120:121], v[122:123], 1.0
	v_fmac_f64_e32 v[122:123], v[122:123], v[126:127]
	v_fma_f64 v[126:127], -v[120:121], v[122:123], 1.0
	v_fmac_f64_e32 v[122:123], v[122:123], v[126:127]
	v_mul_f64 v[126:127], v[124:125], v[122:123]
	v_fma_f64 v[120:121], -v[120:121], v[126:127], v[124:125]
	v_div_fmas_f64 v[120:121], v[120:121], v[122:123], v[126:127]
	v_div_fixup_f64 v[110:111], v[120:121], v[110:111], 1.0
; %bb.325:
	s_or_b64 exec, exec, s[0:1]
	v_cmp_ne_u32_e32 vcc, v115, v112
	s_and_saveexec_b64 s[0:1], vcc
	s_xor_b64 s[0:1], exec, s[0:1]
	s_cbranch_execz .LBB104_331
; %bb.326:
	v_cmp_eq_u32_e32 vcc, 19, v115
	s_and_saveexec_b64 s[2:3], vcc
	s_cbranch_execz .LBB104_330
; %bb.327:
	v_cmp_ne_u32_e32 vcc, 19, v112
	s_xor_b64 s[14:15], s[6:7], -1
	s_and_b64 s[16:17], s[14:15], vcc
	s_and_saveexec_b64 s[14:15], s[16:17]
	s_cbranch_execz .LBB104_329
; %bb.328:
	v_ashrrev_i32_e32 v113, 31, v112
	v_lshlrev_b64 v[120:121], 2, v[112:113]
	v_add_co_u32_e32 v120, vcc, v4, v120
	v_addc_co_u32_e32 v121, vcc, v5, v121, vcc
	flat_load_dword v113, v[120:121]
	flat_load_dword v115, v[4:5] offset:76
	s_waitcnt vmcnt(0) lgkmcnt(0)
	flat_store_dword v[4:5], v113 offset:76
	flat_store_dword v[120:121], v115
.LBB104_329:
	s_or_b64 exec, exec, s[14:15]
	v_mov_b32_e32 v113, v112
	v_mov_b32_e32 v115, v112
.LBB104_330:
	s_or_b64 exec, exec, s[2:3]
.LBB104_331:
	s_andn2_saveexec_b64 s[0:1], s[0:1]
	s_cbranch_execz .LBB104_333
; %bb.332:
	v_mov_b32_e32 v120, v66
	v_mov_b32_e32 v121, v67
	v_mov_b32_e32 v122, v64
	v_mov_b32_e32 v123, v65
	ds_write2_b64 v114, v[120:121], v[122:123] offset0:20 offset1:21
	v_mov_b32_e32 v120, v62
	v_mov_b32_e32 v121, v63
	v_mov_b32_e32 v122, v60
	v_mov_b32_e32 v123, v61
	ds_write2_b64 v114, v[120:121], v[122:123] offset0:22 offset1:23
	;; [unrolled: 5-line block ×15, first 2 shown]
	v_mov_b32_e32 v120, v6
	v_mov_b32_e32 v121, v7
	;; [unrolled: 1-line block ×5, first 2 shown]
	ds_write2_b64 v114, v[120:121], v[122:123] offset0:50 offset1:51
	ds_write_b64 v114, v[108:109] offset:416
.LBB104_333:
	s_or_b64 exec, exec, s[0:1]
	v_cmp_lt_i32_e32 vcc, 19, v115
	s_waitcnt lgkmcnt(0)
	s_barrier
	s_and_saveexec_b64 s[0:1], vcc
	s_cbranch_execz .LBB104_335
; %bb.334:
	ds_read2_b64 v[120:123], v114 offset0:20 offset1:21
	ds_read2_b64 v[124:127], v114 offset0:22 offset1:23
	v_mul_f64 v[68:69], v[110:111], v[68:69]
	ds_read2_b64 v[128:131], v114 offset0:24 offset1:25
	ds_read_b64 v[110:111], v114 offset:416
	s_waitcnt lgkmcnt(0)
	v_fma_f64 v[66:67], -v[68:69], v[120:121], v[66:67]
	v_fma_f64 v[64:65], -v[68:69], v[122:123], v[64:65]
	ds_read2_b64 v[120:123], v114 offset0:26 offset1:27
	v_fma_f64 v[62:63], -v[68:69], v[124:125], v[62:63]
	v_fma_f64 v[60:61], -v[68:69], v[126:127], v[60:61]
	v_fma_f64 v[58:59], -v[68:69], v[128:129], v[58:59]
	ds_read2_b64 v[124:127], v114 offset0:28 offset1:29
	v_fma_f64 v[56:57], -v[68:69], v[130:131], v[56:57]
	ds_read2_b64 v[128:131], v114 offset0:30 offset1:31
	s_waitcnt lgkmcnt(0)
	v_fma_f64 v[54:55], -v[68:69], v[120:121], v[54:55]
	v_fma_f64 v[52:53], -v[68:69], v[122:123], v[52:53]
	ds_read2_b64 v[120:123], v114 offset0:32 offset1:33
	v_fma_f64 v[50:51], -v[68:69], v[124:125], v[50:51]
	v_fma_f64 v[48:49], -v[68:69], v[126:127], v[48:49]
	ds_read2_b64 v[124:127], v114 offset0:34 offset1:35
	v_fma_f64 v[46:47], -v[68:69], v[128:129], v[46:47]
	v_fma_f64 v[44:45], -v[68:69], v[130:131], v[44:45]
	s_waitcnt lgkmcnt(0)
	v_fma_f64 v[42:43], -v[68:69], v[120:121], v[42:43]
	ds_read2_b64 v[128:131], v114 offset0:36 offset1:37
	v_fma_f64 v[40:41], -v[68:69], v[122:123], v[40:41]
	ds_read2_b64 v[120:123], v114 offset0:38 offset1:39
	v_fma_f64 v[38:39], -v[68:69], v[124:125], v[38:39]
	v_fma_f64 v[36:37], -v[68:69], v[126:127], v[36:37]
	s_waitcnt lgkmcnt(0)
	v_fma_f64 v[34:35], -v[68:69], v[128:129], v[34:35]
	ds_read2_b64 v[124:127], v114 offset0:40 offset1:41
	v_fma_f64 v[32:33], -v[68:69], v[130:131], v[32:33]
	ds_read2_b64 v[128:131], v114 offset0:42 offset1:43
	v_fma_f64 v[30:31], -v[68:69], v[120:121], v[30:31]
	v_fma_f64 v[28:29], -v[68:69], v[122:123], v[28:29]
	ds_read2_b64 v[120:123], v114 offset0:44 offset1:45
	s_waitcnt lgkmcnt(0)
	v_fma_f64 v[26:27], -v[68:69], v[124:125], v[26:27]
	v_fma_f64 v[24:25], -v[68:69], v[126:127], v[24:25]
	ds_read2_b64 v[124:127], v114 offset0:46 offset1:47
	v_fma_f64 v[22:23], -v[68:69], v[128:129], v[22:23]
	v_fma_f64 v[20:21], -v[68:69], v[130:131], v[20:21]
	v_fma_f64 v[18:19], -v[68:69], v[120:121], v[18:19]
	v_fma_f64 v[16:17], -v[68:69], v[122:123], v[16:17]
	ds_read2_b64 v[120:123], v114 offset0:48 offset1:49
	ds_read2_b64 v[128:131], v114 offset0:50 offset1:51
	s_waitcnt lgkmcnt(0)
	v_fma_f64 v[14:15], -v[68:69], v[124:125], v[14:15]
	v_fma_f64 v[12:13], -v[68:69], v[126:127], v[12:13]
	v_fma_f64 v[108:109], -v[68:69], v[110:111], v[108:109]
	v_fma_f64 v[10:11], -v[68:69], v[120:121], v[10:11]
	v_fma_f64 v[8:9], -v[68:69], v[122:123], v[8:9]
	v_fma_f64 v[6:7], -v[68:69], v[128:129], v[6:7]
	v_fma_f64 v[0:1], -v[68:69], v[130:131], v[0:1]
.LBB104_335:
	s_or_b64 exec, exec, s[0:1]
	v_lshl_add_u32 v110, v115, 3, v114
	s_barrier
	ds_write_b64 v110, v[66:67]
	s_waitcnt lgkmcnt(0)
	s_barrier
	ds_read_b64 v[110:111], v114 offset:160
	s_cmp_lt_i32 s18, 22
	v_mov_b32_e32 v112, 20
	s_cbranch_scc1 .LBB104_338
; %bb.336:
	v_add_u32_e32 v119, 0xa8, v114
	s_mov_b32 s0, 21
	v_mov_b32_e32 v112, 20
.LBB104_337:                            ; =>This Inner Loop Header: Depth=1
	ds_read_b64 v[120:121], v119
	v_mov_b32_e32 v122, s0
	s_add_i32 s0, s0, 1
	v_add_u32_e32 v119, 8, v119
	s_cmp_lg_u32 s18, s0
	s_waitcnt lgkmcnt(0)
	v_cmp_lt_f64_e64 vcc, |v[110:111]|, |v[120:121]|
	v_cndmask_b32_e32 v111, v111, v121, vcc
	v_cndmask_b32_e32 v110, v110, v120, vcc
	;; [unrolled: 1-line block ×3, first 2 shown]
	s_cbranch_scc1 .LBB104_337
.LBB104_338:
	s_waitcnt lgkmcnt(0)
	v_cmp_eq_f64_e32 vcc, 0, v[110:111]
	s_and_saveexec_b64 s[0:1], vcc
	s_xor_b64 s[0:1], exec, s[0:1]
; %bb.339:
	v_cmp_ne_u32_e32 vcc, 0, v118
	v_cndmask_b32_e32 v118, 21, v118, vcc
; %bb.340:
	s_andn2_saveexec_b64 s[0:1], s[0:1]
; %bb.341:
	v_div_scale_f64 v[120:121], s[2:3], v[110:111], v[110:111], 1.0
	v_rcp_f64_e32 v[122:123], v[120:121]
	v_div_scale_f64 v[124:125], vcc, 1.0, v[110:111], 1.0
	v_fma_f64 v[126:127], -v[120:121], v[122:123], 1.0
	v_fmac_f64_e32 v[122:123], v[122:123], v[126:127]
	v_fma_f64 v[126:127], -v[120:121], v[122:123], 1.0
	v_fmac_f64_e32 v[122:123], v[122:123], v[126:127]
	v_mul_f64 v[126:127], v[124:125], v[122:123]
	v_fma_f64 v[120:121], -v[120:121], v[126:127], v[124:125]
	v_div_fmas_f64 v[120:121], v[120:121], v[122:123], v[126:127]
	v_div_fixup_f64 v[110:111], v[120:121], v[110:111], 1.0
; %bb.342:
	s_or_b64 exec, exec, s[0:1]
	v_cmp_ne_u32_e32 vcc, v115, v112
	s_and_saveexec_b64 s[0:1], vcc
	s_xor_b64 s[0:1], exec, s[0:1]
	s_cbranch_execz .LBB104_348
; %bb.343:
	v_cmp_eq_u32_e32 vcc, 20, v115
	s_and_saveexec_b64 s[2:3], vcc
	s_cbranch_execz .LBB104_347
; %bb.344:
	v_cmp_ne_u32_e32 vcc, 20, v112
	s_xor_b64 s[14:15], s[6:7], -1
	s_and_b64 s[16:17], s[14:15], vcc
	s_and_saveexec_b64 s[14:15], s[16:17]
	s_cbranch_execz .LBB104_346
; %bb.345:
	v_ashrrev_i32_e32 v113, 31, v112
	v_lshlrev_b64 v[120:121], 2, v[112:113]
	v_add_co_u32_e32 v120, vcc, v4, v120
	v_addc_co_u32_e32 v121, vcc, v5, v121, vcc
	flat_load_dword v113, v[120:121]
	flat_load_dword v115, v[4:5] offset:80
	s_waitcnt vmcnt(0) lgkmcnt(0)
	flat_store_dword v[4:5], v113 offset:80
	flat_store_dword v[120:121], v115
.LBB104_346:
	s_or_b64 exec, exec, s[14:15]
	v_mov_b32_e32 v113, v112
	v_mov_b32_e32 v115, v112
.LBB104_347:
	s_or_b64 exec, exec, s[2:3]
.LBB104_348:
	s_andn2_saveexec_b64 s[0:1], s[0:1]
	s_cbranch_execz .LBB104_350
; %bb.349:
	v_mov_b32_e32 v115, 20
	ds_write2_b64 v114, v[64:65], v[62:63] offset0:21 offset1:22
	ds_write2_b64 v114, v[60:61], v[58:59] offset0:23 offset1:24
	;; [unrolled: 1-line block ×16, first 2 shown]
.LBB104_350:
	s_or_b64 exec, exec, s[0:1]
	v_cmp_lt_i32_e32 vcc, 20, v115
	s_waitcnt lgkmcnt(0)
	s_barrier
	s_and_saveexec_b64 s[0:1], vcc
	s_cbranch_execz .LBB104_352
; %bb.351:
	ds_read2_b64 v[120:123], v114 offset0:21 offset1:22
	ds_read2_b64 v[124:127], v114 offset0:23 offset1:24
	v_mul_f64 v[66:67], v[110:111], v[66:67]
	ds_read2_b64 v[128:131], v114 offset0:25 offset1:26
	s_waitcnt lgkmcnt(0)
	v_fma_f64 v[64:65], -v[66:67], v[120:121], v[64:65]
	v_fma_f64 v[62:63], -v[66:67], v[122:123], v[62:63]
	ds_read2_b64 v[120:123], v114 offset0:27 offset1:28
	v_fma_f64 v[60:61], -v[66:67], v[124:125], v[60:61]
	v_fma_f64 v[58:59], -v[66:67], v[126:127], v[58:59]
	;; [unrolled: 1-line block ×3, first 2 shown]
	ds_read2_b64 v[124:127], v114 offset0:29 offset1:30
	v_fma_f64 v[54:55], -v[66:67], v[130:131], v[54:55]
	ds_read2_b64 v[128:131], v114 offset0:31 offset1:32
	s_waitcnt lgkmcnt(0)
	v_fma_f64 v[52:53], -v[66:67], v[120:121], v[52:53]
	v_fma_f64 v[50:51], -v[66:67], v[122:123], v[50:51]
	ds_read2_b64 v[120:123], v114 offset0:33 offset1:34
	v_fma_f64 v[48:49], -v[66:67], v[124:125], v[48:49]
	v_fma_f64 v[46:47], -v[66:67], v[126:127], v[46:47]
	ds_read2_b64 v[124:127], v114 offset0:35 offset1:36
	v_fma_f64 v[44:45], -v[66:67], v[128:129], v[44:45]
	v_fma_f64 v[42:43], -v[66:67], v[130:131], v[42:43]
	s_waitcnt lgkmcnt(0)
	v_fma_f64 v[40:41], -v[66:67], v[120:121], v[40:41]
	ds_read2_b64 v[128:131], v114 offset0:37 offset1:38
	v_fma_f64 v[38:39], -v[66:67], v[122:123], v[38:39]
	ds_read2_b64 v[120:123], v114 offset0:39 offset1:40
	v_fma_f64 v[36:37], -v[66:67], v[124:125], v[36:37]
	v_fma_f64 v[34:35], -v[66:67], v[126:127], v[34:35]
	s_waitcnt lgkmcnt(0)
	v_fma_f64 v[32:33], -v[66:67], v[128:129], v[32:33]
	ds_read2_b64 v[124:127], v114 offset0:41 offset1:42
	v_fma_f64 v[30:31], -v[66:67], v[130:131], v[30:31]
	ds_read2_b64 v[128:131], v114 offset0:43 offset1:44
	v_fma_f64 v[28:29], -v[66:67], v[120:121], v[28:29]
	v_fma_f64 v[26:27], -v[66:67], v[122:123], v[26:27]
	ds_read2_b64 v[120:123], v114 offset0:45 offset1:46
	s_waitcnt lgkmcnt(0)
	v_fma_f64 v[24:25], -v[66:67], v[124:125], v[24:25]
	v_fma_f64 v[22:23], -v[66:67], v[126:127], v[22:23]
	ds_read2_b64 v[124:127], v114 offset0:47 offset1:48
	v_fma_f64 v[20:21], -v[66:67], v[128:129], v[20:21]
	v_fma_f64 v[18:19], -v[66:67], v[130:131], v[18:19]
	;; [unrolled: 1-line block ×3, first 2 shown]
	ds_read2_b64 v[128:131], v114 offset0:49 offset1:50
	v_fma_f64 v[14:15], -v[66:67], v[122:123], v[14:15]
	ds_read2_b64 v[120:123], v114 offset0:51 offset1:52
	s_waitcnt lgkmcnt(0)
	v_fma_f64 v[12:13], -v[66:67], v[124:125], v[12:13]
	v_fma_f64 v[10:11], -v[66:67], v[126:127], v[10:11]
	;; [unrolled: 1-line block ×6, first 2 shown]
.LBB104_352:
	s_or_b64 exec, exec, s[0:1]
	v_lshl_add_u32 v110, v115, 3, v114
	s_barrier
	ds_write_b64 v110, v[64:65]
	s_waitcnt lgkmcnt(0)
	s_barrier
	ds_read_b64 v[110:111], v114 offset:168
	s_cmp_lt_i32 s18, 23
	v_mov_b32_e32 v112, 21
	s_cbranch_scc1 .LBB104_355
; %bb.353:
	v_add_u32_e32 v119, 0xb0, v114
	s_mov_b32 s0, 22
	v_mov_b32_e32 v112, 21
.LBB104_354:                            ; =>This Inner Loop Header: Depth=1
	ds_read_b64 v[120:121], v119
	v_mov_b32_e32 v122, s0
	s_add_i32 s0, s0, 1
	v_add_u32_e32 v119, 8, v119
	s_cmp_lg_u32 s18, s0
	s_waitcnt lgkmcnt(0)
	v_cmp_lt_f64_e64 vcc, |v[110:111]|, |v[120:121]|
	v_cndmask_b32_e32 v111, v111, v121, vcc
	v_cndmask_b32_e32 v110, v110, v120, vcc
	;; [unrolled: 1-line block ×3, first 2 shown]
	s_cbranch_scc1 .LBB104_354
.LBB104_355:
	s_waitcnt lgkmcnt(0)
	v_cmp_eq_f64_e32 vcc, 0, v[110:111]
	s_and_saveexec_b64 s[0:1], vcc
	s_xor_b64 s[0:1], exec, s[0:1]
; %bb.356:
	v_cmp_ne_u32_e32 vcc, 0, v118
	v_cndmask_b32_e32 v118, 22, v118, vcc
; %bb.357:
	s_andn2_saveexec_b64 s[0:1], s[0:1]
; %bb.358:
	v_div_scale_f64 v[120:121], s[2:3], v[110:111], v[110:111], 1.0
	v_rcp_f64_e32 v[122:123], v[120:121]
	v_div_scale_f64 v[124:125], vcc, 1.0, v[110:111], 1.0
	v_fma_f64 v[126:127], -v[120:121], v[122:123], 1.0
	v_fmac_f64_e32 v[122:123], v[122:123], v[126:127]
	v_fma_f64 v[126:127], -v[120:121], v[122:123], 1.0
	v_fmac_f64_e32 v[122:123], v[122:123], v[126:127]
	v_mul_f64 v[126:127], v[124:125], v[122:123]
	v_fma_f64 v[120:121], -v[120:121], v[126:127], v[124:125]
	v_div_fmas_f64 v[120:121], v[120:121], v[122:123], v[126:127]
	v_div_fixup_f64 v[110:111], v[120:121], v[110:111], 1.0
; %bb.359:
	s_or_b64 exec, exec, s[0:1]
	v_cmp_ne_u32_e32 vcc, v115, v112
	s_and_saveexec_b64 s[0:1], vcc
	s_xor_b64 s[0:1], exec, s[0:1]
	s_cbranch_execz .LBB104_365
; %bb.360:
	v_cmp_eq_u32_e32 vcc, 21, v115
	s_and_saveexec_b64 s[2:3], vcc
	s_cbranch_execz .LBB104_364
; %bb.361:
	v_cmp_ne_u32_e32 vcc, 21, v112
	s_xor_b64 s[14:15], s[6:7], -1
	s_and_b64 s[16:17], s[14:15], vcc
	s_and_saveexec_b64 s[14:15], s[16:17]
	s_cbranch_execz .LBB104_363
; %bb.362:
	v_ashrrev_i32_e32 v113, 31, v112
	v_lshlrev_b64 v[120:121], 2, v[112:113]
	v_add_co_u32_e32 v120, vcc, v4, v120
	v_addc_co_u32_e32 v121, vcc, v5, v121, vcc
	flat_load_dword v113, v[120:121]
	flat_load_dword v115, v[4:5] offset:84
	s_waitcnt vmcnt(0) lgkmcnt(0)
	flat_store_dword v[4:5], v113 offset:84
	flat_store_dword v[120:121], v115
.LBB104_363:
	s_or_b64 exec, exec, s[14:15]
	v_mov_b32_e32 v113, v112
	v_mov_b32_e32 v115, v112
.LBB104_364:
	s_or_b64 exec, exec, s[2:3]
.LBB104_365:
	s_andn2_saveexec_b64 s[0:1], s[0:1]
	s_cbranch_execz .LBB104_367
; %bb.366:
	v_mov_b32_e32 v120, v62
	v_mov_b32_e32 v121, v63
	v_mov_b32_e32 v122, v60
	v_mov_b32_e32 v123, v61
	ds_write2_b64 v114, v[120:121], v[122:123] offset0:22 offset1:23
	v_mov_b32_e32 v120, v58
	v_mov_b32_e32 v121, v59
	v_mov_b32_e32 v122, v56
	v_mov_b32_e32 v123, v57
	ds_write2_b64 v114, v[120:121], v[122:123] offset0:24 offset1:25
	;; [unrolled: 5-line block ×14, first 2 shown]
	v_mov_b32_e32 v120, v6
	v_mov_b32_e32 v121, v7
	;; [unrolled: 1-line block ×5, first 2 shown]
	ds_write2_b64 v114, v[120:121], v[122:123] offset0:50 offset1:51
	ds_write_b64 v114, v[108:109] offset:416
.LBB104_367:
	s_or_b64 exec, exec, s[0:1]
	v_cmp_lt_i32_e32 vcc, 21, v115
	s_waitcnt lgkmcnt(0)
	s_barrier
	s_and_saveexec_b64 s[0:1], vcc
	s_cbranch_execz .LBB104_369
; %bb.368:
	ds_read2_b64 v[120:123], v114 offset0:22 offset1:23
	ds_read2_b64 v[124:127], v114 offset0:24 offset1:25
	ds_read2_b64 v[128:131], v114 offset0:26 offset1:27
	v_mul_f64 v[64:65], v[110:111], v[64:65]
	ds_read_b64 v[110:111], v114 offset:416
	s_waitcnt lgkmcnt(0)
	v_fma_f64 v[62:63], -v[64:65], v[120:121], v[62:63]
	v_fma_f64 v[60:61], -v[64:65], v[122:123], v[60:61]
	ds_read2_b64 v[120:123], v114 offset0:28 offset1:29
	v_fma_f64 v[58:59], -v[64:65], v[124:125], v[58:59]
	v_fma_f64 v[56:57], -v[64:65], v[126:127], v[56:57]
	;; [unrolled: 1-line block ×3, first 2 shown]
	ds_read2_b64 v[124:127], v114 offset0:30 offset1:31
	v_fma_f64 v[52:53], -v[64:65], v[130:131], v[52:53]
	ds_read2_b64 v[128:131], v114 offset0:32 offset1:33
	s_waitcnt lgkmcnt(0)
	v_fma_f64 v[50:51], -v[64:65], v[120:121], v[50:51]
	v_fma_f64 v[48:49], -v[64:65], v[122:123], v[48:49]
	;; [unrolled: 1-line block ×3, first 2 shown]
	ds_read2_b64 v[120:123], v114 offset0:34 offset1:35
	v_fma_f64 v[44:45], -v[64:65], v[126:127], v[44:45]
	ds_read2_b64 v[124:127], v114 offset0:36 offset1:37
	v_fma_f64 v[42:43], -v[64:65], v[128:129], v[42:43]
	v_fma_f64 v[40:41], -v[64:65], v[130:131], v[40:41]
	ds_read2_b64 v[128:131], v114 offset0:38 offset1:39
	s_waitcnt lgkmcnt(0)
	v_fma_f64 v[38:39], -v[64:65], v[120:121], v[38:39]
	v_fma_f64 v[36:37], -v[64:65], v[122:123], v[36:37]
	ds_read2_b64 v[120:123], v114 offset0:40 offset1:41
	v_fma_f64 v[34:35], -v[64:65], v[124:125], v[34:35]
	v_fma_f64 v[32:33], -v[64:65], v[126:127], v[32:33]
	;; [unrolled: 1-line block ×3, first 2 shown]
	ds_read2_b64 v[124:127], v114 offset0:42 offset1:43
	v_fma_f64 v[28:29], -v[64:65], v[130:131], v[28:29]
	ds_read2_b64 v[128:131], v114 offset0:44 offset1:45
	s_waitcnt lgkmcnt(0)
	v_fma_f64 v[26:27], -v[64:65], v[120:121], v[26:27]
	v_fma_f64 v[24:25], -v[64:65], v[122:123], v[24:25]
	;; [unrolled: 1-line block ×3, first 2 shown]
	ds_read2_b64 v[120:123], v114 offset0:46 offset1:47
	v_fma_f64 v[20:21], -v[64:65], v[126:127], v[20:21]
	ds_read2_b64 v[124:127], v114 offset0:48 offset1:49
	v_fma_f64 v[18:19], -v[64:65], v[128:129], v[18:19]
	v_fma_f64 v[16:17], -v[64:65], v[130:131], v[16:17]
	ds_read2_b64 v[128:131], v114 offset0:50 offset1:51
	s_waitcnt lgkmcnt(0)
	v_fma_f64 v[14:15], -v[64:65], v[120:121], v[14:15]
	v_fma_f64 v[12:13], -v[64:65], v[122:123], v[12:13]
	;; [unrolled: 1-line block ×7, first 2 shown]
.LBB104_369:
	s_or_b64 exec, exec, s[0:1]
	v_lshl_add_u32 v110, v115, 3, v114
	s_barrier
	ds_write_b64 v110, v[62:63]
	s_waitcnt lgkmcnt(0)
	s_barrier
	ds_read_b64 v[110:111], v114 offset:176
	s_cmp_lt_i32 s18, 24
	v_mov_b32_e32 v112, 22
	s_cbranch_scc1 .LBB104_372
; %bb.370:
	v_add_u32_e32 v119, 0xb8, v114
	s_mov_b32 s0, 23
	v_mov_b32_e32 v112, 22
.LBB104_371:                            ; =>This Inner Loop Header: Depth=1
	ds_read_b64 v[120:121], v119
	v_mov_b32_e32 v122, s0
	s_add_i32 s0, s0, 1
	v_add_u32_e32 v119, 8, v119
	s_cmp_lg_u32 s18, s0
	s_waitcnt lgkmcnt(0)
	v_cmp_lt_f64_e64 vcc, |v[110:111]|, |v[120:121]|
	v_cndmask_b32_e32 v111, v111, v121, vcc
	v_cndmask_b32_e32 v110, v110, v120, vcc
	;; [unrolled: 1-line block ×3, first 2 shown]
	s_cbranch_scc1 .LBB104_371
.LBB104_372:
	s_waitcnt lgkmcnt(0)
	v_cmp_eq_f64_e32 vcc, 0, v[110:111]
	s_and_saveexec_b64 s[0:1], vcc
	s_xor_b64 s[0:1], exec, s[0:1]
; %bb.373:
	v_cmp_ne_u32_e32 vcc, 0, v118
	v_cndmask_b32_e32 v118, 23, v118, vcc
; %bb.374:
	s_andn2_saveexec_b64 s[0:1], s[0:1]
; %bb.375:
	v_div_scale_f64 v[120:121], s[2:3], v[110:111], v[110:111], 1.0
	v_rcp_f64_e32 v[122:123], v[120:121]
	v_div_scale_f64 v[124:125], vcc, 1.0, v[110:111], 1.0
	v_fma_f64 v[126:127], -v[120:121], v[122:123], 1.0
	v_fmac_f64_e32 v[122:123], v[122:123], v[126:127]
	v_fma_f64 v[126:127], -v[120:121], v[122:123], 1.0
	v_fmac_f64_e32 v[122:123], v[122:123], v[126:127]
	v_mul_f64 v[126:127], v[124:125], v[122:123]
	v_fma_f64 v[120:121], -v[120:121], v[126:127], v[124:125]
	v_div_fmas_f64 v[120:121], v[120:121], v[122:123], v[126:127]
	v_div_fixup_f64 v[110:111], v[120:121], v[110:111], 1.0
; %bb.376:
	s_or_b64 exec, exec, s[0:1]
	v_cmp_ne_u32_e32 vcc, v115, v112
	s_and_saveexec_b64 s[0:1], vcc
	s_xor_b64 s[0:1], exec, s[0:1]
	s_cbranch_execz .LBB104_382
; %bb.377:
	v_cmp_eq_u32_e32 vcc, 22, v115
	s_and_saveexec_b64 s[2:3], vcc
	s_cbranch_execz .LBB104_381
; %bb.378:
	v_cmp_ne_u32_e32 vcc, 22, v112
	s_xor_b64 s[14:15], s[6:7], -1
	s_and_b64 s[16:17], s[14:15], vcc
	s_and_saveexec_b64 s[14:15], s[16:17]
	s_cbranch_execz .LBB104_380
; %bb.379:
	v_ashrrev_i32_e32 v113, 31, v112
	v_lshlrev_b64 v[120:121], 2, v[112:113]
	v_add_co_u32_e32 v120, vcc, v4, v120
	v_addc_co_u32_e32 v121, vcc, v5, v121, vcc
	flat_load_dword v113, v[120:121]
	flat_load_dword v115, v[4:5] offset:88
	s_waitcnt vmcnt(0) lgkmcnt(0)
	flat_store_dword v[4:5], v113 offset:88
	flat_store_dword v[120:121], v115
.LBB104_380:
	s_or_b64 exec, exec, s[14:15]
	v_mov_b32_e32 v113, v112
	v_mov_b32_e32 v115, v112
.LBB104_381:
	s_or_b64 exec, exec, s[2:3]
.LBB104_382:
	s_andn2_saveexec_b64 s[0:1], s[0:1]
	s_cbranch_execz .LBB104_384
; %bb.383:
	v_mov_b32_e32 v115, 22
	ds_write2_b64 v114, v[60:61], v[58:59] offset0:23 offset1:24
	ds_write2_b64 v114, v[56:57], v[54:55] offset0:25 offset1:26
	;; [unrolled: 1-line block ×15, first 2 shown]
.LBB104_384:
	s_or_b64 exec, exec, s[0:1]
	v_cmp_lt_i32_e32 vcc, 22, v115
	s_waitcnt lgkmcnt(0)
	s_barrier
	s_and_saveexec_b64 s[0:1], vcc
	s_cbranch_execz .LBB104_386
; %bb.385:
	ds_read2_b64 v[120:123], v114 offset0:23 offset1:24
	ds_read2_b64 v[124:127], v114 offset0:25 offset1:26
	;; [unrolled: 1-line block ×3, first 2 shown]
	v_mul_f64 v[62:63], v[110:111], v[62:63]
	s_waitcnt lgkmcnt(0)
	v_fma_f64 v[60:61], -v[62:63], v[120:121], v[60:61]
	v_fma_f64 v[58:59], -v[62:63], v[122:123], v[58:59]
	ds_read2_b64 v[120:123], v114 offset0:29 offset1:30
	v_fma_f64 v[56:57], -v[62:63], v[124:125], v[56:57]
	v_fma_f64 v[54:55], -v[62:63], v[126:127], v[54:55]
	;; [unrolled: 1-line block ×3, first 2 shown]
	ds_read2_b64 v[124:127], v114 offset0:31 offset1:32
	v_fma_f64 v[50:51], -v[62:63], v[130:131], v[50:51]
	ds_read2_b64 v[128:131], v114 offset0:33 offset1:34
	s_waitcnt lgkmcnt(0)
	v_fma_f64 v[48:49], -v[62:63], v[120:121], v[48:49]
	v_fma_f64 v[46:47], -v[62:63], v[122:123], v[46:47]
	;; [unrolled: 1-line block ×3, first 2 shown]
	ds_read2_b64 v[120:123], v114 offset0:35 offset1:36
	v_fma_f64 v[42:43], -v[62:63], v[126:127], v[42:43]
	ds_read2_b64 v[124:127], v114 offset0:37 offset1:38
	v_fma_f64 v[40:41], -v[62:63], v[128:129], v[40:41]
	v_fma_f64 v[38:39], -v[62:63], v[130:131], v[38:39]
	ds_read2_b64 v[128:131], v114 offset0:39 offset1:40
	s_waitcnt lgkmcnt(0)
	v_fma_f64 v[36:37], -v[62:63], v[120:121], v[36:37]
	v_fma_f64 v[34:35], -v[62:63], v[122:123], v[34:35]
	ds_read2_b64 v[120:123], v114 offset0:41 offset1:42
	v_fma_f64 v[32:33], -v[62:63], v[124:125], v[32:33]
	v_fma_f64 v[30:31], -v[62:63], v[126:127], v[30:31]
	;; [unrolled: 1-line block ×3, first 2 shown]
	ds_read2_b64 v[124:127], v114 offset0:43 offset1:44
	v_fma_f64 v[26:27], -v[62:63], v[130:131], v[26:27]
	ds_read2_b64 v[128:131], v114 offset0:45 offset1:46
	s_waitcnt lgkmcnt(0)
	v_fma_f64 v[24:25], -v[62:63], v[120:121], v[24:25]
	v_fma_f64 v[22:23], -v[62:63], v[122:123], v[22:23]
	;; [unrolled: 1-line block ×4, first 2 shown]
	ds_read2_b64 v[120:123], v114 offset0:47 offset1:48
	ds_read2_b64 v[124:127], v114 offset0:49 offset1:50
	v_fma_f64 v[16:17], -v[62:63], v[128:129], v[16:17]
	v_fma_f64 v[14:15], -v[62:63], v[130:131], v[14:15]
	ds_read2_b64 v[128:131], v114 offset0:51 offset1:52
	s_waitcnt lgkmcnt(0)
	v_fma_f64 v[12:13], -v[62:63], v[120:121], v[12:13]
	v_fma_f64 v[10:11], -v[62:63], v[122:123], v[10:11]
	;; [unrolled: 1-line block ×6, first 2 shown]
.LBB104_386:
	s_or_b64 exec, exec, s[0:1]
	v_lshl_add_u32 v110, v115, 3, v114
	s_barrier
	ds_write_b64 v110, v[60:61]
	s_waitcnt lgkmcnt(0)
	s_barrier
	ds_read_b64 v[110:111], v114 offset:184
	s_cmp_lt_i32 s18, 25
	v_mov_b32_e32 v112, 23
	s_cbranch_scc1 .LBB104_389
; %bb.387:
	v_add_u32_e32 v119, 0xc0, v114
	s_mov_b32 s0, 24
	v_mov_b32_e32 v112, 23
.LBB104_388:                            ; =>This Inner Loop Header: Depth=1
	ds_read_b64 v[120:121], v119
	v_mov_b32_e32 v122, s0
	s_add_i32 s0, s0, 1
	v_add_u32_e32 v119, 8, v119
	s_cmp_lg_u32 s18, s0
	s_waitcnt lgkmcnt(0)
	v_cmp_lt_f64_e64 vcc, |v[110:111]|, |v[120:121]|
	v_cndmask_b32_e32 v111, v111, v121, vcc
	v_cndmask_b32_e32 v110, v110, v120, vcc
	;; [unrolled: 1-line block ×3, first 2 shown]
	s_cbranch_scc1 .LBB104_388
.LBB104_389:
	s_waitcnt lgkmcnt(0)
	v_cmp_eq_f64_e32 vcc, 0, v[110:111]
	s_and_saveexec_b64 s[0:1], vcc
	s_xor_b64 s[0:1], exec, s[0:1]
; %bb.390:
	v_cmp_ne_u32_e32 vcc, 0, v118
	v_cndmask_b32_e32 v118, 24, v118, vcc
; %bb.391:
	s_andn2_saveexec_b64 s[0:1], s[0:1]
; %bb.392:
	v_div_scale_f64 v[120:121], s[2:3], v[110:111], v[110:111], 1.0
	v_rcp_f64_e32 v[122:123], v[120:121]
	v_div_scale_f64 v[124:125], vcc, 1.0, v[110:111], 1.0
	v_fma_f64 v[126:127], -v[120:121], v[122:123], 1.0
	v_fmac_f64_e32 v[122:123], v[122:123], v[126:127]
	v_fma_f64 v[126:127], -v[120:121], v[122:123], 1.0
	v_fmac_f64_e32 v[122:123], v[122:123], v[126:127]
	v_mul_f64 v[126:127], v[124:125], v[122:123]
	v_fma_f64 v[120:121], -v[120:121], v[126:127], v[124:125]
	v_div_fmas_f64 v[120:121], v[120:121], v[122:123], v[126:127]
	v_div_fixup_f64 v[110:111], v[120:121], v[110:111], 1.0
; %bb.393:
	s_or_b64 exec, exec, s[0:1]
	v_cmp_ne_u32_e32 vcc, v115, v112
	s_and_saveexec_b64 s[0:1], vcc
	s_xor_b64 s[0:1], exec, s[0:1]
	s_cbranch_execz .LBB104_399
; %bb.394:
	v_cmp_eq_u32_e32 vcc, 23, v115
	s_and_saveexec_b64 s[2:3], vcc
	s_cbranch_execz .LBB104_398
; %bb.395:
	v_cmp_ne_u32_e32 vcc, 23, v112
	s_xor_b64 s[14:15], s[6:7], -1
	s_and_b64 s[16:17], s[14:15], vcc
	s_and_saveexec_b64 s[14:15], s[16:17]
	s_cbranch_execz .LBB104_397
; %bb.396:
	v_ashrrev_i32_e32 v113, 31, v112
	v_lshlrev_b64 v[120:121], 2, v[112:113]
	v_add_co_u32_e32 v120, vcc, v4, v120
	v_addc_co_u32_e32 v121, vcc, v5, v121, vcc
	flat_load_dword v113, v[120:121]
	flat_load_dword v115, v[4:5] offset:92
	s_waitcnt vmcnt(0) lgkmcnt(0)
	flat_store_dword v[4:5], v113 offset:92
	flat_store_dword v[120:121], v115
.LBB104_397:
	s_or_b64 exec, exec, s[14:15]
	v_mov_b32_e32 v113, v112
	v_mov_b32_e32 v115, v112
.LBB104_398:
	s_or_b64 exec, exec, s[2:3]
.LBB104_399:
	s_andn2_saveexec_b64 s[0:1], s[0:1]
	s_cbranch_execz .LBB104_401
; %bb.400:
	v_mov_b32_e32 v120, v58
	v_mov_b32_e32 v121, v59
	v_mov_b32_e32 v122, v56
	v_mov_b32_e32 v123, v57
	ds_write2_b64 v114, v[120:121], v[122:123] offset0:24 offset1:25
	v_mov_b32_e32 v120, v54
	v_mov_b32_e32 v121, v55
	v_mov_b32_e32 v122, v52
	v_mov_b32_e32 v123, v53
	ds_write2_b64 v114, v[120:121], v[122:123] offset0:26 offset1:27
	;; [unrolled: 5-line block ×13, first 2 shown]
	v_mov_b32_e32 v120, v6
	v_mov_b32_e32 v121, v7
	;; [unrolled: 1-line block ×5, first 2 shown]
	ds_write2_b64 v114, v[120:121], v[122:123] offset0:50 offset1:51
	ds_write_b64 v114, v[108:109] offset:416
.LBB104_401:
	s_or_b64 exec, exec, s[0:1]
	v_cmp_lt_i32_e32 vcc, 23, v115
	s_waitcnt lgkmcnt(0)
	s_barrier
	s_and_saveexec_b64 s[0:1], vcc
	s_cbranch_execz .LBB104_403
; %bb.402:
	ds_read2_b64 v[120:123], v114 offset0:24 offset1:25
	ds_read2_b64 v[124:127], v114 offset0:26 offset1:27
	v_mul_f64 v[60:61], v[110:111], v[60:61]
	ds_read2_b64 v[128:131], v114 offset0:28 offset1:29
	ds_read_b64 v[110:111], v114 offset:416
	s_waitcnt lgkmcnt(0)
	v_fma_f64 v[58:59], -v[60:61], v[120:121], v[58:59]
	v_fma_f64 v[56:57], -v[60:61], v[122:123], v[56:57]
	ds_read2_b64 v[120:123], v114 offset0:30 offset1:31
	v_fma_f64 v[54:55], -v[60:61], v[124:125], v[54:55]
	v_fma_f64 v[52:53], -v[60:61], v[126:127], v[52:53]
	ds_read2_b64 v[124:127], v114 offset0:32 offset1:33
	v_fma_f64 v[50:51], -v[60:61], v[128:129], v[50:51]
	v_fma_f64 v[48:49], -v[60:61], v[130:131], v[48:49]
	ds_read2_b64 v[128:131], v114 offset0:34 offset1:35
	s_waitcnt lgkmcnt(0)
	v_fma_f64 v[46:47], -v[60:61], v[120:121], v[46:47]
	v_fma_f64 v[44:45], -v[60:61], v[122:123], v[44:45]
	;; [unrolled: 1-line block ×3, first 2 shown]
	ds_read2_b64 v[120:123], v114 offset0:36 offset1:37
	v_fma_f64 v[40:41], -v[60:61], v[126:127], v[40:41]
	ds_read2_b64 v[124:127], v114 offset0:38 offset1:39
	v_fma_f64 v[38:39], -v[60:61], v[128:129], v[38:39]
	v_fma_f64 v[36:37], -v[60:61], v[130:131], v[36:37]
	s_waitcnt lgkmcnt(0)
	v_fma_f64 v[34:35], -v[60:61], v[120:121], v[34:35]
	ds_read2_b64 v[128:131], v114 offset0:40 offset1:41
	v_fma_f64 v[32:33], -v[60:61], v[122:123], v[32:33]
	ds_read2_b64 v[120:123], v114 offset0:42 offset1:43
	v_fma_f64 v[30:31], -v[60:61], v[124:125], v[30:31]
	v_fma_f64 v[28:29], -v[60:61], v[126:127], v[28:29]
	ds_read2_b64 v[124:127], v114 offset0:44 offset1:45
	s_waitcnt lgkmcnt(0)
	v_fma_f64 v[26:27], -v[60:61], v[128:129], v[26:27]
	v_fma_f64 v[24:25], -v[60:61], v[130:131], v[24:25]
	ds_read2_b64 v[128:131], v114 offset0:46 offset1:47
	v_fma_f64 v[22:23], -v[60:61], v[120:121], v[22:23]
	v_fma_f64 v[20:21], -v[60:61], v[122:123], v[20:21]
	v_fma_f64 v[18:19], -v[60:61], v[124:125], v[18:19]
	v_fma_f64 v[16:17], -v[60:61], v[126:127], v[16:17]
	ds_read2_b64 v[120:123], v114 offset0:48 offset1:49
	ds_read2_b64 v[124:127], v114 offset0:50 offset1:51
	s_waitcnt lgkmcnt(0)
	v_fma_f64 v[14:15], -v[60:61], v[128:129], v[14:15]
	v_fma_f64 v[12:13], -v[60:61], v[130:131], v[12:13]
	;; [unrolled: 1-line block ×7, first 2 shown]
.LBB104_403:
	s_or_b64 exec, exec, s[0:1]
	v_lshl_add_u32 v110, v115, 3, v114
	s_barrier
	ds_write_b64 v110, v[58:59]
	s_waitcnt lgkmcnt(0)
	s_barrier
	ds_read_b64 v[110:111], v114 offset:192
	s_cmp_lt_i32 s18, 26
	v_mov_b32_e32 v112, 24
	s_cbranch_scc1 .LBB104_406
; %bb.404:
	v_add_u32_e32 v119, 0xc8, v114
	s_mov_b32 s0, 25
	v_mov_b32_e32 v112, 24
.LBB104_405:                            ; =>This Inner Loop Header: Depth=1
	ds_read_b64 v[120:121], v119
	v_mov_b32_e32 v122, s0
	s_add_i32 s0, s0, 1
	v_add_u32_e32 v119, 8, v119
	s_cmp_lg_u32 s18, s0
	s_waitcnt lgkmcnt(0)
	v_cmp_lt_f64_e64 vcc, |v[110:111]|, |v[120:121]|
	v_cndmask_b32_e32 v111, v111, v121, vcc
	v_cndmask_b32_e32 v110, v110, v120, vcc
	;; [unrolled: 1-line block ×3, first 2 shown]
	s_cbranch_scc1 .LBB104_405
.LBB104_406:
	s_waitcnt lgkmcnt(0)
	v_cmp_eq_f64_e32 vcc, 0, v[110:111]
	s_and_saveexec_b64 s[0:1], vcc
	s_xor_b64 s[0:1], exec, s[0:1]
; %bb.407:
	v_cmp_ne_u32_e32 vcc, 0, v118
	v_cndmask_b32_e32 v118, 25, v118, vcc
; %bb.408:
	s_andn2_saveexec_b64 s[0:1], s[0:1]
; %bb.409:
	v_div_scale_f64 v[120:121], s[2:3], v[110:111], v[110:111], 1.0
	v_rcp_f64_e32 v[122:123], v[120:121]
	v_div_scale_f64 v[124:125], vcc, 1.0, v[110:111], 1.0
	v_fma_f64 v[126:127], -v[120:121], v[122:123], 1.0
	v_fmac_f64_e32 v[122:123], v[122:123], v[126:127]
	v_fma_f64 v[126:127], -v[120:121], v[122:123], 1.0
	v_fmac_f64_e32 v[122:123], v[122:123], v[126:127]
	v_mul_f64 v[126:127], v[124:125], v[122:123]
	v_fma_f64 v[120:121], -v[120:121], v[126:127], v[124:125]
	v_div_fmas_f64 v[120:121], v[120:121], v[122:123], v[126:127]
	v_div_fixup_f64 v[110:111], v[120:121], v[110:111], 1.0
; %bb.410:
	s_or_b64 exec, exec, s[0:1]
	v_cmp_ne_u32_e32 vcc, v115, v112
	s_and_saveexec_b64 s[0:1], vcc
	s_xor_b64 s[0:1], exec, s[0:1]
	s_cbranch_execz .LBB104_416
; %bb.411:
	v_cmp_eq_u32_e32 vcc, 24, v115
	s_and_saveexec_b64 s[2:3], vcc
	s_cbranch_execz .LBB104_415
; %bb.412:
	v_cmp_ne_u32_e32 vcc, 24, v112
	s_xor_b64 s[14:15], s[6:7], -1
	s_and_b64 s[16:17], s[14:15], vcc
	s_and_saveexec_b64 s[14:15], s[16:17]
	s_cbranch_execz .LBB104_414
; %bb.413:
	v_ashrrev_i32_e32 v113, 31, v112
	v_lshlrev_b64 v[120:121], 2, v[112:113]
	v_add_co_u32_e32 v120, vcc, v4, v120
	v_addc_co_u32_e32 v121, vcc, v5, v121, vcc
	flat_load_dword v113, v[120:121]
	flat_load_dword v115, v[4:5] offset:96
	s_waitcnt vmcnt(0) lgkmcnt(0)
	flat_store_dword v[4:5], v113 offset:96
	flat_store_dword v[120:121], v115
.LBB104_414:
	s_or_b64 exec, exec, s[14:15]
	v_mov_b32_e32 v113, v112
	v_mov_b32_e32 v115, v112
.LBB104_415:
	s_or_b64 exec, exec, s[2:3]
.LBB104_416:
	s_andn2_saveexec_b64 s[0:1], s[0:1]
	s_cbranch_execz .LBB104_418
; %bb.417:
	v_mov_b32_e32 v115, 24
	ds_write2_b64 v114, v[56:57], v[54:55] offset0:25 offset1:26
	ds_write2_b64 v114, v[52:53], v[50:51] offset0:27 offset1:28
	;; [unrolled: 1-line block ×14, first 2 shown]
.LBB104_418:
	s_or_b64 exec, exec, s[0:1]
	v_cmp_lt_i32_e32 vcc, 24, v115
	s_waitcnt lgkmcnt(0)
	s_barrier
	s_and_saveexec_b64 s[0:1], vcc
	s_cbranch_execz .LBB104_420
; %bb.419:
	ds_read2_b64 v[120:123], v114 offset0:25 offset1:26
	ds_read2_b64 v[124:127], v114 offset0:27 offset1:28
	v_mul_f64 v[58:59], v[110:111], v[58:59]
	ds_read2_b64 v[128:131], v114 offset0:29 offset1:30
	s_waitcnt lgkmcnt(0)
	v_fma_f64 v[56:57], -v[58:59], v[120:121], v[56:57]
	v_fma_f64 v[54:55], -v[58:59], v[122:123], v[54:55]
	ds_read2_b64 v[120:123], v114 offset0:31 offset1:32
	v_fma_f64 v[52:53], -v[58:59], v[124:125], v[52:53]
	v_fma_f64 v[50:51], -v[58:59], v[126:127], v[50:51]
	ds_read2_b64 v[124:127], v114 offset0:33 offset1:34
	;; [unrolled: 3-line block ×3, first 2 shown]
	s_waitcnt lgkmcnt(0)
	v_fma_f64 v[44:45], -v[58:59], v[120:121], v[44:45]
	v_fma_f64 v[42:43], -v[58:59], v[122:123], v[42:43]
	;; [unrolled: 1-line block ×3, first 2 shown]
	ds_read2_b64 v[120:123], v114 offset0:37 offset1:38
	v_fma_f64 v[38:39], -v[58:59], v[126:127], v[38:39]
	ds_read2_b64 v[124:127], v114 offset0:39 offset1:40
	v_fma_f64 v[36:37], -v[58:59], v[128:129], v[36:37]
	v_fma_f64 v[34:35], -v[58:59], v[130:131], v[34:35]
	s_waitcnt lgkmcnt(0)
	v_fma_f64 v[32:33], -v[58:59], v[120:121], v[32:33]
	ds_read2_b64 v[128:131], v114 offset0:41 offset1:42
	v_fma_f64 v[30:31], -v[58:59], v[122:123], v[30:31]
	ds_read2_b64 v[120:123], v114 offset0:43 offset1:44
	v_fma_f64 v[28:29], -v[58:59], v[124:125], v[28:29]
	v_fma_f64 v[26:27], -v[58:59], v[126:127], v[26:27]
	ds_read2_b64 v[124:127], v114 offset0:45 offset1:46
	s_waitcnt lgkmcnt(0)
	v_fma_f64 v[24:25], -v[58:59], v[128:129], v[24:25]
	v_fma_f64 v[22:23], -v[58:59], v[130:131], v[22:23]
	;; [unrolled: 1-line block ×4, first 2 shown]
	ds_read2_b64 v[120:123], v114 offset0:47 offset1:48
	v_fma_f64 v[16:17], -v[58:59], v[124:125], v[16:17]
	ds_read2_b64 v[128:131], v114 offset0:49 offset1:50
	v_fma_f64 v[14:15], -v[58:59], v[126:127], v[14:15]
	ds_read2_b64 v[124:127], v114 offset0:51 offset1:52
	s_waitcnt lgkmcnt(0)
	v_fma_f64 v[12:13], -v[58:59], v[120:121], v[12:13]
	v_fma_f64 v[10:11], -v[58:59], v[122:123], v[10:11]
	;; [unrolled: 1-line block ×6, first 2 shown]
.LBB104_420:
	s_or_b64 exec, exec, s[0:1]
	v_lshl_add_u32 v110, v115, 3, v114
	s_barrier
	ds_write_b64 v110, v[56:57]
	s_waitcnt lgkmcnt(0)
	s_barrier
	ds_read_b64 v[110:111], v114 offset:200
	s_cmp_lt_i32 s18, 27
	v_mov_b32_e32 v112, 25
	s_cbranch_scc1 .LBB104_423
; %bb.421:
	v_add_u32_e32 v119, 0xd0, v114
	s_mov_b32 s0, 26
	v_mov_b32_e32 v112, 25
.LBB104_422:                            ; =>This Inner Loop Header: Depth=1
	ds_read_b64 v[120:121], v119
	v_mov_b32_e32 v122, s0
	s_add_i32 s0, s0, 1
	v_add_u32_e32 v119, 8, v119
	s_cmp_lg_u32 s18, s0
	s_waitcnt lgkmcnt(0)
	v_cmp_lt_f64_e64 vcc, |v[110:111]|, |v[120:121]|
	v_cndmask_b32_e32 v111, v111, v121, vcc
	v_cndmask_b32_e32 v110, v110, v120, vcc
	;; [unrolled: 1-line block ×3, first 2 shown]
	s_cbranch_scc1 .LBB104_422
.LBB104_423:
	s_waitcnt lgkmcnt(0)
	v_cmp_eq_f64_e32 vcc, 0, v[110:111]
	s_and_saveexec_b64 s[0:1], vcc
	s_xor_b64 s[0:1], exec, s[0:1]
; %bb.424:
	v_cmp_ne_u32_e32 vcc, 0, v118
	v_cndmask_b32_e32 v118, 26, v118, vcc
; %bb.425:
	s_andn2_saveexec_b64 s[0:1], s[0:1]
; %bb.426:
	v_div_scale_f64 v[120:121], s[2:3], v[110:111], v[110:111], 1.0
	v_rcp_f64_e32 v[122:123], v[120:121]
	v_div_scale_f64 v[124:125], vcc, 1.0, v[110:111], 1.0
	v_fma_f64 v[126:127], -v[120:121], v[122:123], 1.0
	v_fmac_f64_e32 v[122:123], v[122:123], v[126:127]
	v_fma_f64 v[126:127], -v[120:121], v[122:123], 1.0
	v_fmac_f64_e32 v[122:123], v[122:123], v[126:127]
	v_mul_f64 v[126:127], v[124:125], v[122:123]
	v_fma_f64 v[120:121], -v[120:121], v[126:127], v[124:125]
	v_div_fmas_f64 v[120:121], v[120:121], v[122:123], v[126:127]
	v_div_fixup_f64 v[110:111], v[120:121], v[110:111], 1.0
; %bb.427:
	s_or_b64 exec, exec, s[0:1]
	v_cmp_ne_u32_e32 vcc, v115, v112
	s_and_saveexec_b64 s[0:1], vcc
	s_xor_b64 s[0:1], exec, s[0:1]
	s_cbranch_execz .LBB104_433
; %bb.428:
	v_cmp_eq_u32_e32 vcc, 25, v115
	s_and_saveexec_b64 s[2:3], vcc
	s_cbranch_execz .LBB104_432
; %bb.429:
	v_cmp_ne_u32_e32 vcc, 25, v112
	s_xor_b64 s[14:15], s[6:7], -1
	s_and_b64 s[16:17], s[14:15], vcc
	s_and_saveexec_b64 s[14:15], s[16:17]
	s_cbranch_execz .LBB104_431
; %bb.430:
	v_ashrrev_i32_e32 v113, 31, v112
	v_lshlrev_b64 v[120:121], 2, v[112:113]
	v_add_co_u32_e32 v120, vcc, v4, v120
	v_addc_co_u32_e32 v121, vcc, v5, v121, vcc
	flat_load_dword v113, v[120:121]
	flat_load_dword v115, v[4:5] offset:100
	s_waitcnt vmcnt(0) lgkmcnt(0)
	flat_store_dword v[4:5], v113 offset:100
	flat_store_dword v[120:121], v115
.LBB104_431:
	s_or_b64 exec, exec, s[14:15]
	v_mov_b32_e32 v113, v112
	v_mov_b32_e32 v115, v112
.LBB104_432:
	s_or_b64 exec, exec, s[2:3]
.LBB104_433:
	s_andn2_saveexec_b64 s[0:1], s[0:1]
	s_cbranch_execz .LBB104_435
; %bb.434:
	v_mov_b32_e32 v120, v54
	v_mov_b32_e32 v121, v55
	v_mov_b32_e32 v122, v52
	v_mov_b32_e32 v123, v53
	ds_write2_b64 v114, v[120:121], v[122:123] offset0:26 offset1:27
	v_mov_b32_e32 v120, v50
	v_mov_b32_e32 v121, v51
	v_mov_b32_e32 v122, v48
	v_mov_b32_e32 v123, v49
	ds_write2_b64 v114, v[120:121], v[122:123] offset0:28 offset1:29
	;; [unrolled: 5-line block ×12, first 2 shown]
	v_mov_b32_e32 v120, v6
	v_mov_b32_e32 v121, v7
	;; [unrolled: 1-line block ×5, first 2 shown]
	ds_write2_b64 v114, v[120:121], v[122:123] offset0:50 offset1:51
	ds_write_b64 v114, v[108:109] offset:416
.LBB104_435:
	s_or_b64 exec, exec, s[0:1]
	v_cmp_lt_i32_e32 vcc, 25, v115
	s_waitcnt lgkmcnt(0)
	s_barrier
	s_and_saveexec_b64 s[0:1], vcc
	s_cbranch_execz .LBB104_437
; %bb.436:
	ds_read2_b64 v[120:123], v114 offset0:26 offset1:27
	ds_read2_b64 v[124:127], v114 offset0:28 offset1:29
	v_mul_f64 v[56:57], v[110:111], v[56:57]
	ds_read2_b64 v[128:131], v114 offset0:30 offset1:31
	ds_read_b64 v[110:111], v114 offset:416
	s_waitcnt lgkmcnt(0)
	v_fma_f64 v[54:55], -v[56:57], v[120:121], v[54:55]
	v_fma_f64 v[52:53], -v[56:57], v[122:123], v[52:53]
	ds_read2_b64 v[120:123], v114 offset0:32 offset1:33
	v_fma_f64 v[50:51], -v[56:57], v[124:125], v[50:51]
	v_fma_f64 v[48:49], -v[56:57], v[126:127], v[48:49]
	;; [unrolled: 1-line block ×3, first 2 shown]
	ds_read2_b64 v[124:127], v114 offset0:34 offset1:35
	v_fma_f64 v[44:45], -v[56:57], v[130:131], v[44:45]
	ds_read2_b64 v[128:131], v114 offset0:36 offset1:37
	s_waitcnt lgkmcnt(0)
	v_fma_f64 v[42:43], -v[56:57], v[120:121], v[42:43]
	v_fma_f64 v[40:41], -v[56:57], v[122:123], v[40:41]
	ds_read2_b64 v[120:123], v114 offset0:38 offset1:39
	v_fma_f64 v[38:39], -v[56:57], v[124:125], v[38:39]
	v_fma_f64 v[36:37], -v[56:57], v[126:127], v[36:37]
	ds_read2_b64 v[124:127], v114 offset0:40 offset1:41
	v_fma_f64 v[34:35], -v[56:57], v[128:129], v[34:35]
	v_fma_f64 v[32:33], -v[56:57], v[130:131], v[32:33]
	s_waitcnt lgkmcnt(0)
	v_fma_f64 v[30:31], -v[56:57], v[120:121], v[30:31]
	ds_read2_b64 v[128:131], v114 offset0:42 offset1:43
	v_fma_f64 v[28:29], -v[56:57], v[122:123], v[28:29]
	ds_read2_b64 v[120:123], v114 offset0:44 offset1:45
	v_fma_f64 v[26:27], -v[56:57], v[124:125], v[26:27]
	v_fma_f64 v[24:25], -v[56:57], v[126:127], v[24:25]
	s_waitcnt lgkmcnt(0)
	v_fma_f64 v[22:23], -v[56:57], v[128:129], v[22:23]
	ds_read2_b64 v[124:127], v114 offset0:46 offset1:47
	v_fma_f64 v[20:21], -v[56:57], v[130:131], v[20:21]
	v_fma_f64 v[18:19], -v[56:57], v[120:121], v[18:19]
	;; [unrolled: 1-line block ×3, first 2 shown]
	ds_read2_b64 v[120:123], v114 offset0:48 offset1:49
	ds_read2_b64 v[128:131], v114 offset0:50 offset1:51
	s_waitcnt lgkmcnt(0)
	v_fma_f64 v[14:15], -v[56:57], v[124:125], v[14:15]
	v_fma_f64 v[12:13], -v[56:57], v[126:127], v[12:13]
	;; [unrolled: 1-line block ×7, first 2 shown]
.LBB104_437:
	s_or_b64 exec, exec, s[0:1]
	v_lshl_add_u32 v110, v115, 3, v114
	s_barrier
	ds_write_b64 v110, v[54:55]
	s_waitcnt lgkmcnt(0)
	s_barrier
	ds_read_b64 v[110:111], v114 offset:208
	s_cmp_lt_i32 s18, 28
	v_mov_b32_e32 v112, 26
	s_cbranch_scc1 .LBB104_440
; %bb.438:
	v_add_u32_e32 v119, 0xd8, v114
	s_mov_b32 s0, 27
	v_mov_b32_e32 v112, 26
.LBB104_439:                            ; =>This Inner Loop Header: Depth=1
	ds_read_b64 v[120:121], v119
	v_mov_b32_e32 v122, s0
	s_add_i32 s0, s0, 1
	v_add_u32_e32 v119, 8, v119
	s_cmp_lg_u32 s18, s0
	s_waitcnt lgkmcnt(0)
	v_cmp_lt_f64_e64 vcc, |v[110:111]|, |v[120:121]|
	v_cndmask_b32_e32 v111, v111, v121, vcc
	v_cndmask_b32_e32 v110, v110, v120, vcc
	;; [unrolled: 1-line block ×3, first 2 shown]
	s_cbranch_scc1 .LBB104_439
.LBB104_440:
	s_waitcnt lgkmcnt(0)
	v_cmp_eq_f64_e32 vcc, 0, v[110:111]
	s_and_saveexec_b64 s[0:1], vcc
	s_xor_b64 s[0:1], exec, s[0:1]
; %bb.441:
	v_cmp_ne_u32_e32 vcc, 0, v118
	v_cndmask_b32_e32 v118, 27, v118, vcc
; %bb.442:
	s_andn2_saveexec_b64 s[0:1], s[0:1]
; %bb.443:
	v_div_scale_f64 v[120:121], s[2:3], v[110:111], v[110:111], 1.0
	v_rcp_f64_e32 v[122:123], v[120:121]
	v_div_scale_f64 v[124:125], vcc, 1.0, v[110:111], 1.0
	v_fma_f64 v[126:127], -v[120:121], v[122:123], 1.0
	v_fmac_f64_e32 v[122:123], v[122:123], v[126:127]
	v_fma_f64 v[126:127], -v[120:121], v[122:123], 1.0
	v_fmac_f64_e32 v[122:123], v[122:123], v[126:127]
	v_mul_f64 v[126:127], v[124:125], v[122:123]
	v_fma_f64 v[120:121], -v[120:121], v[126:127], v[124:125]
	v_div_fmas_f64 v[120:121], v[120:121], v[122:123], v[126:127]
	v_div_fixup_f64 v[110:111], v[120:121], v[110:111], 1.0
; %bb.444:
	s_or_b64 exec, exec, s[0:1]
	v_cmp_ne_u32_e32 vcc, v115, v112
	s_and_saveexec_b64 s[0:1], vcc
	s_xor_b64 s[0:1], exec, s[0:1]
	s_cbranch_execz .LBB104_450
; %bb.445:
	v_cmp_eq_u32_e32 vcc, 26, v115
	s_and_saveexec_b64 s[2:3], vcc
	s_cbranch_execz .LBB104_449
; %bb.446:
	v_cmp_ne_u32_e32 vcc, 26, v112
	s_xor_b64 s[14:15], s[6:7], -1
	s_and_b64 s[16:17], s[14:15], vcc
	s_and_saveexec_b64 s[14:15], s[16:17]
	s_cbranch_execz .LBB104_448
; %bb.447:
	v_ashrrev_i32_e32 v113, 31, v112
	v_lshlrev_b64 v[120:121], 2, v[112:113]
	v_add_co_u32_e32 v120, vcc, v4, v120
	v_addc_co_u32_e32 v121, vcc, v5, v121, vcc
	flat_load_dword v113, v[120:121]
	flat_load_dword v115, v[4:5] offset:104
	s_waitcnt vmcnt(0) lgkmcnt(0)
	flat_store_dword v[4:5], v113 offset:104
	flat_store_dword v[120:121], v115
.LBB104_448:
	s_or_b64 exec, exec, s[14:15]
	v_mov_b32_e32 v113, v112
	v_mov_b32_e32 v115, v112
.LBB104_449:
	s_or_b64 exec, exec, s[2:3]
.LBB104_450:
	s_andn2_saveexec_b64 s[0:1], s[0:1]
	s_cbranch_execz .LBB104_452
; %bb.451:
	v_mov_b32_e32 v115, 26
	ds_write2_b64 v114, v[52:53], v[50:51] offset0:27 offset1:28
	ds_write2_b64 v114, v[48:49], v[46:47] offset0:29 offset1:30
	;; [unrolled: 1-line block ×13, first 2 shown]
.LBB104_452:
	s_or_b64 exec, exec, s[0:1]
	v_cmp_lt_i32_e32 vcc, 26, v115
	s_waitcnt lgkmcnt(0)
	s_barrier
	s_and_saveexec_b64 s[0:1], vcc
	s_cbranch_execz .LBB104_454
; %bb.453:
	ds_read2_b64 v[120:123], v114 offset0:27 offset1:28
	ds_read2_b64 v[124:127], v114 offset0:29 offset1:30
	v_mul_f64 v[54:55], v[110:111], v[54:55]
	ds_read2_b64 v[128:131], v114 offset0:31 offset1:32
	s_waitcnt lgkmcnt(0)
	v_fma_f64 v[52:53], -v[54:55], v[120:121], v[52:53]
	v_fma_f64 v[50:51], -v[54:55], v[122:123], v[50:51]
	ds_read2_b64 v[120:123], v114 offset0:33 offset1:34
	v_fma_f64 v[48:49], -v[54:55], v[124:125], v[48:49]
	v_fma_f64 v[46:47], -v[54:55], v[126:127], v[46:47]
	;; [unrolled: 1-line block ×3, first 2 shown]
	ds_read2_b64 v[124:127], v114 offset0:35 offset1:36
	v_fma_f64 v[42:43], -v[54:55], v[130:131], v[42:43]
	ds_read2_b64 v[128:131], v114 offset0:37 offset1:38
	s_waitcnt lgkmcnt(0)
	v_fma_f64 v[40:41], -v[54:55], v[120:121], v[40:41]
	v_fma_f64 v[38:39], -v[54:55], v[122:123], v[38:39]
	ds_read2_b64 v[120:123], v114 offset0:39 offset1:40
	v_fma_f64 v[36:37], -v[54:55], v[124:125], v[36:37]
	v_fma_f64 v[34:35], -v[54:55], v[126:127], v[34:35]
	ds_read2_b64 v[124:127], v114 offset0:41 offset1:42
	v_fma_f64 v[32:33], -v[54:55], v[128:129], v[32:33]
	v_fma_f64 v[30:31], -v[54:55], v[130:131], v[30:31]
	s_waitcnt lgkmcnt(0)
	v_fma_f64 v[28:29], -v[54:55], v[120:121], v[28:29]
	ds_read2_b64 v[128:131], v114 offset0:43 offset1:44
	v_fma_f64 v[26:27], -v[54:55], v[122:123], v[26:27]
	ds_read2_b64 v[120:123], v114 offset0:45 offset1:46
	v_fma_f64 v[24:25], -v[54:55], v[124:125], v[24:25]
	v_fma_f64 v[22:23], -v[54:55], v[126:127], v[22:23]
	s_waitcnt lgkmcnt(0)
	v_fma_f64 v[20:21], -v[54:55], v[128:129], v[20:21]
	v_fma_f64 v[18:19], -v[54:55], v[130:131], v[18:19]
	ds_read2_b64 v[124:127], v114 offset0:47 offset1:48
	ds_read2_b64 v[128:131], v114 offset0:49 offset1:50
	v_fma_f64 v[16:17], -v[54:55], v[120:121], v[16:17]
	v_fma_f64 v[14:15], -v[54:55], v[122:123], v[14:15]
	ds_read2_b64 v[120:123], v114 offset0:51 offset1:52
	s_waitcnt lgkmcnt(0)
	v_fma_f64 v[12:13], -v[54:55], v[124:125], v[12:13]
	v_fma_f64 v[10:11], -v[54:55], v[126:127], v[10:11]
	;; [unrolled: 1-line block ×6, first 2 shown]
.LBB104_454:
	s_or_b64 exec, exec, s[0:1]
	v_lshl_add_u32 v110, v115, 3, v114
	s_barrier
	ds_write_b64 v110, v[52:53]
	s_waitcnt lgkmcnt(0)
	s_barrier
	ds_read_b64 v[110:111], v114 offset:216
	s_cmp_lt_i32 s18, 29
	v_mov_b32_e32 v112, 27
	s_cbranch_scc1 .LBB104_457
; %bb.455:
	v_add_u32_e32 v119, 0xe0, v114
	s_mov_b32 s0, 28
	v_mov_b32_e32 v112, 27
.LBB104_456:                            ; =>This Inner Loop Header: Depth=1
	ds_read_b64 v[120:121], v119
	v_mov_b32_e32 v122, s0
	s_add_i32 s0, s0, 1
	v_add_u32_e32 v119, 8, v119
	s_cmp_lg_u32 s18, s0
	s_waitcnt lgkmcnt(0)
	v_cmp_lt_f64_e64 vcc, |v[110:111]|, |v[120:121]|
	v_cndmask_b32_e32 v111, v111, v121, vcc
	v_cndmask_b32_e32 v110, v110, v120, vcc
	;; [unrolled: 1-line block ×3, first 2 shown]
	s_cbranch_scc1 .LBB104_456
.LBB104_457:
	s_waitcnt lgkmcnt(0)
	v_cmp_eq_f64_e32 vcc, 0, v[110:111]
	s_and_saveexec_b64 s[0:1], vcc
	s_xor_b64 s[0:1], exec, s[0:1]
; %bb.458:
	v_cmp_ne_u32_e32 vcc, 0, v118
	v_cndmask_b32_e32 v118, 28, v118, vcc
; %bb.459:
	s_andn2_saveexec_b64 s[0:1], s[0:1]
; %bb.460:
	v_div_scale_f64 v[120:121], s[2:3], v[110:111], v[110:111], 1.0
	v_rcp_f64_e32 v[122:123], v[120:121]
	v_div_scale_f64 v[124:125], vcc, 1.0, v[110:111], 1.0
	v_fma_f64 v[126:127], -v[120:121], v[122:123], 1.0
	v_fmac_f64_e32 v[122:123], v[122:123], v[126:127]
	v_fma_f64 v[126:127], -v[120:121], v[122:123], 1.0
	v_fmac_f64_e32 v[122:123], v[122:123], v[126:127]
	v_mul_f64 v[126:127], v[124:125], v[122:123]
	v_fma_f64 v[120:121], -v[120:121], v[126:127], v[124:125]
	v_div_fmas_f64 v[120:121], v[120:121], v[122:123], v[126:127]
	v_div_fixup_f64 v[110:111], v[120:121], v[110:111], 1.0
; %bb.461:
	s_or_b64 exec, exec, s[0:1]
	v_cmp_ne_u32_e32 vcc, v115, v112
	s_and_saveexec_b64 s[0:1], vcc
	s_xor_b64 s[0:1], exec, s[0:1]
	s_cbranch_execz .LBB104_467
; %bb.462:
	v_cmp_eq_u32_e32 vcc, 27, v115
	s_and_saveexec_b64 s[2:3], vcc
	s_cbranch_execz .LBB104_466
; %bb.463:
	v_cmp_ne_u32_e32 vcc, 27, v112
	s_xor_b64 s[14:15], s[6:7], -1
	s_and_b64 s[16:17], s[14:15], vcc
	s_and_saveexec_b64 s[14:15], s[16:17]
	s_cbranch_execz .LBB104_465
; %bb.464:
	v_ashrrev_i32_e32 v113, 31, v112
	v_lshlrev_b64 v[120:121], 2, v[112:113]
	v_add_co_u32_e32 v120, vcc, v4, v120
	v_addc_co_u32_e32 v121, vcc, v5, v121, vcc
	flat_load_dword v113, v[120:121]
	flat_load_dword v115, v[4:5] offset:108
	s_waitcnt vmcnt(0) lgkmcnt(0)
	flat_store_dword v[4:5], v113 offset:108
	flat_store_dword v[120:121], v115
.LBB104_465:
	s_or_b64 exec, exec, s[14:15]
	v_mov_b32_e32 v113, v112
	v_mov_b32_e32 v115, v112
.LBB104_466:
	s_or_b64 exec, exec, s[2:3]
.LBB104_467:
	s_andn2_saveexec_b64 s[0:1], s[0:1]
	s_cbranch_execz .LBB104_469
; %bb.468:
	v_mov_b32_e32 v120, v50
	v_mov_b32_e32 v121, v51
	v_mov_b32_e32 v122, v48
	v_mov_b32_e32 v123, v49
	ds_write2_b64 v114, v[120:121], v[122:123] offset0:28 offset1:29
	v_mov_b32_e32 v120, v46
	v_mov_b32_e32 v121, v47
	v_mov_b32_e32 v122, v44
	v_mov_b32_e32 v123, v45
	ds_write2_b64 v114, v[120:121], v[122:123] offset0:30 offset1:31
	;; [unrolled: 5-line block ×11, first 2 shown]
	v_mov_b32_e32 v120, v6
	v_mov_b32_e32 v121, v7
	;; [unrolled: 1-line block ×5, first 2 shown]
	ds_write2_b64 v114, v[120:121], v[122:123] offset0:50 offset1:51
	ds_write_b64 v114, v[108:109] offset:416
.LBB104_469:
	s_or_b64 exec, exec, s[0:1]
	v_cmp_lt_i32_e32 vcc, 27, v115
	s_waitcnt lgkmcnt(0)
	s_barrier
	s_and_saveexec_b64 s[0:1], vcc
	s_cbranch_execz .LBB104_471
; %bb.470:
	ds_read2_b64 v[120:123], v114 offset0:28 offset1:29
	ds_read2_b64 v[124:127], v114 offset0:30 offset1:31
	;; [unrolled: 1-line block ×3, first 2 shown]
	v_mul_f64 v[52:53], v[110:111], v[52:53]
	ds_read_b64 v[110:111], v114 offset:416
	s_waitcnt lgkmcnt(0)
	v_fma_f64 v[50:51], -v[52:53], v[120:121], v[50:51]
	v_fma_f64 v[48:49], -v[52:53], v[122:123], v[48:49]
	ds_read2_b64 v[120:123], v114 offset0:34 offset1:35
	v_fma_f64 v[46:47], -v[52:53], v[124:125], v[46:47]
	v_fma_f64 v[44:45], -v[52:53], v[126:127], v[44:45]
	;; [unrolled: 1-line block ×3, first 2 shown]
	ds_read2_b64 v[124:127], v114 offset0:36 offset1:37
	v_fma_f64 v[40:41], -v[52:53], v[130:131], v[40:41]
	ds_read2_b64 v[128:131], v114 offset0:38 offset1:39
	s_waitcnt lgkmcnt(0)
	v_fma_f64 v[38:39], -v[52:53], v[120:121], v[38:39]
	v_fma_f64 v[36:37], -v[52:53], v[122:123], v[36:37]
	;; [unrolled: 1-line block ×3, first 2 shown]
	ds_read2_b64 v[120:123], v114 offset0:40 offset1:41
	v_fma_f64 v[32:33], -v[52:53], v[126:127], v[32:33]
	ds_read2_b64 v[124:127], v114 offset0:42 offset1:43
	v_fma_f64 v[30:31], -v[52:53], v[128:129], v[30:31]
	v_fma_f64 v[28:29], -v[52:53], v[130:131], v[28:29]
	ds_read2_b64 v[128:131], v114 offset0:44 offset1:45
	s_waitcnt lgkmcnt(0)
	v_fma_f64 v[26:27], -v[52:53], v[120:121], v[26:27]
	v_fma_f64 v[24:25], -v[52:53], v[122:123], v[24:25]
	ds_read2_b64 v[120:123], v114 offset0:46 offset1:47
	v_fma_f64 v[22:23], -v[52:53], v[124:125], v[22:23]
	v_fma_f64 v[20:21], -v[52:53], v[126:127], v[20:21]
	;; [unrolled: 1-line block ×4, first 2 shown]
	ds_read2_b64 v[124:127], v114 offset0:48 offset1:49
	ds_read2_b64 v[128:131], v114 offset0:50 offset1:51
	s_waitcnt lgkmcnt(0)
	v_fma_f64 v[14:15], -v[52:53], v[120:121], v[14:15]
	v_fma_f64 v[12:13], -v[52:53], v[122:123], v[12:13]
	;; [unrolled: 1-line block ×7, first 2 shown]
.LBB104_471:
	s_or_b64 exec, exec, s[0:1]
	v_lshl_add_u32 v110, v115, 3, v114
	s_barrier
	ds_write_b64 v110, v[50:51]
	s_waitcnt lgkmcnt(0)
	s_barrier
	ds_read_b64 v[110:111], v114 offset:224
	s_cmp_lt_i32 s18, 30
	v_mov_b32_e32 v112, 28
	s_cbranch_scc1 .LBB104_474
; %bb.472:
	v_add_u32_e32 v119, 0xe8, v114
	s_mov_b32 s0, 29
	v_mov_b32_e32 v112, 28
.LBB104_473:                            ; =>This Inner Loop Header: Depth=1
	ds_read_b64 v[120:121], v119
	v_mov_b32_e32 v122, s0
	s_add_i32 s0, s0, 1
	v_add_u32_e32 v119, 8, v119
	s_cmp_lg_u32 s18, s0
	s_waitcnt lgkmcnt(0)
	v_cmp_lt_f64_e64 vcc, |v[110:111]|, |v[120:121]|
	v_cndmask_b32_e32 v111, v111, v121, vcc
	v_cndmask_b32_e32 v110, v110, v120, vcc
	;; [unrolled: 1-line block ×3, first 2 shown]
	s_cbranch_scc1 .LBB104_473
.LBB104_474:
	s_waitcnt lgkmcnt(0)
	v_cmp_eq_f64_e32 vcc, 0, v[110:111]
	s_and_saveexec_b64 s[0:1], vcc
	s_xor_b64 s[0:1], exec, s[0:1]
; %bb.475:
	v_cmp_ne_u32_e32 vcc, 0, v118
	v_cndmask_b32_e32 v118, 29, v118, vcc
; %bb.476:
	s_andn2_saveexec_b64 s[0:1], s[0:1]
; %bb.477:
	v_div_scale_f64 v[120:121], s[2:3], v[110:111], v[110:111], 1.0
	v_rcp_f64_e32 v[122:123], v[120:121]
	v_div_scale_f64 v[124:125], vcc, 1.0, v[110:111], 1.0
	v_fma_f64 v[126:127], -v[120:121], v[122:123], 1.0
	v_fmac_f64_e32 v[122:123], v[122:123], v[126:127]
	v_fma_f64 v[126:127], -v[120:121], v[122:123], 1.0
	v_fmac_f64_e32 v[122:123], v[122:123], v[126:127]
	v_mul_f64 v[126:127], v[124:125], v[122:123]
	v_fma_f64 v[120:121], -v[120:121], v[126:127], v[124:125]
	v_div_fmas_f64 v[120:121], v[120:121], v[122:123], v[126:127]
	v_div_fixup_f64 v[110:111], v[120:121], v[110:111], 1.0
; %bb.478:
	s_or_b64 exec, exec, s[0:1]
	v_cmp_ne_u32_e32 vcc, v115, v112
	s_and_saveexec_b64 s[0:1], vcc
	s_xor_b64 s[0:1], exec, s[0:1]
	s_cbranch_execz .LBB104_484
; %bb.479:
	v_cmp_eq_u32_e32 vcc, 28, v115
	s_and_saveexec_b64 s[2:3], vcc
	s_cbranch_execz .LBB104_483
; %bb.480:
	v_cmp_ne_u32_e32 vcc, 28, v112
	s_xor_b64 s[14:15], s[6:7], -1
	s_and_b64 s[16:17], s[14:15], vcc
	s_and_saveexec_b64 s[14:15], s[16:17]
	s_cbranch_execz .LBB104_482
; %bb.481:
	v_ashrrev_i32_e32 v113, 31, v112
	v_lshlrev_b64 v[120:121], 2, v[112:113]
	v_add_co_u32_e32 v120, vcc, v4, v120
	v_addc_co_u32_e32 v121, vcc, v5, v121, vcc
	flat_load_dword v113, v[120:121]
	flat_load_dword v115, v[4:5] offset:112
	s_waitcnt vmcnt(0) lgkmcnt(0)
	flat_store_dword v[4:5], v113 offset:112
	flat_store_dword v[120:121], v115
.LBB104_482:
	s_or_b64 exec, exec, s[14:15]
	v_mov_b32_e32 v113, v112
	v_mov_b32_e32 v115, v112
.LBB104_483:
	s_or_b64 exec, exec, s[2:3]
.LBB104_484:
	s_andn2_saveexec_b64 s[0:1], s[0:1]
	s_cbranch_execz .LBB104_486
; %bb.485:
	v_mov_b32_e32 v115, 28
	ds_write2_b64 v114, v[48:49], v[46:47] offset0:29 offset1:30
	ds_write2_b64 v114, v[44:45], v[42:43] offset0:31 offset1:32
	;; [unrolled: 1-line block ×12, first 2 shown]
.LBB104_486:
	s_or_b64 exec, exec, s[0:1]
	v_cmp_lt_i32_e32 vcc, 28, v115
	s_waitcnt lgkmcnt(0)
	s_barrier
	s_and_saveexec_b64 s[0:1], vcc
	s_cbranch_execz .LBB104_488
; %bb.487:
	ds_read2_b64 v[120:123], v114 offset0:29 offset1:30
	ds_read2_b64 v[124:127], v114 offset0:31 offset1:32
	;; [unrolled: 1-line block ×3, first 2 shown]
	v_mul_f64 v[50:51], v[110:111], v[50:51]
	s_waitcnt lgkmcnt(0)
	v_fma_f64 v[48:49], -v[50:51], v[120:121], v[48:49]
	v_fma_f64 v[46:47], -v[50:51], v[122:123], v[46:47]
	ds_read2_b64 v[120:123], v114 offset0:35 offset1:36
	v_fma_f64 v[44:45], -v[50:51], v[124:125], v[44:45]
	v_fma_f64 v[42:43], -v[50:51], v[126:127], v[42:43]
	;; [unrolled: 1-line block ×3, first 2 shown]
	ds_read2_b64 v[124:127], v114 offset0:37 offset1:38
	v_fma_f64 v[38:39], -v[50:51], v[130:131], v[38:39]
	ds_read2_b64 v[128:131], v114 offset0:39 offset1:40
	s_waitcnt lgkmcnt(0)
	v_fma_f64 v[36:37], -v[50:51], v[120:121], v[36:37]
	v_fma_f64 v[34:35], -v[50:51], v[122:123], v[34:35]
	;; [unrolled: 1-line block ×3, first 2 shown]
	ds_read2_b64 v[120:123], v114 offset0:41 offset1:42
	v_fma_f64 v[30:31], -v[50:51], v[126:127], v[30:31]
	ds_read2_b64 v[124:127], v114 offset0:43 offset1:44
	v_fma_f64 v[28:29], -v[50:51], v[128:129], v[28:29]
	v_fma_f64 v[26:27], -v[50:51], v[130:131], v[26:27]
	ds_read2_b64 v[128:131], v114 offset0:45 offset1:46
	s_waitcnt lgkmcnt(0)
	v_fma_f64 v[24:25], -v[50:51], v[120:121], v[24:25]
	v_fma_f64 v[22:23], -v[50:51], v[122:123], v[22:23]
	ds_read2_b64 v[120:123], v114 offset0:47 offset1:48
	v_fma_f64 v[20:21], -v[50:51], v[124:125], v[20:21]
	v_fma_f64 v[18:19], -v[50:51], v[126:127], v[18:19]
	;; [unrolled: 1-line block ×3, first 2 shown]
	ds_read2_b64 v[124:127], v114 offset0:49 offset1:50
	v_fma_f64 v[14:15], -v[50:51], v[130:131], v[14:15]
	ds_read2_b64 v[128:131], v114 offset0:51 offset1:52
	s_waitcnt lgkmcnt(0)
	v_fma_f64 v[12:13], -v[50:51], v[120:121], v[12:13]
	v_fma_f64 v[10:11], -v[50:51], v[122:123], v[10:11]
	;; [unrolled: 1-line block ×6, first 2 shown]
.LBB104_488:
	s_or_b64 exec, exec, s[0:1]
	v_lshl_add_u32 v110, v115, 3, v114
	s_barrier
	ds_write_b64 v110, v[48:49]
	s_waitcnt lgkmcnt(0)
	s_barrier
	ds_read_b64 v[110:111], v114 offset:232
	s_cmp_lt_i32 s18, 31
	v_mov_b32_e32 v112, 29
	s_cbranch_scc1 .LBB104_491
; %bb.489:
	v_add_u32_e32 v119, 0xf0, v114
	s_mov_b32 s0, 30
	v_mov_b32_e32 v112, 29
.LBB104_490:                            ; =>This Inner Loop Header: Depth=1
	ds_read_b64 v[120:121], v119
	v_mov_b32_e32 v122, s0
	s_add_i32 s0, s0, 1
	v_add_u32_e32 v119, 8, v119
	s_cmp_lg_u32 s18, s0
	s_waitcnt lgkmcnt(0)
	v_cmp_lt_f64_e64 vcc, |v[110:111]|, |v[120:121]|
	v_cndmask_b32_e32 v111, v111, v121, vcc
	v_cndmask_b32_e32 v110, v110, v120, vcc
	;; [unrolled: 1-line block ×3, first 2 shown]
	s_cbranch_scc1 .LBB104_490
.LBB104_491:
	s_waitcnt lgkmcnt(0)
	v_cmp_eq_f64_e32 vcc, 0, v[110:111]
	s_and_saveexec_b64 s[0:1], vcc
	s_xor_b64 s[0:1], exec, s[0:1]
; %bb.492:
	v_cmp_ne_u32_e32 vcc, 0, v118
	v_cndmask_b32_e32 v118, 30, v118, vcc
; %bb.493:
	s_andn2_saveexec_b64 s[0:1], s[0:1]
; %bb.494:
	v_div_scale_f64 v[120:121], s[2:3], v[110:111], v[110:111], 1.0
	v_rcp_f64_e32 v[122:123], v[120:121]
	v_div_scale_f64 v[124:125], vcc, 1.0, v[110:111], 1.0
	v_fma_f64 v[126:127], -v[120:121], v[122:123], 1.0
	v_fmac_f64_e32 v[122:123], v[122:123], v[126:127]
	v_fma_f64 v[126:127], -v[120:121], v[122:123], 1.0
	v_fmac_f64_e32 v[122:123], v[122:123], v[126:127]
	v_mul_f64 v[126:127], v[124:125], v[122:123]
	v_fma_f64 v[120:121], -v[120:121], v[126:127], v[124:125]
	v_div_fmas_f64 v[120:121], v[120:121], v[122:123], v[126:127]
	v_div_fixup_f64 v[110:111], v[120:121], v[110:111], 1.0
; %bb.495:
	s_or_b64 exec, exec, s[0:1]
	v_cmp_ne_u32_e32 vcc, v115, v112
	s_and_saveexec_b64 s[0:1], vcc
	s_xor_b64 s[0:1], exec, s[0:1]
	s_cbranch_execz .LBB104_501
; %bb.496:
	v_cmp_eq_u32_e32 vcc, 29, v115
	s_and_saveexec_b64 s[2:3], vcc
	s_cbranch_execz .LBB104_500
; %bb.497:
	v_cmp_ne_u32_e32 vcc, 29, v112
	s_xor_b64 s[14:15], s[6:7], -1
	s_and_b64 s[16:17], s[14:15], vcc
	s_and_saveexec_b64 s[14:15], s[16:17]
	s_cbranch_execz .LBB104_499
; %bb.498:
	v_ashrrev_i32_e32 v113, 31, v112
	v_lshlrev_b64 v[120:121], 2, v[112:113]
	v_add_co_u32_e32 v120, vcc, v4, v120
	v_addc_co_u32_e32 v121, vcc, v5, v121, vcc
	flat_load_dword v113, v[120:121]
	flat_load_dword v115, v[4:5] offset:116
	s_waitcnt vmcnt(0) lgkmcnt(0)
	flat_store_dword v[4:5], v113 offset:116
	flat_store_dword v[120:121], v115
.LBB104_499:
	s_or_b64 exec, exec, s[14:15]
	v_mov_b32_e32 v113, v112
	v_mov_b32_e32 v115, v112
.LBB104_500:
	s_or_b64 exec, exec, s[2:3]
.LBB104_501:
	s_andn2_saveexec_b64 s[0:1], s[0:1]
	s_cbranch_execz .LBB104_503
; %bb.502:
	v_mov_b32_e32 v120, v46
	v_mov_b32_e32 v121, v47
	v_mov_b32_e32 v122, v44
	v_mov_b32_e32 v123, v45
	ds_write2_b64 v114, v[120:121], v[122:123] offset0:30 offset1:31
	v_mov_b32_e32 v120, v42
	v_mov_b32_e32 v121, v43
	v_mov_b32_e32 v122, v40
	v_mov_b32_e32 v123, v41
	ds_write2_b64 v114, v[120:121], v[122:123] offset0:32 offset1:33
	;; [unrolled: 5-line block ×10, first 2 shown]
	v_mov_b32_e32 v120, v6
	v_mov_b32_e32 v121, v7
	;; [unrolled: 1-line block ×5, first 2 shown]
	ds_write2_b64 v114, v[120:121], v[122:123] offset0:50 offset1:51
	ds_write_b64 v114, v[108:109] offset:416
.LBB104_503:
	s_or_b64 exec, exec, s[0:1]
	v_cmp_lt_i32_e32 vcc, 29, v115
	s_waitcnt lgkmcnt(0)
	s_barrier
	s_and_saveexec_b64 s[0:1], vcc
	s_cbranch_execz .LBB104_505
; %bb.504:
	ds_read2_b64 v[120:123], v114 offset0:30 offset1:31
	ds_read2_b64 v[124:127], v114 offset0:32 offset1:33
	v_mul_f64 v[48:49], v[110:111], v[48:49]
	ds_read2_b64 v[128:131], v114 offset0:34 offset1:35
	ds_read_b64 v[110:111], v114 offset:416
	s_waitcnt lgkmcnt(0)
	v_fma_f64 v[46:47], -v[48:49], v[120:121], v[46:47]
	v_fma_f64 v[44:45], -v[48:49], v[122:123], v[44:45]
	ds_read2_b64 v[120:123], v114 offset0:36 offset1:37
	v_fma_f64 v[42:43], -v[48:49], v[124:125], v[42:43]
	v_fma_f64 v[40:41], -v[48:49], v[126:127], v[40:41]
	ds_read2_b64 v[124:127], v114 offset0:38 offset1:39
	;; [unrolled: 3-line block ×3, first 2 shown]
	s_waitcnt lgkmcnt(0)
	v_fma_f64 v[34:35], -v[48:49], v[120:121], v[34:35]
	v_fma_f64 v[32:33], -v[48:49], v[122:123], v[32:33]
	;; [unrolled: 1-line block ×3, first 2 shown]
	ds_read2_b64 v[120:123], v114 offset0:42 offset1:43
	v_fma_f64 v[28:29], -v[48:49], v[126:127], v[28:29]
	ds_read2_b64 v[124:127], v114 offset0:44 offset1:45
	v_fma_f64 v[26:27], -v[48:49], v[128:129], v[26:27]
	v_fma_f64 v[24:25], -v[48:49], v[130:131], v[24:25]
	s_waitcnt lgkmcnt(0)
	v_fma_f64 v[22:23], -v[48:49], v[120:121], v[22:23]
	ds_read2_b64 v[128:131], v114 offset0:46 offset1:47
	v_fma_f64 v[20:21], -v[48:49], v[122:123], v[20:21]
	ds_read2_b64 v[120:123], v114 offset0:48 offset1:49
	v_fma_f64 v[18:19], -v[48:49], v[124:125], v[18:19]
	v_fma_f64 v[16:17], -v[48:49], v[126:127], v[16:17]
	ds_read2_b64 v[124:127], v114 offset0:50 offset1:51
	s_waitcnt lgkmcnt(0)
	v_fma_f64 v[14:15], -v[48:49], v[128:129], v[14:15]
	v_fma_f64 v[12:13], -v[48:49], v[130:131], v[12:13]
	;; [unrolled: 1-line block ×7, first 2 shown]
.LBB104_505:
	s_or_b64 exec, exec, s[0:1]
	v_lshl_add_u32 v110, v115, 3, v114
	s_barrier
	ds_write_b64 v110, v[46:47]
	s_waitcnt lgkmcnt(0)
	s_barrier
	ds_read_b64 v[110:111], v114 offset:240
	s_cmp_lt_i32 s18, 32
	v_mov_b32_e32 v112, 30
	s_cbranch_scc1 .LBB104_508
; %bb.506:
	v_add_u32_e32 v119, 0xf8, v114
	s_mov_b32 s0, 31
	v_mov_b32_e32 v112, 30
.LBB104_507:                            ; =>This Inner Loop Header: Depth=1
	ds_read_b64 v[120:121], v119
	v_mov_b32_e32 v122, s0
	s_add_i32 s0, s0, 1
	v_add_u32_e32 v119, 8, v119
	s_cmp_lg_u32 s18, s0
	s_waitcnt lgkmcnt(0)
	v_cmp_lt_f64_e64 vcc, |v[110:111]|, |v[120:121]|
	v_cndmask_b32_e32 v111, v111, v121, vcc
	v_cndmask_b32_e32 v110, v110, v120, vcc
	;; [unrolled: 1-line block ×3, first 2 shown]
	s_cbranch_scc1 .LBB104_507
.LBB104_508:
	s_waitcnt lgkmcnt(0)
	v_cmp_eq_f64_e32 vcc, 0, v[110:111]
	s_and_saveexec_b64 s[0:1], vcc
	s_xor_b64 s[0:1], exec, s[0:1]
; %bb.509:
	v_cmp_ne_u32_e32 vcc, 0, v118
	v_cndmask_b32_e32 v118, 31, v118, vcc
; %bb.510:
	s_andn2_saveexec_b64 s[0:1], s[0:1]
; %bb.511:
	v_div_scale_f64 v[120:121], s[2:3], v[110:111], v[110:111], 1.0
	v_rcp_f64_e32 v[122:123], v[120:121]
	v_div_scale_f64 v[124:125], vcc, 1.0, v[110:111], 1.0
	v_fma_f64 v[126:127], -v[120:121], v[122:123], 1.0
	v_fmac_f64_e32 v[122:123], v[122:123], v[126:127]
	v_fma_f64 v[126:127], -v[120:121], v[122:123], 1.0
	v_fmac_f64_e32 v[122:123], v[122:123], v[126:127]
	v_mul_f64 v[126:127], v[124:125], v[122:123]
	v_fma_f64 v[120:121], -v[120:121], v[126:127], v[124:125]
	v_div_fmas_f64 v[120:121], v[120:121], v[122:123], v[126:127]
	v_div_fixup_f64 v[110:111], v[120:121], v[110:111], 1.0
; %bb.512:
	s_or_b64 exec, exec, s[0:1]
	v_cmp_ne_u32_e32 vcc, v115, v112
	s_and_saveexec_b64 s[0:1], vcc
	s_xor_b64 s[0:1], exec, s[0:1]
	s_cbranch_execz .LBB104_518
; %bb.513:
	v_cmp_eq_u32_e32 vcc, 30, v115
	s_and_saveexec_b64 s[2:3], vcc
	s_cbranch_execz .LBB104_517
; %bb.514:
	v_cmp_ne_u32_e32 vcc, 30, v112
	s_xor_b64 s[14:15], s[6:7], -1
	s_and_b64 s[16:17], s[14:15], vcc
	s_and_saveexec_b64 s[14:15], s[16:17]
	s_cbranch_execz .LBB104_516
; %bb.515:
	v_ashrrev_i32_e32 v113, 31, v112
	v_lshlrev_b64 v[120:121], 2, v[112:113]
	v_add_co_u32_e32 v120, vcc, v4, v120
	v_addc_co_u32_e32 v121, vcc, v5, v121, vcc
	flat_load_dword v113, v[120:121]
	flat_load_dword v115, v[4:5] offset:120
	s_waitcnt vmcnt(0) lgkmcnt(0)
	flat_store_dword v[4:5], v113 offset:120
	flat_store_dword v[120:121], v115
.LBB104_516:
	s_or_b64 exec, exec, s[14:15]
	v_mov_b32_e32 v113, v112
	v_mov_b32_e32 v115, v112
.LBB104_517:
	s_or_b64 exec, exec, s[2:3]
.LBB104_518:
	s_andn2_saveexec_b64 s[0:1], s[0:1]
	s_cbranch_execz .LBB104_520
; %bb.519:
	v_mov_b32_e32 v115, 30
	ds_write2_b64 v114, v[44:45], v[42:43] offset0:31 offset1:32
	ds_write2_b64 v114, v[40:41], v[38:39] offset0:33 offset1:34
	;; [unrolled: 1-line block ×11, first 2 shown]
.LBB104_520:
	s_or_b64 exec, exec, s[0:1]
	v_cmp_lt_i32_e32 vcc, 30, v115
	s_waitcnt lgkmcnt(0)
	s_barrier
	s_and_saveexec_b64 s[0:1], vcc
	s_cbranch_execz .LBB104_522
; %bb.521:
	ds_read2_b64 v[120:123], v114 offset0:31 offset1:32
	ds_read2_b64 v[124:127], v114 offset0:33 offset1:34
	v_mul_f64 v[46:47], v[110:111], v[46:47]
	ds_read2_b64 v[128:131], v114 offset0:35 offset1:36
	s_waitcnt lgkmcnt(0)
	v_fma_f64 v[44:45], -v[46:47], v[120:121], v[44:45]
	v_fma_f64 v[42:43], -v[46:47], v[122:123], v[42:43]
	ds_read2_b64 v[120:123], v114 offset0:37 offset1:38
	v_fma_f64 v[40:41], -v[46:47], v[124:125], v[40:41]
	v_fma_f64 v[38:39], -v[46:47], v[126:127], v[38:39]
	ds_read2_b64 v[124:127], v114 offset0:39 offset1:40
	v_fma_f64 v[36:37], -v[46:47], v[128:129], v[36:37]
	v_fma_f64 v[34:35], -v[46:47], v[130:131], v[34:35]
	ds_read2_b64 v[128:131], v114 offset0:41 offset1:42
	s_waitcnt lgkmcnt(0)
	v_fma_f64 v[32:33], -v[46:47], v[120:121], v[32:33]
	v_fma_f64 v[30:31], -v[46:47], v[122:123], v[30:31]
	;; [unrolled: 1-line block ×3, first 2 shown]
	ds_read2_b64 v[120:123], v114 offset0:43 offset1:44
	v_fma_f64 v[26:27], -v[46:47], v[126:127], v[26:27]
	ds_read2_b64 v[124:127], v114 offset0:45 offset1:46
	v_fma_f64 v[24:25], -v[46:47], v[128:129], v[24:25]
	v_fma_f64 v[22:23], -v[46:47], v[130:131], v[22:23]
	s_waitcnt lgkmcnt(0)
	v_fma_f64 v[20:21], -v[46:47], v[120:121], v[20:21]
	v_fma_f64 v[18:19], -v[46:47], v[122:123], v[18:19]
	ds_read2_b64 v[120:123], v114 offset0:47 offset1:48
	ds_read2_b64 v[128:131], v114 offset0:49 offset1:50
	v_fma_f64 v[16:17], -v[46:47], v[124:125], v[16:17]
	v_fma_f64 v[14:15], -v[46:47], v[126:127], v[14:15]
	ds_read2_b64 v[124:127], v114 offset0:51 offset1:52
	s_waitcnt lgkmcnt(0)
	v_fma_f64 v[12:13], -v[46:47], v[120:121], v[12:13]
	v_fma_f64 v[10:11], -v[46:47], v[122:123], v[10:11]
	;; [unrolled: 1-line block ×6, first 2 shown]
.LBB104_522:
	s_or_b64 exec, exec, s[0:1]
	v_lshl_add_u32 v110, v115, 3, v114
	s_barrier
	ds_write_b64 v110, v[44:45]
	s_waitcnt lgkmcnt(0)
	s_barrier
	ds_read_b64 v[110:111], v114 offset:248
	s_cmp_lt_i32 s18, 33
	v_mov_b32_e32 v112, 31
	s_cbranch_scc1 .LBB104_525
; %bb.523:
	v_add_u32_e32 v119, 0x100, v114
	s_mov_b32 s0, 32
	v_mov_b32_e32 v112, 31
.LBB104_524:                            ; =>This Inner Loop Header: Depth=1
	ds_read_b64 v[120:121], v119
	v_mov_b32_e32 v122, s0
	s_add_i32 s0, s0, 1
	v_add_u32_e32 v119, 8, v119
	s_cmp_lg_u32 s18, s0
	s_waitcnt lgkmcnt(0)
	v_cmp_lt_f64_e64 vcc, |v[110:111]|, |v[120:121]|
	v_cndmask_b32_e32 v111, v111, v121, vcc
	v_cndmask_b32_e32 v110, v110, v120, vcc
	;; [unrolled: 1-line block ×3, first 2 shown]
	s_cbranch_scc1 .LBB104_524
.LBB104_525:
	s_waitcnt lgkmcnt(0)
	v_cmp_eq_f64_e32 vcc, 0, v[110:111]
	s_and_saveexec_b64 s[0:1], vcc
	s_xor_b64 s[0:1], exec, s[0:1]
; %bb.526:
	v_cmp_ne_u32_e32 vcc, 0, v118
	v_cndmask_b32_e32 v118, 32, v118, vcc
; %bb.527:
	s_andn2_saveexec_b64 s[0:1], s[0:1]
; %bb.528:
	v_div_scale_f64 v[120:121], s[2:3], v[110:111], v[110:111], 1.0
	v_rcp_f64_e32 v[122:123], v[120:121]
	v_div_scale_f64 v[124:125], vcc, 1.0, v[110:111], 1.0
	v_fma_f64 v[126:127], -v[120:121], v[122:123], 1.0
	v_fmac_f64_e32 v[122:123], v[122:123], v[126:127]
	v_fma_f64 v[126:127], -v[120:121], v[122:123], 1.0
	v_fmac_f64_e32 v[122:123], v[122:123], v[126:127]
	v_mul_f64 v[126:127], v[124:125], v[122:123]
	v_fma_f64 v[120:121], -v[120:121], v[126:127], v[124:125]
	v_div_fmas_f64 v[120:121], v[120:121], v[122:123], v[126:127]
	v_div_fixup_f64 v[110:111], v[120:121], v[110:111], 1.0
; %bb.529:
	s_or_b64 exec, exec, s[0:1]
	v_cmp_ne_u32_e32 vcc, v115, v112
	s_and_saveexec_b64 s[0:1], vcc
	s_xor_b64 s[0:1], exec, s[0:1]
	s_cbranch_execz .LBB104_535
; %bb.530:
	v_cmp_eq_u32_e32 vcc, 31, v115
	s_and_saveexec_b64 s[2:3], vcc
	s_cbranch_execz .LBB104_534
; %bb.531:
	v_cmp_ne_u32_e32 vcc, 31, v112
	s_xor_b64 s[14:15], s[6:7], -1
	s_and_b64 s[16:17], s[14:15], vcc
	s_and_saveexec_b64 s[14:15], s[16:17]
	s_cbranch_execz .LBB104_533
; %bb.532:
	v_ashrrev_i32_e32 v113, 31, v112
	v_lshlrev_b64 v[120:121], 2, v[112:113]
	v_add_co_u32_e32 v120, vcc, v4, v120
	v_addc_co_u32_e32 v121, vcc, v5, v121, vcc
	flat_load_dword v113, v[120:121]
	flat_load_dword v115, v[4:5] offset:124
	s_waitcnt vmcnt(0) lgkmcnt(0)
	flat_store_dword v[4:5], v113 offset:124
	flat_store_dword v[120:121], v115
.LBB104_533:
	s_or_b64 exec, exec, s[14:15]
	v_mov_b32_e32 v113, v112
	v_mov_b32_e32 v115, v112
.LBB104_534:
	s_or_b64 exec, exec, s[2:3]
.LBB104_535:
	s_andn2_saveexec_b64 s[0:1], s[0:1]
	s_cbranch_execz .LBB104_537
; %bb.536:
	v_mov_b32_e32 v120, v42
	v_mov_b32_e32 v121, v43
	v_mov_b32_e32 v122, v40
	v_mov_b32_e32 v123, v41
	ds_write2_b64 v114, v[120:121], v[122:123] offset0:32 offset1:33
	v_mov_b32_e32 v120, v38
	v_mov_b32_e32 v121, v39
	v_mov_b32_e32 v122, v36
	v_mov_b32_e32 v123, v37
	ds_write2_b64 v114, v[120:121], v[122:123] offset0:34 offset1:35
	;; [unrolled: 5-line block ×9, first 2 shown]
	v_mov_b32_e32 v120, v6
	v_mov_b32_e32 v121, v7
	;; [unrolled: 1-line block ×5, first 2 shown]
	ds_write2_b64 v114, v[120:121], v[122:123] offset0:50 offset1:51
	ds_write_b64 v114, v[108:109] offset:416
.LBB104_537:
	s_or_b64 exec, exec, s[0:1]
	v_cmp_lt_i32_e32 vcc, 31, v115
	s_waitcnt lgkmcnt(0)
	s_barrier
	s_and_saveexec_b64 s[0:1], vcc
	s_cbranch_execz .LBB104_539
; %bb.538:
	ds_read2_b64 v[120:123], v114 offset0:32 offset1:33
	ds_read2_b64 v[124:127], v114 offset0:34 offset1:35
	v_mul_f64 v[44:45], v[110:111], v[44:45]
	ds_read2_b64 v[128:131], v114 offset0:36 offset1:37
	ds_read_b64 v[110:111], v114 offset:416
	s_waitcnt lgkmcnt(0)
	v_fma_f64 v[42:43], -v[44:45], v[120:121], v[42:43]
	v_fma_f64 v[40:41], -v[44:45], v[122:123], v[40:41]
	ds_read2_b64 v[120:123], v114 offset0:38 offset1:39
	v_fma_f64 v[38:39], -v[44:45], v[124:125], v[38:39]
	v_fma_f64 v[36:37], -v[44:45], v[126:127], v[36:37]
	;; [unrolled: 1-line block ×3, first 2 shown]
	ds_read2_b64 v[124:127], v114 offset0:40 offset1:41
	v_fma_f64 v[32:33], -v[44:45], v[130:131], v[32:33]
	ds_read2_b64 v[128:131], v114 offset0:42 offset1:43
	s_waitcnt lgkmcnt(0)
	v_fma_f64 v[30:31], -v[44:45], v[120:121], v[30:31]
	v_fma_f64 v[28:29], -v[44:45], v[122:123], v[28:29]
	ds_read2_b64 v[120:123], v114 offset0:44 offset1:45
	v_fma_f64 v[26:27], -v[44:45], v[124:125], v[26:27]
	v_fma_f64 v[24:25], -v[44:45], v[126:127], v[24:25]
	ds_read2_b64 v[124:127], v114 offset0:46 offset1:47
	v_fma_f64 v[22:23], -v[44:45], v[128:129], v[22:23]
	v_fma_f64 v[20:21], -v[44:45], v[130:131], v[20:21]
	s_waitcnt lgkmcnt(0)
	v_fma_f64 v[18:19], -v[44:45], v[120:121], v[18:19]
	v_fma_f64 v[16:17], -v[44:45], v[122:123], v[16:17]
	ds_read2_b64 v[120:123], v114 offset0:48 offset1:49
	ds_read2_b64 v[128:131], v114 offset0:50 offset1:51
	v_fma_f64 v[14:15], -v[44:45], v[124:125], v[14:15]
	v_fma_f64 v[12:13], -v[44:45], v[126:127], v[12:13]
	;; [unrolled: 1-line block ×3, first 2 shown]
	s_waitcnt lgkmcnt(0)
	v_fma_f64 v[10:11], -v[44:45], v[120:121], v[10:11]
	v_fma_f64 v[8:9], -v[44:45], v[122:123], v[8:9]
	v_fma_f64 v[6:7], -v[44:45], v[128:129], v[6:7]
	v_fma_f64 v[0:1], -v[44:45], v[130:131], v[0:1]
.LBB104_539:
	s_or_b64 exec, exec, s[0:1]
	v_lshl_add_u32 v110, v115, 3, v114
	s_barrier
	ds_write_b64 v110, v[42:43]
	s_waitcnt lgkmcnt(0)
	s_barrier
	ds_read_b64 v[110:111], v114 offset:256
	s_cmp_lt_i32 s18, 34
	v_mov_b32_e32 v112, 32
	s_cbranch_scc1 .LBB104_542
; %bb.540:
	v_add_u32_e32 v119, 0x108, v114
	s_mov_b32 s0, 33
	v_mov_b32_e32 v112, 32
.LBB104_541:                            ; =>This Inner Loop Header: Depth=1
	ds_read_b64 v[120:121], v119
	v_mov_b32_e32 v122, s0
	s_add_i32 s0, s0, 1
	v_add_u32_e32 v119, 8, v119
	s_cmp_lg_u32 s18, s0
	s_waitcnt lgkmcnt(0)
	v_cmp_lt_f64_e64 vcc, |v[110:111]|, |v[120:121]|
	v_cndmask_b32_e32 v111, v111, v121, vcc
	v_cndmask_b32_e32 v110, v110, v120, vcc
	;; [unrolled: 1-line block ×3, first 2 shown]
	s_cbranch_scc1 .LBB104_541
.LBB104_542:
	s_waitcnt lgkmcnt(0)
	v_cmp_eq_f64_e32 vcc, 0, v[110:111]
	s_and_saveexec_b64 s[0:1], vcc
	s_xor_b64 s[0:1], exec, s[0:1]
; %bb.543:
	v_cmp_ne_u32_e32 vcc, 0, v118
	v_cndmask_b32_e32 v118, 33, v118, vcc
; %bb.544:
	s_andn2_saveexec_b64 s[0:1], s[0:1]
; %bb.545:
	v_div_scale_f64 v[120:121], s[2:3], v[110:111], v[110:111], 1.0
	v_rcp_f64_e32 v[122:123], v[120:121]
	v_div_scale_f64 v[124:125], vcc, 1.0, v[110:111], 1.0
	v_fma_f64 v[126:127], -v[120:121], v[122:123], 1.0
	v_fmac_f64_e32 v[122:123], v[122:123], v[126:127]
	v_fma_f64 v[126:127], -v[120:121], v[122:123], 1.0
	v_fmac_f64_e32 v[122:123], v[122:123], v[126:127]
	v_mul_f64 v[126:127], v[124:125], v[122:123]
	v_fma_f64 v[120:121], -v[120:121], v[126:127], v[124:125]
	v_div_fmas_f64 v[120:121], v[120:121], v[122:123], v[126:127]
	v_div_fixup_f64 v[110:111], v[120:121], v[110:111], 1.0
; %bb.546:
	s_or_b64 exec, exec, s[0:1]
	v_cmp_ne_u32_e32 vcc, v115, v112
	s_and_saveexec_b64 s[0:1], vcc
	s_xor_b64 s[0:1], exec, s[0:1]
	s_cbranch_execz .LBB104_552
; %bb.547:
	v_cmp_eq_u32_e32 vcc, 32, v115
	s_and_saveexec_b64 s[2:3], vcc
	s_cbranch_execz .LBB104_551
; %bb.548:
	v_cmp_ne_u32_e32 vcc, 32, v112
	s_xor_b64 s[14:15], s[6:7], -1
	s_and_b64 s[16:17], s[14:15], vcc
	s_and_saveexec_b64 s[14:15], s[16:17]
	s_cbranch_execz .LBB104_550
; %bb.549:
	v_ashrrev_i32_e32 v113, 31, v112
	v_lshlrev_b64 v[120:121], 2, v[112:113]
	v_add_co_u32_e32 v120, vcc, v4, v120
	v_addc_co_u32_e32 v121, vcc, v5, v121, vcc
	flat_load_dword v113, v[120:121]
	flat_load_dword v115, v[4:5] offset:128
	s_waitcnt vmcnt(0) lgkmcnt(0)
	flat_store_dword v[4:5], v113 offset:128
	flat_store_dword v[120:121], v115
.LBB104_550:
	s_or_b64 exec, exec, s[14:15]
	v_mov_b32_e32 v113, v112
	v_mov_b32_e32 v115, v112
.LBB104_551:
	s_or_b64 exec, exec, s[2:3]
.LBB104_552:
	s_andn2_saveexec_b64 s[0:1], s[0:1]
	s_cbranch_execz .LBB104_554
; %bb.553:
	v_mov_b32_e32 v115, 32
	ds_write2_b64 v114, v[40:41], v[38:39] offset0:33 offset1:34
	ds_write2_b64 v114, v[36:37], v[34:35] offset0:35 offset1:36
	;; [unrolled: 1-line block ×10, first 2 shown]
.LBB104_554:
	s_or_b64 exec, exec, s[0:1]
	v_cmp_lt_i32_e32 vcc, 32, v115
	s_waitcnt lgkmcnt(0)
	s_barrier
	s_and_saveexec_b64 s[0:1], vcc
	s_cbranch_execz .LBB104_556
; %bb.555:
	ds_read2_b64 v[120:123], v114 offset0:33 offset1:34
	ds_read2_b64 v[124:127], v114 offset0:35 offset1:36
	v_mul_f64 v[42:43], v[110:111], v[42:43]
	ds_read2_b64 v[128:131], v114 offset0:37 offset1:38
	s_waitcnt lgkmcnt(0)
	v_fma_f64 v[40:41], -v[42:43], v[120:121], v[40:41]
	v_fma_f64 v[38:39], -v[42:43], v[122:123], v[38:39]
	ds_read2_b64 v[120:123], v114 offset0:39 offset1:40
	v_fma_f64 v[36:37], -v[42:43], v[124:125], v[36:37]
	v_fma_f64 v[34:35], -v[42:43], v[126:127], v[34:35]
	v_fma_f64 v[32:33], -v[42:43], v[128:129], v[32:33]
	ds_read2_b64 v[124:127], v114 offset0:41 offset1:42
	v_fma_f64 v[30:31], -v[42:43], v[130:131], v[30:31]
	ds_read2_b64 v[128:131], v114 offset0:43 offset1:44
	s_waitcnt lgkmcnt(0)
	v_fma_f64 v[28:29], -v[42:43], v[120:121], v[28:29]
	v_fma_f64 v[26:27], -v[42:43], v[122:123], v[26:27]
	ds_read2_b64 v[120:123], v114 offset0:45 offset1:46
	v_fma_f64 v[24:25], -v[42:43], v[124:125], v[24:25]
	v_fma_f64 v[22:23], -v[42:43], v[126:127], v[22:23]
	ds_read2_b64 v[124:127], v114 offset0:47 offset1:48
	v_fma_f64 v[20:21], -v[42:43], v[128:129], v[20:21]
	v_fma_f64 v[18:19], -v[42:43], v[130:131], v[18:19]
	s_waitcnt lgkmcnt(0)
	v_fma_f64 v[16:17], -v[42:43], v[120:121], v[16:17]
	ds_read2_b64 v[128:131], v114 offset0:49 offset1:50
	v_fma_f64 v[14:15], -v[42:43], v[122:123], v[14:15]
	ds_read2_b64 v[120:123], v114 offset0:51 offset1:52
	v_fma_f64 v[12:13], -v[42:43], v[124:125], v[12:13]
	v_fma_f64 v[10:11], -v[42:43], v[126:127], v[10:11]
	s_waitcnt lgkmcnt(0)
	v_fma_f64 v[8:9], -v[42:43], v[128:129], v[8:9]
	v_fma_f64 v[6:7], -v[42:43], v[130:131], v[6:7]
	;; [unrolled: 1-line block ×4, first 2 shown]
.LBB104_556:
	s_or_b64 exec, exec, s[0:1]
	v_lshl_add_u32 v110, v115, 3, v114
	s_barrier
	ds_write_b64 v110, v[40:41]
	s_waitcnt lgkmcnt(0)
	s_barrier
	ds_read_b64 v[110:111], v114 offset:264
	s_cmp_lt_i32 s18, 35
	v_mov_b32_e32 v112, 33
	s_cbranch_scc1 .LBB104_559
; %bb.557:
	v_add_u32_e32 v119, 0x110, v114
	s_mov_b32 s0, 34
	v_mov_b32_e32 v112, 33
.LBB104_558:                            ; =>This Inner Loop Header: Depth=1
	ds_read_b64 v[120:121], v119
	v_mov_b32_e32 v122, s0
	s_add_i32 s0, s0, 1
	v_add_u32_e32 v119, 8, v119
	s_cmp_lg_u32 s18, s0
	s_waitcnt lgkmcnt(0)
	v_cmp_lt_f64_e64 vcc, |v[110:111]|, |v[120:121]|
	v_cndmask_b32_e32 v111, v111, v121, vcc
	v_cndmask_b32_e32 v110, v110, v120, vcc
	;; [unrolled: 1-line block ×3, first 2 shown]
	s_cbranch_scc1 .LBB104_558
.LBB104_559:
	s_waitcnt lgkmcnt(0)
	v_cmp_eq_f64_e32 vcc, 0, v[110:111]
	s_and_saveexec_b64 s[0:1], vcc
	s_xor_b64 s[0:1], exec, s[0:1]
; %bb.560:
	v_cmp_ne_u32_e32 vcc, 0, v118
	v_cndmask_b32_e32 v118, 34, v118, vcc
; %bb.561:
	s_andn2_saveexec_b64 s[0:1], s[0:1]
; %bb.562:
	v_div_scale_f64 v[120:121], s[2:3], v[110:111], v[110:111], 1.0
	v_rcp_f64_e32 v[122:123], v[120:121]
	v_div_scale_f64 v[124:125], vcc, 1.0, v[110:111], 1.0
	v_fma_f64 v[126:127], -v[120:121], v[122:123], 1.0
	v_fmac_f64_e32 v[122:123], v[122:123], v[126:127]
	v_fma_f64 v[126:127], -v[120:121], v[122:123], 1.0
	v_fmac_f64_e32 v[122:123], v[122:123], v[126:127]
	v_mul_f64 v[126:127], v[124:125], v[122:123]
	v_fma_f64 v[120:121], -v[120:121], v[126:127], v[124:125]
	v_div_fmas_f64 v[120:121], v[120:121], v[122:123], v[126:127]
	v_div_fixup_f64 v[110:111], v[120:121], v[110:111], 1.0
; %bb.563:
	s_or_b64 exec, exec, s[0:1]
	v_cmp_ne_u32_e32 vcc, v115, v112
	s_and_saveexec_b64 s[0:1], vcc
	s_xor_b64 s[0:1], exec, s[0:1]
	s_cbranch_execz .LBB104_569
; %bb.564:
	v_cmp_eq_u32_e32 vcc, 33, v115
	s_and_saveexec_b64 s[2:3], vcc
	s_cbranch_execz .LBB104_568
; %bb.565:
	v_cmp_ne_u32_e32 vcc, 33, v112
	s_xor_b64 s[14:15], s[6:7], -1
	s_and_b64 s[16:17], s[14:15], vcc
	s_and_saveexec_b64 s[14:15], s[16:17]
	s_cbranch_execz .LBB104_567
; %bb.566:
	v_ashrrev_i32_e32 v113, 31, v112
	v_lshlrev_b64 v[120:121], 2, v[112:113]
	v_add_co_u32_e32 v120, vcc, v4, v120
	v_addc_co_u32_e32 v121, vcc, v5, v121, vcc
	flat_load_dword v113, v[120:121]
	flat_load_dword v115, v[4:5] offset:132
	s_waitcnt vmcnt(0) lgkmcnt(0)
	flat_store_dword v[4:5], v113 offset:132
	flat_store_dword v[120:121], v115
.LBB104_567:
	s_or_b64 exec, exec, s[14:15]
	v_mov_b32_e32 v113, v112
	v_mov_b32_e32 v115, v112
.LBB104_568:
	s_or_b64 exec, exec, s[2:3]
.LBB104_569:
	s_andn2_saveexec_b64 s[0:1], s[0:1]
	s_cbranch_execz .LBB104_571
; %bb.570:
	v_mov_b32_e32 v120, v38
	v_mov_b32_e32 v121, v39
	v_mov_b32_e32 v122, v36
	v_mov_b32_e32 v123, v37
	ds_write2_b64 v114, v[120:121], v[122:123] offset0:34 offset1:35
	v_mov_b32_e32 v120, v34
	v_mov_b32_e32 v121, v35
	v_mov_b32_e32 v122, v32
	v_mov_b32_e32 v123, v33
	ds_write2_b64 v114, v[120:121], v[122:123] offset0:36 offset1:37
	;; [unrolled: 5-line block ×8, first 2 shown]
	v_mov_b32_e32 v120, v6
	v_mov_b32_e32 v121, v7
	;; [unrolled: 1-line block ×5, first 2 shown]
	ds_write2_b64 v114, v[120:121], v[122:123] offset0:50 offset1:51
	ds_write_b64 v114, v[108:109] offset:416
.LBB104_571:
	s_or_b64 exec, exec, s[0:1]
	v_cmp_lt_i32_e32 vcc, 33, v115
	s_waitcnt lgkmcnt(0)
	s_barrier
	s_and_saveexec_b64 s[0:1], vcc
	s_cbranch_execz .LBB104_573
; %bb.572:
	ds_read2_b64 v[120:123], v114 offset0:34 offset1:35
	ds_read2_b64 v[124:127], v114 offset0:36 offset1:37
	;; [unrolled: 1-line block ×3, first 2 shown]
	v_mul_f64 v[40:41], v[110:111], v[40:41]
	ds_read_b64 v[110:111], v114 offset:416
	s_waitcnt lgkmcnt(0)
	v_fma_f64 v[38:39], -v[40:41], v[120:121], v[38:39]
	v_fma_f64 v[36:37], -v[40:41], v[122:123], v[36:37]
	ds_read2_b64 v[120:123], v114 offset0:40 offset1:41
	v_fma_f64 v[34:35], -v[40:41], v[124:125], v[34:35]
	v_fma_f64 v[32:33], -v[40:41], v[126:127], v[32:33]
	;; [unrolled: 1-line block ×3, first 2 shown]
	ds_read2_b64 v[124:127], v114 offset0:42 offset1:43
	v_fma_f64 v[28:29], -v[40:41], v[130:131], v[28:29]
	ds_read2_b64 v[128:131], v114 offset0:44 offset1:45
	s_waitcnt lgkmcnt(0)
	v_fma_f64 v[26:27], -v[40:41], v[120:121], v[26:27]
	v_fma_f64 v[24:25], -v[40:41], v[122:123], v[24:25]
	;; [unrolled: 1-line block ×3, first 2 shown]
	ds_read2_b64 v[120:123], v114 offset0:46 offset1:47
	v_fma_f64 v[20:21], -v[40:41], v[126:127], v[20:21]
	ds_read2_b64 v[124:127], v114 offset0:48 offset1:49
	v_fma_f64 v[18:19], -v[40:41], v[128:129], v[18:19]
	v_fma_f64 v[16:17], -v[40:41], v[130:131], v[16:17]
	ds_read2_b64 v[128:131], v114 offset0:50 offset1:51
	s_waitcnt lgkmcnt(0)
	v_fma_f64 v[14:15], -v[40:41], v[120:121], v[14:15]
	v_fma_f64 v[12:13], -v[40:41], v[122:123], v[12:13]
	v_fma_f64 v[10:11], -v[40:41], v[124:125], v[10:11]
	v_fma_f64 v[8:9], -v[40:41], v[126:127], v[8:9]
	v_fma_f64 v[6:7], -v[40:41], v[128:129], v[6:7]
	v_fma_f64 v[0:1], -v[40:41], v[130:131], v[0:1]
	v_fma_f64 v[108:109], -v[40:41], v[110:111], v[108:109]
.LBB104_573:
	s_or_b64 exec, exec, s[0:1]
	v_lshl_add_u32 v110, v115, 3, v114
	s_barrier
	ds_write_b64 v110, v[38:39]
	s_waitcnt lgkmcnt(0)
	s_barrier
	ds_read_b64 v[110:111], v114 offset:272
	s_cmp_lt_i32 s18, 36
	v_mov_b32_e32 v112, 34
	s_cbranch_scc1 .LBB104_576
; %bb.574:
	v_add_u32_e32 v119, 0x118, v114
	s_mov_b32 s0, 35
	v_mov_b32_e32 v112, 34
.LBB104_575:                            ; =>This Inner Loop Header: Depth=1
	ds_read_b64 v[120:121], v119
	v_mov_b32_e32 v122, s0
	s_add_i32 s0, s0, 1
	v_add_u32_e32 v119, 8, v119
	s_cmp_lg_u32 s18, s0
	s_waitcnt lgkmcnt(0)
	v_cmp_lt_f64_e64 vcc, |v[110:111]|, |v[120:121]|
	v_cndmask_b32_e32 v111, v111, v121, vcc
	v_cndmask_b32_e32 v110, v110, v120, vcc
	;; [unrolled: 1-line block ×3, first 2 shown]
	s_cbranch_scc1 .LBB104_575
.LBB104_576:
	s_waitcnt lgkmcnt(0)
	v_cmp_eq_f64_e32 vcc, 0, v[110:111]
	s_and_saveexec_b64 s[0:1], vcc
	s_xor_b64 s[0:1], exec, s[0:1]
; %bb.577:
	v_cmp_ne_u32_e32 vcc, 0, v118
	v_cndmask_b32_e32 v118, 35, v118, vcc
; %bb.578:
	s_andn2_saveexec_b64 s[0:1], s[0:1]
; %bb.579:
	v_div_scale_f64 v[120:121], s[2:3], v[110:111], v[110:111], 1.0
	v_rcp_f64_e32 v[122:123], v[120:121]
	v_div_scale_f64 v[124:125], vcc, 1.0, v[110:111], 1.0
	v_fma_f64 v[126:127], -v[120:121], v[122:123], 1.0
	v_fmac_f64_e32 v[122:123], v[122:123], v[126:127]
	v_fma_f64 v[126:127], -v[120:121], v[122:123], 1.0
	v_fmac_f64_e32 v[122:123], v[122:123], v[126:127]
	v_mul_f64 v[126:127], v[124:125], v[122:123]
	v_fma_f64 v[120:121], -v[120:121], v[126:127], v[124:125]
	v_div_fmas_f64 v[120:121], v[120:121], v[122:123], v[126:127]
	v_div_fixup_f64 v[110:111], v[120:121], v[110:111], 1.0
; %bb.580:
	s_or_b64 exec, exec, s[0:1]
	v_cmp_ne_u32_e32 vcc, v115, v112
	s_and_saveexec_b64 s[0:1], vcc
	s_xor_b64 s[0:1], exec, s[0:1]
	s_cbranch_execz .LBB104_586
; %bb.581:
	v_cmp_eq_u32_e32 vcc, 34, v115
	s_and_saveexec_b64 s[2:3], vcc
	s_cbranch_execz .LBB104_585
; %bb.582:
	v_cmp_ne_u32_e32 vcc, 34, v112
	s_xor_b64 s[14:15], s[6:7], -1
	s_and_b64 s[16:17], s[14:15], vcc
	s_and_saveexec_b64 s[14:15], s[16:17]
	s_cbranch_execz .LBB104_584
; %bb.583:
	v_ashrrev_i32_e32 v113, 31, v112
	v_lshlrev_b64 v[120:121], 2, v[112:113]
	v_add_co_u32_e32 v120, vcc, v4, v120
	v_addc_co_u32_e32 v121, vcc, v5, v121, vcc
	flat_load_dword v113, v[120:121]
	flat_load_dword v115, v[4:5] offset:136
	s_waitcnt vmcnt(0) lgkmcnt(0)
	flat_store_dword v[4:5], v113 offset:136
	flat_store_dword v[120:121], v115
.LBB104_584:
	s_or_b64 exec, exec, s[14:15]
	v_mov_b32_e32 v113, v112
	v_mov_b32_e32 v115, v112
.LBB104_585:
	s_or_b64 exec, exec, s[2:3]
.LBB104_586:
	s_andn2_saveexec_b64 s[0:1], s[0:1]
	s_cbranch_execz .LBB104_588
; %bb.587:
	v_mov_b32_e32 v115, 34
	ds_write2_b64 v114, v[36:37], v[34:35] offset0:35 offset1:36
	ds_write2_b64 v114, v[32:33], v[30:31] offset0:37 offset1:38
	;; [unrolled: 1-line block ×9, first 2 shown]
.LBB104_588:
	s_or_b64 exec, exec, s[0:1]
	v_cmp_lt_i32_e32 vcc, 34, v115
	s_waitcnt lgkmcnt(0)
	s_barrier
	s_and_saveexec_b64 s[0:1], vcc
	s_cbranch_execz .LBB104_590
; %bb.589:
	ds_read2_b64 v[120:123], v114 offset0:35 offset1:36
	ds_read2_b64 v[124:127], v114 offset0:37 offset1:38
	;; [unrolled: 1-line block ×3, first 2 shown]
	v_mul_f64 v[38:39], v[110:111], v[38:39]
	s_waitcnt lgkmcnt(0)
	v_fma_f64 v[36:37], -v[38:39], v[120:121], v[36:37]
	v_fma_f64 v[34:35], -v[38:39], v[122:123], v[34:35]
	ds_read2_b64 v[120:123], v114 offset0:41 offset1:42
	v_fma_f64 v[32:33], -v[38:39], v[124:125], v[32:33]
	v_fma_f64 v[30:31], -v[38:39], v[126:127], v[30:31]
	;; [unrolled: 1-line block ×3, first 2 shown]
	ds_read2_b64 v[124:127], v114 offset0:43 offset1:44
	v_fma_f64 v[26:27], -v[38:39], v[130:131], v[26:27]
	ds_read2_b64 v[128:131], v114 offset0:45 offset1:46
	s_waitcnt lgkmcnt(0)
	v_fma_f64 v[24:25], -v[38:39], v[120:121], v[24:25]
	v_fma_f64 v[22:23], -v[38:39], v[122:123], v[22:23]
	;; [unrolled: 1-line block ×4, first 2 shown]
	ds_read2_b64 v[120:123], v114 offset0:47 offset1:48
	ds_read2_b64 v[124:127], v114 offset0:49 offset1:50
	v_fma_f64 v[16:17], -v[38:39], v[128:129], v[16:17]
	v_fma_f64 v[14:15], -v[38:39], v[130:131], v[14:15]
	ds_read2_b64 v[128:131], v114 offset0:51 offset1:52
	s_waitcnt lgkmcnt(0)
	v_fma_f64 v[12:13], -v[38:39], v[120:121], v[12:13]
	v_fma_f64 v[10:11], -v[38:39], v[122:123], v[10:11]
	;; [unrolled: 1-line block ×6, first 2 shown]
.LBB104_590:
	s_or_b64 exec, exec, s[0:1]
	v_lshl_add_u32 v110, v115, 3, v114
	s_barrier
	ds_write_b64 v110, v[36:37]
	s_waitcnt lgkmcnt(0)
	s_barrier
	ds_read_b64 v[110:111], v114 offset:280
	s_cmp_lt_i32 s18, 37
	v_mov_b32_e32 v112, 35
	s_cbranch_scc1 .LBB104_593
; %bb.591:
	v_add_u32_e32 v119, 0x120, v114
	s_mov_b32 s0, 36
	v_mov_b32_e32 v112, 35
.LBB104_592:                            ; =>This Inner Loop Header: Depth=1
	ds_read_b64 v[120:121], v119
	v_mov_b32_e32 v122, s0
	s_add_i32 s0, s0, 1
	v_add_u32_e32 v119, 8, v119
	s_cmp_lg_u32 s18, s0
	s_waitcnt lgkmcnt(0)
	v_cmp_lt_f64_e64 vcc, |v[110:111]|, |v[120:121]|
	v_cndmask_b32_e32 v111, v111, v121, vcc
	v_cndmask_b32_e32 v110, v110, v120, vcc
	;; [unrolled: 1-line block ×3, first 2 shown]
	s_cbranch_scc1 .LBB104_592
.LBB104_593:
	s_waitcnt lgkmcnt(0)
	v_cmp_eq_f64_e32 vcc, 0, v[110:111]
	s_and_saveexec_b64 s[0:1], vcc
	s_xor_b64 s[0:1], exec, s[0:1]
; %bb.594:
	v_cmp_ne_u32_e32 vcc, 0, v118
	v_cndmask_b32_e32 v118, 36, v118, vcc
; %bb.595:
	s_andn2_saveexec_b64 s[0:1], s[0:1]
; %bb.596:
	v_div_scale_f64 v[120:121], s[2:3], v[110:111], v[110:111], 1.0
	v_rcp_f64_e32 v[122:123], v[120:121]
	v_div_scale_f64 v[124:125], vcc, 1.0, v[110:111], 1.0
	v_fma_f64 v[126:127], -v[120:121], v[122:123], 1.0
	v_fmac_f64_e32 v[122:123], v[122:123], v[126:127]
	v_fma_f64 v[126:127], -v[120:121], v[122:123], 1.0
	v_fmac_f64_e32 v[122:123], v[122:123], v[126:127]
	v_mul_f64 v[126:127], v[124:125], v[122:123]
	v_fma_f64 v[120:121], -v[120:121], v[126:127], v[124:125]
	v_div_fmas_f64 v[120:121], v[120:121], v[122:123], v[126:127]
	v_div_fixup_f64 v[110:111], v[120:121], v[110:111], 1.0
; %bb.597:
	s_or_b64 exec, exec, s[0:1]
	v_cmp_ne_u32_e32 vcc, v115, v112
	s_and_saveexec_b64 s[0:1], vcc
	s_xor_b64 s[0:1], exec, s[0:1]
	s_cbranch_execz .LBB104_603
; %bb.598:
	v_cmp_eq_u32_e32 vcc, 35, v115
	s_and_saveexec_b64 s[2:3], vcc
	s_cbranch_execz .LBB104_602
; %bb.599:
	v_cmp_ne_u32_e32 vcc, 35, v112
	s_xor_b64 s[14:15], s[6:7], -1
	s_and_b64 s[16:17], s[14:15], vcc
	s_and_saveexec_b64 s[14:15], s[16:17]
	s_cbranch_execz .LBB104_601
; %bb.600:
	v_ashrrev_i32_e32 v113, 31, v112
	v_lshlrev_b64 v[120:121], 2, v[112:113]
	v_add_co_u32_e32 v120, vcc, v4, v120
	v_addc_co_u32_e32 v121, vcc, v5, v121, vcc
	flat_load_dword v113, v[120:121]
	flat_load_dword v115, v[4:5] offset:140
	s_waitcnt vmcnt(0) lgkmcnt(0)
	flat_store_dword v[4:5], v113 offset:140
	flat_store_dword v[120:121], v115
.LBB104_601:
	s_or_b64 exec, exec, s[14:15]
	v_mov_b32_e32 v113, v112
	v_mov_b32_e32 v115, v112
.LBB104_602:
	s_or_b64 exec, exec, s[2:3]
.LBB104_603:
	s_andn2_saveexec_b64 s[0:1], s[0:1]
	s_cbranch_execz .LBB104_605
; %bb.604:
	v_mov_b32_e32 v120, v34
	v_mov_b32_e32 v121, v35
	v_mov_b32_e32 v122, v32
	v_mov_b32_e32 v123, v33
	ds_write2_b64 v114, v[120:121], v[122:123] offset0:36 offset1:37
	v_mov_b32_e32 v120, v30
	v_mov_b32_e32 v121, v31
	v_mov_b32_e32 v122, v28
	v_mov_b32_e32 v123, v29
	ds_write2_b64 v114, v[120:121], v[122:123] offset0:38 offset1:39
	;; [unrolled: 5-line block ×7, first 2 shown]
	v_mov_b32_e32 v120, v6
	v_mov_b32_e32 v121, v7
	;; [unrolled: 1-line block ×5, first 2 shown]
	ds_write2_b64 v114, v[120:121], v[122:123] offset0:50 offset1:51
	ds_write_b64 v114, v[108:109] offset:416
.LBB104_605:
	s_or_b64 exec, exec, s[0:1]
	v_cmp_lt_i32_e32 vcc, 35, v115
	s_waitcnt lgkmcnt(0)
	s_barrier
	s_and_saveexec_b64 s[0:1], vcc
	s_cbranch_execz .LBB104_607
; %bb.606:
	ds_read2_b64 v[120:123], v114 offset0:36 offset1:37
	ds_read2_b64 v[124:127], v114 offset0:38 offset1:39
	v_mul_f64 v[36:37], v[110:111], v[36:37]
	ds_read2_b64 v[128:131], v114 offset0:40 offset1:41
	ds_read_b64 v[110:111], v114 offset:416
	s_waitcnt lgkmcnt(0)
	v_fma_f64 v[34:35], -v[36:37], v[120:121], v[34:35]
	v_fma_f64 v[32:33], -v[36:37], v[122:123], v[32:33]
	ds_read2_b64 v[120:123], v114 offset0:42 offset1:43
	v_fma_f64 v[30:31], -v[36:37], v[124:125], v[30:31]
	v_fma_f64 v[28:29], -v[36:37], v[126:127], v[28:29]
	ds_read2_b64 v[124:127], v114 offset0:44 offset1:45
	;; [unrolled: 3-line block ×3, first 2 shown]
	s_waitcnt lgkmcnt(0)
	v_fma_f64 v[22:23], -v[36:37], v[120:121], v[22:23]
	v_fma_f64 v[20:21], -v[36:37], v[122:123], v[20:21]
	;; [unrolled: 1-line block ×4, first 2 shown]
	ds_read2_b64 v[120:123], v114 offset0:48 offset1:49
	ds_read2_b64 v[124:127], v114 offset0:50 offset1:51
	v_fma_f64 v[14:15], -v[36:37], v[128:129], v[14:15]
	v_fma_f64 v[12:13], -v[36:37], v[130:131], v[12:13]
	;; [unrolled: 1-line block ×3, first 2 shown]
	s_waitcnt lgkmcnt(0)
	v_fma_f64 v[10:11], -v[36:37], v[120:121], v[10:11]
	v_fma_f64 v[8:9], -v[36:37], v[122:123], v[8:9]
	;; [unrolled: 1-line block ×4, first 2 shown]
.LBB104_607:
	s_or_b64 exec, exec, s[0:1]
	v_lshl_add_u32 v110, v115, 3, v114
	s_barrier
	ds_write_b64 v110, v[34:35]
	s_waitcnt lgkmcnt(0)
	s_barrier
	ds_read_b64 v[110:111], v114 offset:288
	s_cmp_lt_i32 s18, 38
	v_mov_b32_e32 v112, 36
	s_cbranch_scc1 .LBB104_610
; %bb.608:
	v_add_u32_e32 v119, 0x128, v114
	s_mov_b32 s0, 37
	v_mov_b32_e32 v112, 36
.LBB104_609:                            ; =>This Inner Loop Header: Depth=1
	ds_read_b64 v[120:121], v119
	v_mov_b32_e32 v122, s0
	s_add_i32 s0, s0, 1
	v_add_u32_e32 v119, 8, v119
	s_cmp_lg_u32 s18, s0
	s_waitcnt lgkmcnt(0)
	v_cmp_lt_f64_e64 vcc, |v[110:111]|, |v[120:121]|
	v_cndmask_b32_e32 v111, v111, v121, vcc
	v_cndmask_b32_e32 v110, v110, v120, vcc
	;; [unrolled: 1-line block ×3, first 2 shown]
	s_cbranch_scc1 .LBB104_609
.LBB104_610:
	s_waitcnt lgkmcnt(0)
	v_cmp_eq_f64_e32 vcc, 0, v[110:111]
	s_and_saveexec_b64 s[0:1], vcc
	s_xor_b64 s[0:1], exec, s[0:1]
; %bb.611:
	v_cmp_ne_u32_e32 vcc, 0, v118
	v_cndmask_b32_e32 v118, 37, v118, vcc
; %bb.612:
	s_andn2_saveexec_b64 s[0:1], s[0:1]
; %bb.613:
	v_div_scale_f64 v[120:121], s[2:3], v[110:111], v[110:111], 1.0
	v_rcp_f64_e32 v[122:123], v[120:121]
	v_div_scale_f64 v[124:125], vcc, 1.0, v[110:111], 1.0
	v_fma_f64 v[126:127], -v[120:121], v[122:123], 1.0
	v_fmac_f64_e32 v[122:123], v[122:123], v[126:127]
	v_fma_f64 v[126:127], -v[120:121], v[122:123], 1.0
	v_fmac_f64_e32 v[122:123], v[122:123], v[126:127]
	v_mul_f64 v[126:127], v[124:125], v[122:123]
	v_fma_f64 v[120:121], -v[120:121], v[126:127], v[124:125]
	v_div_fmas_f64 v[120:121], v[120:121], v[122:123], v[126:127]
	v_div_fixup_f64 v[110:111], v[120:121], v[110:111], 1.0
; %bb.614:
	s_or_b64 exec, exec, s[0:1]
	v_cmp_ne_u32_e32 vcc, v115, v112
	s_and_saveexec_b64 s[0:1], vcc
	s_xor_b64 s[0:1], exec, s[0:1]
	s_cbranch_execz .LBB104_620
; %bb.615:
	v_cmp_eq_u32_e32 vcc, 36, v115
	s_and_saveexec_b64 s[2:3], vcc
	s_cbranch_execz .LBB104_619
; %bb.616:
	v_cmp_ne_u32_e32 vcc, 36, v112
	s_xor_b64 s[14:15], s[6:7], -1
	s_and_b64 s[16:17], s[14:15], vcc
	s_and_saveexec_b64 s[14:15], s[16:17]
	s_cbranch_execz .LBB104_618
; %bb.617:
	v_ashrrev_i32_e32 v113, 31, v112
	v_lshlrev_b64 v[120:121], 2, v[112:113]
	v_add_co_u32_e32 v120, vcc, v4, v120
	v_addc_co_u32_e32 v121, vcc, v5, v121, vcc
	flat_load_dword v113, v[120:121]
	flat_load_dword v115, v[4:5] offset:144
	s_waitcnt vmcnt(0) lgkmcnt(0)
	flat_store_dword v[4:5], v113 offset:144
	flat_store_dword v[120:121], v115
.LBB104_618:
	s_or_b64 exec, exec, s[14:15]
	v_mov_b32_e32 v113, v112
	v_mov_b32_e32 v115, v112
.LBB104_619:
	s_or_b64 exec, exec, s[2:3]
.LBB104_620:
	s_andn2_saveexec_b64 s[0:1], s[0:1]
	s_cbranch_execz .LBB104_622
; %bb.621:
	v_mov_b32_e32 v115, 36
	ds_write2_b64 v114, v[32:33], v[30:31] offset0:37 offset1:38
	ds_write2_b64 v114, v[28:29], v[26:27] offset0:39 offset1:40
	;; [unrolled: 1-line block ×8, first 2 shown]
.LBB104_622:
	s_or_b64 exec, exec, s[0:1]
	v_cmp_lt_i32_e32 vcc, 36, v115
	s_waitcnt lgkmcnt(0)
	s_barrier
	s_and_saveexec_b64 s[0:1], vcc
	s_cbranch_execz .LBB104_624
; %bb.623:
	ds_read2_b64 v[120:123], v114 offset0:37 offset1:38
	ds_read2_b64 v[124:127], v114 offset0:39 offset1:40
	v_mul_f64 v[34:35], v[110:111], v[34:35]
	ds_read2_b64 v[128:131], v114 offset0:41 offset1:42
	s_waitcnt lgkmcnt(0)
	v_fma_f64 v[32:33], -v[34:35], v[120:121], v[32:33]
	v_fma_f64 v[30:31], -v[34:35], v[122:123], v[30:31]
	ds_read2_b64 v[120:123], v114 offset0:43 offset1:44
	v_fma_f64 v[28:29], -v[34:35], v[124:125], v[28:29]
	v_fma_f64 v[26:27], -v[34:35], v[126:127], v[26:27]
	ds_read2_b64 v[124:127], v114 offset0:45 offset1:46
	v_fma_f64 v[24:25], -v[34:35], v[128:129], v[24:25]
	v_fma_f64 v[22:23], -v[34:35], v[130:131], v[22:23]
	s_waitcnt lgkmcnt(0)
	v_fma_f64 v[20:21], -v[34:35], v[120:121], v[20:21]
	v_fma_f64 v[18:19], -v[34:35], v[122:123], v[18:19]
	ds_read2_b64 v[120:123], v114 offset0:47 offset1:48
	v_fma_f64 v[16:17], -v[34:35], v[124:125], v[16:17]
	ds_read2_b64 v[128:131], v114 offset0:49 offset1:50
	;; [unrolled: 2-line block ×3, first 2 shown]
	s_waitcnt lgkmcnt(0)
	v_fma_f64 v[12:13], -v[34:35], v[120:121], v[12:13]
	v_fma_f64 v[10:11], -v[34:35], v[122:123], v[10:11]
	;; [unrolled: 1-line block ×6, first 2 shown]
.LBB104_624:
	s_or_b64 exec, exec, s[0:1]
	v_lshl_add_u32 v110, v115, 3, v114
	s_barrier
	ds_write_b64 v110, v[32:33]
	s_waitcnt lgkmcnt(0)
	s_barrier
	ds_read_b64 v[110:111], v114 offset:296
	s_cmp_lt_i32 s18, 39
	v_mov_b32_e32 v112, 37
	s_cbranch_scc1 .LBB104_627
; %bb.625:
	v_add_u32_e32 v119, 0x130, v114
	s_mov_b32 s0, 38
	v_mov_b32_e32 v112, 37
.LBB104_626:                            ; =>This Inner Loop Header: Depth=1
	ds_read_b64 v[120:121], v119
	v_mov_b32_e32 v122, s0
	s_add_i32 s0, s0, 1
	v_add_u32_e32 v119, 8, v119
	s_cmp_lg_u32 s18, s0
	s_waitcnt lgkmcnt(0)
	v_cmp_lt_f64_e64 vcc, |v[110:111]|, |v[120:121]|
	v_cndmask_b32_e32 v111, v111, v121, vcc
	v_cndmask_b32_e32 v110, v110, v120, vcc
	;; [unrolled: 1-line block ×3, first 2 shown]
	s_cbranch_scc1 .LBB104_626
.LBB104_627:
	s_waitcnt lgkmcnt(0)
	v_cmp_eq_f64_e32 vcc, 0, v[110:111]
	s_and_saveexec_b64 s[0:1], vcc
	s_xor_b64 s[0:1], exec, s[0:1]
; %bb.628:
	v_cmp_ne_u32_e32 vcc, 0, v118
	v_cndmask_b32_e32 v118, 38, v118, vcc
; %bb.629:
	s_andn2_saveexec_b64 s[0:1], s[0:1]
; %bb.630:
	v_div_scale_f64 v[120:121], s[2:3], v[110:111], v[110:111], 1.0
	v_rcp_f64_e32 v[122:123], v[120:121]
	v_div_scale_f64 v[124:125], vcc, 1.0, v[110:111], 1.0
	v_fma_f64 v[126:127], -v[120:121], v[122:123], 1.0
	v_fmac_f64_e32 v[122:123], v[122:123], v[126:127]
	v_fma_f64 v[126:127], -v[120:121], v[122:123], 1.0
	v_fmac_f64_e32 v[122:123], v[122:123], v[126:127]
	v_mul_f64 v[126:127], v[124:125], v[122:123]
	v_fma_f64 v[120:121], -v[120:121], v[126:127], v[124:125]
	v_div_fmas_f64 v[120:121], v[120:121], v[122:123], v[126:127]
	v_div_fixup_f64 v[110:111], v[120:121], v[110:111], 1.0
; %bb.631:
	s_or_b64 exec, exec, s[0:1]
	v_cmp_ne_u32_e32 vcc, v115, v112
	s_and_saveexec_b64 s[0:1], vcc
	s_xor_b64 s[0:1], exec, s[0:1]
	s_cbranch_execz .LBB104_637
; %bb.632:
	v_cmp_eq_u32_e32 vcc, 37, v115
	s_and_saveexec_b64 s[2:3], vcc
	s_cbranch_execz .LBB104_636
; %bb.633:
	v_cmp_ne_u32_e32 vcc, 37, v112
	s_xor_b64 s[14:15], s[6:7], -1
	s_and_b64 s[16:17], s[14:15], vcc
	s_and_saveexec_b64 s[14:15], s[16:17]
	s_cbranch_execz .LBB104_635
; %bb.634:
	v_ashrrev_i32_e32 v113, 31, v112
	v_lshlrev_b64 v[120:121], 2, v[112:113]
	v_add_co_u32_e32 v120, vcc, v4, v120
	v_addc_co_u32_e32 v121, vcc, v5, v121, vcc
	flat_load_dword v113, v[120:121]
	flat_load_dword v115, v[4:5] offset:148
	s_waitcnt vmcnt(0) lgkmcnt(0)
	flat_store_dword v[4:5], v113 offset:148
	flat_store_dword v[120:121], v115
.LBB104_635:
	s_or_b64 exec, exec, s[14:15]
	v_mov_b32_e32 v113, v112
	v_mov_b32_e32 v115, v112
.LBB104_636:
	s_or_b64 exec, exec, s[2:3]
.LBB104_637:
	s_andn2_saveexec_b64 s[0:1], s[0:1]
	s_cbranch_execz .LBB104_639
; %bb.638:
	v_mov_b32_e32 v120, v30
	v_mov_b32_e32 v121, v31
	v_mov_b32_e32 v122, v28
	v_mov_b32_e32 v123, v29
	ds_write2_b64 v114, v[120:121], v[122:123] offset0:38 offset1:39
	v_mov_b32_e32 v120, v26
	v_mov_b32_e32 v121, v27
	v_mov_b32_e32 v122, v24
	v_mov_b32_e32 v123, v25
	ds_write2_b64 v114, v[120:121], v[122:123] offset0:40 offset1:41
	;; [unrolled: 5-line block ×6, first 2 shown]
	v_mov_b32_e32 v120, v6
	v_mov_b32_e32 v121, v7
	;; [unrolled: 1-line block ×5, first 2 shown]
	ds_write2_b64 v114, v[120:121], v[122:123] offset0:50 offset1:51
	ds_write_b64 v114, v[108:109] offset:416
.LBB104_639:
	s_or_b64 exec, exec, s[0:1]
	v_cmp_lt_i32_e32 vcc, 37, v115
	s_waitcnt lgkmcnt(0)
	s_barrier
	s_and_saveexec_b64 s[0:1], vcc
	s_cbranch_execz .LBB104_641
; %bb.640:
	ds_read2_b64 v[120:123], v114 offset0:38 offset1:39
	ds_read2_b64 v[124:127], v114 offset0:40 offset1:41
	v_mul_f64 v[32:33], v[110:111], v[32:33]
	ds_read2_b64 v[128:131], v114 offset0:42 offset1:43
	ds_read_b64 v[110:111], v114 offset:416
	s_waitcnt lgkmcnt(0)
	v_fma_f64 v[30:31], -v[32:33], v[120:121], v[30:31]
	v_fma_f64 v[28:29], -v[32:33], v[122:123], v[28:29]
	ds_read2_b64 v[120:123], v114 offset0:44 offset1:45
	v_fma_f64 v[26:27], -v[32:33], v[124:125], v[26:27]
	v_fma_f64 v[24:25], -v[32:33], v[126:127], v[24:25]
	;; [unrolled: 1-line block ×3, first 2 shown]
	ds_read2_b64 v[124:127], v114 offset0:46 offset1:47
	v_fma_f64 v[20:21], -v[32:33], v[130:131], v[20:21]
	s_waitcnt lgkmcnt(0)
	v_fma_f64 v[18:19], -v[32:33], v[120:121], v[18:19]
	v_fma_f64 v[16:17], -v[32:33], v[122:123], v[16:17]
	ds_read2_b64 v[120:123], v114 offset0:48 offset1:49
	ds_read2_b64 v[128:131], v114 offset0:50 offset1:51
	v_fma_f64 v[14:15], -v[32:33], v[124:125], v[14:15]
	v_fma_f64 v[12:13], -v[32:33], v[126:127], v[12:13]
	;; [unrolled: 1-line block ×3, first 2 shown]
	s_waitcnt lgkmcnt(0)
	v_fma_f64 v[10:11], -v[32:33], v[120:121], v[10:11]
	v_fma_f64 v[8:9], -v[32:33], v[122:123], v[8:9]
	;; [unrolled: 1-line block ×4, first 2 shown]
.LBB104_641:
	s_or_b64 exec, exec, s[0:1]
	v_lshl_add_u32 v110, v115, 3, v114
	s_barrier
	ds_write_b64 v110, v[30:31]
	s_waitcnt lgkmcnt(0)
	s_barrier
	ds_read_b64 v[110:111], v114 offset:304
	s_cmp_lt_i32 s18, 40
	v_mov_b32_e32 v112, 38
	s_cbranch_scc1 .LBB104_644
; %bb.642:
	v_add_u32_e32 v119, 0x138, v114
	s_mov_b32 s0, 39
	v_mov_b32_e32 v112, 38
.LBB104_643:                            ; =>This Inner Loop Header: Depth=1
	ds_read_b64 v[120:121], v119
	v_mov_b32_e32 v122, s0
	s_add_i32 s0, s0, 1
	v_add_u32_e32 v119, 8, v119
	s_cmp_lg_u32 s18, s0
	s_waitcnt lgkmcnt(0)
	v_cmp_lt_f64_e64 vcc, |v[110:111]|, |v[120:121]|
	v_cndmask_b32_e32 v111, v111, v121, vcc
	v_cndmask_b32_e32 v110, v110, v120, vcc
	;; [unrolled: 1-line block ×3, first 2 shown]
	s_cbranch_scc1 .LBB104_643
.LBB104_644:
	s_waitcnt lgkmcnt(0)
	v_cmp_eq_f64_e32 vcc, 0, v[110:111]
	s_and_saveexec_b64 s[0:1], vcc
	s_xor_b64 s[0:1], exec, s[0:1]
; %bb.645:
	v_cmp_ne_u32_e32 vcc, 0, v118
	v_cndmask_b32_e32 v118, 39, v118, vcc
; %bb.646:
	s_andn2_saveexec_b64 s[0:1], s[0:1]
; %bb.647:
	v_div_scale_f64 v[120:121], s[2:3], v[110:111], v[110:111], 1.0
	v_rcp_f64_e32 v[122:123], v[120:121]
	v_div_scale_f64 v[124:125], vcc, 1.0, v[110:111], 1.0
	v_fma_f64 v[126:127], -v[120:121], v[122:123], 1.0
	v_fmac_f64_e32 v[122:123], v[122:123], v[126:127]
	v_fma_f64 v[126:127], -v[120:121], v[122:123], 1.0
	v_fmac_f64_e32 v[122:123], v[122:123], v[126:127]
	v_mul_f64 v[126:127], v[124:125], v[122:123]
	v_fma_f64 v[120:121], -v[120:121], v[126:127], v[124:125]
	v_div_fmas_f64 v[120:121], v[120:121], v[122:123], v[126:127]
	v_div_fixup_f64 v[110:111], v[120:121], v[110:111], 1.0
; %bb.648:
	s_or_b64 exec, exec, s[0:1]
	v_cmp_ne_u32_e32 vcc, v115, v112
	s_and_saveexec_b64 s[0:1], vcc
	s_xor_b64 s[0:1], exec, s[0:1]
	s_cbranch_execz .LBB104_654
; %bb.649:
	v_cmp_eq_u32_e32 vcc, 38, v115
	s_and_saveexec_b64 s[2:3], vcc
	s_cbranch_execz .LBB104_653
; %bb.650:
	v_cmp_ne_u32_e32 vcc, 38, v112
	s_xor_b64 s[14:15], s[6:7], -1
	s_and_b64 s[16:17], s[14:15], vcc
	s_and_saveexec_b64 s[14:15], s[16:17]
	s_cbranch_execz .LBB104_652
; %bb.651:
	v_ashrrev_i32_e32 v113, 31, v112
	v_lshlrev_b64 v[120:121], 2, v[112:113]
	v_add_co_u32_e32 v120, vcc, v4, v120
	v_addc_co_u32_e32 v121, vcc, v5, v121, vcc
	flat_load_dword v113, v[120:121]
	flat_load_dword v115, v[4:5] offset:152
	s_waitcnt vmcnt(0) lgkmcnt(0)
	flat_store_dword v[4:5], v113 offset:152
	flat_store_dword v[120:121], v115
.LBB104_652:
	s_or_b64 exec, exec, s[14:15]
	v_mov_b32_e32 v113, v112
	v_mov_b32_e32 v115, v112
.LBB104_653:
	s_or_b64 exec, exec, s[2:3]
.LBB104_654:
	s_andn2_saveexec_b64 s[0:1], s[0:1]
	s_cbranch_execz .LBB104_656
; %bb.655:
	v_mov_b32_e32 v115, 38
	ds_write2_b64 v114, v[28:29], v[26:27] offset0:39 offset1:40
	ds_write2_b64 v114, v[24:25], v[22:23] offset0:41 offset1:42
	ds_write2_b64 v114, v[20:21], v[18:19] offset0:43 offset1:44
	ds_write2_b64 v114, v[16:17], v[14:15] offset0:45 offset1:46
	ds_write2_b64 v114, v[12:13], v[10:11] offset0:47 offset1:48
	ds_write2_b64 v114, v[8:9], v[6:7] offset0:49 offset1:50
	ds_write2_b64 v114, v[0:1], v[108:109] offset0:51 offset1:52
.LBB104_656:
	s_or_b64 exec, exec, s[0:1]
	v_cmp_lt_i32_e32 vcc, 38, v115
	s_waitcnt lgkmcnt(0)
	s_barrier
	s_and_saveexec_b64 s[0:1], vcc
	s_cbranch_execz .LBB104_658
; %bb.657:
	ds_read2_b64 v[120:123], v114 offset0:39 offset1:40
	ds_read2_b64 v[124:127], v114 offset0:41 offset1:42
	v_mul_f64 v[30:31], v[110:111], v[30:31]
	ds_read2_b64 v[128:131], v114 offset0:43 offset1:44
	s_waitcnt lgkmcnt(0)
	v_fma_f64 v[28:29], -v[30:31], v[120:121], v[28:29]
	v_fma_f64 v[26:27], -v[30:31], v[122:123], v[26:27]
	ds_read2_b64 v[120:123], v114 offset0:45 offset1:46
	v_fma_f64 v[24:25], -v[30:31], v[124:125], v[24:25]
	v_fma_f64 v[22:23], -v[30:31], v[126:127], v[22:23]
	;; [unrolled: 1-line block ×4, first 2 shown]
	ds_read2_b64 v[124:127], v114 offset0:47 offset1:48
	ds_read2_b64 v[128:131], v114 offset0:49 offset1:50
	s_waitcnt lgkmcnt(0)
	v_fma_f64 v[16:17], -v[30:31], v[120:121], v[16:17]
	v_fma_f64 v[14:15], -v[30:31], v[122:123], v[14:15]
	ds_read2_b64 v[120:123], v114 offset0:51 offset1:52
	v_fma_f64 v[12:13], -v[30:31], v[124:125], v[12:13]
	v_fma_f64 v[10:11], -v[30:31], v[126:127], v[10:11]
	;; [unrolled: 1-line block ×4, first 2 shown]
	s_waitcnt lgkmcnt(0)
	v_fma_f64 v[0:1], -v[30:31], v[120:121], v[0:1]
	v_fma_f64 v[108:109], -v[30:31], v[122:123], v[108:109]
.LBB104_658:
	s_or_b64 exec, exec, s[0:1]
	v_lshl_add_u32 v110, v115, 3, v114
	s_barrier
	ds_write_b64 v110, v[28:29]
	s_waitcnt lgkmcnt(0)
	s_barrier
	ds_read_b64 v[110:111], v114 offset:312
	s_cmp_lt_i32 s18, 41
	v_mov_b32_e32 v112, 39
	s_cbranch_scc1 .LBB104_661
; %bb.659:
	v_add_u32_e32 v119, 0x140, v114
	s_mov_b32 s0, 40
	v_mov_b32_e32 v112, 39
.LBB104_660:                            ; =>This Inner Loop Header: Depth=1
	ds_read_b64 v[120:121], v119
	v_mov_b32_e32 v122, s0
	s_add_i32 s0, s0, 1
	v_add_u32_e32 v119, 8, v119
	s_cmp_lg_u32 s18, s0
	s_waitcnt lgkmcnt(0)
	v_cmp_lt_f64_e64 vcc, |v[110:111]|, |v[120:121]|
	v_cndmask_b32_e32 v111, v111, v121, vcc
	v_cndmask_b32_e32 v110, v110, v120, vcc
	;; [unrolled: 1-line block ×3, first 2 shown]
	s_cbranch_scc1 .LBB104_660
.LBB104_661:
	s_waitcnt lgkmcnt(0)
	v_cmp_eq_f64_e32 vcc, 0, v[110:111]
	s_and_saveexec_b64 s[0:1], vcc
	s_xor_b64 s[0:1], exec, s[0:1]
; %bb.662:
	v_cmp_ne_u32_e32 vcc, 0, v118
	v_cndmask_b32_e32 v118, 40, v118, vcc
; %bb.663:
	s_andn2_saveexec_b64 s[0:1], s[0:1]
; %bb.664:
	v_div_scale_f64 v[120:121], s[2:3], v[110:111], v[110:111], 1.0
	v_rcp_f64_e32 v[122:123], v[120:121]
	v_div_scale_f64 v[124:125], vcc, 1.0, v[110:111], 1.0
	v_fma_f64 v[126:127], -v[120:121], v[122:123], 1.0
	v_fmac_f64_e32 v[122:123], v[122:123], v[126:127]
	v_fma_f64 v[126:127], -v[120:121], v[122:123], 1.0
	v_fmac_f64_e32 v[122:123], v[122:123], v[126:127]
	v_mul_f64 v[126:127], v[124:125], v[122:123]
	v_fma_f64 v[120:121], -v[120:121], v[126:127], v[124:125]
	v_div_fmas_f64 v[120:121], v[120:121], v[122:123], v[126:127]
	v_div_fixup_f64 v[110:111], v[120:121], v[110:111], 1.0
; %bb.665:
	s_or_b64 exec, exec, s[0:1]
	v_cmp_ne_u32_e32 vcc, v115, v112
	s_and_saveexec_b64 s[0:1], vcc
	s_xor_b64 s[0:1], exec, s[0:1]
	s_cbranch_execz .LBB104_671
; %bb.666:
	v_cmp_eq_u32_e32 vcc, 39, v115
	s_and_saveexec_b64 s[2:3], vcc
	s_cbranch_execz .LBB104_670
; %bb.667:
	v_cmp_ne_u32_e32 vcc, 39, v112
	s_xor_b64 s[14:15], s[6:7], -1
	s_and_b64 s[16:17], s[14:15], vcc
	s_and_saveexec_b64 s[14:15], s[16:17]
	s_cbranch_execz .LBB104_669
; %bb.668:
	v_ashrrev_i32_e32 v113, 31, v112
	v_lshlrev_b64 v[120:121], 2, v[112:113]
	v_add_co_u32_e32 v120, vcc, v4, v120
	v_addc_co_u32_e32 v121, vcc, v5, v121, vcc
	flat_load_dword v113, v[120:121]
	flat_load_dword v115, v[4:5] offset:156
	s_waitcnt vmcnt(0) lgkmcnt(0)
	flat_store_dword v[4:5], v113 offset:156
	flat_store_dword v[120:121], v115
.LBB104_669:
	s_or_b64 exec, exec, s[14:15]
	v_mov_b32_e32 v113, v112
	v_mov_b32_e32 v115, v112
.LBB104_670:
	s_or_b64 exec, exec, s[2:3]
.LBB104_671:
	s_andn2_saveexec_b64 s[0:1], s[0:1]
	s_cbranch_execz .LBB104_673
; %bb.672:
	v_mov_b32_e32 v120, v26
	v_mov_b32_e32 v121, v27
	v_mov_b32_e32 v122, v24
	v_mov_b32_e32 v123, v25
	ds_write2_b64 v114, v[120:121], v[122:123] offset0:40 offset1:41
	v_mov_b32_e32 v120, v22
	v_mov_b32_e32 v121, v23
	v_mov_b32_e32 v122, v20
	v_mov_b32_e32 v123, v21
	ds_write2_b64 v114, v[120:121], v[122:123] offset0:42 offset1:43
	;; [unrolled: 5-line block ×5, first 2 shown]
	v_mov_b32_e32 v120, v6
	v_mov_b32_e32 v121, v7
	v_mov_b32_e32 v122, v0
	v_mov_b32_e32 v123, v1
	v_mov_b32_e32 v115, 39
	ds_write2_b64 v114, v[120:121], v[122:123] offset0:50 offset1:51
	ds_write_b64 v114, v[108:109] offset:416
.LBB104_673:
	s_or_b64 exec, exec, s[0:1]
	v_cmp_lt_i32_e32 vcc, 39, v115
	s_waitcnt lgkmcnt(0)
	s_barrier
	s_and_saveexec_b64 s[0:1], vcc
	s_cbranch_execz .LBB104_675
; %bb.674:
	ds_read2_b64 v[120:123], v114 offset0:40 offset1:41
	ds_read2_b64 v[124:127], v114 offset0:42 offset1:43
	;; [unrolled: 1-line block ×3, first 2 shown]
	v_mul_f64 v[28:29], v[110:111], v[28:29]
	ds_read_b64 v[110:111], v114 offset:416
	s_waitcnt lgkmcnt(0)
	v_fma_f64 v[26:27], -v[28:29], v[120:121], v[26:27]
	v_fma_f64 v[24:25], -v[28:29], v[122:123], v[24:25]
	ds_read2_b64 v[120:123], v114 offset0:46 offset1:47
	v_fma_f64 v[22:23], -v[28:29], v[124:125], v[22:23]
	v_fma_f64 v[20:21], -v[28:29], v[126:127], v[20:21]
	;; [unrolled: 1-line block ×4, first 2 shown]
	ds_read2_b64 v[124:127], v114 offset0:48 offset1:49
	ds_read2_b64 v[128:131], v114 offset0:50 offset1:51
	s_waitcnt lgkmcnt(0)
	v_fma_f64 v[14:15], -v[28:29], v[120:121], v[14:15]
	v_fma_f64 v[12:13], -v[28:29], v[122:123], v[12:13]
	;; [unrolled: 1-line block ×7, first 2 shown]
.LBB104_675:
	s_or_b64 exec, exec, s[0:1]
	v_lshl_add_u32 v110, v115, 3, v114
	s_barrier
	ds_write_b64 v110, v[26:27]
	s_waitcnt lgkmcnt(0)
	s_barrier
	ds_read_b64 v[110:111], v114 offset:320
	s_cmp_lt_i32 s18, 42
	v_mov_b32_e32 v112, 40
	s_cbranch_scc1 .LBB104_678
; %bb.676:
	v_add_u32_e32 v119, 0x148, v114
	s_mov_b32 s0, 41
	v_mov_b32_e32 v112, 40
.LBB104_677:                            ; =>This Inner Loop Header: Depth=1
	ds_read_b64 v[120:121], v119
	v_mov_b32_e32 v122, s0
	s_add_i32 s0, s0, 1
	v_add_u32_e32 v119, 8, v119
	s_cmp_lg_u32 s18, s0
	s_waitcnt lgkmcnt(0)
	v_cmp_lt_f64_e64 vcc, |v[110:111]|, |v[120:121]|
	v_cndmask_b32_e32 v111, v111, v121, vcc
	v_cndmask_b32_e32 v110, v110, v120, vcc
	;; [unrolled: 1-line block ×3, first 2 shown]
	s_cbranch_scc1 .LBB104_677
.LBB104_678:
	s_waitcnt lgkmcnt(0)
	v_cmp_eq_f64_e32 vcc, 0, v[110:111]
	s_and_saveexec_b64 s[0:1], vcc
	s_xor_b64 s[0:1], exec, s[0:1]
; %bb.679:
	v_cmp_ne_u32_e32 vcc, 0, v118
	v_cndmask_b32_e32 v118, 41, v118, vcc
; %bb.680:
	s_andn2_saveexec_b64 s[0:1], s[0:1]
; %bb.681:
	v_div_scale_f64 v[120:121], s[2:3], v[110:111], v[110:111], 1.0
	v_rcp_f64_e32 v[122:123], v[120:121]
	v_div_scale_f64 v[124:125], vcc, 1.0, v[110:111], 1.0
	v_fma_f64 v[126:127], -v[120:121], v[122:123], 1.0
	v_fmac_f64_e32 v[122:123], v[122:123], v[126:127]
	v_fma_f64 v[126:127], -v[120:121], v[122:123], 1.0
	v_fmac_f64_e32 v[122:123], v[122:123], v[126:127]
	v_mul_f64 v[126:127], v[124:125], v[122:123]
	v_fma_f64 v[120:121], -v[120:121], v[126:127], v[124:125]
	v_div_fmas_f64 v[120:121], v[120:121], v[122:123], v[126:127]
	v_div_fixup_f64 v[110:111], v[120:121], v[110:111], 1.0
; %bb.682:
	s_or_b64 exec, exec, s[0:1]
	v_cmp_ne_u32_e32 vcc, v115, v112
	s_and_saveexec_b64 s[0:1], vcc
	s_xor_b64 s[0:1], exec, s[0:1]
	s_cbranch_execz .LBB104_688
; %bb.683:
	v_cmp_eq_u32_e32 vcc, 40, v115
	s_and_saveexec_b64 s[2:3], vcc
	s_cbranch_execz .LBB104_687
; %bb.684:
	v_cmp_ne_u32_e32 vcc, 40, v112
	s_xor_b64 s[14:15], s[6:7], -1
	s_and_b64 s[16:17], s[14:15], vcc
	s_and_saveexec_b64 s[14:15], s[16:17]
	s_cbranch_execz .LBB104_686
; %bb.685:
	v_ashrrev_i32_e32 v113, 31, v112
	v_lshlrev_b64 v[120:121], 2, v[112:113]
	v_add_co_u32_e32 v120, vcc, v4, v120
	v_addc_co_u32_e32 v121, vcc, v5, v121, vcc
	flat_load_dword v113, v[120:121]
	flat_load_dword v115, v[4:5] offset:160
	s_waitcnt vmcnt(0) lgkmcnt(0)
	flat_store_dword v[4:5], v113 offset:160
	flat_store_dword v[120:121], v115
.LBB104_686:
	s_or_b64 exec, exec, s[14:15]
	v_mov_b32_e32 v113, v112
	v_mov_b32_e32 v115, v112
.LBB104_687:
	s_or_b64 exec, exec, s[2:3]
.LBB104_688:
	s_andn2_saveexec_b64 s[0:1], s[0:1]
	s_cbranch_execz .LBB104_690
; %bb.689:
	v_mov_b32_e32 v115, 40
	ds_write2_b64 v114, v[24:25], v[22:23] offset0:41 offset1:42
	ds_write2_b64 v114, v[20:21], v[18:19] offset0:43 offset1:44
	;; [unrolled: 1-line block ×6, first 2 shown]
.LBB104_690:
	s_or_b64 exec, exec, s[0:1]
	v_cmp_lt_i32_e32 vcc, 40, v115
	s_waitcnt lgkmcnt(0)
	s_barrier
	s_and_saveexec_b64 s[0:1], vcc
	s_cbranch_execz .LBB104_692
; %bb.691:
	ds_read2_b64 v[120:123], v114 offset0:41 offset1:42
	ds_read2_b64 v[124:127], v114 offset0:43 offset1:44
	;; [unrolled: 1-line block ×3, first 2 shown]
	v_mul_f64 v[26:27], v[110:111], v[26:27]
	s_waitcnt lgkmcnt(0)
	v_fma_f64 v[24:25], -v[26:27], v[120:121], v[24:25]
	v_fma_f64 v[22:23], -v[26:27], v[122:123], v[22:23]
	ds_read2_b64 v[120:123], v114 offset0:47 offset1:48
	v_fma_f64 v[20:21], -v[26:27], v[124:125], v[20:21]
	v_fma_f64 v[18:19], -v[26:27], v[126:127], v[18:19]
	;; [unrolled: 1-line block ×3, first 2 shown]
	ds_read2_b64 v[124:127], v114 offset0:49 offset1:50
	v_fma_f64 v[14:15], -v[26:27], v[130:131], v[14:15]
	ds_read2_b64 v[128:131], v114 offset0:51 offset1:52
	s_waitcnt lgkmcnt(0)
	v_fma_f64 v[12:13], -v[26:27], v[120:121], v[12:13]
	v_fma_f64 v[10:11], -v[26:27], v[122:123], v[10:11]
	;; [unrolled: 1-line block ×6, first 2 shown]
.LBB104_692:
	s_or_b64 exec, exec, s[0:1]
	v_lshl_add_u32 v110, v115, 3, v114
	s_barrier
	ds_write_b64 v110, v[24:25]
	s_waitcnt lgkmcnt(0)
	s_barrier
	ds_read_b64 v[110:111], v114 offset:328
	s_cmp_lt_i32 s18, 43
	v_mov_b32_e32 v112, 41
	s_cbranch_scc1 .LBB104_695
; %bb.693:
	v_add_u32_e32 v119, 0x150, v114
	s_mov_b32 s0, 42
	v_mov_b32_e32 v112, 41
.LBB104_694:                            ; =>This Inner Loop Header: Depth=1
	ds_read_b64 v[120:121], v119
	v_mov_b32_e32 v122, s0
	s_add_i32 s0, s0, 1
	v_add_u32_e32 v119, 8, v119
	s_cmp_lg_u32 s18, s0
	s_waitcnt lgkmcnt(0)
	v_cmp_lt_f64_e64 vcc, |v[110:111]|, |v[120:121]|
	v_cndmask_b32_e32 v111, v111, v121, vcc
	v_cndmask_b32_e32 v110, v110, v120, vcc
	;; [unrolled: 1-line block ×3, first 2 shown]
	s_cbranch_scc1 .LBB104_694
.LBB104_695:
	s_waitcnt lgkmcnt(0)
	v_cmp_eq_f64_e32 vcc, 0, v[110:111]
	s_and_saveexec_b64 s[0:1], vcc
	s_xor_b64 s[0:1], exec, s[0:1]
; %bb.696:
	v_cmp_ne_u32_e32 vcc, 0, v118
	v_cndmask_b32_e32 v118, 42, v118, vcc
; %bb.697:
	s_andn2_saveexec_b64 s[0:1], s[0:1]
; %bb.698:
	v_div_scale_f64 v[120:121], s[2:3], v[110:111], v[110:111], 1.0
	v_rcp_f64_e32 v[122:123], v[120:121]
	v_div_scale_f64 v[124:125], vcc, 1.0, v[110:111], 1.0
	v_fma_f64 v[126:127], -v[120:121], v[122:123], 1.0
	v_fmac_f64_e32 v[122:123], v[122:123], v[126:127]
	v_fma_f64 v[126:127], -v[120:121], v[122:123], 1.0
	v_fmac_f64_e32 v[122:123], v[122:123], v[126:127]
	v_mul_f64 v[126:127], v[124:125], v[122:123]
	v_fma_f64 v[120:121], -v[120:121], v[126:127], v[124:125]
	v_div_fmas_f64 v[120:121], v[120:121], v[122:123], v[126:127]
	v_div_fixup_f64 v[110:111], v[120:121], v[110:111], 1.0
; %bb.699:
	s_or_b64 exec, exec, s[0:1]
	v_cmp_ne_u32_e32 vcc, v115, v112
	s_and_saveexec_b64 s[0:1], vcc
	s_xor_b64 s[0:1], exec, s[0:1]
	s_cbranch_execz .LBB104_705
; %bb.700:
	v_cmp_eq_u32_e32 vcc, 41, v115
	s_and_saveexec_b64 s[2:3], vcc
	s_cbranch_execz .LBB104_704
; %bb.701:
	v_cmp_ne_u32_e32 vcc, 41, v112
	s_xor_b64 s[14:15], s[6:7], -1
	s_and_b64 s[16:17], s[14:15], vcc
	s_and_saveexec_b64 s[14:15], s[16:17]
	s_cbranch_execz .LBB104_703
; %bb.702:
	v_ashrrev_i32_e32 v113, 31, v112
	v_lshlrev_b64 v[120:121], 2, v[112:113]
	v_add_co_u32_e32 v120, vcc, v4, v120
	v_addc_co_u32_e32 v121, vcc, v5, v121, vcc
	flat_load_dword v113, v[120:121]
	flat_load_dword v115, v[4:5] offset:164
	s_waitcnt vmcnt(0) lgkmcnt(0)
	flat_store_dword v[4:5], v113 offset:164
	flat_store_dword v[120:121], v115
.LBB104_703:
	s_or_b64 exec, exec, s[14:15]
	v_mov_b32_e32 v113, v112
	v_mov_b32_e32 v115, v112
.LBB104_704:
	s_or_b64 exec, exec, s[2:3]
.LBB104_705:
	s_andn2_saveexec_b64 s[0:1], s[0:1]
	s_cbranch_execz .LBB104_707
; %bb.706:
	v_mov_b32_e32 v120, v22
	v_mov_b32_e32 v121, v23
	v_mov_b32_e32 v122, v20
	v_mov_b32_e32 v123, v21
	ds_write2_b64 v114, v[120:121], v[122:123] offset0:42 offset1:43
	v_mov_b32_e32 v120, v18
	v_mov_b32_e32 v121, v19
	v_mov_b32_e32 v122, v16
	v_mov_b32_e32 v123, v17
	ds_write2_b64 v114, v[120:121], v[122:123] offset0:44 offset1:45
	;; [unrolled: 5-line block ×4, first 2 shown]
	v_mov_b32_e32 v120, v6
	v_mov_b32_e32 v121, v7
	;; [unrolled: 1-line block ×5, first 2 shown]
	ds_write2_b64 v114, v[120:121], v[122:123] offset0:50 offset1:51
	ds_write_b64 v114, v[108:109] offset:416
.LBB104_707:
	s_or_b64 exec, exec, s[0:1]
	v_cmp_lt_i32_e32 vcc, 41, v115
	s_waitcnt lgkmcnt(0)
	s_barrier
	s_and_saveexec_b64 s[0:1], vcc
	s_cbranch_execz .LBB104_709
; %bb.708:
	ds_read2_b64 v[120:123], v114 offset0:42 offset1:43
	ds_read2_b64 v[124:127], v114 offset0:44 offset1:45
	v_mul_f64 v[24:25], v[110:111], v[24:25]
	ds_read2_b64 v[128:131], v114 offset0:46 offset1:47
	ds_read_b64 v[110:111], v114 offset:416
	s_waitcnt lgkmcnt(0)
	v_fma_f64 v[22:23], -v[24:25], v[120:121], v[22:23]
	v_fma_f64 v[20:21], -v[24:25], v[122:123], v[20:21]
	ds_read2_b64 v[120:123], v114 offset0:48 offset1:49
	v_fma_f64 v[18:19], -v[24:25], v[124:125], v[18:19]
	v_fma_f64 v[16:17], -v[24:25], v[126:127], v[16:17]
	ds_read2_b64 v[124:127], v114 offset0:50 offset1:51
	v_fma_f64 v[14:15], -v[24:25], v[128:129], v[14:15]
	v_fma_f64 v[12:13], -v[24:25], v[130:131], v[12:13]
	s_waitcnt lgkmcnt(0)
	v_fma_f64 v[10:11], -v[24:25], v[120:121], v[10:11]
	v_fma_f64 v[8:9], -v[24:25], v[122:123], v[8:9]
	v_fma_f64 v[6:7], -v[24:25], v[124:125], v[6:7]
	v_fma_f64 v[0:1], -v[24:25], v[126:127], v[0:1]
	v_fma_f64 v[108:109], -v[24:25], v[110:111], v[108:109]
.LBB104_709:
	s_or_b64 exec, exec, s[0:1]
	v_lshl_add_u32 v110, v115, 3, v114
	s_barrier
	ds_write_b64 v110, v[22:23]
	s_waitcnt lgkmcnt(0)
	s_barrier
	ds_read_b64 v[110:111], v114 offset:336
	s_cmp_lt_i32 s18, 44
	v_mov_b32_e32 v112, 42
	s_cbranch_scc1 .LBB104_712
; %bb.710:
	v_add_u32_e32 v119, 0x158, v114
	s_mov_b32 s0, 43
	v_mov_b32_e32 v112, 42
.LBB104_711:                            ; =>This Inner Loop Header: Depth=1
	ds_read_b64 v[120:121], v119
	v_mov_b32_e32 v122, s0
	s_add_i32 s0, s0, 1
	v_add_u32_e32 v119, 8, v119
	s_cmp_lg_u32 s18, s0
	s_waitcnt lgkmcnt(0)
	v_cmp_lt_f64_e64 vcc, |v[110:111]|, |v[120:121]|
	v_cndmask_b32_e32 v111, v111, v121, vcc
	v_cndmask_b32_e32 v110, v110, v120, vcc
	;; [unrolled: 1-line block ×3, first 2 shown]
	s_cbranch_scc1 .LBB104_711
.LBB104_712:
	s_waitcnt lgkmcnt(0)
	v_cmp_eq_f64_e32 vcc, 0, v[110:111]
	s_and_saveexec_b64 s[0:1], vcc
	s_xor_b64 s[0:1], exec, s[0:1]
; %bb.713:
	v_cmp_ne_u32_e32 vcc, 0, v118
	v_cndmask_b32_e32 v118, 43, v118, vcc
; %bb.714:
	s_andn2_saveexec_b64 s[0:1], s[0:1]
; %bb.715:
	v_div_scale_f64 v[120:121], s[2:3], v[110:111], v[110:111], 1.0
	v_rcp_f64_e32 v[122:123], v[120:121]
	v_div_scale_f64 v[124:125], vcc, 1.0, v[110:111], 1.0
	v_fma_f64 v[126:127], -v[120:121], v[122:123], 1.0
	v_fmac_f64_e32 v[122:123], v[122:123], v[126:127]
	v_fma_f64 v[126:127], -v[120:121], v[122:123], 1.0
	v_fmac_f64_e32 v[122:123], v[122:123], v[126:127]
	v_mul_f64 v[126:127], v[124:125], v[122:123]
	v_fma_f64 v[120:121], -v[120:121], v[126:127], v[124:125]
	v_div_fmas_f64 v[120:121], v[120:121], v[122:123], v[126:127]
	v_div_fixup_f64 v[110:111], v[120:121], v[110:111], 1.0
; %bb.716:
	s_or_b64 exec, exec, s[0:1]
	v_cmp_ne_u32_e32 vcc, v115, v112
	s_and_saveexec_b64 s[0:1], vcc
	s_xor_b64 s[0:1], exec, s[0:1]
	s_cbranch_execz .LBB104_722
; %bb.717:
	v_cmp_eq_u32_e32 vcc, 42, v115
	s_and_saveexec_b64 s[2:3], vcc
	s_cbranch_execz .LBB104_721
; %bb.718:
	v_cmp_ne_u32_e32 vcc, 42, v112
	s_xor_b64 s[14:15], s[6:7], -1
	s_and_b64 s[16:17], s[14:15], vcc
	s_and_saveexec_b64 s[14:15], s[16:17]
	s_cbranch_execz .LBB104_720
; %bb.719:
	v_ashrrev_i32_e32 v113, 31, v112
	v_lshlrev_b64 v[120:121], 2, v[112:113]
	v_add_co_u32_e32 v120, vcc, v4, v120
	v_addc_co_u32_e32 v121, vcc, v5, v121, vcc
	flat_load_dword v113, v[120:121]
	flat_load_dword v115, v[4:5] offset:168
	s_waitcnt vmcnt(0) lgkmcnt(0)
	flat_store_dword v[4:5], v113 offset:168
	flat_store_dword v[120:121], v115
.LBB104_720:
	s_or_b64 exec, exec, s[14:15]
	v_mov_b32_e32 v113, v112
	v_mov_b32_e32 v115, v112
.LBB104_721:
	s_or_b64 exec, exec, s[2:3]
.LBB104_722:
	s_andn2_saveexec_b64 s[0:1], s[0:1]
	s_cbranch_execz .LBB104_724
; %bb.723:
	v_mov_b32_e32 v115, 42
	ds_write2_b64 v114, v[20:21], v[18:19] offset0:43 offset1:44
	ds_write2_b64 v114, v[16:17], v[14:15] offset0:45 offset1:46
	;; [unrolled: 1-line block ×5, first 2 shown]
.LBB104_724:
	s_or_b64 exec, exec, s[0:1]
	v_cmp_lt_i32_e32 vcc, 42, v115
	s_waitcnt lgkmcnt(0)
	s_barrier
	s_and_saveexec_b64 s[0:1], vcc
	s_cbranch_execz .LBB104_726
; %bb.725:
	ds_read2_b64 v[120:123], v114 offset0:43 offset1:44
	ds_read2_b64 v[124:127], v114 offset0:45 offset1:46
	v_mul_f64 v[22:23], v[110:111], v[22:23]
	ds_read2_b64 v[128:131], v114 offset0:49 offset1:50
	s_waitcnt lgkmcnt(0)
	v_fma_f64 v[20:21], -v[22:23], v[120:121], v[20:21]
	v_fma_f64 v[18:19], -v[22:23], v[122:123], v[18:19]
	ds_read2_b64 v[120:123], v114 offset0:47 offset1:48
	v_fma_f64 v[16:17], -v[22:23], v[124:125], v[16:17]
	v_fma_f64 v[14:15], -v[22:23], v[126:127], v[14:15]
	ds_read2_b64 v[124:127], v114 offset0:51 offset1:52
	v_fma_f64 v[8:9], -v[22:23], v[128:129], v[8:9]
	s_waitcnt lgkmcnt(0)
	v_fma_f64 v[12:13], -v[22:23], v[120:121], v[12:13]
	v_fma_f64 v[10:11], -v[22:23], v[122:123], v[10:11]
	v_fma_f64 v[6:7], -v[22:23], v[130:131], v[6:7]
	v_fma_f64 v[0:1], -v[22:23], v[124:125], v[0:1]
	v_fma_f64 v[108:109], -v[22:23], v[126:127], v[108:109]
.LBB104_726:
	s_or_b64 exec, exec, s[0:1]
	v_lshl_add_u32 v110, v115, 3, v114
	s_barrier
	ds_write_b64 v110, v[20:21]
	s_waitcnt lgkmcnt(0)
	s_barrier
	ds_read_b64 v[110:111], v114 offset:344
	s_cmp_lt_i32 s18, 45
	v_mov_b32_e32 v112, 43
	s_cbranch_scc1 .LBB104_729
; %bb.727:
	v_add_u32_e32 v119, 0x160, v114
	s_mov_b32 s0, 44
	v_mov_b32_e32 v112, 43
.LBB104_728:                            ; =>This Inner Loop Header: Depth=1
	ds_read_b64 v[120:121], v119
	v_mov_b32_e32 v122, s0
	s_add_i32 s0, s0, 1
	v_add_u32_e32 v119, 8, v119
	s_cmp_lg_u32 s18, s0
	s_waitcnt lgkmcnt(0)
	v_cmp_lt_f64_e64 vcc, |v[110:111]|, |v[120:121]|
	v_cndmask_b32_e32 v111, v111, v121, vcc
	v_cndmask_b32_e32 v110, v110, v120, vcc
	;; [unrolled: 1-line block ×3, first 2 shown]
	s_cbranch_scc1 .LBB104_728
.LBB104_729:
	s_waitcnt lgkmcnt(0)
	v_cmp_eq_f64_e32 vcc, 0, v[110:111]
	s_and_saveexec_b64 s[0:1], vcc
	s_xor_b64 s[0:1], exec, s[0:1]
; %bb.730:
	v_cmp_ne_u32_e32 vcc, 0, v118
	v_cndmask_b32_e32 v118, 44, v118, vcc
; %bb.731:
	s_andn2_saveexec_b64 s[0:1], s[0:1]
; %bb.732:
	v_div_scale_f64 v[120:121], s[2:3], v[110:111], v[110:111], 1.0
	v_rcp_f64_e32 v[122:123], v[120:121]
	v_div_scale_f64 v[124:125], vcc, 1.0, v[110:111], 1.0
	v_fma_f64 v[126:127], -v[120:121], v[122:123], 1.0
	v_fmac_f64_e32 v[122:123], v[122:123], v[126:127]
	v_fma_f64 v[126:127], -v[120:121], v[122:123], 1.0
	v_fmac_f64_e32 v[122:123], v[122:123], v[126:127]
	v_mul_f64 v[126:127], v[124:125], v[122:123]
	v_fma_f64 v[120:121], -v[120:121], v[126:127], v[124:125]
	v_div_fmas_f64 v[120:121], v[120:121], v[122:123], v[126:127]
	v_div_fixup_f64 v[110:111], v[120:121], v[110:111], 1.0
; %bb.733:
	s_or_b64 exec, exec, s[0:1]
	v_cmp_ne_u32_e32 vcc, v115, v112
	s_and_saveexec_b64 s[0:1], vcc
	s_xor_b64 s[0:1], exec, s[0:1]
	s_cbranch_execz .LBB104_739
; %bb.734:
	v_cmp_eq_u32_e32 vcc, 43, v115
	s_and_saveexec_b64 s[2:3], vcc
	s_cbranch_execz .LBB104_738
; %bb.735:
	v_cmp_ne_u32_e32 vcc, 43, v112
	s_xor_b64 s[14:15], s[6:7], -1
	s_and_b64 s[16:17], s[14:15], vcc
	s_and_saveexec_b64 s[14:15], s[16:17]
	s_cbranch_execz .LBB104_737
; %bb.736:
	v_ashrrev_i32_e32 v113, 31, v112
	v_lshlrev_b64 v[120:121], 2, v[112:113]
	v_add_co_u32_e32 v120, vcc, v4, v120
	v_addc_co_u32_e32 v121, vcc, v5, v121, vcc
	flat_load_dword v113, v[120:121]
	flat_load_dword v115, v[4:5] offset:172
	s_waitcnt vmcnt(0) lgkmcnt(0)
	flat_store_dword v[4:5], v113 offset:172
	flat_store_dword v[120:121], v115
.LBB104_737:
	s_or_b64 exec, exec, s[14:15]
	v_mov_b32_e32 v113, v112
	v_mov_b32_e32 v115, v112
.LBB104_738:
	s_or_b64 exec, exec, s[2:3]
.LBB104_739:
	s_andn2_saveexec_b64 s[0:1], s[0:1]
	s_cbranch_execz .LBB104_741
; %bb.740:
	v_mov_b32_e32 v120, v18
	v_mov_b32_e32 v121, v19
	v_mov_b32_e32 v122, v16
	v_mov_b32_e32 v123, v17
	ds_write2_b64 v114, v[120:121], v[122:123] offset0:44 offset1:45
	v_mov_b32_e32 v120, v14
	v_mov_b32_e32 v121, v15
	v_mov_b32_e32 v122, v12
	v_mov_b32_e32 v123, v13
	ds_write2_b64 v114, v[120:121], v[122:123] offset0:46 offset1:47
	;; [unrolled: 5-line block ×3, first 2 shown]
	v_mov_b32_e32 v120, v6
	v_mov_b32_e32 v121, v7
	;; [unrolled: 1-line block ×5, first 2 shown]
	ds_write2_b64 v114, v[120:121], v[122:123] offset0:50 offset1:51
	ds_write_b64 v114, v[108:109] offset:416
.LBB104_741:
	s_or_b64 exec, exec, s[0:1]
	v_cmp_lt_i32_e32 vcc, 43, v115
	s_waitcnt lgkmcnt(0)
	s_barrier
	s_and_saveexec_b64 s[0:1], vcc
	s_cbranch_execz .LBB104_743
; %bb.742:
	ds_read2_b64 v[120:123], v114 offset0:44 offset1:45
	ds_read2_b64 v[124:127], v114 offset0:46 offset1:47
	v_mul_f64 v[20:21], v[110:111], v[20:21]
	ds_read_b64 v[110:111], v114 offset:416
	ds_read2_b64 v[128:131], v114 offset0:50 offset1:51
	s_waitcnt lgkmcnt(0)
	v_fma_f64 v[18:19], -v[20:21], v[120:121], v[18:19]
	v_fma_f64 v[16:17], -v[20:21], v[122:123], v[16:17]
	ds_read2_b64 v[120:123], v114 offset0:48 offset1:49
	v_fma_f64 v[14:15], -v[20:21], v[124:125], v[14:15]
	v_fma_f64 v[12:13], -v[20:21], v[126:127], v[12:13]
	;; [unrolled: 1-line block ×4, first 2 shown]
	s_waitcnt lgkmcnt(0)
	v_fma_f64 v[10:11], -v[20:21], v[120:121], v[10:11]
	v_fma_f64 v[8:9], -v[20:21], v[122:123], v[8:9]
	;; [unrolled: 1-line block ×3, first 2 shown]
.LBB104_743:
	s_or_b64 exec, exec, s[0:1]
	v_lshl_add_u32 v110, v115, 3, v114
	s_barrier
	ds_write_b64 v110, v[18:19]
	s_waitcnt lgkmcnt(0)
	s_barrier
	ds_read_b64 v[110:111], v114 offset:352
	s_cmp_lt_i32 s18, 46
	v_mov_b32_e32 v112, 44
	s_cbranch_scc1 .LBB104_746
; %bb.744:
	v_add_u32_e32 v119, 0x168, v114
	s_mov_b32 s0, 45
	v_mov_b32_e32 v112, 44
.LBB104_745:                            ; =>This Inner Loop Header: Depth=1
	ds_read_b64 v[120:121], v119
	v_mov_b32_e32 v122, s0
	s_add_i32 s0, s0, 1
	v_add_u32_e32 v119, 8, v119
	s_cmp_lg_u32 s18, s0
	s_waitcnt lgkmcnt(0)
	v_cmp_lt_f64_e64 vcc, |v[110:111]|, |v[120:121]|
	v_cndmask_b32_e32 v111, v111, v121, vcc
	v_cndmask_b32_e32 v110, v110, v120, vcc
	;; [unrolled: 1-line block ×3, first 2 shown]
	s_cbranch_scc1 .LBB104_745
.LBB104_746:
	s_waitcnt lgkmcnt(0)
	v_cmp_eq_f64_e32 vcc, 0, v[110:111]
	s_and_saveexec_b64 s[0:1], vcc
	s_xor_b64 s[0:1], exec, s[0:1]
; %bb.747:
	v_cmp_ne_u32_e32 vcc, 0, v118
	v_cndmask_b32_e32 v118, 45, v118, vcc
; %bb.748:
	s_andn2_saveexec_b64 s[0:1], s[0:1]
; %bb.749:
	v_div_scale_f64 v[120:121], s[2:3], v[110:111], v[110:111], 1.0
	v_rcp_f64_e32 v[122:123], v[120:121]
	v_div_scale_f64 v[124:125], vcc, 1.0, v[110:111], 1.0
	v_fma_f64 v[126:127], -v[120:121], v[122:123], 1.0
	v_fmac_f64_e32 v[122:123], v[122:123], v[126:127]
	v_fma_f64 v[126:127], -v[120:121], v[122:123], 1.0
	v_fmac_f64_e32 v[122:123], v[122:123], v[126:127]
	v_mul_f64 v[126:127], v[124:125], v[122:123]
	v_fma_f64 v[120:121], -v[120:121], v[126:127], v[124:125]
	v_div_fmas_f64 v[120:121], v[120:121], v[122:123], v[126:127]
	v_div_fixup_f64 v[110:111], v[120:121], v[110:111], 1.0
; %bb.750:
	s_or_b64 exec, exec, s[0:1]
	v_cmp_ne_u32_e32 vcc, v115, v112
	s_and_saveexec_b64 s[0:1], vcc
	s_xor_b64 s[0:1], exec, s[0:1]
	s_cbranch_execz .LBB104_756
; %bb.751:
	v_cmp_eq_u32_e32 vcc, 44, v115
	s_and_saveexec_b64 s[2:3], vcc
	s_cbranch_execz .LBB104_755
; %bb.752:
	v_cmp_ne_u32_e32 vcc, 44, v112
	s_xor_b64 s[14:15], s[6:7], -1
	s_and_b64 s[16:17], s[14:15], vcc
	s_and_saveexec_b64 s[14:15], s[16:17]
	s_cbranch_execz .LBB104_754
; %bb.753:
	v_ashrrev_i32_e32 v113, 31, v112
	v_lshlrev_b64 v[120:121], 2, v[112:113]
	v_add_co_u32_e32 v120, vcc, v4, v120
	v_addc_co_u32_e32 v121, vcc, v5, v121, vcc
	flat_load_dword v113, v[120:121]
	flat_load_dword v115, v[4:5] offset:176
	s_waitcnt vmcnt(0) lgkmcnt(0)
	flat_store_dword v[4:5], v113 offset:176
	flat_store_dword v[120:121], v115
.LBB104_754:
	s_or_b64 exec, exec, s[14:15]
	v_mov_b32_e32 v113, v112
	v_mov_b32_e32 v115, v112
.LBB104_755:
	s_or_b64 exec, exec, s[2:3]
.LBB104_756:
	s_andn2_saveexec_b64 s[0:1], s[0:1]
	s_cbranch_execz .LBB104_758
; %bb.757:
	v_mov_b32_e32 v115, 44
	ds_write2_b64 v114, v[16:17], v[14:15] offset0:45 offset1:46
	ds_write2_b64 v114, v[12:13], v[10:11] offset0:47 offset1:48
	ds_write2_b64 v114, v[8:9], v[6:7] offset0:49 offset1:50
	ds_write2_b64 v114, v[0:1], v[108:109] offset0:51 offset1:52
.LBB104_758:
	s_or_b64 exec, exec, s[0:1]
	v_cmp_lt_i32_e32 vcc, 44, v115
	s_waitcnt lgkmcnt(0)
	s_barrier
	s_and_saveexec_b64 s[0:1], vcc
	s_cbranch_execz .LBB104_760
; %bb.759:
	ds_read2_b64 v[120:123], v114 offset0:45 offset1:46
	ds_read2_b64 v[124:127], v114 offset0:47 offset1:48
	v_mul_f64 v[18:19], v[110:111], v[18:19]
	ds_read2_b64 v[128:131], v114 offset0:49 offset1:50
	s_waitcnt lgkmcnt(0)
	v_fma_f64 v[16:17], -v[18:19], v[120:121], v[16:17]
	v_fma_f64 v[14:15], -v[18:19], v[122:123], v[14:15]
	ds_read2_b64 v[120:123], v114 offset0:51 offset1:52
	v_fma_f64 v[12:13], -v[18:19], v[124:125], v[12:13]
	v_fma_f64 v[10:11], -v[18:19], v[126:127], v[10:11]
	;; [unrolled: 1-line block ×4, first 2 shown]
	s_waitcnt lgkmcnt(0)
	v_fma_f64 v[0:1], -v[18:19], v[120:121], v[0:1]
	v_fma_f64 v[108:109], -v[18:19], v[122:123], v[108:109]
.LBB104_760:
	s_or_b64 exec, exec, s[0:1]
	v_lshl_add_u32 v110, v115, 3, v114
	s_barrier
	ds_write_b64 v110, v[16:17]
	s_waitcnt lgkmcnt(0)
	s_barrier
	ds_read_b64 v[110:111], v114 offset:360
	s_cmp_lt_i32 s18, 47
	v_mov_b32_e32 v112, 45
	s_cbranch_scc1 .LBB104_763
; %bb.761:
	v_add_u32_e32 v119, 0x170, v114
	s_mov_b32 s0, 46
	v_mov_b32_e32 v112, 45
.LBB104_762:                            ; =>This Inner Loop Header: Depth=1
	ds_read_b64 v[120:121], v119
	v_mov_b32_e32 v122, s0
	s_add_i32 s0, s0, 1
	v_add_u32_e32 v119, 8, v119
	s_cmp_lg_u32 s18, s0
	s_waitcnt lgkmcnt(0)
	v_cmp_lt_f64_e64 vcc, |v[110:111]|, |v[120:121]|
	v_cndmask_b32_e32 v111, v111, v121, vcc
	v_cndmask_b32_e32 v110, v110, v120, vcc
	;; [unrolled: 1-line block ×3, first 2 shown]
	s_cbranch_scc1 .LBB104_762
.LBB104_763:
	s_waitcnt lgkmcnt(0)
	v_cmp_eq_f64_e32 vcc, 0, v[110:111]
	s_and_saveexec_b64 s[0:1], vcc
	s_xor_b64 s[0:1], exec, s[0:1]
; %bb.764:
	v_cmp_ne_u32_e32 vcc, 0, v118
	v_cndmask_b32_e32 v118, 46, v118, vcc
; %bb.765:
	s_andn2_saveexec_b64 s[0:1], s[0:1]
; %bb.766:
	v_div_scale_f64 v[120:121], s[2:3], v[110:111], v[110:111], 1.0
	v_rcp_f64_e32 v[122:123], v[120:121]
	v_div_scale_f64 v[124:125], vcc, 1.0, v[110:111], 1.0
	v_fma_f64 v[126:127], -v[120:121], v[122:123], 1.0
	v_fmac_f64_e32 v[122:123], v[122:123], v[126:127]
	v_fma_f64 v[126:127], -v[120:121], v[122:123], 1.0
	v_fmac_f64_e32 v[122:123], v[122:123], v[126:127]
	v_mul_f64 v[126:127], v[124:125], v[122:123]
	v_fma_f64 v[120:121], -v[120:121], v[126:127], v[124:125]
	v_div_fmas_f64 v[120:121], v[120:121], v[122:123], v[126:127]
	v_div_fixup_f64 v[110:111], v[120:121], v[110:111], 1.0
; %bb.767:
	s_or_b64 exec, exec, s[0:1]
	v_cmp_ne_u32_e32 vcc, v115, v112
	s_and_saveexec_b64 s[0:1], vcc
	s_xor_b64 s[0:1], exec, s[0:1]
	s_cbranch_execz .LBB104_773
; %bb.768:
	v_cmp_eq_u32_e32 vcc, 45, v115
	s_and_saveexec_b64 s[2:3], vcc
	s_cbranch_execz .LBB104_772
; %bb.769:
	v_cmp_ne_u32_e32 vcc, 45, v112
	s_xor_b64 s[14:15], s[6:7], -1
	s_and_b64 s[16:17], s[14:15], vcc
	s_and_saveexec_b64 s[14:15], s[16:17]
	s_cbranch_execz .LBB104_771
; %bb.770:
	v_ashrrev_i32_e32 v113, 31, v112
	v_lshlrev_b64 v[120:121], 2, v[112:113]
	v_add_co_u32_e32 v120, vcc, v4, v120
	v_addc_co_u32_e32 v121, vcc, v5, v121, vcc
	flat_load_dword v113, v[120:121]
	flat_load_dword v115, v[4:5] offset:180
	s_waitcnt vmcnt(0) lgkmcnt(0)
	flat_store_dword v[4:5], v113 offset:180
	flat_store_dword v[120:121], v115
.LBB104_771:
	s_or_b64 exec, exec, s[14:15]
	v_mov_b32_e32 v113, v112
	v_mov_b32_e32 v115, v112
.LBB104_772:
	s_or_b64 exec, exec, s[2:3]
.LBB104_773:
	s_andn2_saveexec_b64 s[0:1], s[0:1]
	s_cbranch_execz .LBB104_775
; %bb.774:
	v_mov_b32_e32 v120, v14
	v_mov_b32_e32 v121, v15
	;; [unrolled: 1-line block ×4, first 2 shown]
	ds_write2_b64 v114, v[120:121], v[122:123] offset0:46 offset1:47
	v_mov_b32_e32 v120, v10
	v_mov_b32_e32 v121, v11
	;; [unrolled: 1-line block ×4, first 2 shown]
	ds_write2_b64 v114, v[120:121], v[122:123] offset0:48 offset1:49
	v_mov_b32_e32 v120, v6
	v_mov_b32_e32 v121, v7
	;; [unrolled: 1-line block ×5, first 2 shown]
	ds_write2_b64 v114, v[120:121], v[122:123] offset0:50 offset1:51
	ds_write_b64 v114, v[108:109] offset:416
.LBB104_775:
	s_or_b64 exec, exec, s[0:1]
	v_cmp_lt_i32_e32 vcc, 45, v115
	s_waitcnt lgkmcnt(0)
	s_barrier
	s_and_saveexec_b64 s[0:1], vcc
	s_cbranch_execz .LBB104_777
; %bb.776:
	ds_read2_b64 v[120:123], v114 offset0:46 offset1:47
	ds_read2_b64 v[124:127], v114 offset0:48 offset1:49
	v_mul_f64 v[16:17], v[110:111], v[16:17]
	ds_read2_b64 v[128:131], v114 offset0:50 offset1:51
	ds_read_b64 v[110:111], v114 offset:416
	s_waitcnt lgkmcnt(0)
	v_fma_f64 v[14:15], -v[16:17], v[120:121], v[14:15]
	v_fma_f64 v[12:13], -v[16:17], v[122:123], v[12:13]
	;; [unrolled: 1-line block ×7, first 2 shown]
.LBB104_777:
	s_or_b64 exec, exec, s[0:1]
	v_lshl_add_u32 v110, v115, 3, v114
	s_barrier
	ds_write_b64 v110, v[14:15]
	s_waitcnt lgkmcnt(0)
	s_barrier
	ds_read_b64 v[110:111], v114 offset:368
	s_cmp_lt_i32 s18, 48
	v_mov_b32_e32 v112, 46
	s_cbranch_scc1 .LBB104_780
; %bb.778:
	v_add_u32_e32 v119, 0x178, v114
	s_mov_b32 s0, 47
	v_mov_b32_e32 v112, 46
.LBB104_779:                            ; =>This Inner Loop Header: Depth=1
	ds_read_b64 v[120:121], v119
	v_mov_b32_e32 v122, s0
	s_add_i32 s0, s0, 1
	v_add_u32_e32 v119, 8, v119
	s_cmp_lg_u32 s18, s0
	s_waitcnt lgkmcnt(0)
	v_cmp_lt_f64_e64 vcc, |v[110:111]|, |v[120:121]|
	v_cndmask_b32_e32 v111, v111, v121, vcc
	v_cndmask_b32_e32 v110, v110, v120, vcc
	;; [unrolled: 1-line block ×3, first 2 shown]
	s_cbranch_scc1 .LBB104_779
.LBB104_780:
	s_waitcnt lgkmcnt(0)
	v_cmp_eq_f64_e32 vcc, 0, v[110:111]
	s_and_saveexec_b64 s[0:1], vcc
	s_xor_b64 s[0:1], exec, s[0:1]
; %bb.781:
	v_cmp_ne_u32_e32 vcc, 0, v118
	v_cndmask_b32_e32 v118, 47, v118, vcc
; %bb.782:
	s_andn2_saveexec_b64 s[0:1], s[0:1]
; %bb.783:
	v_div_scale_f64 v[120:121], s[2:3], v[110:111], v[110:111], 1.0
	v_rcp_f64_e32 v[122:123], v[120:121]
	v_div_scale_f64 v[124:125], vcc, 1.0, v[110:111], 1.0
	v_fma_f64 v[126:127], -v[120:121], v[122:123], 1.0
	v_fmac_f64_e32 v[122:123], v[122:123], v[126:127]
	v_fma_f64 v[126:127], -v[120:121], v[122:123], 1.0
	v_fmac_f64_e32 v[122:123], v[122:123], v[126:127]
	v_mul_f64 v[126:127], v[124:125], v[122:123]
	v_fma_f64 v[120:121], -v[120:121], v[126:127], v[124:125]
	v_div_fmas_f64 v[120:121], v[120:121], v[122:123], v[126:127]
	v_div_fixup_f64 v[110:111], v[120:121], v[110:111], 1.0
; %bb.784:
	s_or_b64 exec, exec, s[0:1]
	v_cmp_ne_u32_e32 vcc, v115, v112
	s_and_saveexec_b64 s[0:1], vcc
	s_xor_b64 s[0:1], exec, s[0:1]
	s_cbranch_execz .LBB104_790
; %bb.785:
	v_cmp_eq_u32_e32 vcc, 46, v115
	s_and_saveexec_b64 s[2:3], vcc
	s_cbranch_execz .LBB104_789
; %bb.786:
	v_cmp_ne_u32_e32 vcc, 46, v112
	s_xor_b64 s[14:15], s[6:7], -1
	s_and_b64 s[16:17], s[14:15], vcc
	s_and_saveexec_b64 s[14:15], s[16:17]
	s_cbranch_execz .LBB104_788
; %bb.787:
	v_ashrrev_i32_e32 v113, 31, v112
	v_lshlrev_b64 v[120:121], 2, v[112:113]
	v_add_co_u32_e32 v120, vcc, v4, v120
	v_addc_co_u32_e32 v121, vcc, v5, v121, vcc
	flat_load_dword v113, v[120:121]
	flat_load_dword v115, v[4:5] offset:184
	s_waitcnt vmcnt(0) lgkmcnt(0)
	flat_store_dword v[4:5], v113 offset:184
	flat_store_dword v[120:121], v115
.LBB104_788:
	s_or_b64 exec, exec, s[14:15]
	v_mov_b32_e32 v113, v112
	v_mov_b32_e32 v115, v112
.LBB104_789:
	s_or_b64 exec, exec, s[2:3]
.LBB104_790:
	s_andn2_saveexec_b64 s[0:1], s[0:1]
	s_cbranch_execz .LBB104_792
; %bb.791:
	v_mov_b32_e32 v115, 46
	ds_write2_b64 v114, v[12:13], v[10:11] offset0:47 offset1:48
	ds_write2_b64 v114, v[8:9], v[6:7] offset0:49 offset1:50
	ds_write2_b64 v114, v[0:1], v[108:109] offset0:51 offset1:52
.LBB104_792:
	s_or_b64 exec, exec, s[0:1]
	v_cmp_lt_i32_e32 vcc, 46, v115
	s_waitcnt lgkmcnt(0)
	s_barrier
	s_and_saveexec_b64 s[0:1], vcc
	s_cbranch_execz .LBB104_794
; %bb.793:
	ds_read2_b64 v[120:123], v114 offset0:47 offset1:48
	ds_read2_b64 v[124:127], v114 offset0:49 offset1:50
	;; [unrolled: 1-line block ×3, first 2 shown]
	v_mul_f64 v[14:15], v[110:111], v[14:15]
	s_waitcnt lgkmcnt(0)
	v_fma_f64 v[12:13], -v[14:15], v[120:121], v[12:13]
	v_fma_f64 v[10:11], -v[14:15], v[122:123], v[10:11]
	;; [unrolled: 1-line block ×6, first 2 shown]
.LBB104_794:
	s_or_b64 exec, exec, s[0:1]
	v_lshl_add_u32 v110, v115, 3, v114
	s_barrier
	ds_write_b64 v110, v[12:13]
	s_waitcnt lgkmcnt(0)
	s_barrier
	ds_read_b64 v[110:111], v114 offset:376
	s_cmp_lt_i32 s18, 49
	v_mov_b32_e32 v112, 47
	s_cbranch_scc1 .LBB104_797
; %bb.795:
	v_add_u32_e32 v119, 0x180, v114
	s_mov_b32 s0, 48
	v_mov_b32_e32 v112, 47
.LBB104_796:                            ; =>This Inner Loop Header: Depth=1
	ds_read_b64 v[120:121], v119
	v_mov_b32_e32 v122, s0
	s_add_i32 s0, s0, 1
	v_add_u32_e32 v119, 8, v119
	s_cmp_lg_u32 s18, s0
	s_waitcnt lgkmcnt(0)
	v_cmp_lt_f64_e64 vcc, |v[110:111]|, |v[120:121]|
	v_cndmask_b32_e32 v111, v111, v121, vcc
	v_cndmask_b32_e32 v110, v110, v120, vcc
	;; [unrolled: 1-line block ×3, first 2 shown]
	s_cbranch_scc1 .LBB104_796
.LBB104_797:
	s_waitcnt lgkmcnt(0)
	v_cmp_eq_f64_e32 vcc, 0, v[110:111]
	s_and_saveexec_b64 s[0:1], vcc
	s_xor_b64 s[0:1], exec, s[0:1]
; %bb.798:
	v_cmp_ne_u32_e32 vcc, 0, v118
	v_cndmask_b32_e32 v118, 48, v118, vcc
; %bb.799:
	s_andn2_saveexec_b64 s[0:1], s[0:1]
; %bb.800:
	v_div_scale_f64 v[120:121], s[2:3], v[110:111], v[110:111], 1.0
	v_rcp_f64_e32 v[122:123], v[120:121]
	v_div_scale_f64 v[124:125], vcc, 1.0, v[110:111], 1.0
	v_fma_f64 v[126:127], -v[120:121], v[122:123], 1.0
	v_fmac_f64_e32 v[122:123], v[122:123], v[126:127]
	v_fma_f64 v[126:127], -v[120:121], v[122:123], 1.0
	v_fmac_f64_e32 v[122:123], v[122:123], v[126:127]
	v_mul_f64 v[126:127], v[124:125], v[122:123]
	v_fma_f64 v[120:121], -v[120:121], v[126:127], v[124:125]
	v_div_fmas_f64 v[120:121], v[120:121], v[122:123], v[126:127]
	v_div_fixup_f64 v[110:111], v[120:121], v[110:111], 1.0
; %bb.801:
	s_or_b64 exec, exec, s[0:1]
	v_cmp_ne_u32_e32 vcc, v115, v112
	s_and_saveexec_b64 s[0:1], vcc
	s_xor_b64 s[0:1], exec, s[0:1]
	s_cbranch_execz .LBB104_807
; %bb.802:
	v_cmp_eq_u32_e32 vcc, 47, v115
	s_and_saveexec_b64 s[2:3], vcc
	s_cbranch_execz .LBB104_806
; %bb.803:
	v_cmp_ne_u32_e32 vcc, 47, v112
	s_xor_b64 s[14:15], s[6:7], -1
	s_and_b64 s[16:17], s[14:15], vcc
	s_and_saveexec_b64 s[14:15], s[16:17]
	s_cbranch_execz .LBB104_805
; %bb.804:
	v_ashrrev_i32_e32 v113, 31, v112
	v_lshlrev_b64 v[120:121], 2, v[112:113]
	v_add_co_u32_e32 v120, vcc, v4, v120
	v_addc_co_u32_e32 v121, vcc, v5, v121, vcc
	flat_load_dword v113, v[120:121]
	flat_load_dword v115, v[4:5] offset:188
	s_waitcnt vmcnt(0) lgkmcnt(0)
	flat_store_dword v[4:5], v113 offset:188
	flat_store_dword v[120:121], v115
.LBB104_805:
	s_or_b64 exec, exec, s[14:15]
	v_mov_b32_e32 v113, v112
	v_mov_b32_e32 v115, v112
.LBB104_806:
	s_or_b64 exec, exec, s[2:3]
.LBB104_807:
	s_andn2_saveexec_b64 s[0:1], s[0:1]
	s_cbranch_execz .LBB104_809
; %bb.808:
	v_mov_b32_e32 v120, v10
	v_mov_b32_e32 v121, v11
	;; [unrolled: 1-line block ×4, first 2 shown]
	ds_write2_b64 v114, v[120:121], v[122:123] offset0:48 offset1:49
	v_mov_b32_e32 v120, v6
	v_mov_b32_e32 v121, v7
	;; [unrolled: 1-line block ×5, first 2 shown]
	ds_write2_b64 v114, v[120:121], v[122:123] offset0:50 offset1:51
	ds_write_b64 v114, v[108:109] offset:416
.LBB104_809:
	s_or_b64 exec, exec, s[0:1]
	v_cmp_lt_i32_e32 vcc, 47, v115
	s_waitcnt lgkmcnt(0)
	s_barrier
	s_and_saveexec_b64 s[0:1], vcc
	s_cbranch_execz .LBB104_811
; %bb.810:
	ds_read2_b64 v[120:123], v114 offset0:48 offset1:49
	ds_read2_b64 v[124:127], v114 offset0:50 offset1:51
	v_mul_f64 v[12:13], v[110:111], v[12:13]
	ds_read_b64 v[110:111], v114 offset:416
	s_waitcnt lgkmcnt(0)
	v_fma_f64 v[10:11], -v[12:13], v[120:121], v[10:11]
	v_fma_f64 v[8:9], -v[12:13], v[122:123], v[8:9]
	;; [unrolled: 1-line block ×5, first 2 shown]
.LBB104_811:
	s_or_b64 exec, exec, s[0:1]
	v_lshl_add_u32 v110, v115, 3, v114
	s_barrier
	ds_write_b64 v110, v[10:11]
	s_waitcnt lgkmcnt(0)
	s_barrier
	ds_read_b64 v[110:111], v114 offset:384
	s_cmp_lt_i32 s18, 50
	v_mov_b32_e32 v112, 48
	s_cbranch_scc1 .LBB104_814
; %bb.812:
	v_add_u32_e32 v119, 0x188, v114
	s_mov_b32 s0, 49
	v_mov_b32_e32 v112, 48
.LBB104_813:                            ; =>This Inner Loop Header: Depth=1
	ds_read_b64 v[120:121], v119
	v_mov_b32_e32 v122, s0
	s_add_i32 s0, s0, 1
	v_add_u32_e32 v119, 8, v119
	s_cmp_lg_u32 s18, s0
	s_waitcnt lgkmcnt(0)
	v_cmp_lt_f64_e64 vcc, |v[110:111]|, |v[120:121]|
	v_cndmask_b32_e32 v111, v111, v121, vcc
	v_cndmask_b32_e32 v110, v110, v120, vcc
	;; [unrolled: 1-line block ×3, first 2 shown]
	s_cbranch_scc1 .LBB104_813
.LBB104_814:
	s_waitcnt lgkmcnt(0)
	v_cmp_eq_f64_e32 vcc, 0, v[110:111]
	s_and_saveexec_b64 s[0:1], vcc
	s_xor_b64 s[0:1], exec, s[0:1]
; %bb.815:
	v_cmp_ne_u32_e32 vcc, 0, v118
	v_cndmask_b32_e32 v118, 49, v118, vcc
; %bb.816:
	s_andn2_saveexec_b64 s[0:1], s[0:1]
; %bb.817:
	v_div_scale_f64 v[120:121], s[2:3], v[110:111], v[110:111], 1.0
	v_rcp_f64_e32 v[122:123], v[120:121]
	v_div_scale_f64 v[124:125], vcc, 1.0, v[110:111], 1.0
	v_fma_f64 v[126:127], -v[120:121], v[122:123], 1.0
	v_fmac_f64_e32 v[122:123], v[122:123], v[126:127]
	v_fma_f64 v[126:127], -v[120:121], v[122:123], 1.0
	v_fmac_f64_e32 v[122:123], v[122:123], v[126:127]
	v_mul_f64 v[126:127], v[124:125], v[122:123]
	v_fma_f64 v[120:121], -v[120:121], v[126:127], v[124:125]
	v_div_fmas_f64 v[120:121], v[120:121], v[122:123], v[126:127]
	v_div_fixup_f64 v[110:111], v[120:121], v[110:111], 1.0
; %bb.818:
	s_or_b64 exec, exec, s[0:1]
	v_cmp_ne_u32_e32 vcc, v115, v112
	s_and_saveexec_b64 s[0:1], vcc
	s_xor_b64 s[0:1], exec, s[0:1]
	s_cbranch_execz .LBB104_824
; %bb.819:
	v_cmp_eq_u32_e32 vcc, 48, v115
	s_and_saveexec_b64 s[2:3], vcc
	s_cbranch_execz .LBB104_823
; %bb.820:
	v_cmp_ne_u32_e32 vcc, 48, v112
	s_xor_b64 s[14:15], s[6:7], -1
	s_and_b64 s[16:17], s[14:15], vcc
	s_and_saveexec_b64 s[14:15], s[16:17]
	s_cbranch_execz .LBB104_822
; %bb.821:
	v_ashrrev_i32_e32 v113, 31, v112
	v_lshlrev_b64 v[120:121], 2, v[112:113]
	v_add_co_u32_e32 v120, vcc, v4, v120
	v_addc_co_u32_e32 v121, vcc, v5, v121, vcc
	flat_load_dword v113, v[120:121]
	flat_load_dword v115, v[4:5] offset:192
	s_waitcnt vmcnt(0) lgkmcnt(0)
	flat_store_dword v[4:5], v113 offset:192
	flat_store_dword v[120:121], v115
.LBB104_822:
	s_or_b64 exec, exec, s[14:15]
	v_mov_b32_e32 v113, v112
	v_mov_b32_e32 v115, v112
.LBB104_823:
	s_or_b64 exec, exec, s[2:3]
.LBB104_824:
	s_andn2_saveexec_b64 s[0:1], s[0:1]
	s_cbranch_execz .LBB104_826
; %bb.825:
	v_mov_b32_e32 v115, 48
	ds_write2_b64 v114, v[8:9], v[6:7] offset0:49 offset1:50
	ds_write2_b64 v114, v[0:1], v[108:109] offset0:51 offset1:52
.LBB104_826:
	s_or_b64 exec, exec, s[0:1]
	v_cmp_lt_i32_e32 vcc, 48, v115
	s_waitcnt lgkmcnt(0)
	s_barrier
	s_and_saveexec_b64 s[0:1], vcc
	s_cbranch_execz .LBB104_828
; %bb.827:
	ds_read2_b64 v[120:123], v114 offset0:49 offset1:50
	ds_read2_b64 v[124:127], v114 offset0:51 offset1:52
	v_mul_f64 v[10:11], v[110:111], v[10:11]
	s_waitcnt lgkmcnt(0)
	v_fma_f64 v[8:9], -v[10:11], v[120:121], v[8:9]
	v_fma_f64 v[6:7], -v[10:11], v[122:123], v[6:7]
	v_fma_f64 v[0:1], -v[10:11], v[124:125], v[0:1]
	v_fma_f64 v[108:109], -v[10:11], v[126:127], v[108:109]
.LBB104_828:
	s_or_b64 exec, exec, s[0:1]
	v_lshl_add_u32 v110, v115, 3, v114
	s_barrier
	ds_write_b64 v110, v[8:9]
	s_waitcnt lgkmcnt(0)
	s_barrier
	ds_read_b64 v[110:111], v114 offset:392
	s_cmp_lt_i32 s18, 51
	v_mov_b32_e32 v112, 49
	s_cbranch_scc1 .LBB104_831
; %bb.829:
	v_add_u32_e32 v119, 0x190, v114
	s_mov_b32 s0, 50
	v_mov_b32_e32 v112, 49
.LBB104_830:                            ; =>This Inner Loop Header: Depth=1
	ds_read_b64 v[120:121], v119
	v_mov_b32_e32 v122, s0
	s_add_i32 s0, s0, 1
	v_add_u32_e32 v119, 8, v119
	s_cmp_lg_u32 s18, s0
	s_waitcnt lgkmcnt(0)
	v_cmp_lt_f64_e64 vcc, |v[110:111]|, |v[120:121]|
	v_cndmask_b32_e32 v111, v111, v121, vcc
	v_cndmask_b32_e32 v110, v110, v120, vcc
	;; [unrolled: 1-line block ×3, first 2 shown]
	s_cbranch_scc1 .LBB104_830
.LBB104_831:
	s_waitcnt lgkmcnt(0)
	v_cmp_eq_f64_e32 vcc, 0, v[110:111]
	s_and_saveexec_b64 s[0:1], vcc
	s_xor_b64 s[0:1], exec, s[0:1]
; %bb.832:
	v_cmp_ne_u32_e32 vcc, 0, v118
	v_cndmask_b32_e32 v118, 50, v118, vcc
; %bb.833:
	s_andn2_saveexec_b64 s[0:1], s[0:1]
; %bb.834:
	v_div_scale_f64 v[120:121], s[2:3], v[110:111], v[110:111], 1.0
	v_rcp_f64_e32 v[122:123], v[120:121]
	v_div_scale_f64 v[124:125], vcc, 1.0, v[110:111], 1.0
	v_fma_f64 v[126:127], -v[120:121], v[122:123], 1.0
	v_fmac_f64_e32 v[122:123], v[122:123], v[126:127]
	v_fma_f64 v[126:127], -v[120:121], v[122:123], 1.0
	v_fmac_f64_e32 v[122:123], v[122:123], v[126:127]
	v_mul_f64 v[126:127], v[124:125], v[122:123]
	v_fma_f64 v[120:121], -v[120:121], v[126:127], v[124:125]
	v_div_fmas_f64 v[120:121], v[120:121], v[122:123], v[126:127]
	v_div_fixup_f64 v[110:111], v[120:121], v[110:111], 1.0
; %bb.835:
	s_or_b64 exec, exec, s[0:1]
	v_cmp_ne_u32_e32 vcc, v115, v112
	s_and_saveexec_b64 s[0:1], vcc
	s_xor_b64 s[0:1], exec, s[0:1]
	s_cbranch_execz .LBB104_841
; %bb.836:
	v_cmp_eq_u32_e32 vcc, 49, v115
	s_and_saveexec_b64 s[2:3], vcc
	s_cbranch_execz .LBB104_840
; %bb.837:
	v_cmp_ne_u32_e32 vcc, 49, v112
	s_xor_b64 s[14:15], s[6:7], -1
	s_and_b64 s[16:17], s[14:15], vcc
	s_and_saveexec_b64 s[14:15], s[16:17]
	s_cbranch_execz .LBB104_839
; %bb.838:
	v_ashrrev_i32_e32 v113, 31, v112
	v_lshlrev_b64 v[120:121], 2, v[112:113]
	v_add_co_u32_e32 v120, vcc, v4, v120
	v_addc_co_u32_e32 v121, vcc, v5, v121, vcc
	flat_load_dword v113, v[120:121]
	flat_load_dword v115, v[4:5] offset:196
	s_waitcnt vmcnt(0) lgkmcnt(0)
	flat_store_dword v[4:5], v113 offset:196
	flat_store_dword v[120:121], v115
.LBB104_839:
	s_or_b64 exec, exec, s[14:15]
	v_mov_b32_e32 v113, v112
	v_mov_b32_e32 v115, v112
.LBB104_840:
	s_or_b64 exec, exec, s[2:3]
.LBB104_841:
	s_andn2_saveexec_b64 s[0:1], s[0:1]
	s_cbranch_execz .LBB104_843
; %bb.842:
	v_mov_b32_e32 v120, v6
	v_mov_b32_e32 v121, v7
	;; [unrolled: 1-line block ×5, first 2 shown]
	ds_write2_b64 v114, v[120:121], v[122:123] offset0:50 offset1:51
	ds_write_b64 v114, v[108:109] offset:416
.LBB104_843:
	s_or_b64 exec, exec, s[0:1]
	v_cmp_lt_i32_e32 vcc, 49, v115
	s_waitcnt lgkmcnt(0)
	s_barrier
	s_and_saveexec_b64 s[0:1], vcc
	s_cbranch_execz .LBB104_845
; %bb.844:
	ds_read2_b64 v[120:123], v114 offset0:50 offset1:51
	ds_read_b64 v[124:125], v114 offset:416
	v_mul_f64 v[8:9], v[110:111], v[8:9]
	s_waitcnt lgkmcnt(0)
	v_fma_f64 v[6:7], -v[8:9], v[120:121], v[6:7]
	v_fma_f64 v[0:1], -v[8:9], v[122:123], v[0:1]
	;; [unrolled: 1-line block ×3, first 2 shown]
.LBB104_845:
	s_or_b64 exec, exec, s[0:1]
	v_lshl_add_u32 v110, v115, 3, v114
	s_barrier
	ds_write_b64 v110, v[6:7]
	s_waitcnt lgkmcnt(0)
	s_barrier
	ds_read_b64 v[110:111], v114 offset:400
	s_cmp_lt_i32 s18, 52
	v_mov_b32_e32 v112, 50
	s_cbranch_scc1 .LBB104_848
; %bb.846:
	v_add_u32_e32 v119, 0x198, v114
	s_mov_b32 s0, 51
	v_mov_b32_e32 v112, 50
.LBB104_847:                            ; =>This Inner Loop Header: Depth=1
	ds_read_b64 v[120:121], v119
	v_mov_b32_e32 v122, s0
	s_add_i32 s0, s0, 1
	v_add_u32_e32 v119, 8, v119
	s_cmp_lg_u32 s18, s0
	s_waitcnt lgkmcnt(0)
	v_cmp_lt_f64_e64 vcc, |v[110:111]|, |v[120:121]|
	v_cndmask_b32_e32 v111, v111, v121, vcc
	v_cndmask_b32_e32 v110, v110, v120, vcc
	;; [unrolled: 1-line block ×3, first 2 shown]
	s_cbranch_scc1 .LBB104_847
.LBB104_848:
	s_waitcnt lgkmcnt(0)
	v_cmp_eq_f64_e32 vcc, 0, v[110:111]
	s_and_saveexec_b64 s[0:1], vcc
	s_xor_b64 s[0:1], exec, s[0:1]
; %bb.849:
	v_cmp_ne_u32_e32 vcc, 0, v118
	v_cndmask_b32_e32 v118, 51, v118, vcc
; %bb.850:
	s_andn2_saveexec_b64 s[0:1], s[0:1]
; %bb.851:
	v_div_scale_f64 v[120:121], s[2:3], v[110:111], v[110:111], 1.0
	v_rcp_f64_e32 v[122:123], v[120:121]
	v_div_scale_f64 v[124:125], vcc, 1.0, v[110:111], 1.0
	v_fma_f64 v[126:127], -v[120:121], v[122:123], 1.0
	v_fmac_f64_e32 v[122:123], v[122:123], v[126:127]
	v_fma_f64 v[126:127], -v[120:121], v[122:123], 1.0
	v_fmac_f64_e32 v[122:123], v[122:123], v[126:127]
	v_mul_f64 v[126:127], v[124:125], v[122:123]
	v_fma_f64 v[120:121], -v[120:121], v[126:127], v[124:125]
	v_div_fmas_f64 v[120:121], v[120:121], v[122:123], v[126:127]
	v_div_fixup_f64 v[110:111], v[120:121], v[110:111], 1.0
; %bb.852:
	s_or_b64 exec, exec, s[0:1]
	v_cmp_ne_u32_e32 vcc, v115, v112
	s_and_saveexec_b64 s[0:1], vcc
	s_xor_b64 s[0:1], exec, s[0:1]
	s_cbranch_execz .LBB104_858
; %bb.853:
	v_cmp_eq_u32_e32 vcc, 50, v115
	s_and_saveexec_b64 s[2:3], vcc
	s_cbranch_execz .LBB104_857
; %bb.854:
	v_cmp_ne_u32_e32 vcc, 50, v112
	s_xor_b64 s[14:15], s[6:7], -1
	s_and_b64 s[16:17], s[14:15], vcc
	s_and_saveexec_b64 s[14:15], s[16:17]
	s_cbranch_execz .LBB104_856
; %bb.855:
	v_ashrrev_i32_e32 v113, 31, v112
	v_lshlrev_b64 v[120:121], 2, v[112:113]
	v_add_co_u32_e32 v120, vcc, v4, v120
	v_addc_co_u32_e32 v121, vcc, v5, v121, vcc
	flat_load_dword v113, v[120:121]
	flat_load_dword v115, v[4:5] offset:200
	s_waitcnt vmcnt(0) lgkmcnt(0)
	flat_store_dword v[4:5], v113 offset:200
	flat_store_dword v[120:121], v115
.LBB104_856:
	s_or_b64 exec, exec, s[14:15]
	v_mov_b32_e32 v113, v112
	v_mov_b32_e32 v115, v112
.LBB104_857:
	s_or_b64 exec, exec, s[2:3]
.LBB104_858:
	s_andn2_saveexec_b64 s[0:1], s[0:1]
	s_cbranch_execz .LBB104_860
; %bb.859:
	v_mov_b32_e32 v115, 50
	ds_write2_b64 v114, v[0:1], v[108:109] offset0:51 offset1:52
.LBB104_860:
	s_or_b64 exec, exec, s[0:1]
	v_cmp_lt_i32_e32 vcc, 50, v115
	s_waitcnt lgkmcnt(0)
	s_barrier
	s_and_saveexec_b64 s[0:1], vcc
	s_cbranch_execz .LBB104_862
; %bb.861:
	ds_read2_b64 v[120:123], v114 offset0:51 offset1:52
	v_mul_f64 v[6:7], v[110:111], v[6:7]
	s_waitcnt lgkmcnt(0)
	v_fma_f64 v[0:1], -v[6:7], v[120:121], v[0:1]
	v_fma_f64 v[108:109], -v[6:7], v[122:123], v[108:109]
.LBB104_862:
	s_or_b64 exec, exec, s[0:1]
	v_lshl_add_u32 v110, v115, 3, v114
	s_barrier
	ds_write_b64 v110, v[0:1]
	s_waitcnt lgkmcnt(0)
	s_barrier
	ds_read_b64 v[110:111], v114 offset:408
	s_cmp_lt_i32 s18, 53
	v_mov_b32_e32 v112, 51
	s_cbranch_scc1 .LBB104_865
; %bb.863:
	v_add_u32_e32 v119, 0x1a0, v114
	s_mov_b32 s0, 52
	v_mov_b32_e32 v112, 51
.LBB104_864:                            ; =>This Inner Loop Header: Depth=1
	ds_read_b64 v[120:121], v119
	v_mov_b32_e32 v122, s0
	s_add_i32 s0, s0, 1
	v_add_u32_e32 v119, 8, v119
	s_cmp_lg_u32 s18, s0
	s_waitcnt lgkmcnt(0)
	v_cmp_lt_f64_e64 vcc, |v[110:111]|, |v[120:121]|
	v_cndmask_b32_e32 v111, v111, v121, vcc
	v_cndmask_b32_e32 v110, v110, v120, vcc
	v_cndmask_b32_e32 v112, v112, v122, vcc
	s_cbranch_scc1 .LBB104_864
.LBB104_865:
	s_waitcnt lgkmcnt(0)
	v_cmp_eq_f64_e32 vcc, 0, v[110:111]
	s_and_saveexec_b64 s[0:1], vcc
	s_xor_b64 s[0:1], exec, s[0:1]
; %bb.866:
	v_cmp_ne_u32_e32 vcc, 0, v118
	v_cndmask_b32_e32 v118, 52, v118, vcc
; %bb.867:
	s_andn2_saveexec_b64 s[0:1], s[0:1]
; %bb.868:
	v_div_scale_f64 v[120:121], s[2:3], v[110:111], v[110:111], 1.0
	v_rcp_f64_e32 v[122:123], v[120:121]
	v_div_scale_f64 v[124:125], vcc, 1.0, v[110:111], 1.0
	v_fma_f64 v[126:127], -v[120:121], v[122:123], 1.0
	v_fmac_f64_e32 v[122:123], v[122:123], v[126:127]
	v_fma_f64 v[126:127], -v[120:121], v[122:123], 1.0
	v_fmac_f64_e32 v[122:123], v[122:123], v[126:127]
	v_mul_f64 v[126:127], v[124:125], v[122:123]
	v_fma_f64 v[120:121], -v[120:121], v[126:127], v[124:125]
	v_div_fmas_f64 v[120:121], v[120:121], v[122:123], v[126:127]
	v_div_fixup_f64 v[110:111], v[120:121], v[110:111], 1.0
; %bb.869:
	s_or_b64 exec, exec, s[0:1]
	v_cmp_ne_u32_e32 vcc, v115, v112
	s_and_saveexec_b64 s[0:1], vcc
	s_xor_b64 s[0:1], exec, s[0:1]
	s_cbranch_execz .LBB104_875
; %bb.870:
	v_cmp_eq_u32_e32 vcc, 51, v115
	s_and_saveexec_b64 s[2:3], vcc
	s_cbranch_execz .LBB104_874
; %bb.871:
	v_cmp_ne_u32_e32 vcc, 51, v112
	s_xor_b64 s[14:15], s[6:7], -1
	s_and_b64 s[16:17], s[14:15], vcc
	s_and_saveexec_b64 s[14:15], s[16:17]
	s_cbranch_execz .LBB104_873
; %bb.872:
	v_ashrrev_i32_e32 v113, 31, v112
	v_lshlrev_b64 v[120:121], 2, v[112:113]
	v_add_co_u32_e32 v120, vcc, v4, v120
	v_addc_co_u32_e32 v121, vcc, v5, v121, vcc
	flat_load_dword v113, v[120:121]
	flat_load_dword v115, v[4:5] offset:204
	s_waitcnt vmcnt(0) lgkmcnt(0)
	flat_store_dword v[4:5], v113 offset:204
	flat_store_dword v[120:121], v115
.LBB104_873:
	s_or_b64 exec, exec, s[14:15]
	v_mov_b32_e32 v113, v112
	v_mov_b32_e32 v115, v112
.LBB104_874:
	s_or_b64 exec, exec, s[2:3]
.LBB104_875:
	s_andn2_saveexec_b64 s[0:1], s[0:1]
	s_cbranch_execz .LBB104_877
; %bb.876:
	v_mov_b32_e32 v115, 51
	ds_write_b64 v114, v[108:109] offset:416
.LBB104_877:
	s_or_b64 exec, exec, s[0:1]
	v_cmp_lt_i32_e32 vcc, 51, v115
	s_waitcnt lgkmcnt(0)
	s_barrier
	s_and_saveexec_b64 s[0:1], vcc
	s_cbranch_execz .LBB104_879
; %bb.878:
	ds_read_b64 v[120:121], v114 offset:416
	v_mul_f64 v[0:1], v[110:111], v[0:1]
	s_waitcnt lgkmcnt(0)
	v_fma_f64 v[108:109], -v[0:1], v[120:121], v[108:109]
.LBB104_879:
	s_or_b64 exec, exec, s[0:1]
	v_lshl_add_u32 v110, v115, 3, v114
	s_barrier
	ds_write_b64 v110, v[108:109]
	s_waitcnt lgkmcnt(0)
	s_barrier
	ds_read_b64 v[110:111], v114 offset:416
	s_cmp_lt_i32 s18, 54
	v_mov_b32_e32 v112, 52
	s_cbranch_scc1 .LBB104_882
; %bb.880:
	v_add_u32_e32 v114, 0x1a8, v114
	s_mov_b32 s0, 53
	v_mov_b32_e32 v112, 52
.LBB104_881:                            ; =>This Inner Loop Header: Depth=1
	ds_read_b64 v[120:121], v114
	v_mov_b32_e32 v119, s0
	s_add_i32 s0, s0, 1
	v_add_u32_e32 v114, 8, v114
	s_cmp_lg_u32 s18, s0
	s_waitcnt lgkmcnt(0)
	v_cmp_lt_f64_e64 vcc, |v[110:111]|, |v[120:121]|
	v_cndmask_b32_e32 v111, v111, v121, vcc
	v_cndmask_b32_e32 v110, v110, v120, vcc
	;; [unrolled: 1-line block ×3, first 2 shown]
	s_cbranch_scc1 .LBB104_881
.LBB104_882:
	s_waitcnt lgkmcnt(0)
	v_cmp_eq_f64_e32 vcc, 0, v[110:111]
	s_and_saveexec_b64 s[0:1], vcc
	s_xor_b64 s[0:1], exec, s[0:1]
; %bb.883:
	v_cmp_ne_u32_e32 vcc, 0, v118
	v_cndmask_b32_e32 v118, 53, v118, vcc
; %bb.884:
	s_andn2_saveexec_b64 s[0:1], s[0:1]
; %bb.885:
	v_div_scale_f64 v[120:121], s[2:3], v[110:111], v[110:111], 1.0
	v_rcp_f64_e32 v[122:123], v[120:121]
	v_div_scale_f64 v[124:125], vcc, 1.0, v[110:111], 1.0
	v_fma_f64 v[126:127], -v[120:121], v[122:123], 1.0
	v_fmac_f64_e32 v[122:123], v[122:123], v[126:127]
	v_fma_f64 v[126:127], -v[120:121], v[122:123], 1.0
	v_fmac_f64_e32 v[122:123], v[122:123], v[126:127]
	v_mul_f64 v[126:127], v[124:125], v[122:123]
	v_fma_f64 v[120:121], -v[120:121], v[126:127], v[124:125]
	v_div_fmas_f64 v[120:121], v[120:121], v[122:123], v[126:127]
	v_div_fixup_f64 v[110:111], v[120:121], v[110:111], 1.0
; %bb.886:
	s_or_b64 exec, exec, s[0:1]
	v_cmp_ne_u32_e32 vcc, v115, v112
	v_mov_b32_e32 v114, 52
	s_and_saveexec_b64 s[0:1], vcc
	s_cbranch_execz .LBB104_892
; %bb.887:
	v_cmp_eq_u32_e32 vcc, 52, v115
	s_and_saveexec_b64 s[2:3], vcc
	s_cbranch_execz .LBB104_891
; %bb.888:
	v_cmp_ne_u32_e32 vcc, 52, v112
	s_xor_b64 s[6:7], s[6:7], -1
	s_and_b64 s[14:15], s[6:7], vcc
	s_and_saveexec_b64 s[6:7], s[14:15]
	s_cbranch_execz .LBB104_890
; %bb.889:
	v_ashrrev_i32_e32 v113, 31, v112
	v_lshlrev_b64 v[114:115], 2, v[112:113]
	v_add_co_u32_e32 v114, vcc, v4, v114
	v_addc_co_u32_e32 v115, vcc, v5, v115, vcc
	flat_load_dword v113, v[114:115]
	flat_load_dword v119, v[4:5] offset:208
	s_waitcnt vmcnt(0) lgkmcnt(0)
	flat_store_dword v[4:5], v113 offset:208
	flat_store_dword v[114:115], v119
.LBB104_890:
	s_or_b64 exec, exec, s[6:7]
	v_mov_b32_e32 v113, v112
	v_mov_b32_e32 v115, v112
.LBB104_891:
	s_or_b64 exec, exec, s[2:3]
	v_mov_b32_e32 v114, v115
.LBB104_892:
	s_or_b64 exec, exec, s[0:1]
	s_load_dwordx8 s[0:7], s[4:5], 0x28
	v_cmp_gt_i32_e32 vcc, 53, v114
	v_ashrrev_i32_e32 v115, 31, v114
	s_waitcnt lgkmcnt(0)
	s_barrier
	s_barrier
	s_and_saveexec_b64 s[14:15], vcc
	s_cbranch_execz .LBB104_894
; %bb.893:
	v_mul_lo_u32 v112, v3, s4
	v_mul_lo_u32 v119, v2, s5
	v_mad_u64_u32 v[4:5], s[4:5], v2, s4, 0
	s_lshl_b64 s[2:3], s[2:3], 2
	v_add3_u32 v5, v5, v119, v112
	s_add_u32 s0, s2, s0
	v_lshlrev_b64 v[4:5], 2, v[4:5]
	s_addc_u32 s1, s3, s1
	v_mov_b32_e32 v112, s1
	v_add_co_u32_e32 v119, vcc, s0, v4
	v_addc_co_u32_e32 v112, vcc, v112, v5, vcc
	v_lshlrev_b64 v[4:5], 2, v[114:115]
	v_add_co_u32_e32 v4, vcc, v119, v4
	v_addc_co_u32_e32 v5, vcc, v112, v5, vcc
	v_add3_u32 v112, v113, s13, 1
	global_store_dword v[4:5], v112, off
.LBB104_894:
	s_or_b64 exec, exec, s[14:15]
	v_cmp_eq_u32_e32 vcc, 0, v114
	s_and_saveexec_b64 s[2:3], vcc
	s_cbranch_execz .LBB104_897
; %bb.895:
	v_lshlrev_b64 v[2:3], 2, v[2:3]
	v_mov_b32_e32 v4, s7
	v_add_co_u32_e32 v2, vcc, s6, v2
	v_addc_co_u32_e32 v3, vcc, v4, v3, vcc
	global_load_dword v4, v[2:3], off
	v_cmp_lt_i32_e64 s[0:1], 0, v118
	s_waitcnt vmcnt(0)
	v_cmp_eq_u32_e32 vcc, 0, v4
	s_and_b64 s[0:1], vcc, s[0:1]
	s_and_b64 exec, exec, s[0:1]
	s_cbranch_execz .LBB104_897
; %bb.896:
	v_add_u32_e32 v4, s13, v118
	global_store_dword v[2:3], v4, off
.LBB104_897:
	s_or_b64 exec, exec, s[2:3]
	v_mul_f64 v[2:3], v[110:111], v[108:109]
	v_cmp_lt_i32_e32 vcc, 52, v114
	v_lshlrev_b64 v[4:5], 3, v[114:115]
	v_cndmask_b32_e32 v3, v109, v3, vcc
	v_cndmask_b32_e32 v2, v108, v2, vcc
	v_add_co_u32_e32 v4, vcc, v116, v4
	v_addc_co_u32_e32 v5, vcc, v117, v5, vcc
	global_store_dwordx2 v[4:5], v[106:107], off
	v_mov_b32_e32 v106, s11
	v_add_co_u32_e32 v4, vcc, s10, v4
	v_addc_co_u32_e32 v5, vcc, v5, v106, vcc
	global_store_dwordx2 v[4:5], v[104:105], off
	v_add_u32_e32 v4, s12, v114
	v_ashrrev_i32_e32 v5, 31, v4
	v_lshlrev_b64 v[104:105], 3, v[4:5]
	v_add_co_u32_e32 v104, vcc, v116, v104
	v_add_u32_e32 v4, s8, v4
	v_addc_co_u32_e32 v105, vcc, v117, v105, vcc
	v_ashrrev_i32_e32 v5, 31, v4
	global_store_dwordx2 v[104:105], v[102:103], off
	v_lshlrev_b64 v[102:103], 3, v[4:5]
	v_add_co_u32_e32 v102, vcc, v116, v102
	v_add_u32_e32 v4, s8, v4
	v_addc_co_u32_e32 v103, vcc, v117, v103, vcc
	v_ashrrev_i32_e32 v5, 31, v4
	global_store_dwordx2 v[102:103], v[100:101], off
	;; [unrolled: 6-line block ×49, first 2 shown]
	v_lshlrev_b64 v[6:7], 3, v[4:5]
	v_add_co_u32_e32 v6, vcc, v116, v6
	v_addc_co_u32_e32 v7, vcc, v117, v7, vcc
	global_store_dwordx2 v[6:7], v[0:1], off
	v_add_u32_e32 v0, s8, v4
	v_ashrrev_i32_e32 v1, 31, v0
	v_lshlrev_b64 v[0:1], 3, v[0:1]
	v_add_co_u32_e32 v0, vcc, v116, v0
	v_addc_co_u32_e32 v1, vcc, v117, v1, vcc
	global_store_dwordx2 v[0:1], v[2:3], off
.LBB104_898:
	s_endpgm
	.section	.rodata,"a",@progbits
	.p2align	6, 0x0
	.amdhsa_kernel _ZN9rocsolver6v33100L18getf2_small_kernelILi53EdiiPKPdEEvT1_T3_lS5_lPS5_llPT2_S5_S5_S7_l
		.amdhsa_group_segment_fixed_size 0
		.amdhsa_private_segment_fixed_size 0
		.amdhsa_kernarg_size 352
		.amdhsa_user_sgpr_count 6
		.amdhsa_user_sgpr_private_segment_buffer 1
		.amdhsa_user_sgpr_dispatch_ptr 0
		.amdhsa_user_sgpr_queue_ptr 0
		.amdhsa_user_sgpr_kernarg_segment_ptr 1
		.amdhsa_user_sgpr_dispatch_id 0
		.amdhsa_user_sgpr_flat_scratch_init 0
		.amdhsa_user_sgpr_kernarg_preload_length 0
		.amdhsa_user_sgpr_kernarg_preload_offset 0
		.amdhsa_user_sgpr_private_segment_size 0
		.amdhsa_uses_dynamic_stack 0
		.amdhsa_system_sgpr_private_segment_wavefront_offset 0
		.amdhsa_system_sgpr_workgroup_id_x 1
		.amdhsa_system_sgpr_workgroup_id_y 1
		.amdhsa_system_sgpr_workgroup_id_z 0
		.amdhsa_system_sgpr_workgroup_info 0
		.amdhsa_system_vgpr_workitem_id 1
		.amdhsa_next_free_vgpr 172
		.amdhsa_next_free_sgpr 22
		.amdhsa_accum_offset 172
		.amdhsa_reserve_vcc 1
		.amdhsa_reserve_flat_scratch 0
		.amdhsa_float_round_mode_32 0
		.amdhsa_float_round_mode_16_64 0
		.amdhsa_float_denorm_mode_32 3
		.amdhsa_float_denorm_mode_16_64 3
		.amdhsa_dx10_clamp 1
		.amdhsa_ieee_mode 1
		.amdhsa_fp16_overflow 0
		.amdhsa_tg_split 0
		.amdhsa_exception_fp_ieee_invalid_op 0
		.amdhsa_exception_fp_denorm_src 0
		.amdhsa_exception_fp_ieee_div_zero 0
		.amdhsa_exception_fp_ieee_overflow 0
		.amdhsa_exception_fp_ieee_underflow 0
		.amdhsa_exception_fp_ieee_inexact 0
		.amdhsa_exception_int_div_zero 0
	.end_amdhsa_kernel
	.section	.text._ZN9rocsolver6v33100L18getf2_small_kernelILi53EdiiPKPdEEvT1_T3_lS5_lPS5_llPT2_S5_S5_S7_l,"axG",@progbits,_ZN9rocsolver6v33100L18getf2_small_kernelILi53EdiiPKPdEEvT1_T3_lS5_lPS5_llPT2_S5_S5_S7_l,comdat
.Lfunc_end104:
	.size	_ZN9rocsolver6v33100L18getf2_small_kernelILi53EdiiPKPdEEvT1_T3_lS5_lPS5_llPT2_S5_S5_S7_l, .Lfunc_end104-_ZN9rocsolver6v33100L18getf2_small_kernelILi53EdiiPKPdEEvT1_T3_lS5_lPS5_llPT2_S5_S5_S7_l
                                        ; -- End function
	.section	.AMDGPU.csdata,"",@progbits
; Kernel info:
; codeLenInByte = 53108
; NumSgprs: 26
; NumVgprs: 172
; NumAgprs: 0
; TotalNumVgprs: 172
; ScratchSize: 0
; MemoryBound: 0
; FloatMode: 240
; IeeeMode: 1
; LDSByteSize: 0 bytes/workgroup (compile time only)
; SGPRBlocks: 3
; VGPRBlocks: 21
; NumSGPRsForWavesPerEU: 26
; NumVGPRsForWavesPerEU: 172
; AccumOffset: 172
; Occupancy: 2
; WaveLimiterHint : 1
; COMPUTE_PGM_RSRC2:SCRATCH_EN: 0
; COMPUTE_PGM_RSRC2:USER_SGPR: 6
; COMPUTE_PGM_RSRC2:TRAP_HANDLER: 0
; COMPUTE_PGM_RSRC2:TGID_X_EN: 1
; COMPUTE_PGM_RSRC2:TGID_Y_EN: 1
; COMPUTE_PGM_RSRC2:TGID_Z_EN: 0
; COMPUTE_PGM_RSRC2:TIDIG_COMP_CNT: 1
; COMPUTE_PGM_RSRC3_GFX90A:ACCUM_OFFSET: 42
; COMPUTE_PGM_RSRC3_GFX90A:TG_SPLIT: 0
	.section	.text._ZN9rocsolver6v33100L23getf2_npvt_small_kernelILi53EdiiPKPdEEvT1_T3_lS5_lPT2_S5_S5_,"axG",@progbits,_ZN9rocsolver6v33100L23getf2_npvt_small_kernelILi53EdiiPKPdEEvT1_T3_lS5_lPT2_S5_S5_,comdat
	.globl	_ZN9rocsolver6v33100L23getf2_npvt_small_kernelILi53EdiiPKPdEEvT1_T3_lS5_lPT2_S5_S5_ ; -- Begin function _ZN9rocsolver6v33100L23getf2_npvt_small_kernelILi53EdiiPKPdEEvT1_T3_lS5_lPT2_S5_S5_
	.p2align	8
	.type	_ZN9rocsolver6v33100L23getf2_npvt_small_kernelILi53EdiiPKPdEEvT1_T3_lS5_lPT2_S5_S5_,@function
_ZN9rocsolver6v33100L23getf2_npvt_small_kernelILi53EdiiPKPdEEvT1_T3_lS5_lPT2_S5_S5_: ; @_ZN9rocsolver6v33100L23getf2_npvt_small_kernelILi53EdiiPKPdEEvT1_T3_lS5_lPT2_S5_S5_
; %bb.0:
	s_mov_b64 s[18:19], s[2:3]
	s_mov_b64 s[16:17], s[0:1]
	s_add_u32 s16, s16, s8
	s_load_dword s0, s[4:5], 0x44
	s_load_dwordx2 s[8:9], s[4:5], 0x30
	s_addc_u32 s17, s17, 0
	v_bfe_u32 v1, v0, 10, 10
	s_waitcnt lgkmcnt(0)
	s_lshr_b32 s6, s0, 16
	s_mul_i32 s7, s7, s6
	v_add_u32_e32 v28, s7, v1
	v_cmp_gt_i32_e32 vcc, s8, v28
	s_and_saveexec_b64 s[0:1], vcc
	s_cbranch_execz .LBB105_268
; %bb.1:
	s_load_dwordx4 s[12:15], s[4:5], 0x8
	s_load_dword s0, s[4:5], 0x18
	v_ashrrev_i32_e32 v29, 31, v28
	v_lshlrev_b64 v[2:3], 3, v[28:29]
	v_and_b32_e32 v20, 0x3ff, v0
	s_waitcnt lgkmcnt(0)
	v_mov_b32_e32 v4, s13
	v_add_co_u32_e32 v2, vcc, s12, v2
	v_addc_co_u32_e32 v3, vcc, v4, v3, vcc
	global_load_dwordx2 v[2:3], v[2:3], off
	s_add_i32 s1, s0, s0
	s_lshl_b64 s[2:3], s[14:15], 3
	v_add_u32_e32 v4, s1, v20
	v_mov_b32_e32 v0, s3
	v_ashrrev_i32_e32 v5, 31, v4
	v_add_u32_e32 v6, s0, v4
	v_lshlrev_b64 v[4:5], 3, v[4:5]
	v_ashrrev_i32_e32 v7, 31, v6
	v_add_u32_e32 v8, s0, v6
	v_lshlrev_b64 v[6:7], 3, v[6:7]
	;; [unrolled: 3-line block ×10, first 2 shown]
	v_ashrrev_i32_e32 v27, 31, v26
	s_ashr_i32 s1, s0, 31
	s_mulk_i32 s6, 0x1a8
	s_waitcnt vmcnt(0)
	v_add_co_u32_e32 v21, vcc, s2, v2
	v_addc_co_u32_e32 v0, vcc, v3, v0, vcc
	v_add_co_u32_e32 v30, vcc, v21, v4
	v_addc_co_u32_e32 v31, vcc, v0, v5, vcc
	;; [unrolled: 2-line block ×11, first 2 shown]
	v_lshlrev_b64 v[2:3], 3, v[26:27]
	v_add_co_u32_e32 v50, vcc, v21, v2
	v_add_u32_e32 v2, s0, v26
	v_addc_co_u32_e32 v51, vcc, v0, v3, vcc
	v_ashrrev_i32_e32 v3, 31, v2
	v_lshlrev_b64 v[4:5], 3, v[2:3]
	v_add_u32_e32 v2, s0, v2
	v_add_co_u32_e32 v52, vcc, v21, v4
	v_ashrrev_i32_e32 v3, 31, v2
	v_addc_co_u32_e32 v53, vcc, v0, v5, vcc
	v_lshlrev_b64 v[4:5], 3, v[2:3]
	v_add_u32_e32 v2, s0, v2
	v_add_co_u32_e32 v54, vcc, v21, v4
	v_ashrrev_i32_e32 v3, 31, v2
	v_addc_co_u32_e32 v55, vcc, v0, v5, vcc
	;; [unrolled: 5-line block ×39, first 2 shown]
	v_lshlrev_b64 v[2:3], 3, v[2:3]
	v_add_co_u32_e32 v238, vcc, v21, v2
	v_addc_co_u32_e32 v239, vcc, v0, v3, vcc
	v_lshlrev_b32_e32 v2, 3, v20
	v_add_co_u32_e32 v240, vcc, v21, v2
	v_addc_co_u32_e32 v241, vcc, 0, v0, vcc
	s_lshl_b64 s[0:1], s[0:1], 3
	v_mov_b32_e32 v0, s1
	v_add_co_u32_e32 v242, vcc, s0, v240
	v_addc_co_u32_e32 v243, vcc, v241, v0, vcc
	global_load_dwordx2 v[108:109], v[240:241], off
	global_load_dwordx2 v[160:161], v[242:243], off
	;; [unrolled: 1-line block ×53, first 2 shown]
	s_movk_i32 s0, 0x1a8
	s_add_i32 s1, s6, 0
	v_mad_u32_u24 v19, v1, s0, 0
	v_lshl_add_u32 v18, v1, 3, s1
	v_cmp_ne_u32_e64 s[2:3], 0, v20
	v_cmp_eq_u32_e64 s[0:1], 0, v20
	s_and_saveexec_b64 s[6:7], s[0:1]
	s_cbranch_execz .LBB105_4
; %bb.2:
	s_waitcnt vmcnt(52)
	ds_write_b64 v18, v[108:109]
	s_waitcnt vmcnt(50)
	ds_write2_b64 v19, v[160:161], v[210:211] offset0:1 offset1:2
	s_waitcnt vmcnt(48)
	ds_write2_b64 v19, v[158:159], v[208:209] offset0:3 offset1:4
	;; [unrolled: 2-line block ×26, first 2 shown]
	ds_read_b64 v[0:1], v18
	s_waitcnt lgkmcnt(0)
	v_cmp_neq_f64_e32 vcc, 0, v[0:1]
	s_and_b64 exec, exec, vcc
	s_cbranch_execz .LBB105_4
; %bb.3:
	v_div_scale_f64 v[2:3], s[10:11], v[0:1], v[0:1], 1.0
	v_rcp_f64_e32 v[4:5], v[2:3]
	v_div_scale_f64 v[6:7], vcc, 1.0, v[0:1], 1.0
	v_fma_f64 v[8:9], -v[2:3], v[4:5], 1.0
	v_fmac_f64_e32 v[4:5], v[4:5], v[8:9]
	v_fma_f64 v[8:9], -v[2:3], v[4:5], 1.0
	v_fmac_f64_e32 v[4:5], v[4:5], v[8:9]
	v_mul_f64 v[8:9], v[6:7], v[4:5]
	v_fma_f64 v[2:3], -v[2:3], v[8:9], v[6:7]
	v_div_fmas_f64 v[2:3], v[2:3], v[4:5], v[8:9]
	v_div_fixup_f64 v[0:1], v[2:3], v[0:1], 1.0
	ds_write_b64 v18, v[0:1]
.LBB105_4:
	s_or_b64 exec, exec, s[6:7]
	s_waitcnt lgkmcnt(0)
	s_barrier
	ds_read_b64 v[244:245], v18
	s_and_saveexec_b64 s[6:7], s[2:3]
	s_cbranch_execz .LBB105_6
; %bb.5:
	ds_read2_b64 v[0:3], v19 offset0:1 offset1:2
	ds_read2_b64 v[4:7], v19 offset0:3 offset1:4
	s_waitcnt vmcnt(52) lgkmcnt(2)
	v_mul_f64 v[108:109], v[244:245], v[108:109]
	ds_read2_b64 v[8:11], v19 offset0:5 offset1:6
	s_waitcnt vmcnt(51) lgkmcnt(2)
	v_fma_f64 v[160:161], -v[108:109], v[0:1], v[160:161]
	s_waitcnt vmcnt(50)
	v_fma_f64 v[210:211], -v[108:109], v[2:3], v[210:211]
	ds_read2_b64 v[0:3], v19 offset0:7 offset1:8
	s_waitcnt vmcnt(49) lgkmcnt(2)
	v_fma_f64 v[158:159], -v[108:109], v[4:5], v[158:159]
	s_waitcnt vmcnt(48)
	v_fma_f64 v[208:209], -v[108:109], v[6:7], v[208:209]
	;; [unrolled: 5-line block ×4, first 2 shown]
	s_waitcnt vmcnt(43) lgkmcnt(1)
	v_fma_f64 v[152:153], -v[108:109], v[4:5], v[152:153]
	ds_read2_b64 v[0:3], v19 offset0:13 offset1:14
	s_waitcnt vmcnt(42)
	v_fma_f64 v[202:203], -v[108:109], v[6:7], v[202:203]
	ds_read2_b64 v[4:7], v19 offset0:15 offset1:16
	s_waitcnt vmcnt(41) lgkmcnt(2)
	v_fma_f64 v[150:151], -v[108:109], v[8:9], v[150:151]
	s_waitcnt vmcnt(40)
	v_fma_f64 v[200:201], -v[108:109], v[10:11], v[200:201]
	s_waitcnt vmcnt(39) lgkmcnt(1)
	v_fma_f64 v[148:149], -v[108:109], v[0:1], v[148:149]
	ds_read2_b64 v[8:11], v19 offset0:17 offset1:18
	s_waitcnt vmcnt(38)
	v_fma_f64 v[198:199], -v[108:109], v[2:3], v[198:199]
	ds_read2_b64 v[0:3], v19 offset0:19 offset1:20
	s_waitcnt vmcnt(37) lgkmcnt(2)
	v_fma_f64 v[146:147], -v[108:109], v[4:5], v[146:147]
	s_waitcnt vmcnt(36)
	v_fma_f64 v[196:197], -v[108:109], v[6:7], v[196:197]
	ds_read2_b64 v[4:7], v19 offset0:21 offset1:22
	s_waitcnt vmcnt(35) lgkmcnt(2)
	v_fma_f64 v[144:145], -v[108:109], v[8:9], v[144:145]
	;; [unrolled: 5-line block ×3, first 2 shown]
	s_waitcnt vmcnt(32)
	v_fma_f64 v[192:193], -v[108:109], v[2:3], v[192:193]
	s_waitcnt vmcnt(31) lgkmcnt(1)
	v_fma_f64 v[140:141], -v[108:109], v[4:5], v[140:141]
	ds_read2_b64 v[0:3], v19 offset0:25 offset1:26
	s_waitcnt vmcnt(30)
	v_fma_f64 v[190:191], -v[108:109], v[6:7], v[190:191]
	ds_read2_b64 v[4:7], v19 offset0:27 offset1:28
	s_waitcnt vmcnt(29) lgkmcnt(2)
	v_fma_f64 v[138:139], -v[108:109], v[8:9], v[138:139]
	s_waitcnt vmcnt(28)
	v_fma_f64 v[188:189], -v[108:109], v[10:11], v[188:189]
	s_waitcnt vmcnt(27) lgkmcnt(1)
	v_fma_f64 v[136:137], -v[108:109], v[0:1], v[136:137]
	ds_read2_b64 v[8:11], v19 offset0:29 offset1:30
	s_waitcnt vmcnt(26)
	v_fma_f64 v[186:187], -v[108:109], v[2:3], v[186:187]
	ds_read2_b64 v[0:3], v19 offset0:31 offset1:32
	s_waitcnt vmcnt(25) lgkmcnt(2)
	v_fma_f64 v[134:135], -v[108:109], v[4:5], v[134:135]
	s_waitcnt vmcnt(24)
	v_fma_f64 v[184:185], -v[108:109], v[6:7], v[184:185]
	ds_read2_b64 v[4:7], v19 offset0:33 offset1:34
	s_waitcnt vmcnt(23) lgkmcnt(2)
	v_fma_f64 v[132:133], -v[108:109], v[8:9], v[132:133]
	s_waitcnt vmcnt(22)
	v_fma_f64 v[182:183], -v[108:109], v[10:11], v[182:183]
	ds_read2_b64 v[8:11], v19 offset0:35 offset1:36
	s_waitcnt vmcnt(21) lgkmcnt(2)
	v_fma_f64 v[130:131], -v[108:109], v[0:1], v[130:131]
	s_waitcnt vmcnt(20)
	v_fma_f64 v[180:181], -v[108:109], v[2:3], v[180:181]
	s_waitcnt vmcnt(19) lgkmcnt(1)
	v_fma_f64 v[128:129], -v[108:109], v[4:5], v[128:129]
	ds_read2_b64 v[0:3], v19 offset0:37 offset1:38
	s_waitcnt vmcnt(18)
	v_fma_f64 v[178:179], -v[108:109], v[6:7], v[178:179]
	ds_read2_b64 v[4:7], v19 offset0:39 offset1:40
	s_waitcnt vmcnt(17) lgkmcnt(2)
	v_fma_f64 v[126:127], -v[108:109], v[8:9], v[126:127]
	s_waitcnt vmcnt(16)
	v_fma_f64 v[176:177], -v[108:109], v[10:11], v[176:177]
	s_waitcnt vmcnt(15) lgkmcnt(1)
	v_fma_f64 v[124:125], -v[108:109], v[0:1], v[124:125]
	ds_read2_b64 v[8:11], v19 offset0:41 offset1:42
	s_waitcnt vmcnt(14)
	v_fma_f64 v[174:175], -v[108:109], v[2:3], v[174:175]
	ds_read2_b64 v[0:3], v19 offset0:43 offset1:44
	s_waitcnt vmcnt(13) lgkmcnt(2)
	v_fma_f64 v[122:123], -v[108:109], v[4:5], v[122:123]
	s_waitcnt vmcnt(12)
	v_fma_f64 v[172:173], -v[108:109], v[6:7], v[172:173]
	ds_read2_b64 v[4:7], v19 offset0:45 offset1:46
	s_waitcnt vmcnt(11) lgkmcnt(2)
	v_fma_f64 v[120:121], -v[108:109], v[8:9], v[120:121]
	s_waitcnt vmcnt(10)
	v_fma_f64 v[170:171], -v[108:109], v[10:11], v[170:171]
	s_waitcnt vmcnt(9) lgkmcnt(1)
	v_fma_f64 v[118:119], -v[108:109], v[0:1], v[118:119]
	s_waitcnt vmcnt(8)
	v_fma_f64 v[168:169], -v[108:109], v[2:3], v[168:169]
	ds_read2_b64 v[0:3], v19 offset0:47 offset1:48
	s_waitcnt vmcnt(7) lgkmcnt(1)
	v_fma_f64 v[116:117], -v[108:109], v[4:5], v[116:117]
	ds_read2_b64 v[8:11], v19 offset0:49 offset1:50
	s_waitcnt vmcnt(6)
	v_fma_f64 v[166:167], -v[108:109], v[6:7], v[166:167]
	ds_read2_b64 v[4:7], v19 offset0:51 offset1:52
	s_waitcnt vmcnt(5) lgkmcnt(2)
	v_fma_f64 v[114:115], -v[108:109], v[0:1], v[114:115]
	s_waitcnt vmcnt(4)
	v_fma_f64 v[164:165], -v[108:109], v[2:3], v[164:165]
	s_waitcnt vmcnt(3) lgkmcnt(1)
	v_fma_f64 v[112:113], -v[108:109], v[8:9], v[112:113]
	s_waitcnt vmcnt(2)
	v_fma_f64 v[162:163], -v[108:109], v[10:11], v[162:163]
	;; [unrolled: 4-line block ×3, first 2 shown]
.LBB105_6:
	s_or_b64 exec, exec, s[6:7]
	v_cmp_eq_u32_e32 vcc, 1, v20
	s_waitcnt lgkmcnt(0)
	s_barrier
	s_and_saveexec_b64 s[2:3], vcc
	s_cbranch_execz .LBB105_9
; %bb.7:
	s_waitcnt vmcnt(50)
	v_mov_b32_e32 v0, v210
	v_mov_b32_e32 v1, v211
	s_waitcnt vmcnt(49)
	v_mov_b32_e32 v2, v158
	v_mov_b32_e32 v3, v159
	ds_write_b64 v18, v[160:161]
	ds_write2_b64 v19, v[0:1], v[2:3] offset0:2 offset1:3
	s_waitcnt vmcnt(48)
	v_mov_b32_e32 v0, v208
	v_mov_b32_e32 v1, v209
	s_waitcnt vmcnt(47)
	v_mov_b32_e32 v2, v156
	v_mov_b32_e32 v3, v157
	ds_write2_b64 v19, v[0:1], v[2:3] offset0:4 offset1:5
	s_waitcnt vmcnt(46)
	v_mov_b32_e32 v0, v206
	v_mov_b32_e32 v1, v207
	s_waitcnt vmcnt(45)
	v_mov_b32_e32 v2, v154
	v_mov_b32_e32 v3, v155
	;; [unrolled: 7-line block ×24, first 2 shown]
	ds_write2_b64 v19, v[0:1], v[2:3] offset0:50 offset1:51
	s_waitcnt vmcnt(0)
	ds_write_b64 v19, v[212:213] offset:416
	ds_read_b64 v[0:1], v18
	s_waitcnt lgkmcnt(0)
	v_cmp_neq_f64_e32 vcc, 0, v[0:1]
	s_and_b64 exec, exec, vcc
	s_cbranch_execz .LBB105_9
; %bb.8:
	v_div_scale_f64 v[2:3], s[6:7], v[0:1], v[0:1], 1.0
	v_rcp_f64_e32 v[4:5], v[2:3]
	v_div_scale_f64 v[6:7], vcc, 1.0, v[0:1], 1.0
	v_fma_f64 v[8:9], -v[2:3], v[4:5], 1.0
	v_fmac_f64_e32 v[4:5], v[4:5], v[8:9]
	v_fma_f64 v[8:9], -v[2:3], v[4:5], 1.0
	v_fmac_f64_e32 v[4:5], v[4:5], v[8:9]
	v_mul_f64 v[8:9], v[6:7], v[4:5]
	v_fma_f64 v[2:3], -v[2:3], v[8:9], v[6:7]
	v_div_fmas_f64 v[2:3], v[2:3], v[4:5], v[8:9]
	v_div_fixup_f64 v[0:1], v[2:3], v[0:1], 1.0
	ds_write_b64 v18, v[0:1]
.LBB105_9:
	s_or_b64 exec, exec, s[2:3]
	s_waitcnt lgkmcnt(0)
	s_barrier
	ds_read_b64 v[246:247], v18
	v_cmp_lt_u32_e32 vcc, 1, v20
	s_and_saveexec_b64 s[2:3], vcc
	s_cbranch_execz .LBB105_11
; %bb.10:
	ds_read2_b64 v[0:3], v19 offset0:2 offset1:3
	ds_read2_b64 v[4:7], v19 offset0:4 offset1:5
	s_waitcnt vmcnt(51) lgkmcnt(2)
	v_mul_f64 v[160:161], v[246:247], v[160:161]
	ds_read2_b64 v[8:11], v19 offset0:6 offset1:7
	s_waitcnt vmcnt(50) lgkmcnt(2)
	v_fma_f64 v[210:211], -v[160:161], v[0:1], v[210:211]
	s_waitcnt vmcnt(49)
	v_fma_f64 v[158:159], -v[160:161], v[2:3], v[158:159]
	ds_read2_b64 v[0:3], v19 offset0:8 offset1:9
	s_waitcnt vmcnt(48) lgkmcnt(2)
	v_fma_f64 v[208:209], -v[160:161], v[4:5], v[208:209]
	s_waitcnt vmcnt(47)
	v_fma_f64 v[156:157], -v[160:161], v[6:7], v[156:157]
	ds_read2_b64 v[4:7], v19 offset0:10 offset1:11
	s_waitcnt vmcnt(46) lgkmcnt(2)
	v_fma_f64 v[206:207], -v[160:161], v[8:9], v[206:207]
	s_waitcnt vmcnt(45)
	v_fma_f64 v[154:155], -v[160:161], v[10:11], v[154:155]
	ds_read2_b64 v[8:11], v19 offset0:12 offset1:13
	s_waitcnt vmcnt(44) lgkmcnt(2)
	v_fma_f64 v[204:205], -v[160:161], v[0:1], v[204:205]
	s_waitcnt vmcnt(43)
	v_fma_f64 v[152:153], -v[160:161], v[2:3], v[152:153]
	s_waitcnt vmcnt(42) lgkmcnt(1)
	v_fma_f64 v[202:203], -v[160:161], v[4:5], v[202:203]
	ds_read2_b64 v[0:3], v19 offset0:14 offset1:15
	s_waitcnt vmcnt(41)
	v_fma_f64 v[150:151], -v[160:161], v[6:7], v[150:151]
	ds_read2_b64 v[4:7], v19 offset0:16 offset1:17
	s_waitcnt vmcnt(40) lgkmcnt(2)
	v_fma_f64 v[200:201], -v[160:161], v[8:9], v[200:201]
	s_waitcnt vmcnt(39)
	v_fma_f64 v[148:149], -v[160:161], v[10:11], v[148:149]
	s_waitcnt vmcnt(38) lgkmcnt(1)
	v_fma_f64 v[198:199], -v[160:161], v[0:1], v[198:199]
	ds_read2_b64 v[8:11], v19 offset0:18 offset1:19
	s_waitcnt vmcnt(37)
	v_fma_f64 v[146:147], -v[160:161], v[2:3], v[146:147]
	ds_read2_b64 v[0:3], v19 offset0:20 offset1:21
	s_waitcnt vmcnt(36) lgkmcnt(2)
	v_fma_f64 v[196:197], -v[160:161], v[4:5], v[196:197]
	s_waitcnt vmcnt(35)
	v_fma_f64 v[144:145], -v[160:161], v[6:7], v[144:145]
	ds_read2_b64 v[4:7], v19 offset0:22 offset1:23
	s_waitcnt vmcnt(34) lgkmcnt(2)
	v_fma_f64 v[194:195], -v[160:161], v[8:9], v[194:195]
	;; [unrolled: 5-line block ×3, first 2 shown]
	s_waitcnt vmcnt(31)
	v_fma_f64 v[140:141], -v[160:161], v[2:3], v[140:141]
	s_waitcnt vmcnt(30) lgkmcnt(1)
	v_fma_f64 v[190:191], -v[160:161], v[4:5], v[190:191]
	ds_read2_b64 v[0:3], v19 offset0:26 offset1:27
	s_waitcnt vmcnt(29)
	v_fma_f64 v[138:139], -v[160:161], v[6:7], v[138:139]
	ds_read2_b64 v[4:7], v19 offset0:28 offset1:29
	s_waitcnt vmcnt(28) lgkmcnt(2)
	v_fma_f64 v[188:189], -v[160:161], v[8:9], v[188:189]
	s_waitcnt vmcnt(27)
	v_fma_f64 v[136:137], -v[160:161], v[10:11], v[136:137]
	s_waitcnt vmcnt(26) lgkmcnt(1)
	v_fma_f64 v[186:187], -v[160:161], v[0:1], v[186:187]
	ds_read2_b64 v[8:11], v19 offset0:30 offset1:31
	s_waitcnt vmcnt(25)
	v_fma_f64 v[134:135], -v[160:161], v[2:3], v[134:135]
	ds_read2_b64 v[0:3], v19 offset0:32 offset1:33
	s_waitcnt vmcnt(24) lgkmcnt(2)
	v_fma_f64 v[184:185], -v[160:161], v[4:5], v[184:185]
	s_waitcnt vmcnt(23)
	v_fma_f64 v[132:133], -v[160:161], v[6:7], v[132:133]
	ds_read2_b64 v[4:7], v19 offset0:34 offset1:35
	s_waitcnt vmcnt(22) lgkmcnt(2)
	v_fma_f64 v[182:183], -v[160:161], v[8:9], v[182:183]
	;; [unrolled: 5-line block ×3, first 2 shown]
	s_waitcnt vmcnt(19)
	v_fma_f64 v[128:129], -v[160:161], v[2:3], v[128:129]
	s_waitcnt vmcnt(18) lgkmcnt(1)
	v_fma_f64 v[178:179], -v[160:161], v[4:5], v[178:179]
	ds_read2_b64 v[0:3], v19 offset0:38 offset1:39
	s_waitcnt vmcnt(17)
	v_fma_f64 v[126:127], -v[160:161], v[6:7], v[126:127]
	ds_read2_b64 v[4:7], v19 offset0:40 offset1:41
	s_waitcnt vmcnt(16) lgkmcnt(2)
	v_fma_f64 v[176:177], -v[160:161], v[8:9], v[176:177]
	s_waitcnt vmcnt(15)
	v_fma_f64 v[124:125], -v[160:161], v[10:11], v[124:125]
	s_waitcnt vmcnt(14) lgkmcnt(1)
	v_fma_f64 v[174:175], -v[160:161], v[0:1], v[174:175]
	ds_read2_b64 v[8:11], v19 offset0:42 offset1:43
	s_waitcnt vmcnt(13)
	v_fma_f64 v[122:123], -v[160:161], v[2:3], v[122:123]
	ds_read2_b64 v[0:3], v19 offset0:44 offset1:45
	s_waitcnt vmcnt(12) lgkmcnt(2)
	v_fma_f64 v[172:173], -v[160:161], v[4:5], v[172:173]
	s_waitcnt vmcnt(11)
	v_fma_f64 v[120:121], -v[160:161], v[6:7], v[120:121]
	ds_read2_b64 v[4:7], v19 offset0:46 offset1:47
	s_waitcnt vmcnt(10) lgkmcnt(2)
	v_fma_f64 v[170:171], -v[160:161], v[8:9], v[170:171]
	s_waitcnt vmcnt(9)
	v_fma_f64 v[118:119], -v[160:161], v[10:11], v[118:119]
	s_waitcnt vmcnt(8) lgkmcnt(1)
	v_fma_f64 v[168:169], -v[160:161], v[0:1], v[168:169]
	s_waitcnt vmcnt(7)
	v_fma_f64 v[116:117], -v[160:161], v[2:3], v[116:117]
	ds_read2_b64 v[0:3], v19 offset0:48 offset1:49
	s_waitcnt vmcnt(6) lgkmcnt(1)
	v_fma_f64 v[166:167], -v[160:161], v[4:5], v[166:167]
	ds_read2_b64 v[8:11], v19 offset0:50 offset1:51
	ds_read_b64 v[4:5], v19 offset:416
	s_waitcnt vmcnt(5)
	v_fma_f64 v[114:115], -v[160:161], v[6:7], v[114:115]
	s_waitcnt vmcnt(4) lgkmcnt(2)
	v_fma_f64 v[164:165], -v[160:161], v[0:1], v[164:165]
	s_waitcnt vmcnt(3)
	v_fma_f64 v[112:113], -v[160:161], v[2:3], v[112:113]
	s_waitcnt vmcnt(2) lgkmcnt(1)
	v_fma_f64 v[162:163], -v[160:161], v[8:9], v[162:163]
	;; [unrolled: 4-line block ×3, first 2 shown]
.LBB105_11:
	s_or_b64 exec, exec, s[2:3]
	v_cmp_eq_u32_e32 vcc, 2, v20
	s_waitcnt lgkmcnt(0)
	s_barrier
	s_and_saveexec_b64 s[2:3], vcc
	s_cbranch_execz .LBB105_14
; %bb.12:
	s_waitcnt vmcnt(50)
	ds_write_b64 v18, v[210:211]
	s_waitcnt vmcnt(48)
	ds_write2_b64 v19, v[158:159], v[208:209] offset0:3 offset1:4
	s_waitcnt vmcnt(46)
	ds_write2_b64 v19, v[156:157], v[206:207] offset0:5 offset1:6
	;; [unrolled: 2-line block ×25, first 2 shown]
	ds_read_b64 v[0:1], v18
	s_waitcnt lgkmcnt(0)
	v_cmp_neq_f64_e32 vcc, 0, v[0:1]
	s_and_b64 exec, exec, vcc
	s_cbranch_execz .LBB105_14
; %bb.13:
	v_div_scale_f64 v[2:3], s[6:7], v[0:1], v[0:1], 1.0
	v_rcp_f64_e32 v[4:5], v[2:3]
	v_div_scale_f64 v[6:7], vcc, 1.0, v[0:1], 1.0
	v_fma_f64 v[8:9], -v[2:3], v[4:5], 1.0
	v_fmac_f64_e32 v[4:5], v[4:5], v[8:9]
	v_fma_f64 v[8:9], -v[2:3], v[4:5], 1.0
	v_fmac_f64_e32 v[4:5], v[4:5], v[8:9]
	v_mul_f64 v[8:9], v[6:7], v[4:5]
	v_fma_f64 v[2:3], -v[2:3], v[8:9], v[6:7]
	v_div_fmas_f64 v[2:3], v[2:3], v[4:5], v[8:9]
	v_div_fixup_f64 v[0:1], v[2:3], v[0:1], 1.0
	ds_write_b64 v18, v[0:1]
.LBB105_14:
	s_or_b64 exec, exec, s[2:3]
	s_waitcnt lgkmcnt(0)
	s_barrier
	ds_read_b64 v[216:217], v18
	v_cmp_lt_u32_e32 vcc, 2, v20
	s_and_saveexec_b64 s[2:3], vcc
	s_cbranch_execz .LBB105_16
; %bb.15:
	ds_read2_b64 v[0:3], v19 offset0:3 offset1:4
	ds_read2_b64 v[4:7], v19 offset0:5 offset1:6
	s_waitcnt vmcnt(50) lgkmcnt(2)
	v_mul_f64 v[210:211], v[216:217], v[210:211]
	ds_read2_b64 v[8:11], v19 offset0:7 offset1:8
	s_waitcnt vmcnt(49) lgkmcnt(2)
	v_fma_f64 v[158:159], -v[210:211], v[0:1], v[158:159]
	s_waitcnt vmcnt(48)
	v_fma_f64 v[208:209], -v[210:211], v[2:3], v[208:209]
	ds_read2_b64 v[0:3], v19 offset0:9 offset1:10
	s_waitcnt vmcnt(47) lgkmcnt(2)
	v_fma_f64 v[156:157], -v[210:211], v[4:5], v[156:157]
	s_waitcnt vmcnt(46)
	v_fma_f64 v[206:207], -v[210:211], v[6:7], v[206:207]
	s_waitcnt vmcnt(45) lgkmcnt(1)
	v_fma_f64 v[154:155], -v[210:211], v[8:9], v[154:155]
	ds_read2_b64 v[4:7], v19 offset0:11 offset1:12
	s_waitcnt vmcnt(44)
	v_fma_f64 v[204:205], -v[210:211], v[10:11], v[204:205]
	ds_read2_b64 v[8:11], v19 offset0:13 offset1:14
	s_waitcnt vmcnt(43) lgkmcnt(2)
	v_fma_f64 v[152:153], -v[210:211], v[0:1], v[152:153]
	s_waitcnt vmcnt(42)
	v_fma_f64 v[202:203], -v[210:211], v[2:3], v[202:203]
	ds_read2_b64 v[0:3], v19 offset0:15 offset1:16
	s_waitcnt vmcnt(41) lgkmcnt(2)
	v_fma_f64 v[150:151], -v[210:211], v[4:5], v[150:151]
	s_waitcnt vmcnt(40)
	v_fma_f64 v[200:201], -v[210:211], v[6:7], v[200:201]
	ds_read2_b64 v[4:7], v19 offset0:17 offset1:18
	s_waitcnt vmcnt(39) lgkmcnt(2)
	v_fma_f64 v[148:149], -v[210:211], v[8:9], v[148:149]
	s_waitcnt vmcnt(38)
	v_fma_f64 v[198:199], -v[210:211], v[10:11], v[198:199]
	s_waitcnt vmcnt(37) lgkmcnt(1)
	v_fma_f64 v[146:147], -v[210:211], v[0:1], v[146:147]
	ds_read2_b64 v[8:11], v19 offset0:19 offset1:20
	s_waitcnt vmcnt(36)
	v_fma_f64 v[196:197], -v[210:211], v[2:3], v[196:197]
	ds_read2_b64 v[0:3], v19 offset0:21 offset1:22
	s_waitcnt vmcnt(35) lgkmcnt(2)
	v_fma_f64 v[144:145], -v[210:211], v[4:5], v[144:145]
	s_waitcnt vmcnt(34)
	v_fma_f64 v[194:195], -v[210:211], v[6:7], v[194:195]
	s_waitcnt vmcnt(33) lgkmcnt(1)
	v_fma_f64 v[142:143], -v[210:211], v[8:9], v[142:143]
	ds_read2_b64 v[4:7], v19 offset0:23 offset1:24
	s_waitcnt vmcnt(32)
	v_fma_f64 v[192:193], -v[210:211], v[10:11], v[192:193]
	ds_read2_b64 v[8:11], v19 offset0:25 offset1:26
	s_waitcnt vmcnt(31) lgkmcnt(2)
	v_fma_f64 v[140:141], -v[210:211], v[0:1], v[140:141]
	s_waitcnt vmcnt(30)
	v_fma_f64 v[190:191], -v[210:211], v[2:3], v[190:191]
	ds_read2_b64 v[0:3], v19 offset0:27 offset1:28
	s_waitcnt vmcnt(29) lgkmcnt(2)
	v_fma_f64 v[138:139], -v[210:211], v[4:5], v[138:139]
	s_waitcnt vmcnt(28)
	v_fma_f64 v[188:189], -v[210:211], v[6:7], v[188:189]
	ds_read2_b64 v[4:7], v19 offset0:29 offset1:30
	s_waitcnt vmcnt(27) lgkmcnt(2)
	v_fma_f64 v[136:137], -v[210:211], v[8:9], v[136:137]
	s_waitcnt vmcnt(26)
	v_fma_f64 v[186:187], -v[210:211], v[10:11], v[186:187]
	s_waitcnt vmcnt(25) lgkmcnt(1)
	v_fma_f64 v[134:135], -v[210:211], v[0:1], v[134:135]
	ds_read2_b64 v[8:11], v19 offset0:31 offset1:32
	;; [unrolled: 30-line block ×3, first 2 shown]
	s_waitcnt vmcnt(12)
	v_fma_f64 v[172:173], -v[210:211], v[2:3], v[172:173]
	ds_read2_b64 v[0:3], v19 offset0:45 offset1:46
	s_waitcnt vmcnt(11) lgkmcnt(2)
	v_fma_f64 v[120:121], -v[210:211], v[4:5], v[120:121]
	s_waitcnt vmcnt(10)
	v_fma_f64 v[170:171], -v[210:211], v[6:7], v[170:171]
	s_waitcnt vmcnt(9) lgkmcnt(1)
	v_fma_f64 v[118:119], -v[210:211], v[8:9], v[118:119]
	s_waitcnt vmcnt(8)
	v_fma_f64 v[168:169], -v[210:211], v[10:11], v[168:169]
	ds_read2_b64 v[4:7], v19 offset0:47 offset1:48
	ds_read2_b64 v[8:11], v19 offset0:49 offset1:50
	s_waitcnt vmcnt(7) lgkmcnt(2)
	v_fma_f64 v[116:117], -v[210:211], v[0:1], v[116:117]
	s_waitcnt vmcnt(6)
	v_fma_f64 v[166:167], -v[210:211], v[2:3], v[166:167]
	ds_read2_b64 v[0:3], v19 offset0:51 offset1:52
	s_waitcnt vmcnt(5) lgkmcnt(2)
	v_fma_f64 v[114:115], -v[210:211], v[4:5], v[114:115]
	s_waitcnt vmcnt(4)
	v_fma_f64 v[164:165], -v[210:211], v[6:7], v[164:165]
	s_waitcnt vmcnt(3) lgkmcnt(1)
	v_fma_f64 v[112:113], -v[210:211], v[8:9], v[112:113]
	s_waitcnt vmcnt(2)
	v_fma_f64 v[162:163], -v[210:211], v[10:11], v[162:163]
	;; [unrolled: 4-line block ×3, first 2 shown]
.LBB105_16:
	s_or_b64 exec, exec, s[2:3]
	v_cmp_eq_u32_e32 vcc, 3, v20
	s_waitcnt lgkmcnt(0)
	s_barrier
	s_and_saveexec_b64 s[2:3], vcc
	s_cbranch_execz .LBB105_19
; %bb.17:
	s_waitcnt vmcnt(48)
	v_mov_b32_e32 v0, v208
	v_mov_b32_e32 v1, v209
	s_waitcnt vmcnt(47)
	v_mov_b32_e32 v2, v156
	v_mov_b32_e32 v3, v157
	ds_write_b64 v18, v[158:159]
	ds_write2_b64 v19, v[0:1], v[2:3] offset0:4 offset1:5
	s_waitcnt vmcnt(46)
	v_mov_b32_e32 v0, v206
	v_mov_b32_e32 v1, v207
	s_waitcnt vmcnt(45)
	v_mov_b32_e32 v2, v154
	v_mov_b32_e32 v3, v155
	ds_write2_b64 v19, v[0:1], v[2:3] offset0:6 offset1:7
	s_waitcnt vmcnt(44)
	v_mov_b32_e32 v0, v204
	v_mov_b32_e32 v1, v205
	s_waitcnt vmcnt(43)
	v_mov_b32_e32 v2, v152
	v_mov_b32_e32 v3, v153
	;; [unrolled: 7-line block ×23, first 2 shown]
	ds_write2_b64 v19, v[0:1], v[2:3] offset0:50 offset1:51
	s_waitcnt vmcnt(0)
	ds_write_b64 v19, v[212:213] offset:416
	ds_read_b64 v[0:1], v18
	s_waitcnt lgkmcnt(0)
	v_cmp_neq_f64_e32 vcc, 0, v[0:1]
	s_and_b64 exec, exec, vcc
	s_cbranch_execz .LBB105_19
; %bb.18:
	v_div_scale_f64 v[2:3], s[6:7], v[0:1], v[0:1], 1.0
	v_rcp_f64_e32 v[4:5], v[2:3]
	v_div_scale_f64 v[6:7], vcc, 1.0, v[0:1], 1.0
	v_fma_f64 v[8:9], -v[2:3], v[4:5], 1.0
	v_fmac_f64_e32 v[4:5], v[4:5], v[8:9]
	v_fma_f64 v[8:9], -v[2:3], v[4:5], 1.0
	v_fmac_f64_e32 v[4:5], v[4:5], v[8:9]
	v_mul_f64 v[8:9], v[6:7], v[4:5]
	v_fma_f64 v[2:3], -v[2:3], v[8:9], v[6:7]
	v_div_fmas_f64 v[2:3], v[2:3], v[4:5], v[8:9]
	v_div_fixup_f64 v[0:1], v[2:3], v[0:1], 1.0
	ds_write_b64 v18, v[0:1]
.LBB105_19:
	s_or_b64 exec, exec, s[2:3]
	s_waitcnt lgkmcnt(0)
	s_barrier
	ds_read_b64 v[248:249], v18
	v_cmp_lt_u32_e32 vcc, 3, v20
	s_and_saveexec_b64 s[2:3], vcc
	s_cbranch_execz .LBB105_21
; %bb.20:
	ds_read2_b64 v[0:3], v19 offset0:4 offset1:5
	ds_read2_b64 v[4:7], v19 offset0:6 offset1:7
	s_waitcnt vmcnt(49) lgkmcnt(2)
	v_mul_f64 v[158:159], v[248:249], v[158:159]
	ds_read2_b64 v[8:11], v19 offset0:8 offset1:9
	s_waitcnt vmcnt(48) lgkmcnt(2)
	v_fma_f64 v[208:209], -v[158:159], v[0:1], v[208:209]
	s_waitcnt vmcnt(47)
	v_fma_f64 v[156:157], -v[158:159], v[2:3], v[156:157]
	ds_read2_b64 v[0:3], v19 offset0:10 offset1:11
	s_waitcnt vmcnt(46) lgkmcnt(2)
	v_fma_f64 v[206:207], -v[158:159], v[4:5], v[206:207]
	s_waitcnt vmcnt(45)
	v_fma_f64 v[154:155], -v[158:159], v[6:7], v[154:155]
	s_waitcnt vmcnt(44) lgkmcnt(1)
	v_fma_f64 v[204:205], -v[158:159], v[8:9], v[204:205]
	ds_read2_b64 v[4:7], v19 offset0:12 offset1:13
	s_waitcnt vmcnt(43)
	v_fma_f64 v[152:153], -v[158:159], v[10:11], v[152:153]
	ds_read2_b64 v[8:11], v19 offset0:14 offset1:15
	s_waitcnt vmcnt(42) lgkmcnt(2)
	v_fma_f64 v[202:203], -v[158:159], v[0:1], v[202:203]
	s_waitcnt vmcnt(41)
	v_fma_f64 v[150:151], -v[158:159], v[2:3], v[150:151]
	ds_read2_b64 v[0:3], v19 offset0:16 offset1:17
	s_waitcnt vmcnt(40) lgkmcnt(2)
	v_fma_f64 v[200:201], -v[158:159], v[4:5], v[200:201]
	s_waitcnt vmcnt(39)
	v_fma_f64 v[148:149], -v[158:159], v[6:7], v[148:149]
	ds_read2_b64 v[4:7], v19 offset0:18 offset1:19
	s_waitcnt vmcnt(38) lgkmcnt(2)
	v_fma_f64 v[198:199], -v[158:159], v[8:9], v[198:199]
	s_waitcnt vmcnt(37)
	v_fma_f64 v[146:147], -v[158:159], v[10:11], v[146:147]
	s_waitcnt vmcnt(36) lgkmcnt(1)
	v_fma_f64 v[196:197], -v[158:159], v[0:1], v[196:197]
	ds_read2_b64 v[8:11], v19 offset0:20 offset1:21
	s_waitcnt vmcnt(35)
	v_fma_f64 v[144:145], -v[158:159], v[2:3], v[144:145]
	ds_read2_b64 v[0:3], v19 offset0:22 offset1:23
	s_waitcnt vmcnt(34) lgkmcnt(2)
	v_fma_f64 v[194:195], -v[158:159], v[4:5], v[194:195]
	s_waitcnt vmcnt(33)
	v_fma_f64 v[142:143], -v[158:159], v[6:7], v[142:143]
	s_waitcnt vmcnt(32) lgkmcnt(1)
	v_fma_f64 v[192:193], -v[158:159], v[8:9], v[192:193]
	ds_read2_b64 v[4:7], v19 offset0:24 offset1:25
	s_waitcnt vmcnt(31)
	v_fma_f64 v[140:141], -v[158:159], v[10:11], v[140:141]
	ds_read2_b64 v[8:11], v19 offset0:26 offset1:27
	s_waitcnt vmcnt(30) lgkmcnt(2)
	v_fma_f64 v[190:191], -v[158:159], v[0:1], v[190:191]
	s_waitcnt vmcnt(29)
	v_fma_f64 v[138:139], -v[158:159], v[2:3], v[138:139]
	ds_read2_b64 v[0:3], v19 offset0:28 offset1:29
	s_waitcnt vmcnt(28) lgkmcnt(2)
	v_fma_f64 v[188:189], -v[158:159], v[4:5], v[188:189]
	s_waitcnt vmcnt(27)
	v_fma_f64 v[136:137], -v[158:159], v[6:7], v[136:137]
	ds_read2_b64 v[4:7], v19 offset0:30 offset1:31
	s_waitcnt vmcnt(26) lgkmcnt(2)
	v_fma_f64 v[186:187], -v[158:159], v[8:9], v[186:187]
	s_waitcnt vmcnt(25)
	v_fma_f64 v[134:135], -v[158:159], v[10:11], v[134:135]
	s_waitcnt vmcnt(24) lgkmcnt(1)
	v_fma_f64 v[184:185], -v[158:159], v[0:1], v[184:185]
	ds_read2_b64 v[8:11], v19 offset0:32 offset1:33
	;; [unrolled: 30-line block ×3, first 2 shown]
	s_waitcnt vmcnt(11)
	v_fma_f64 v[120:121], -v[158:159], v[2:3], v[120:121]
	ds_read2_b64 v[0:3], v19 offset0:46 offset1:47
	s_waitcnt vmcnt(10) lgkmcnt(2)
	v_fma_f64 v[170:171], -v[158:159], v[4:5], v[170:171]
	s_waitcnt vmcnt(9)
	v_fma_f64 v[118:119], -v[158:159], v[6:7], v[118:119]
	s_waitcnt vmcnt(8) lgkmcnt(1)
	v_fma_f64 v[168:169], -v[158:159], v[8:9], v[168:169]
	s_waitcnt vmcnt(7)
	v_fma_f64 v[116:117], -v[158:159], v[10:11], v[116:117]
	ds_read2_b64 v[4:7], v19 offset0:48 offset1:49
	ds_read2_b64 v[8:11], v19 offset0:50 offset1:51
	s_waitcnt vmcnt(6) lgkmcnt(2)
	v_fma_f64 v[166:167], -v[158:159], v[0:1], v[166:167]
	ds_read_b64 v[0:1], v19 offset:416
	s_waitcnt vmcnt(5)
	v_fma_f64 v[114:115], -v[158:159], v[2:3], v[114:115]
	s_waitcnt vmcnt(4) lgkmcnt(2)
	v_fma_f64 v[164:165], -v[158:159], v[4:5], v[164:165]
	s_waitcnt vmcnt(3)
	v_fma_f64 v[112:113], -v[158:159], v[6:7], v[112:113]
	s_waitcnt vmcnt(2) lgkmcnt(1)
	v_fma_f64 v[162:163], -v[158:159], v[8:9], v[162:163]
	;; [unrolled: 4-line block ×3, first 2 shown]
.LBB105_21:
	s_or_b64 exec, exec, s[2:3]
	v_cmp_eq_u32_e32 vcc, 4, v20
	s_waitcnt lgkmcnt(0)
	s_barrier
	s_and_saveexec_b64 s[2:3], vcc
	s_cbranch_execz .LBB105_24
; %bb.22:
	s_waitcnt vmcnt(48)
	ds_write_b64 v18, v[208:209]
	s_waitcnt vmcnt(46)
	ds_write2_b64 v19, v[156:157], v[206:207] offset0:5 offset1:6
	s_waitcnt vmcnt(44)
	ds_write2_b64 v19, v[154:155], v[204:205] offset0:7 offset1:8
	;; [unrolled: 2-line block ×24, first 2 shown]
	ds_read_b64 v[0:1], v18
	s_waitcnt lgkmcnt(0)
	v_cmp_neq_f64_e32 vcc, 0, v[0:1]
	s_and_b64 exec, exec, vcc
	s_cbranch_execz .LBB105_24
; %bb.23:
	v_div_scale_f64 v[2:3], s[6:7], v[0:1], v[0:1], 1.0
	v_rcp_f64_e32 v[4:5], v[2:3]
	v_div_scale_f64 v[6:7], vcc, 1.0, v[0:1], 1.0
	v_fma_f64 v[8:9], -v[2:3], v[4:5], 1.0
	v_fmac_f64_e32 v[4:5], v[4:5], v[8:9]
	v_fma_f64 v[8:9], -v[2:3], v[4:5], 1.0
	v_fmac_f64_e32 v[4:5], v[4:5], v[8:9]
	v_mul_f64 v[8:9], v[6:7], v[4:5]
	v_fma_f64 v[2:3], -v[2:3], v[8:9], v[6:7]
	v_div_fmas_f64 v[2:3], v[2:3], v[4:5], v[8:9]
	v_div_fixup_f64 v[0:1], v[2:3], v[0:1], 1.0
	ds_write_b64 v18, v[0:1]
.LBB105_24:
	s_or_b64 exec, exec, s[2:3]
	s_waitcnt lgkmcnt(0)
	s_barrier
	ds_read_b64 v[250:251], v18
	v_cmp_lt_u32_e32 vcc, 4, v20
	s_and_saveexec_b64 s[2:3], vcc
	s_cbranch_execz .LBB105_26
; %bb.25:
	ds_read2_b64 v[0:3], v19 offset0:5 offset1:6
	ds_read2_b64 v[4:7], v19 offset0:7 offset1:8
	ds_read2_b64 v[8:11], v19 offset0:9 offset1:10
	s_waitcnt vmcnt(48) lgkmcnt(3)
	v_mul_f64 v[208:209], v[250:251], v[208:209]
	s_waitcnt vmcnt(47) lgkmcnt(2)
	v_fma_f64 v[156:157], -v[208:209], v[0:1], v[156:157]
	s_waitcnt vmcnt(46)
	v_fma_f64 v[206:207], -v[208:209], v[2:3], v[206:207]
	ds_read2_b64 v[0:3], v19 offset0:11 offset1:12
	s_waitcnt vmcnt(45) lgkmcnt(2)
	v_fma_f64 v[154:155], -v[208:209], v[4:5], v[154:155]
	s_waitcnt vmcnt(44)
	v_fma_f64 v[204:205], -v[208:209], v[6:7], v[204:205]
	s_waitcnt vmcnt(43) lgkmcnt(1)
	v_fma_f64 v[152:153], -v[208:209], v[8:9], v[152:153]
	ds_read2_b64 v[4:7], v19 offset0:13 offset1:14
	s_waitcnt vmcnt(42)
	v_fma_f64 v[202:203], -v[208:209], v[10:11], v[202:203]
	ds_read2_b64 v[8:11], v19 offset0:15 offset1:16
	s_waitcnt vmcnt(41) lgkmcnt(2)
	v_fma_f64 v[150:151], -v[208:209], v[0:1], v[150:151]
	s_waitcnt vmcnt(40)
	v_fma_f64 v[200:201], -v[208:209], v[2:3], v[200:201]
	s_waitcnt vmcnt(39) lgkmcnt(1)
	v_fma_f64 v[148:149], -v[208:209], v[4:5], v[148:149]
	ds_read2_b64 v[0:3], v19 offset0:17 offset1:18
	s_waitcnt vmcnt(38)
	v_fma_f64 v[198:199], -v[208:209], v[6:7], v[198:199]
	ds_read2_b64 v[4:7], v19 offset0:19 offset1:20
	s_waitcnt vmcnt(37) lgkmcnt(2)
	v_fma_f64 v[146:147], -v[208:209], v[8:9], v[146:147]
	s_waitcnt vmcnt(36)
	v_fma_f64 v[196:197], -v[208:209], v[10:11], v[196:197]
	ds_read2_b64 v[8:11], v19 offset0:21 offset1:22
	s_waitcnt vmcnt(35) lgkmcnt(2)
	v_fma_f64 v[144:145], -v[208:209], v[0:1], v[144:145]
	s_waitcnt vmcnt(34)
	v_fma_f64 v[194:195], -v[208:209], v[2:3], v[194:195]
	ds_read2_b64 v[0:3], v19 offset0:23 offset1:24
	s_waitcnt vmcnt(33) lgkmcnt(2)
	v_fma_f64 v[142:143], -v[208:209], v[4:5], v[142:143]
	s_waitcnt vmcnt(32)
	v_fma_f64 v[192:193], -v[208:209], v[6:7], v[192:193]
	s_waitcnt vmcnt(31) lgkmcnt(1)
	v_fma_f64 v[140:141], -v[208:209], v[8:9], v[140:141]
	ds_read2_b64 v[4:7], v19 offset0:25 offset1:26
	s_waitcnt vmcnt(30)
	v_fma_f64 v[190:191], -v[208:209], v[10:11], v[190:191]
	ds_read2_b64 v[8:11], v19 offset0:27 offset1:28
	s_waitcnt vmcnt(29) lgkmcnt(2)
	v_fma_f64 v[138:139], -v[208:209], v[0:1], v[138:139]
	s_waitcnt vmcnt(28)
	v_fma_f64 v[188:189], -v[208:209], v[2:3], v[188:189]
	s_waitcnt vmcnt(27) lgkmcnt(1)
	v_fma_f64 v[136:137], -v[208:209], v[4:5], v[136:137]
	ds_read2_b64 v[0:3], v19 offset0:29 offset1:30
	s_waitcnt vmcnt(26)
	v_fma_f64 v[186:187], -v[208:209], v[6:7], v[186:187]
	ds_read2_b64 v[4:7], v19 offset0:31 offset1:32
	s_waitcnt vmcnt(25) lgkmcnt(2)
	v_fma_f64 v[134:135], -v[208:209], v[8:9], v[134:135]
	s_waitcnt vmcnt(24)
	v_fma_f64 v[184:185], -v[208:209], v[10:11], v[184:185]
	ds_read2_b64 v[8:11], v19 offset0:33 offset1:34
	;; [unrolled: 30-line block ×3, first 2 shown]
	s_waitcnt vmcnt(11) lgkmcnt(2)
	v_fma_f64 v[120:121], -v[208:209], v[0:1], v[120:121]
	s_waitcnt vmcnt(10)
	v_fma_f64 v[170:171], -v[208:209], v[2:3], v[170:171]
	ds_read2_b64 v[0:3], v19 offset0:47 offset1:48
	s_waitcnt vmcnt(9) lgkmcnt(2)
	v_fma_f64 v[118:119], -v[208:209], v[4:5], v[118:119]
	s_waitcnt vmcnt(8)
	v_fma_f64 v[168:169], -v[208:209], v[6:7], v[168:169]
	s_waitcnt vmcnt(7) lgkmcnt(1)
	v_fma_f64 v[116:117], -v[208:209], v[8:9], v[116:117]
	ds_read2_b64 v[4:7], v19 offset0:49 offset1:50
	s_waitcnt vmcnt(6)
	v_fma_f64 v[166:167], -v[208:209], v[10:11], v[166:167]
	ds_read2_b64 v[8:11], v19 offset0:51 offset1:52
	s_waitcnt vmcnt(5) lgkmcnt(2)
	v_fma_f64 v[114:115], -v[208:209], v[0:1], v[114:115]
	s_waitcnt vmcnt(4)
	v_fma_f64 v[164:165], -v[208:209], v[2:3], v[164:165]
	s_waitcnt vmcnt(3) lgkmcnt(1)
	v_fma_f64 v[112:113], -v[208:209], v[4:5], v[112:113]
	s_waitcnt vmcnt(2)
	v_fma_f64 v[162:163], -v[208:209], v[6:7], v[162:163]
	;; [unrolled: 4-line block ×3, first 2 shown]
.LBB105_26:
	s_or_b64 exec, exec, s[2:3]
	v_cmp_eq_u32_e32 vcc, 5, v20
	s_waitcnt lgkmcnt(0)
	s_barrier
	s_and_saveexec_b64 s[2:3], vcc
	s_cbranch_execz .LBB105_29
; %bb.27:
	s_waitcnt vmcnt(46)
	v_mov_b32_e32 v0, v206
	v_mov_b32_e32 v1, v207
	s_waitcnt vmcnt(45)
	v_mov_b32_e32 v2, v154
	v_mov_b32_e32 v3, v155
	ds_write_b64 v18, v[156:157]
	ds_write2_b64 v19, v[0:1], v[2:3] offset0:6 offset1:7
	s_waitcnt vmcnt(44)
	v_mov_b32_e32 v0, v204
	v_mov_b32_e32 v1, v205
	s_waitcnt vmcnt(43)
	v_mov_b32_e32 v2, v152
	v_mov_b32_e32 v3, v153
	ds_write2_b64 v19, v[0:1], v[2:3] offset0:8 offset1:9
	s_waitcnt vmcnt(42)
	v_mov_b32_e32 v0, v202
	v_mov_b32_e32 v1, v203
	s_waitcnt vmcnt(41)
	v_mov_b32_e32 v2, v150
	v_mov_b32_e32 v3, v151
	;; [unrolled: 7-line block ×22, first 2 shown]
	ds_write2_b64 v19, v[0:1], v[2:3] offset0:50 offset1:51
	s_waitcnt vmcnt(0)
	ds_write_b64 v19, v[212:213] offset:416
	ds_read_b64 v[0:1], v18
	s_waitcnt lgkmcnt(0)
	v_cmp_neq_f64_e32 vcc, 0, v[0:1]
	s_and_b64 exec, exec, vcc
	s_cbranch_execz .LBB105_29
; %bb.28:
	v_div_scale_f64 v[2:3], s[6:7], v[0:1], v[0:1], 1.0
	v_rcp_f64_e32 v[4:5], v[2:3]
	v_div_scale_f64 v[6:7], vcc, 1.0, v[0:1], 1.0
	v_fma_f64 v[8:9], -v[2:3], v[4:5], 1.0
	v_fmac_f64_e32 v[4:5], v[4:5], v[8:9]
	v_fma_f64 v[8:9], -v[2:3], v[4:5], 1.0
	v_fmac_f64_e32 v[4:5], v[4:5], v[8:9]
	v_mul_f64 v[8:9], v[6:7], v[4:5]
	v_fma_f64 v[2:3], -v[2:3], v[8:9], v[6:7]
	v_div_fmas_f64 v[2:3], v[2:3], v[4:5], v[8:9]
	v_div_fixup_f64 v[0:1], v[2:3], v[0:1], 1.0
	ds_write_b64 v18, v[0:1]
.LBB105_29:
	s_or_b64 exec, exec, s[2:3]
	s_waitcnt lgkmcnt(0)
	s_barrier
	ds_read_b64 v[252:253], v18
	v_cmp_lt_u32_e32 vcc, 5, v20
	s_and_saveexec_b64 s[2:3], vcc
	s_cbranch_execz .LBB105_31
; %bb.30:
	ds_read2_b64 v[0:3], v19 offset0:6 offset1:7
	ds_read2_b64 v[4:7], v19 offset0:8 offset1:9
	;; [unrolled: 1-line block ×3, first 2 shown]
	s_waitcnt vmcnt(47) lgkmcnt(3)
	v_mul_f64 v[156:157], v[252:253], v[156:157]
	s_waitcnt vmcnt(46) lgkmcnt(2)
	v_fma_f64 v[206:207], -v[156:157], v[0:1], v[206:207]
	s_waitcnt vmcnt(45)
	v_fma_f64 v[154:155], -v[156:157], v[2:3], v[154:155]
	ds_read2_b64 v[0:3], v19 offset0:12 offset1:13
	s_waitcnt vmcnt(44) lgkmcnt(2)
	v_fma_f64 v[204:205], -v[156:157], v[4:5], v[204:205]
	s_waitcnt vmcnt(43)
	v_fma_f64 v[152:153], -v[156:157], v[6:7], v[152:153]
	s_waitcnt vmcnt(42) lgkmcnt(1)
	v_fma_f64 v[202:203], -v[156:157], v[8:9], v[202:203]
	ds_read2_b64 v[4:7], v19 offset0:14 offset1:15
	s_waitcnt vmcnt(41)
	v_fma_f64 v[150:151], -v[156:157], v[10:11], v[150:151]
	ds_read2_b64 v[8:11], v19 offset0:16 offset1:17
	s_waitcnt vmcnt(40) lgkmcnt(2)
	v_fma_f64 v[200:201], -v[156:157], v[0:1], v[200:201]
	s_waitcnt vmcnt(39)
	v_fma_f64 v[148:149], -v[156:157], v[2:3], v[148:149]
	s_waitcnt vmcnt(38) lgkmcnt(1)
	v_fma_f64 v[198:199], -v[156:157], v[4:5], v[198:199]
	ds_read2_b64 v[0:3], v19 offset0:18 offset1:19
	s_waitcnt vmcnt(37)
	v_fma_f64 v[146:147], -v[156:157], v[6:7], v[146:147]
	ds_read2_b64 v[4:7], v19 offset0:20 offset1:21
	s_waitcnt vmcnt(36) lgkmcnt(2)
	v_fma_f64 v[196:197], -v[156:157], v[8:9], v[196:197]
	s_waitcnt vmcnt(35)
	v_fma_f64 v[144:145], -v[156:157], v[10:11], v[144:145]
	ds_read2_b64 v[8:11], v19 offset0:22 offset1:23
	s_waitcnt vmcnt(34) lgkmcnt(2)
	v_fma_f64 v[194:195], -v[156:157], v[0:1], v[194:195]
	s_waitcnt vmcnt(33)
	v_fma_f64 v[142:143], -v[156:157], v[2:3], v[142:143]
	ds_read2_b64 v[0:3], v19 offset0:24 offset1:25
	s_waitcnt vmcnt(32) lgkmcnt(2)
	v_fma_f64 v[192:193], -v[156:157], v[4:5], v[192:193]
	s_waitcnt vmcnt(31)
	v_fma_f64 v[140:141], -v[156:157], v[6:7], v[140:141]
	s_waitcnt vmcnt(30) lgkmcnt(1)
	v_fma_f64 v[190:191], -v[156:157], v[8:9], v[190:191]
	ds_read2_b64 v[4:7], v19 offset0:26 offset1:27
	s_waitcnt vmcnt(29)
	v_fma_f64 v[138:139], -v[156:157], v[10:11], v[138:139]
	ds_read2_b64 v[8:11], v19 offset0:28 offset1:29
	s_waitcnt vmcnt(28) lgkmcnt(2)
	v_fma_f64 v[188:189], -v[156:157], v[0:1], v[188:189]
	s_waitcnt vmcnt(27)
	v_fma_f64 v[136:137], -v[156:157], v[2:3], v[136:137]
	s_waitcnt vmcnt(26) lgkmcnt(1)
	v_fma_f64 v[186:187], -v[156:157], v[4:5], v[186:187]
	ds_read2_b64 v[0:3], v19 offset0:30 offset1:31
	s_waitcnt vmcnt(25)
	v_fma_f64 v[134:135], -v[156:157], v[6:7], v[134:135]
	ds_read2_b64 v[4:7], v19 offset0:32 offset1:33
	s_waitcnt vmcnt(24) lgkmcnt(2)
	v_fma_f64 v[184:185], -v[156:157], v[8:9], v[184:185]
	s_waitcnt vmcnt(23)
	v_fma_f64 v[132:133], -v[156:157], v[10:11], v[132:133]
	ds_read2_b64 v[8:11], v19 offset0:34 offset1:35
	;; [unrolled: 30-line block ×3, first 2 shown]
	s_waitcnt vmcnt(10) lgkmcnt(2)
	v_fma_f64 v[170:171], -v[156:157], v[0:1], v[170:171]
	s_waitcnt vmcnt(9)
	v_fma_f64 v[118:119], -v[156:157], v[2:3], v[118:119]
	ds_read2_b64 v[0:3], v19 offset0:48 offset1:49
	s_waitcnt vmcnt(8) lgkmcnt(2)
	v_fma_f64 v[168:169], -v[156:157], v[4:5], v[168:169]
	s_waitcnt vmcnt(7)
	v_fma_f64 v[116:117], -v[156:157], v[6:7], v[116:117]
	s_waitcnt vmcnt(6) lgkmcnt(1)
	v_fma_f64 v[166:167], -v[156:157], v[8:9], v[166:167]
	ds_read2_b64 v[4:7], v19 offset0:50 offset1:51
	ds_read_b64 v[8:9], v19 offset:416
	s_waitcnt vmcnt(5)
	v_fma_f64 v[114:115], -v[156:157], v[10:11], v[114:115]
	s_waitcnt vmcnt(4) lgkmcnt(2)
	v_fma_f64 v[164:165], -v[156:157], v[0:1], v[164:165]
	s_waitcnt vmcnt(3)
	v_fma_f64 v[112:113], -v[156:157], v[2:3], v[112:113]
	s_waitcnt vmcnt(2) lgkmcnt(1)
	v_fma_f64 v[162:163], -v[156:157], v[4:5], v[162:163]
	;; [unrolled: 4-line block ×3, first 2 shown]
.LBB105_31:
	s_or_b64 exec, exec, s[2:3]
	v_cmp_eq_u32_e32 vcc, 6, v20
	s_waitcnt lgkmcnt(0)
	s_barrier
	s_and_saveexec_b64 s[2:3], vcc
	s_cbranch_execz .LBB105_34
; %bb.32:
	s_waitcnt vmcnt(46)
	ds_write_b64 v18, v[206:207]
	s_waitcnt vmcnt(44)
	ds_write2_b64 v19, v[154:155], v[204:205] offset0:7 offset1:8
	s_waitcnt vmcnt(42)
	ds_write2_b64 v19, v[152:153], v[202:203] offset0:9 offset1:10
	;; [unrolled: 2-line block ×23, first 2 shown]
	ds_read_b64 v[0:1], v18
	s_waitcnt lgkmcnt(0)
	v_cmp_neq_f64_e32 vcc, 0, v[0:1]
	s_and_b64 exec, exec, vcc
	s_cbranch_execz .LBB105_34
; %bb.33:
	v_div_scale_f64 v[2:3], s[6:7], v[0:1], v[0:1], 1.0
	v_rcp_f64_e32 v[4:5], v[2:3]
	v_div_scale_f64 v[6:7], vcc, 1.0, v[0:1], 1.0
	v_fma_f64 v[8:9], -v[2:3], v[4:5], 1.0
	v_fmac_f64_e32 v[4:5], v[4:5], v[8:9]
	v_fma_f64 v[8:9], -v[2:3], v[4:5], 1.0
	v_fmac_f64_e32 v[4:5], v[4:5], v[8:9]
	v_mul_f64 v[8:9], v[6:7], v[4:5]
	v_fma_f64 v[2:3], -v[2:3], v[8:9], v[6:7]
	v_div_fmas_f64 v[2:3], v[2:3], v[4:5], v[8:9]
	v_div_fixup_f64 v[0:1], v[2:3], v[0:1], 1.0
	ds_write_b64 v18, v[0:1]
.LBB105_34:
	s_or_b64 exec, exec, s[2:3]
	s_waitcnt lgkmcnt(0)
	s_barrier
	ds_read_b64 v[254:255], v18
	v_cmp_lt_u32_e32 vcc, 6, v20
	s_and_saveexec_b64 s[2:3], vcc
	s_cbranch_execz .LBB105_36
; %bb.35:
	ds_read2_b64 v[0:3], v19 offset0:7 offset1:8
	ds_read2_b64 v[4:7], v19 offset0:9 offset1:10
	s_waitcnt vmcnt(46) lgkmcnt(2)
	v_mul_f64 v[206:207], v[254:255], v[206:207]
	ds_read2_b64 v[8:11], v19 offset0:11 offset1:12
	s_waitcnt vmcnt(45) lgkmcnt(2)
	v_fma_f64 v[154:155], -v[206:207], v[0:1], v[154:155]
	s_waitcnt vmcnt(44)
	v_fma_f64 v[204:205], -v[206:207], v[2:3], v[204:205]
	ds_read2_b64 v[0:3], v19 offset0:13 offset1:14
	s_waitcnt vmcnt(43) lgkmcnt(2)
	v_fma_f64 v[152:153], -v[206:207], v[4:5], v[152:153]
	s_waitcnt vmcnt(42)
	v_fma_f64 v[202:203], -v[206:207], v[6:7], v[202:203]
	;; [unrolled: 5-line block ×4, first 2 shown]
	s_waitcnt vmcnt(37) lgkmcnt(1)
	v_fma_f64 v[146:147], -v[206:207], v[4:5], v[146:147]
	ds_read2_b64 v[0:3], v19 offset0:19 offset1:20
	s_waitcnt vmcnt(36)
	v_fma_f64 v[196:197], -v[206:207], v[6:7], v[196:197]
	ds_read2_b64 v[4:7], v19 offset0:21 offset1:22
	s_waitcnt vmcnt(35) lgkmcnt(2)
	v_fma_f64 v[144:145], -v[206:207], v[8:9], v[144:145]
	s_waitcnt vmcnt(34)
	v_fma_f64 v[194:195], -v[206:207], v[10:11], v[194:195]
	s_waitcnt vmcnt(33) lgkmcnt(1)
	v_fma_f64 v[142:143], -v[206:207], v[0:1], v[142:143]
	ds_read2_b64 v[8:11], v19 offset0:23 offset1:24
	s_waitcnt vmcnt(32)
	v_fma_f64 v[192:193], -v[206:207], v[2:3], v[192:193]
	ds_read2_b64 v[0:3], v19 offset0:25 offset1:26
	s_waitcnt vmcnt(31) lgkmcnt(2)
	v_fma_f64 v[140:141], -v[206:207], v[4:5], v[140:141]
	s_waitcnt vmcnt(30)
	v_fma_f64 v[190:191], -v[206:207], v[6:7], v[190:191]
	ds_read2_b64 v[4:7], v19 offset0:27 offset1:28
	s_waitcnt vmcnt(29) lgkmcnt(2)
	v_fma_f64 v[138:139], -v[206:207], v[8:9], v[138:139]
	;; [unrolled: 5-line block ×3, first 2 shown]
	s_waitcnt vmcnt(26)
	v_fma_f64 v[186:187], -v[206:207], v[2:3], v[186:187]
	s_waitcnt vmcnt(25) lgkmcnt(1)
	v_fma_f64 v[134:135], -v[206:207], v[4:5], v[134:135]
	ds_read2_b64 v[0:3], v19 offset0:31 offset1:32
	s_waitcnt vmcnt(24)
	v_fma_f64 v[184:185], -v[206:207], v[6:7], v[184:185]
	ds_read2_b64 v[4:7], v19 offset0:33 offset1:34
	s_waitcnt vmcnt(23) lgkmcnt(2)
	v_fma_f64 v[132:133], -v[206:207], v[8:9], v[132:133]
	s_waitcnt vmcnt(22)
	v_fma_f64 v[182:183], -v[206:207], v[10:11], v[182:183]
	s_waitcnt vmcnt(21) lgkmcnt(1)
	v_fma_f64 v[130:131], -v[206:207], v[0:1], v[130:131]
	ds_read2_b64 v[8:11], v19 offset0:35 offset1:36
	s_waitcnt vmcnt(20)
	v_fma_f64 v[180:181], -v[206:207], v[2:3], v[180:181]
	ds_read2_b64 v[0:3], v19 offset0:37 offset1:38
	s_waitcnt vmcnt(19) lgkmcnt(2)
	v_fma_f64 v[128:129], -v[206:207], v[4:5], v[128:129]
	s_waitcnt vmcnt(18)
	v_fma_f64 v[178:179], -v[206:207], v[6:7], v[178:179]
	ds_read2_b64 v[4:7], v19 offset0:39 offset1:40
	s_waitcnt vmcnt(17) lgkmcnt(2)
	v_fma_f64 v[126:127], -v[206:207], v[8:9], v[126:127]
	;; [unrolled: 5-line block ×3, first 2 shown]
	s_waitcnt vmcnt(14)
	v_fma_f64 v[174:175], -v[206:207], v[2:3], v[174:175]
	s_waitcnt vmcnt(13) lgkmcnt(1)
	v_fma_f64 v[122:123], -v[206:207], v[4:5], v[122:123]
	ds_read2_b64 v[0:3], v19 offset0:43 offset1:44
	s_waitcnt vmcnt(12)
	v_fma_f64 v[172:173], -v[206:207], v[6:7], v[172:173]
	ds_read2_b64 v[4:7], v19 offset0:45 offset1:46
	s_waitcnt vmcnt(11) lgkmcnt(2)
	v_fma_f64 v[120:121], -v[206:207], v[8:9], v[120:121]
	s_waitcnt vmcnt(10)
	v_fma_f64 v[170:171], -v[206:207], v[10:11], v[170:171]
	s_waitcnt vmcnt(9) lgkmcnt(1)
	v_fma_f64 v[118:119], -v[206:207], v[0:1], v[118:119]
	s_waitcnt vmcnt(8)
	v_fma_f64 v[168:169], -v[206:207], v[2:3], v[168:169]
	ds_read2_b64 v[0:3], v19 offset0:47 offset1:48
	ds_read2_b64 v[8:11], v19 offset0:49 offset1:50
	s_waitcnt vmcnt(7) lgkmcnt(2)
	v_fma_f64 v[116:117], -v[206:207], v[4:5], v[116:117]
	s_waitcnt vmcnt(6)
	v_fma_f64 v[166:167], -v[206:207], v[6:7], v[166:167]
	ds_read2_b64 v[4:7], v19 offset0:51 offset1:52
	s_waitcnt vmcnt(5) lgkmcnt(2)
	v_fma_f64 v[114:115], -v[206:207], v[0:1], v[114:115]
	s_waitcnt vmcnt(4)
	v_fma_f64 v[164:165], -v[206:207], v[2:3], v[164:165]
	s_waitcnt vmcnt(3) lgkmcnt(1)
	v_fma_f64 v[112:113], -v[206:207], v[8:9], v[112:113]
	s_waitcnt vmcnt(2)
	v_fma_f64 v[162:163], -v[206:207], v[10:11], v[162:163]
	;; [unrolled: 4-line block ×3, first 2 shown]
.LBB105_36:
	s_or_b64 exec, exec, s[2:3]
	v_cmp_eq_u32_e32 vcc, 7, v20
	s_waitcnt lgkmcnt(0)
	s_barrier
	s_and_saveexec_b64 s[2:3], vcc
	s_cbranch_execz .LBB105_39
; %bb.37:
	s_waitcnt vmcnt(44)
	v_mov_b32_e32 v0, v204
	v_mov_b32_e32 v1, v205
	s_waitcnt vmcnt(43)
	v_mov_b32_e32 v2, v152
	v_mov_b32_e32 v3, v153
	ds_write_b64 v18, v[154:155]
	ds_write2_b64 v19, v[0:1], v[2:3] offset0:8 offset1:9
	s_waitcnt vmcnt(42)
	v_mov_b32_e32 v0, v202
	v_mov_b32_e32 v1, v203
	s_waitcnt vmcnt(41)
	v_mov_b32_e32 v2, v150
	v_mov_b32_e32 v3, v151
	ds_write2_b64 v19, v[0:1], v[2:3] offset0:10 offset1:11
	s_waitcnt vmcnt(40)
	v_mov_b32_e32 v0, v200
	v_mov_b32_e32 v1, v201
	s_waitcnt vmcnt(39)
	v_mov_b32_e32 v2, v148
	v_mov_b32_e32 v3, v149
	ds_write2_b64 v19, v[0:1], v[2:3] offset0:12 offset1:13
	s_waitcnt vmcnt(38)
	v_mov_b32_e32 v0, v198
	v_mov_b32_e32 v1, v199
	s_waitcnt vmcnt(37)
	v_mov_b32_e32 v2, v146
	v_mov_b32_e32 v3, v147
	ds_write2_b64 v19, v[0:1], v[2:3] offset0:14 offset1:15
	s_waitcnt vmcnt(36)
	v_mov_b32_e32 v0, v196
	v_mov_b32_e32 v1, v197
	s_waitcnt vmcnt(35)
	v_mov_b32_e32 v2, v144
	v_mov_b32_e32 v3, v145
	ds_write2_b64 v19, v[0:1], v[2:3] offset0:16 offset1:17
	s_waitcnt vmcnt(34)
	v_mov_b32_e32 v0, v194
	v_mov_b32_e32 v1, v195
	s_waitcnt vmcnt(33)
	v_mov_b32_e32 v2, v142
	v_mov_b32_e32 v3, v143
	ds_write2_b64 v19, v[0:1], v[2:3] offset0:18 offset1:19
	s_waitcnt vmcnt(32)
	v_mov_b32_e32 v0, v192
	v_mov_b32_e32 v1, v193
	s_waitcnt vmcnt(31)
	v_mov_b32_e32 v2, v140
	v_mov_b32_e32 v3, v141
	ds_write2_b64 v19, v[0:1], v[2:3] offset0:20 offset1:21
	s_waitcnt vmcnt(30)
	v_mov_b32_e32 v0, v190
	v_mov_b32_e32 v1, v191
	s_waitcnt vmcnt(29)
	v_mov_b32_e32 v2, v138
	v_mov_b32_e32 v3, v139
	ds_write2_b64 v19, v[0:1], v[2:3] offset0:22 offset1:23
	s_waitcnt vmcnt(28)
	v_mov_b32_e32 v0, v188
	v_mov_b32_e32 v1, v189
	s_waitcnt vmcnt(27)
	v_mov_b32_e32 v2, v136
	v_mov_b32_e32 v3, v137
	ds_write2_b64 v19, v[0:1], v[2:3] offset0:24 offset1:25
	s_waitcnt vmcnt(26)
	v_mov_b32_e32 v0, v186
	v_mov_b32_e32 v1, v187
	s_waitcnt vmcnt(25)
	v_mov_b32_e32 v2, v134
	v_mov_b32_e32 v3, v135
	ds_write2_b64 v19, v[0:1], v[2:3] offset0:26 offset1:27
	s_waitcnt vmcnt(24)
	v_mov_b32_e32 v0, v184
	v_mov_b32_e32 v1, v185
	s_waitcnt vmcnt(23)
	v_mov_b32_e32 v2, v132
	v_mov_b32_e32 v3, v133
	ds_write2_b64 v19, v[0:1], v[2:3] offset0:28 offset1:29
	s_waitcnt vmcnt(22)
	v_mov_b32_e32 v0, v182
	v_mov_b32_e32 v1, v183
	s_waitcnt vmcnt(21)
	v_mov_b32_e32 v2, v130
	v_mov_b32_e32 v3, v131
	ds_write2_b64 v19, v[0:1], v[2:3] offset0:30 offset1:31
	s_waitcnt vmcnt(20)
	v_mov_b32_e32 v0, v180
	v_mov_b32_e32 v1, v181
	s_waitcnt vmcnt(19)
	v_mov_b32_e32 v2, v128
	v_mov_b32_e32 v3, v129
	ds_write2_b64 v19, v[0:1], v[2:3] offset0:32 offset1:33
	s_waitcnt vmcnt(18)
	v_mov_b32_e32 v0, v178
	v_mov_b32_e32 v1, v179
	s_waitcnt vmcnt(17)
	v_mov_b32_e32 v2, v126
	v_mov_b32_e32 v3, v127
	ds_write2_b64 v19, v[0:1], v[2:3] offset0:34 offset1:35
	s_waitcnt vmcnt(16)
	v_mov_b32_e32 v0, v176
	v_mov_b32_e32 v1, v177
	s_waitcnt vmcnt(15)
	v_mov_b32_e32 v2, v124
	v_mov_b32_e32 v3, v125
	ds_write2_b64 v19, v[0:1], v[2:3] offset0:36 offset1:37
	s_waitcnt vmcnt(14)
	v_mov_b32_e32 v0, v174
	v_mov_b32_e32 v1, v175
	s_waitcnt vmcnt(13)
	v_mov_b32_e32 v2, v122
	v_mov_b32_e32 v3, v123
	ds_write2_b64 v19, v[0:1], v[2:3] offset0:38 offset1:39
	s_waitcnt vmcnt(12)
	v_mov_b32_e32 v0, v172
	v_mov_b32_e32 v1, v173
	s_waitcnt vmcnt(11)
	v_mov_b32_e32 v2, v120
	v_mov_b32_e32 v3, v121
	ds_write2_b64 v19, v[0:1], v[2:3] offset0:40 offset1:41
	s_waitcnt vmcnt(10)
	v_mov_b32_e32 v0, v170
	v_mov_b32_e32 v1, v171
	s_waitcnt vmcnt(9)
	v_mov_b32_e32 v2, v118
	v_mov_b32_e32 v3, v119
	ds_write2_b64 v19, v[0:1], v[2:3] offset0:42 offset1:43
	s_waitcnt vmcnt(8)
	v_mov_b32_e32 v0, v168
	v_mov_b32_e32 v1, v169
	s_waitcnt vmcnt(7)
	v_mov_b32_e32 v2, v116
	v_mov_b32_e32 v3, v117
	ds_write2_b64 v19, v[0:1], v[2:3] offset0:44 offset1:45
	s_waitcnt vmcnt(6)
	v_mov_b32_e32 v0, v166
	v_mov_b32_e32 v1, v167
	s_waitcnt vmcnt(5)
	v_mov_b32_e32 v2, v114
	v_mov_b32_e32 v3, v115
	ds_write2_b64 v19, v[0:1], v[2:3] offset0:46 offset1:47
	s_waitcnt vmcnt(4)
	v_mov_b32_e32 v0, v164
	v_mov_b32_e32 v1, v165
	s_waitcnt vmcnt(3)
	v_mov_b32_e32 v2, v112
	v_mov_b32_e32 v3, v113
	ds_write2_b64 v19, v[0:1], v[2:3] offset0:48 offset1:49
	s_waitcnt vmcnt(2)
	v_mov_b32_e32 v0, v162
	v_mov_b32_e32 v1, v163
	s_waitcnt vmcnt(1)
	v_mov_b32_e32 v2, v110
	v_mov_b32_e32 v3, v111
	ds_write2_b64 v19, v[0:1], v[2:3] offset0:50 offset1:51
	s_waitcnt vmcnt(0)
	ds_write_b64 v19, v[212:213] offset:416
	ds_read_b64 v[0:1], v18
	s_waitcnt lgkmcnt(0)
	v_cmp_neq_f64_e32 vcc, 0, v[0:1]
	s_and_b64 exec, exec, vcc
	s_cbranch_execz .LBB105_39
; %bb.38:
	v_div_scale_f64 v[2:3], s[6:7], v[0:1], v[0:1], 1.0
	v_rcp_f64_e32 v[4:5], v[2:3]
	v_div_scale_f64 v[6:7], vcc, 1.0, v[0:1], 1.0
	v_fma_f64 v[8:9], -v[2:3], v[4:5], 1.0
	v_fmac_f64_e32 v[4:5], v[4:5], v[8:9]
	v_fma_f64 v[8:9], -v[2:3], v[4:5], 1.0
	v_fmac_f64_e32 v[4:5], v[4:5], v[8:9]
	v_mul_f64 v[8:9], v[6:7], v[4:5]
	v_fma_f64 v[2:3], -v[2:3], v[8:9], v[6:7]
	v_div_fmas_f64 v[2:3], v[2:3], v[4:5], v[8:9]
	v_div_fixup_f64 v[0:1], v[2:3], v[0:1], 1.0
	ds_write_b64 v18, v[0:1]
.LBB105_39:
	s_or_b64 exec, exec, s[2:3]
	s_waitcnt lgkmcnt(0)
	s_barrier
	ds_read_b64 v[214:215], v18
	v_cmp_lt_u32_e32 vcc, 7, v20
	s_and_saveexec_b64 s[2:3], vcc
	s_cbranch_execz .LBB105_41
; %bb.40:
	ds_read2_b64 v[0:3], v19 offset0:8 offset1:9
	ds_read2_b64 v[4:7], v19 offset0:10 offset1:11
	s_waitcnt vmcnt(45) lgkmcnt(2)
	v_mul_f64 v[154:155], v[214:215], v[154:155]
	ds_read2_b64 v[8:11], v19 offset0:12 offset1:13
	s_waitcnt vmcnt(44) lgkmcnt(2)
	v_fma_f64 v[204:205], -v[154:155], v[0:1], v[204:205]
	s_waitcnt vmcnt(43)
	v_fma_f64 v[152:153], -v[154:155], v[2:3], v[152:153]
	ds_read2_b64 v[0:3], v19 offset0:14 offset1:15
	s_waitcnt vmcnt(42) lgkmcnt(2)
	v_fma_f64 v[202:203], -v[154:155], v[4:5], v[202:203]
	s_waitcnt vmcnt(41)
	v_fma_f64 v[150:151], -v[154:155], v[6:7], v[150:151]
	;; [unrolled: 5-line block ×4, first 2 shown]
	s_waitcnt vmcnt(36) lgkmcnt(1)
	v_fma_f64 v[196:197], -v[154:155], v[4:5], v[196:197]
	ds_read2_b64 v[0:3], v19 offset0:20 offset1:21
	s_waitcnt vmcnt(35)
	v_fma_f64 v[144:145], -v[154:155], v[6:7], v[144:145]
	ds_read2_b64 v[4:7], v19 offset0:22 offset1:23
	s_waitcnt vmcnt(34) lgkmcnt(2)
	v_fma_f64 v[194:195], -v[154:155], v[8:9], v[194:195]
	s_waitcnt vmcnt(33)
	v_fma_f64 v[142:143], -v[154:155], v[10:11], v[142:143]
	s_waitcnt vmcnt(32) lgkmcnt(1)
	v_fma_f64 v[192:193], -v[154:155], v[0:1], v[192:193]
	ds_read2_b64 v[8:11], v19 offset0:24 offset1:25
	s_waitcnt vmcnt(31)
	v_fma_f64 v[140:141], -v[154:155], v[2:3], v[140:141]
	ds_read2_b64 v[0:3], v19 offset0:26 offset1:27
	s_waitcnt vmcnt(30) lgkmcnt(2)
	v_fma_f64 v[190:191], -v[154:155], v[4:5], v[190:191]
	s_waitcnt vmcnt(29)
	v_fma_f64 v[138:139], -v[154:155], v[6:7], v[138:139]
	ds_read2_b64 v[4:7], v19 offset0:28 offset1:29
	s_waitcnt vmcnt(28) lgkmcnt(2)
	v_fma_f64 v[188:189], -v[154:155], v[8:9], v[188:189]
	;; [unrolled: 5-line block ×3, first 2 shown]
	s_waitcnt vmcnt(25)
	v_fma_f64 v[134:135], -v[154:155], v[2:3], v[134:135]
	s_waitcnt vmcnt(24) lgkmcnt(1)
	v_fma_f64 v[184:185], -v[154:155], v[4:5], v[184:185]
	ds_read2_b64 v[0:3], v19 offset0:32 offset1:33
	s_waitcnt vmcnt(23)
	v_fma_f64 v[132:133], -v[154:155], v[6:7], v[132:133]
	ds_read2_b64 v[4:7], v19 offset0:34 offset1:35
	s_waitcnt vmcnt(22) lgkmcnt(2)
	v_fma_f64 v[182:183], -v[154:155], v[8:9], v[182:183]
	s_waitcnt vmcnt(21)
	v_fma_f64 v[130:131], -v[154:155], v[10:11], v[130:131]
	s_waitcnt vmcnt(20) lgkmcnt(1)
	v_fma_f64 v[180:181], -v[154:155], v[0:1], v[180:181]
	ds_read2_b64 v[8:11], v19 offset0:36 offset1:37
	s_waitcnt vmcnt(19)
	v_fma_f64 v[128:129], -v[154:155], v[2:3], v[128:129]
	ds_read2_b64 v[0:3], v19 offset0:38 offset1:39
	s_waitcnt vmcnt(18) lgkmcnt(2)
	v_fma_f64 v[178:179], -v[154:155], v[4:5], v[178:179]
	s_waitcnt vmcnt(17)
	v_fma_f64 v[126:127], -v[154:155], v[6:7], v[126:127]
	ds_read2_b64 v[4:7], v19 offset0:40 offset1:41
	s_waitcnt vmcnt(16) lgkmcnt(2)
	v_fma_f64 v[176:177], -v[154:155], v[8:9], v[176:177]
	;; [unrolled: 5-line block ×3, first 2 shown]
	s_waitcnt vmcnt(13)
	v_fma_f64 v[122:123], -v[154:155], v[2:3], v[122:123]
	s_waitcnt vmcnt(12) lgkmcnt(1)
	v_fma_f64 v[172:173], -v[154:155], v[4:5], v[172:173]
	ds_read2_b64 v[0:3], v19 offset0:44 offset1:45
	s_waitcnt vmcnt(11)
	v_fma_f64 v[120:121], -v[154:155], v[6:7], v[120:121]
	ds_read2_b64 v[4:7], v19 offset0:46 offset1:47
	s_waitcnt vmcnt(10) lgkmcnt(2)
	v_fma_f64 v[170:171], -v[154:155], v[8:9], v[170:171]
	s_waitcnt vmcnt(9)
	v_fma_f64 v[118:119], -v[154:155], v[10:11], v[118:119]
	s_waitcnt vmcnt(8) lgkmcnt(1)
	v_fma_f64 v[168:169], -v[154:155], v[0:1], v[168:169]
	s_waitcnt vmcnt(7)
	v_fma_f64 v[116:117], -v[154:155], v[2:3], v[116:117]
	ds_read2_b64 v[0:3], v19 offset0:48 offset1:49
	ds_read2_b64 v[8:11], v19 offset0:50 offset1:51
	s_waitcnt vmcnt(6) lgkmcnt(2)
	v_fma_f64 v[166:167], -v[154:155], v[4:5], v[166:167]
	ds_read_b64 v[4:5], v19 offset:416
	s_waitcnt vmcnt(5)
	v_fma_f64 v[114:115], -v[154:155], v[6:7], v[114:115]
	s_waitcnt vmcnt(4) lgkmcnt(2)
	v_fma_f64 v[164:165], -v[154:155], v[0:1], v[164:165]
	s_waitcnt vmcnt(3)
	v_fma_f64 v[112:113], -v[154:155], v[2:3], v[112:113]
	s_waitcnt vmcnt(2) lgkmcnt(1)
	v_fma_f64 v[162:163], -v[154:155], v[8:9], v[162:163]
	;; [unrolled: 4-line block ×3, first 2 shown]
.LBB105_41:
	s_or_b64 exec, exec, s[2:3]
	v_cmp_eq_u32_e32 vcc, 8, v20
	s_waitcnt lgkmcnt(0)
	s_barrier
	s_and_saveexec_b64 s[2:3], vcc
	s_cbranch_execz .LBB105_44
; %bb.42:
	s_waitcnt vmcnt(44)
	ds_write_b64 v18, v[204:205]
	s_waitcnt vmcnt(42)
	ds_write2_b64 v19, v[152:153], v[202:203] offset0:9 offset1:10
	s_waitcnt vmcnt(40)
	ds_write2_b64 v19, v[150:151], v[200:201] offset0:11 offset1:12
	;; [unrolled: 2-line block ×22, first 2 shown]
	ds_read_b64 v[0:1], v18
	s_waitcnt lgkmcnt(0)
	v_cmp_neq_f64_e32 vcc, 0, v[0:1]
	s_and_b64 exec, exec, vcc
	s_cbranch_execz .LBB105_44
; %bb.43:
	v_div_scale_f64 v[2:3], s[6:7], v[0:1], v[0:1], 1.0
	v_rcp_f64_e32 v[4:5], v[2:3]
	v_div_scale_f64 v[6:7], vcc, 1.0, v[0:1], 1.0
	v_fma_f64 v[8:9], -v[2:3], v[4:5], 1.0
	v_fmac_f64_e32 v[4:5], v[4:5], v[8:9]
	v_fma_f64 v[8:9], -v[2:3], v[4:5], 1.0
	v_fmac_f64_e32 v[4:5], v[4:5], v[8:9]
	v_mul_f64 v[8:9], v[6:7], v[4:5]
	v_fma_f64 v[2:3], -v[2:3], v[8:9], v[6:7]
	v_div_fmas_f64 v[2:3], v[2:3], v[4:5], v[8:9]
	v_div_fixup_f64 v[0:1], v[2:3], v[0:1], 1.0
	ds_write_b64 v18, v[0:1]
.LBB105_44:
	s_or_b64 exec, exec, s[2:3]
	s_waitcnt lgkmcnt(0)
	s_barrier
	ds_read_b64 v[0:1], v18
	v_cmp_lt_u32_e32 vcc, 8, v20
	s_waitcnt lgkmcnt(0)
	buffer_store_dword v0, off, s[16:19], 0 ; 4-byte Folded Spill
	s_nop 0
	buffer_store_dword v1, off, s[16:19], 0 offset:4 ; 4-byte Folded Spill
	s_and_saveexec_b64 s[2:3], vcc
	s_cbranch_execz .LBB105_46
; %bb.45:
	ds_read2_b64 v[0:3], v19 offset0:9 offset1:10
	ds_read2_b64 v[4:7], v19 offset0:11 offset1:12
	buffer_load_dword v8, off, s[16:19], 0  ; 4-byte Folded Reload
	buffer_load_dword v9, off, s[16:19], 0 offset:4 ; 4-byte Folded Reload
	s_waitcnt vmcnt(0)
	v_mul_f64 v[204:205], v[8:9], v[204:205]
	s_waitcnt lgkmcnt(1)
	v_fma_f64 v[152:153], -v[204:205], v[0:1], v[152:153]
	ds_read2_b64 v[8:11], v19 offset0:13 offset1:14
	v_fma_f64 v[202:203], -v[204:205], v[2:3], v[202:203]
	ds_read2_b64 v[0:3], v19 offset0:15 offset1:16
	s_waitcnt lgkmcnt(2)
	v_fma_f64 v[150:151], -v[204:205], v[4:5], v[150:151]
	v_fma_f64 v[200:201], -v[204:205], v[6:7], v[200:201]
	s_waitcnt lgkmcnt(1)
	v_fma_f64 v[148:149], -v[204:205], v[8:9], v[148:149]
	ds_read2_b64 v[4:7], v19 offset0:17 offset1:18
	v_fma_f64 v[198:199], -v[204:205], v[10:11], v[198:199]
	ds_read2_b64 v[8:11], v19 offset0:19 offset1:20
	s_waitcnt lgkmcnt(2)
	v_fma_f64 v[146:147], -v[204:205], v[0:1], v[146:147]
	v_fma_f64 v[196:197], -v[204:205], v[2:3], v[196:197]
	ds_read2_b64 v[0:3], v19 offset0:21 offset1:22
	s_waitcnt lgkmcnt(2)
	v_fma_f64 v[144:145], -v[204:205], v[4:5], v[144:145]
	v_fma_f64 v[194:195], -v[204:205], v[6:7], v[194:195]
	ds_read2_b64 v[4:7], v19 offset0:23 offset1:24
	s_waitcnt lgkmcnt(2)
	v_fma_f64 v[142:143], -v[204:205], v[8:9], v[142:143]
	v_fma_f64 v[192:193], -v[204:205], v[10:11], v[192:193]
	s_waitcnt lgkmcnt(1)
	v_fma_f64 v[140:141], -v[204:205], v[0:1], v[140:141]
	ds_read2_b64 v[8:11], v19 offset0:25 offset1:26
	v_fma_f64 v[190:191], -v[204:205], v[2:3], v[190:191]
	ds_read2_b64 v[0:3], v19 offset0:27 offset1:28
	s_waitcnt lgkmcnt(2)
	v_fma_f64 v[138:139], -v[204:205], v[4:5], v[138:139]
	v_fma_f64 v[188:189], -v[204:205], v[6:7], v[188:189]
	s_waitcnt lgkmcnt(1)
	v_fma_f64 v[136:137], -v[204:205], v[8:9], v[136:137]
	ds_read2_b64 v[4:7], v19 offset0:29 offset1:30
	v_fma_f64 v[186:187], -v[204:205], v[10:11], v[186:187]
	ds_read2_b64 v[8:11], v19 offset0:31 offset1:32
	s_waitcnt lgkmcnt(2)
	v_fma_f64 v[134:135], -v[204:205], v[0:1], v[134:135]
	v_fma_f64 v[184:185], -v[204:205], v[2:3], v[184:185]
	ds_read2_b64 v[0:3], v19 offset0:33 offset1:34
	s_waitcnt lgkmcnt(2)
	v_fma_f64 v[132:133], -v[204:205], v[4:5], v[132:133]
	v_fma_f64 v[182:183], -v[204:205], v[6:7], v[182:183]
	ds_read2_b64 v[4:7], v19 offset0:35 offset1:36
	s_waitcnt lgkmcnt(2)
	v_fma_f64 v[130:131], -v[204:205], v[8:9], v[130:131]
	v_fma_f64 v[180:181], -v[204:205], v[10:11], v[180:181]
	;; [unrolled: 24-line block ×3, first 2 shown]
	s_waitcnt lgkmcnt(1)
	v_fma_f64 v[116:117], -v[204:205], v[0:1], v[116:117]
	ds_read2_b64 v[8:11], v19 offset0:49 offset1:50
	v_fma_f64 v[166:167], -v[204:205], v[2:3], v[166:167]
	ds_read2_b64 v[0:3], v19 offset0:51 offset1:52
	s_waitcnt lgkmcnt(2)
	v_fma_f64 v[114:115], -v[204:205], v[4:5], v[114:115]
	v_fma_f64 v[164:165], -v[204:205], v[6:7], v[164:165]
	s_waitcnt lgkmcnt(1)
	v_fma_f64 v[112:113], -v[204:205], v[8:9], v[112:113]
	v_fma_f64 v[162:163], -v[204:205], v[10:11], v[162:163]
	;; [unrolled: 3-line block ×3, first 2 shown]
.LBB105_46:
	s_or_b64 exec, exec, s[2:3]
	v_cmp_eq_u32_e32 vcc, 9, v20
	s_barrier
	s_and_saveexec_b64 s[2:3], vcc
	s_cbranch_execz .LBB105_49
; %bb.47:
	s_waitcnt vmcnt(44)
	v_mov_b32_e32 v0, v202
	v_mov_b32_e32 v1, v203
	s_waitcnt vmcnt(43)
	v_mov_b32_e32 v2, v150
	v_mov_b32_e32 v3, v151
	ds_write_b64 v18, v[152:153]
	ds_write2_b64 v19, v[0:1], v[2:3] offset0:10 offset1:11
	s_waitcnt vmcnt(42)
	v_mov_b32_e32 v0, v200
	v_mov_b32_e32 v1, v201
	s_waitcnt vmcnt(41)
	v_mov_b32_e32 v2, v148
	v_mov_b32_e32 v3, v149
	ds_write2_b64 v19, v[0:1], v[2:3] offset0:12 offset1:13
	s_waitcnt vmcnt(40)
	v_mov_b32_e32 v0, v198
	v_mov_b32_e32 v1, v199
	s_waitcnt vmcnt(39)
	v_mov_b32_e32 v2, v146
	v_mov_b32_e32 v3, v147
	ds_write2_b64 v19, v[0:1], v[2:3] offset0:14 offset1:15
	s_waitcnt vmcnt(38)
	v_mov_b32_e32 v0, v196
	v_mov_b32_e32 v1, v197
	s_waitcnt vmcnt(37)
	v_mov_b32_e32 v2, v144
	v_mov_b32_e32 v3, v145
	ds_write2_b64 v19, v[0:1], v[2:3] offset0:16 offset1:17
	s_waitcnt vmcnt(36)
	v_mov_b32_e32 v0, v194
	v_mov_b32_e32 v1, v195
	s_waitcnt vmcnt(35)
	v_mov_b32_e32 v2, v142
	v_mov_b32_e32 v3, v143
	ds_write2_b64 v19, v[0:1], v[2:3] offset0:18 offset1:19
	s_waitcnt vmcnt(34)
	v_mov_b32_e32 v0, v192
	v_mov_b32_e32 v1, v193
	s_waitcnt vmcnt(33)
	v_mov_b32_e32 v2, v140
	v_mov_b32_e32 v3, v141
	ds_write2_b64 v19, v[0:1], v[2:3] offset0:20 offset1:21
	s_waitcnt vmcnt(32)
	v_mov_b32_e32 v0, v190
	v_mov_b32_e32 v1, v191
	s_waitcnt vmcnt(31)
	v_mov_b32_e32 v2, v138
	v_mov_b32_e32 v3, v139
	ds_write2_b64 v19, v[0:1], v[2:3] offset0:22 offset1:23
	s_waitcnt vmcnt(30)
	v_mov_b32_e32 v0, v188
	v_mov_b32_e32 v1, v189
	s_waitcnt vmcnt(29)
	v_mov_b32_e32 v2, v136
	v_mov_b32_e32 v3, v137
	ds_write2_b64 v19, v[0:1], v[2:3] offset0:24 offset1:25
	s_waitcnt vmcnt(28)
	v_mov_b32_e32 v0, v186
	v_mov_b32_e32 v1, v187
	s_waitcnt vmcnt(27)
	v_mov_b32_e32 v2, v134
	v_mov_b32_e32 v3, v135
	ds_write2_b64 v19, v[0:1], v[2:3] offset0:26 offset1:27
	s_waitcnt vmcnt(26)
	v_mov_b32_e32 v0, v184
	v_mov_b32_e32 v1, v185
	s_waitcnt vmcnt(25)
	v_mov_b32_e32 v2, v132
	v_mov_b32_e32 v3, v133
	ds_write2_b64 v19, v[0:1], v[2:3] offset0:28 offset1:29
	s_waitcnt vmcnt(24)
	v_mov_b32_e32 v0, v182
	v_mov_b32_e32 v1, v183
	s_waitcnt vmcnt(23)
	v_mov_b32_e32 v2, v130
	v_mov_b32_e32 v3, v131
	ds_write2_b64 v19, v[0:1], v[2:3] offset0:30 offset1:31
	s_waitcnt vmcnt(22)
	v_mov_b32_e32 v0, v180
	v_mov_b32_e32 v1, v181
	s_waitcnt vmcnt(21)
	v_mov_b32_e32 v2, v128
	v_mov_b32_e32 v3, v129
	ds_write2_b64 v19, v[0:1], v[2:3] offset0:32 offset1:33
	s_waitcnt vmcnt(20)
	v_mov_b32_e32 v0, v178
	v_mov_b32_e32 v1, v179
	s_waitcnt vmcnt(19)
	v_mov_b32_e32 v2, v126
	v_mov_b32_e32 v3, v127
	ds_write2_b64 v19, v[0:1], v[2:3] offset0:34 offset1:35
	s_waitcnt vmcnt(18)
	v_mov_b32_e32 v0, v176
	v_mov_b32_e32 v1, v177
	s_waitcnt vmcnt(17)
	v_mov_b32_e32 v2, v124
	v_mov_b32_e32 v3, v125
	ds_write2_b64 v19, v[0:1], v[2:3] offset0:36 offset1:37
	s_waitcnt vmcnt(16)
	v_mov_b32_e32 v0, v174
	v_mov_b32_e32 v1, v175
	s_waitcnt vmcnt(15)
	v_mov_b32_e32 v2, v122
	v_mov_b32_e32 v3, v123
	ds_write2_b64 v19, v[0:1], v[2:3] offset0:38 offset1:39
	s_waitcnt vmcnt(14)
	v_mov_b32_e32 v0, v172
	v_mov_b32_e32 v1, v173
	s_waitcnt vmcnt(13)
	v_mov_b32_e32 v2, v120
	v_mov_b32_e32 v3, v121
	ds_write2_b64 v19, v[0:1], v[2:3] offset0:40 offset1:41
	s_waitcnt vmcnt(12)
	v_mov_b32_e32 v0, v170
	v_mov_b32_e32 v1, v171
	s_waitcnt vmcnt(11)
	v_mov_b32_e32 v2, v118
	v_mov_b32_e32 v3, v119
	ds_write2_b64 v19, v[0:1], v[2:3] offset0:42 offset1:43
	s_waitcnt vmcnt(10)
	v_mov_b32_e32 v0, v168
	v_mov_b32_e32 v1, v169
	s_waitcnt vmcnt(9)
	v_mov_b32_e32 v2, v116
	v_mov_b32_e32 v3, v117
	ds_write2_b64 v19, v[0:1], v[2:3] offset0:44 offset1:45
	s_waitcnt vmcnt(8)
	v_mov_b32_e32 v0, v166
	v_mov_b32_e32 v1, v167
	s_waitcnt vmcnt(7)
	v_mov_b32_e32 v2, v114
	v_mov_b32_e32 v3, v115
	ds_write2_b64 v19, v[0:1], v[2:3] offset0:46 offset1:47
	s_waitcnt vmcnt(6)
	v_mov_b32_e32 v0, v164
	v_mov_b32_e32 v1, v165
	s_waitcnt vmcnt(5)
	v_mov_b32_e32 v2, v112
	v_mov_b32_e32 v3, v113
	ds_write2_b64 v19, v[0:1], v[2:3] offset0:48 offset1:49
	s_waitcnt vmcnt(4)
	v_mov_b32_e32 v0, v162
	v_mov_b32_e32 v1, v163
	s_waitcnt vmcnt(3)
	v_mov_b32_e32 v2, v110
	v_mov_b32_e32 v3, v111
	ds_write2_b64 v19, v[0:1], v[2:3] offset0:50 offset1:51
	s_waitcnt vmcnt(2)
	ds_write_b64 v19, v[212:213] offset:416
	ds_read_b64 v[0:1], v18
	s_waitcnt lgkmcnt(0)
	v_cmp_neq_f64_e32 vcc, 0, v[0:1]
	s_and_b64 exec, exec, vcc
	s_cbranch_execz .LBB105_49
; %bb.48:
	v_div_scale_f64 v[2:3], s[6:7], v[0:1], v[0:1], 1.0
	v_rcp_f64_e32 v[4:5], v[2:3]
	v_div_scale_f64 v[6:7], vcc, 1.0, v[0:1], 1.0
	v_fma_f64 v[8:9], -v[2:3], v[4:5], 1.0
	v_fmac_f64_e32 v[4:5], v[4:5], v[8:9]
	v_fma_f64 v[8:9], -v[2:3], v[4:5], 1.0
	v_fmac_f64_e32 v[4:5], v[4:5], v[8:9]
	v_mul_f64 v[8:9], v[6:7], v[4:5]
	v_fma_f64 v[2:3], -v[2:3], v[8:9], v[6:7]
	v_div_fmas_f64 v[2:3], v[2:3], v[4:5], v[8:9]
	v_div_fixup_f64 v[0:1], v[2:3], v[0:1], 1.0
	ds_write_b64 v18, v[0:1]
.LBB105_49:
	s_or_b64 exec, exec, s[2:3]
	s_waitcnt lgkmcnt(0)
	s_barrier
	ds_read_b64 v[0:1], v18
	v_cmp_lt_u32_e32 vcc, 9, v20
	s_waitcnt lgkmcnt(0)
	buffer_store_dword v0, off, s[16:19], 0 offset:8 ; 4-byte Folded Spill
	s_nop 0
	buffer_store_dword v1, off, s[16:19], 0 offset:12 ; 4-byte Folded Spill
	s_and_saveexec_b64 s[2:3], vcc
	s_cbranch_execz .LBB105_51
; %bb.50:
	ds_read2_b64 v[0:3], v19 offset0:10 offset1:11
	ds_read2_b64 v[4:7], v19 offset0:12 offset1:13
	buffer_load_dword v8, off, s[16:19], 0 offset:8 ; 4-byte Folded Reload
	buffer_load_dword v9, off, s[16:19], 0 offset:12 ; 4-byte Folded Reload
	s_waitcnt vmcnt(0)
	v_mul_f64 v[152:153], v[8:9], v[152:153]
	s_waitcnt lgkmcnt(1)
	v_fma_f64 v[202:203], -v[152:153], v[0:1], v[202:203]
	ds_read2_b64 v[8:11], v19 offset0:14 offset1:15
	v_fma_f64 v[150:151], -v[152:153], v[2:3], v[150:151]
	ds_read2_b64 v[0:3], v19 offset0:16 offset1:17
	s_waitcnt lgkmcnt(2)
	v_fma_f64 v[200:201], -v[152:153], v[4:5], v[200:201]
	v_fma_f64 v[148:149], -v[152:153], v[6:7], v[148:149]
	s_waitcnt lgkmcnt(1)
	v_fma_f64 v[198:199], -v[152:153], v[8:9], v[198:199]
	ds_read2_b64 v[4:7], v19 offset0:18 offset1:19
	v_fma_f64 v[146:147], -v[152:153], v[10:11], v[146:147]
	ds_read2_b64 v[8:11], v19 offset0:20 offset1:21
	s_waitcnt lgkmcnt(2)
	v_fma_f64 v[196:197], -v[152:153], v[0:1], v[196:197]
	v_fma_f64 v[144:145], -v[152:153], v[2:3], v[144:145]
	ds_read2_b64 v[0:3], v19 offset0:22 offset1:23
	s_waitcnt lgkmcnt(2)
	v_fma_f64 v[194:195], -v[152:153], v[4:5], v[194:195]
	v_fma_f64 v[142:143], -v[152:153], v[6:7], v[142:143]
	ds_read2_b64 v[4:7], v19 offset0:24 offset1:25
	s_waitcnt lgkmcnt(2)
	v_fma_f64 v[192:193], -v[152:153], v[8:9], v[192:193]
	v_fma_f64 v[140:141], -v[152:153], v[10:11], v[140:141]
	s_waitcnt lgkmcnt(1)
	v_fma_f64 v[190:191], -v[152:153], v[0:1], v[190:191]
	ds_read2_b64 v[8:11], v19 offset0:26 offset1:27
	v_fma_f64 v[138:139], -v[152:153], v[2:3], v[138:139]
	ds_read2_b64 v[0:3], v19 offset0:28 offset1:29
	s_waitcnt lgkmcnt(2)
	v_fma_f64 v[188:189], -v[152:153], v[4:5], v[188:189]
	v_fma_f64 v[136:137], -v[152:153], v[6:7], v[136:137]
	s_waitcnt lgkmcnt(1)
	v_fma_f64 v[186:187], -v[152:153], v[8:9], v[186:187]
	ds_read2_b64 v[4:7], v19 offset0:30 offset1:31
	v_fma_f64 v[134:135], -v[152:153], v[10:11], v[134:135]
	ds_read2_b64 v[8:11], v19 offset0:32 offset1:33
	s_waitcnt lgkmcnt(2)
	v_fma_f64 v[184:185], -v[152:153], v[0:1], v[184:185]
	v_fma_f64 v[132:133], -v[152:153], v[2:3], v[132:133]
	ds_read2_b64 v[0:3], v19 offset0:34 offset1:35
	s_waitcnt lgkmcnt(2)
	v_fma_f64 v[182:183], -v[152:153], v[4:5], v[182:183]
	v_fma_f64 v[130:131], -v[152:153], v[6:7], v[130:131]
	ds_read2_b64 v[4:7], v19 offset0:36 offset1:37
	s_waitcnt lgkmcnt(2)
	v_fma_f64 v[180:181], -v[152:153], v[8:9], v[180:181]
	v_fma_f64 v[128:129], -v[152:153], v[10:11], v[128:129]
	;; [unrolled: 24-line block ×3, first 2 shown]
	s_waitcnt lgkmcnt(1)
	v_fma_f64 v[166:167], -v[152:153], v[0:1], v[166:167]
	ds_read2_b64 v[8:11], v19 offset0:50 offset1:51
	ds_read_b64 v[0:1], v19 offset:416
	v_fma_f64 v[114:115], -v[152:153], v[2:3], v[114:115]
	s_waitcnt lgkmcnt(2)
	v_fma_f64 v[164:165], -v[152:153], v[4:5], v[164:165]
	v_fma_f64 v[112:113], -v[152:153], v[6:7], v[112:113]
	s_waitcnt lgkmcnt(1)
	v_fma_f64 v[162:163], -v[152:153], v[8:9], v[162:163]
	v_fma_f64 v[110:111], -v[152:153], v[10:11], v[110:111]
	s_waitcnt lgkmcnt(0)
	v_fma_f64 v[212:213], -v[152:153], v[0:1], v[212:213]
.LBB105_51:
	s_or_b64 exec, exec, s[2:3]
	v_cmp_eq_u32_e32 vcc, 10, v20
	s_barrier
	s_and_saveexec_b64 s[2:3], vcc
	s_cbranch_execz .LBB105_54
; %bb.52:
	s_waitcnt vmcnt(46)
	ds_write_b64 v18, v[202:203]
	s_waitcnt vmcnt(44)
	ds_write2_b64 v19, v[150:151], v[200:201] offset0:11 offset1:12
	s_waitcnt vmcnt(42)
	ds_write2_b64 v19, v[148:149], v[198:199] offset0:13 offset1:14
	;; [unrolled: 2-line block ×21, first 2 shown]
	ds_read_b64 v[0:1], v18
	s_waitcnt lgkmcnt(0)
	v_cmp_neq_f64_e32 vcc, 0, v[0:1]
	s_and_b64 exec, exec, vcc
	s_cbranch_execz .LBB105_54
; %bb.53:
	v_div_scale_f64 v[2:3], s[6:7], v[0:1], v[0:1], 1.0
	v_rcp_f64_e32 v[4:5], v[2:3]
	v_div_scale_f64 v[6:7], vcc, 1.0, v[0:1], 1.0
	v_fma_f64 v[8:9], -v[2:3], v[4:5], 1.0
	v_fmac_f64_e32 v[4:5], v[4:5], v[8:9]
	v_fma_f64 v[8:9], -v[2:3], v[4:5], 1.0
	v_fmac_f64_e32 v[4:5], v[4:5], v[8:9]
	v_mul_f64 v[8:9], v[6:7], v[4:5]
	v_fma_f64 v[2:3], -v[2:3], v[8:9], v[6:7]
	v_div_fmas_f64 v[2:3], v[2:3], v[4:5], v[8:9]
	v_div_fixup_f64 v[0:1], v[2:3], v[0:1], 1.0
	ds_write_b64 v18, v[0:1]
.LBB105_54:
	s_or_b64 exec, exec, s[2:3]
	s_waitcnt lgkmcnt(0)
	s_barrier
	ds_read_b64 v[0:1], v18
	v_cmp_lt_u32_e32 vcc, 10, v20
	s_waitcnt lgkmcnt(0)
	buffer_store_dword v0, off, s[16:19], 0 offset:16 ; 4-byte Folded Spill
	s_nop 0
	buffer_store_dword v1, off, s[16:19], 0 offset:20 ; 4-byte Folded Spill
	s_and_saveexec_b64 s[2:3], vcc
	s_cbranch_execz .LBB105_56
; %bb.55:
	ds_read2_b64 v[0:3], v19 offset0:11 offset1:12
	ds_read2_b64 v[4:7], v19 offset0:13 offset1:14
	buffer_load_dword v8, off, s[16:19], 0 offset:16 ; 4-byte Folded Reload
	buffer_load_dword v9, off, s[16:19], 0 offset:20 ; 4-byte Folded Reload
	s_waitcnt vmcnt(0)
	v_mul_f64 v[202:203], v[8:9], v[202:203]
	ds_read2_b64 v[8:11], v19 offset0:15 offset1:16
	s_waitcnt lgkmcnt(2)
	v_fma_f64 v[150:151], -v[202:203], v[0:1], v[150:151]
	v_fma_f64 v[200:201], -v[202:203], v[2:3], v[200:201]
	ds_read2_b64 v[0:3], v19 offset0:17 offset1:18
	s_waitcnt lgkmcnt(2)
	v_fma_f64 v[148:149], -v[202:203], v[4:5], v[148:149]
	v_fma_f64 v[198:199], -v[202:203], v[6:7], v[198:199]
	s_waitcnt lgkmcnt(1)
	v_fma_f64 v[146:147], -v[202:203], v[8:9], v[146:147]
	ds_read2_b64 v[4:7], v19 offset0:19 offset1:20
	v_fma_f64 v[196:197], -v[202:203], v[10:11], v[196:197]
	ds_read2_b64 v[8:11], v19 offset0:21 offset1:22
	s_waitcnt lgkmcnt(2)
	v_fma_f64 v[144:145], -v[202:203], v[0:1], v[144:145]
	v_fma_f64 v[194:195], -v[202:203], v[2:3], v[194:195]
	s_waitcnt lgkmcnt(1)
	v_fma_f64 v[142:143], -v[202:203], v[4:5], v[142:143]
	ds_read2_b64 v[0:3], v19 offset0:23 offset1:24
	v_fma_f64 v[192:193], -v[202:203], v[6:7], v[192:193]
	ds_read2_b64 v[4:7], v19 offset0:25 offset1:26
	s_waitcnt lgkmcnt(2)
	v_fma_f64 v[140:141], -v[202:203], v[8:9], v[140:141]
	v_fma_f64 v[190:191], -v[202:203], v[10:11], v[190:191]
	ds_read2_b64 v[8:11], v19 offset0:27 offset1:28
	s_waitcnt lgkmcnt(2)
	v_fma_f64 v[138:139], -v[202:203], v[0:1], v[138:139]
	;; [unrolled: 4-line block ×3, first 2 shown]
	v_fma_f64 v[186:187], -v[202:203], v[6:7], v[186:187]
	s_waitcnt lgkmcnt(1)
	v_fma_f64 v[134:135], -v[202:203], v[8:9], v[134:135]
	ds_read2_b64 v[4:7], v19 offset0:31 offset1:32
	v_fma_f64 v[184:185], -v[202:203], v[10:11], v[184:185]
	ds_read2_b64 v[8:11], v19 offset0:33 offset1:34
	s_waitcnt lgkmcnt(2)
	v_fma_f64 v[132:133], -v[202:203], v[0:1], v[132:133]
	v_fma_f64 v[182:183], -v[202:203], v[2:3], v[182:183]
	s_waitcnt lgkmcnt(1)
	v_fma_f64 v[130:131], -v[202:203], v[4:5], v[130:131]
	ds_read2_b64 v[0:3], v19 offset0:35 offset1:36
	v_fma_f64 v[180:181], -v[202:203], v[6:7], v[180:181]
	ds_read2_b64 v[4:7], v19 offset0:37 offset1:38
	s_waitcnt lgkmcnt(2)
	v_fma_f64 v[128:129], -v[202:203], v[8:9], v[128:129]
	v_fma_f64 v[178:179], -v[202:203], v[10:11], v[178:179]
	ds_read2_b64 v[8:11], v19 offset0:39 offset1:40
	s_waitcnt lgkmcnt(2)
	v_fma_f64 v[126:127], -v[202:203], v[0:1], v[126:127]
	;; [unrolled: 4-line block ×3, first 2 shown]
	v_fma_f64 v[174:175], -v[202:203], v[6:7], v[174:175]
	s_waitcnt lgkmcnt(1)
	v_fma_f64 v[122:123], -v[202:203], v[8:9], v[122:123]
	ds_read2_b64 v[4:7], v19 offset0:43 offset1:44
	v_fma_f64 v[172:173], -v[202:203], v[10:11], v[172:173]
	ds_read2_b64 v[8:11], v19 offset0:45 offset1:46
	s_waitcnt lgkmcnt(2)
	v_fma_f64 v[120:121], -v[202:203], v[0:1], v[120:121]
	v_fma_f64 v[170:171], -v[202:203], v[2:3], v[170:171]
	s_waitcnt lgkmcnt(1)
	v_fma_f64 v[118:119], -v[202:203], v[4:5], v[118:119]
	v_fma_f64 v[168:169], -v[202:203], v[6:7], v[168:169]
	ds_read2_b64 v[0:3], v19 offset0:47 offset1:48
	ds_read2_b64 v[4:7], v19 offset0:49 offset1:50
	s_waitcnt lgkmcnt(2)
	v_fma_f64 v[116:117], -v[202:203], v[8:9], v[116:117]
	v_fma_f64 v[166:167], -v[202:203], v[10:11], v[166:167]
	ds_read2_b64 v[8:11], v19 offset0:51 offset1:52
	s_waitcnt lgkmcnt(2)
	v_fma_f64 v[114:115], -v[202:203], v[0:1], v[114:115]
	v_fma_f64 v[164:165], -v[202:203], v[2:3], v[164:165]
	s_waitcnt lgkmcnt(1)
	v_fma_f64 v[112:113], -v[202:203], v[4:5], v[112:113]
	v_fma_f64 v[162:163], -v[202:203], v[6:7], v[162:163]
	s_waitcnt lgkmcnt(0)
	v_fma_f64 v[110:111], -v[202:203], v[8:9], v[110:111]
	v_fma_f64 v[212:213], -v[202:203], v[10:11], v[212:213]
.LBB105_56:
	s_or_b64 exec, exec, s[2:3]
	v_cmp_eq_u32_e32 vcc, 11, v20
	s_barrier
	s_and_saveexec_b64 s[2:3], vcc
	s_cbranch_execz .LBB105_59
; %bb.57:
	s_waitcnt vmcnt(46)
	v_mov_b32_e32 v0, v200
	v_mov_b32_e32 v1, v201
	s_waitcnt vmcnt(45)
	v_mov_b32_e32 v2, v148
	v_mov_b32_e32 v3, v149
	ds_write_b64 v18, v[150:151]
	ds_write2_b64 v19, v[0:1], v[2:3] offset0:12 offset1:13
	s_waitcnt vmcnt(44)
	v_mov_b32_e32 v0, v198
	v_mov_b32_e32 v1, v199
	s_waitcnt vmcnt(43)
	v_mov_b32_e32 v2, v146
	v_mov_b32_e32 v3, v147
	ds_write2_b64 v19, v[0:1], v[2:3] offset0:14 offset1:15
	s_waitcnt vmcnt(42)
	v_mov_b32_e32 v0, v196
	v_mov_b32_e32 v1, v197
	s_waitcnt vmcnt(41)
	v_mov_b32_e32 v2, v144
	v_mov_b32_e32 v3, v145
	;; [unrolled: 7-line block ×19, first 2 shown]
	ds_write2_b64 v19, v[0:1], v[2:3] offset0:50 offset1:51
	s_waitcnt vmcnt(6)
	ds_write_b64 v19, v[212:213] offset:416
	ds_read_b64 v[0:1], v18
	s_waitcnt lgkmcnt(0)
	v_cmp_neq_f64_e32 vcc, 0, v[0:1]
	s_and_b64 exec, exec, vcc
	s_cbranch_execz .LBB105_59
; %bb.58:
	v_div_scale_f64 v[2:3], s[6:7], v[0:1], v[0:1], 1.0
	v_rcp_f64_e32 v[4:5], v[2:3]
	v_div_scale_f64 v[6:7], vcc, 1.0, v[0:1], 1.0
	v_fma_f64 v[8:9], -v[2:3], v[4:5], 1.0
	v_fmac_f64_e32 v[4:5], v[4:5], v[8:9]
	v_fma_f64 v[8:9], -v[2:3], v[4:5], 1.0
	v_fmac_f64_e32 v[4:5], v[4:5], v[8:9]
	v_mul_f64 v[8:9], v[6:7], v[4:5]
	v_fma_f64 v[2:3], -v[2:3], v[8:9], v[6:7]
	v_div_fmas_f64 v[2:3], v[2:3], v[4:5], v[8:9]
	v_div_fixup_f64 v[0:1], v[2:3], v[0:1], 1.0
	ds_write_b64 v18, v[0:1]
.LBB105_59:
	s_or_b64 exec, exec, s[2:3]
	s_waitcnt lgkmcnt(0)
	s_barrier
	ds_read_b64 v[0:1], v18
	v_cmp_lt_u32_e32 vcc, 11, v20
	s_waitcnt lgkmcnt(0)
	buffer_store_dword v0, off, s[16:19], 0 offset:24 ; 4-byte Folded Spill
	s_nop 0
	buffer_store_dword v1, off, s[16:19], 0 offset:28 ; 4-byte Folded Spill
	s_and_saveexec_b64 s[2:3], vcc
	s_cbranch_execz .LBB105_61
; %bb.60:
	ds_read2_b64 v[0:3], v19 offset0:12 offset1:13
	ds_read2_b64 v[4:7], v19 offset0:14 offset1:15
	buffer_load_dword v8, off, s[16:19], 0 offset:24 ; 4-byte Folded Reload
	buffer_load_dword v9, off, s[16:19], 0 offset:28 ; 4-byte Folded Reload
	s_waitcnt vmcnt(0)
	v_mul_f64 v[150:151], v[8:9], v[150:151]
	ds_read2_b64 v[8:11], v19 offset0:16 offset1:17
	s_waitcnt lgkmcnt(2)
	v_fma_f64 v[200:201], -v[150:151], v[0:1], v[200:201]
	v_fma_f64 v[148:149], -v[150:151], v[2:3], v[148:149]
	ds_read2_b64 v[0:3], v19 offset0:18 offset1:19
	s_waitcnt lgkmcnt(2)
	v_fma_f64 v[198:199], -v[150:151], v[4:5], v[198:199]
	v_fma_f64 v[146:147], -v[150:151], v[6:7], v[146:147]
	s_waitcnt lgkmcnt(1)
	v_fma_f64 v[196:197], -v[150:151], v[8:9], v[196:197]
	ds_read2_b64 v[4:7], v19 offset0:20 offset1:21
	v_fma_f64 v[144:145], -v[150:151], v[10:11], v[144:145]
	ds_read2_b64 v[8:11], v19 offset0:22 offset1:23
	s_waitcnt lgkmcnt(2)
	v_fma_f64 v[194:195], -v[150:151], v[0:1], v[194:195]
	v_fma_f64 v[142:143], -v[150:151], v[2:3], v[142:143]
	s_waitcnt lgkmcnt(1)
	v_fma_f64 v[192:193], -v[150:151], v[4:5], v[192:193]
	ds_read2_b64 v[0:3], v19 offset0:24 offset1:25
	v_fma_f64 v[140:141], -v[150:151], v[6:7], v[140:141]
	ds_read2_b64 v[4:7], v19 offset0:26 offset1:27
	s_waitcnt lgkmcnt(2)
	v_fma_f64 v[190:191], -v[150:151], v[8:9], v[190:191]
	v_fma_f64 v[138:139], -v[150:151], v[10:11], v[138:139]
	ds_read2_b64 v[8:11], v19 offset0:28 offset1:29
	s_waitcnt lgkmcnt(2)
	v_fma_f64 v[188:189], -v[150:151], v[0:1], v[188:189]
	;; [unrolled: 4-line block ×3, first 2 shown]
	v_fma_f64 v[134:135], -v[150:151], v[6:7], v[134:135]
	s_waitcnt lgkmcnt(1)
	v_fma_f64 v[184:185], -v[150:151], v[8:9], v[184:185]
	ds_read2_b64 v[4:7], v19 offset0:32 offset1:33
	v_fma_f64 v[132:133], -v[150:151], v[10:11], v[132:133]
	ds_read2_b64 v[8:11], v19 offset0:34 offset1:35
	s_waitcnt lgkmcnt(2)
	v_fma_f64 v[182:183], -v[150:151], v[0:1], v[182:183]
	v_fma_f64 v[130:131], -v[150:151], v[2:3], v[130:131]
	s_waitcnt lgkmcnt(1)
	v_fma_f64 v[180:181], -v[150:151], v[4:5], v[180:181]
	ds_read2_b64 v[0:3], v19 offset0:36 offset1:37
	v_fma_f64 v[128:129], -v[150:151], v[6:7], v[128:129]
	ds_read2_b64 v[4:7], v19 offset0:38 offset1:39
	s_waitcnt lgkmcnt(2)
	v_fma_f64 v[178:179], -v[150:151], v[8:9], v[178:179]
	v_fma_f64 v[126:127], -v[150:151], v[10:11], v[126:127]
	ds_read2_b64 v[8:11], v19 offset0:40 offset1:41
	s_waitcnt lgkmcnt(2)
	v_fma_f64 v[176:177], -v[150:151], v[0:1], v[176:177]
	;; [unrolled: 4-line block ×3, first 2 shown]
	v_fma_f64 v[122:123], -v[150:151], v[6:7], v[122:123]
	s_waitcnt lgkmcnt(1)
	v_fma_f64 v[172:173], -v[150:151], v[8:9], v[172:173]
	ds_read2_b64 v[4:7], v19 offset0:44 offset1:45
	v_fma_f64 v[120:121], -v[150:151], v[10:11], v[120:121]
	ds_read2_b64 v[8:11], v19 offset0:46 offset1:47
	s_waitcnt lgkmcnt(2)
	v_fma_f64 v[170:171], -v[150:151], v[0:1], v[170:171]
	v_fma_f64 v[118:119], -v[150:151], v[2:3], v[118:119]
	s_waitcnt lgkmcnt(1)
	v_fma_f64 v[168:169], -v[150:151], v[4:5], v[168:169]
	v_fma_f64 v[116:117], -v[150:151], v[6:7], v[116:117]
	ds_read2_b64 v[0:3], v19 offset0:48 offset1:49
	ds_read2_b64 v[4:7], v19 offset0:50 offset1:51
	s_waitcnt lgkmcnt(2)
	v_fma_f64 v[166:167], -v[150:151], v[8:9], v[166:167]
	ds_read_b64 v[8:9], v19 offset:416
	v_fma_f64 v[114:115], -v[150:151], v[10:11], v[114:115]
	s_waitcnt lgkmcnt(2)
	v_fma_f64 v[164:165], -v[150:151], v[0:1], v[164:165]
	v_fma_f64 v[112:113], -v[150:151], v[2:3], v[112:113]
	s_waitcnt lgkmcnt(1)
	v_fma_f64 v[162:163], -v[150:151], v[4:5], v[162:163]
	;; [unrolled: 3-line block ×3, first 2 shown]
.LBB105_61:
	s_or_b64 exec, exec, s[2:3]
	v_cmp_eq_u32_e32 vcc, 12, v20
	s_barrier
	s_and_saveexec_b64 s[2:3], vcc
	s_cbranch_execz .LBB105_64
; %bb.62:
	s_waitcnt vmcnt(48)
	ds_write_b64 v18, v[200:201]
	s_waitcnt vmcnt(46)
	ds_write2_b64 v19, v[148:149], v[198:199] offset0:13 offset1:14
	s_waitcnt vmcnt(44)
	ds_write2_b64 v19, v[146:147], v[196:197] offset0:15 offset1:16
	;; [unrolled: 2-line block ×20, first 2 shown]
	ds_read_b64 v[0:1], v18
	s_waitcnt lgkmcnt(0)
	v_cmp_neq_f64_e32 vcc, 0, v[0:1]
	s_and_b64 exec, exec, vcc
	s_cbranch_execz .LBB105_64
; %bb.63:
	v_div_scale_f64 v[2:3], s[6:7], v[0:1], v[0:1], 1.0
	v_rcp_f64_e32 v[4:5], v[2:3]
	v_div_scale_f64 v[6:7], vcc, 1.0, v[0:1], 1.0
	v_fma_f64 v[8:9], -v[2:3], v[4:5], 1.0
	v_fmac_f64_e32 v[4:5], v[4:5], v[8:9]
	v_fma_f64 v[8:9], -v[2:3], v[4:5], 1.0
	v_fmac_f64_e32 v[4:5], v[4:5], v[8:9]
	v_mul_f64 v[8:9], v[6:7], v[4:5]
	v_fma_f64 v[2:3], -v[2:3], v[8:9], v[6:7]
	v_div_fmas_f64 v[2:3], v[2:3], v[4:5], v[8:9]
	v_div_fixup_f64 v[0:1], v[2:3], v[0:1], 1.0
	ds_write_b64 v18, v[0:1]
.LBB105_64:
	s_or_b64 exec, exec, s[2:3]
	s_waitcnt lgkmcnt(0)
	s_barrier
	ds_read_b64 v[0:1], v18
	v_cmp_lt_u32_e32 vcc, 12, v20
	s_waitcnt lgkmcnt(0)
	buffer_store_dword v0, off, s[16:19], 0 offset:32 ; 4-byte Folded Spill
	s_nop 0
	buffer_store_dword v1, off, s[16:19], 0 offset:36 ; 4-byte Folded Spill
	s_and_saveexec_b64 s[2:3], vcc
	s_cbranch_execz .LBB105_66
; %bb.65:
	ds_read2_b64 v[0:3], v19 offset0:13 offset1:14
	ds_read2_b64 v[4:7], v19 offset0:15 offset1:16
	buffer_load_dword v8, off, s[16:19], 0 offset:32 ; 4-byte Folded Reload
	buffer_load_dword v9, off, s[16:19], 0 offset:36 ; 4-byte Folded Reload
	s_waitcnt vmcnt(0)
	v_mul_f64 v[200:201], v[8:9], v[200:201]
	s_waitcnt lgkmcnt(1)
	v_fma_f64 v[148:149], -v[200:201], v[0:1], v[148:149]
	ds_read2_b64 v[8:11], v19 offset0:17 offset1:18
	v_fma_f64 v[198:199], -v[200:201], v[2:3], v[198:199]
	ds_read2_b64 v[0:3], v19 offset0:19 offset1:20
	s_waitcnt lgkmcnt(2)
	v_fma_f64 v[146:147], -v[200:201], v[4:5], v[146:147]
	v_fma_f64 v[196:197], -v[200:201], v[6:7], v[196:197]
	ds_read2_b64 v[4:7], v19 offset0:21 offset1:22
	s_waitcnt lgkmcnt(2)
	v_fma_f64 v[144:145], -v[200:201], v[8:9], v[144:145]
	;; [unrolled: 4-line block ×3, first 2 shown]
	v_fma_f64 v[192:193], -v[200:201], v[2:3], v[192:193]
	s_waitcnt lgkmcnt(1)
	v_fma_f64 v[140:141], -v[200:201], v[4:5], v[140:141]
	ds_read2_b64 v[0:3], v19 offset0:25 offset1:26
	v_fma_f64 v[190:191], -v[200:201], v[6:7], v[190:191]
	ds_read2_b64 v[4:7], v19 offset0:27 offset1:28
	s_waitcnt lgkmcnt(2)
	v_fma_f64 v[138:139], -v[200:201], v[8:9], v[138:139]
	v_fma_f64 v[188:189], -v[200:201], v[10:11], v[188:189]
	s_waitcnt lgkmcnt(1)
	v_fma_f64 v[136:137], -v[200:201], v[0:1], v[136:137]
	ds_read2_b64 v[8:11], v19 offset0:29 offset1:30
	v_fma_f64 v[186:187], -v[200:201], v[2:3], v[186:187]
	ds_read2_b64 v[0:3], v19 offset0:31 offset1:32
	s_waitcnt lgkmcnt(2)
	v_fma_f64 v[134:135], -v[200:201], v[4:5], v[134:135]
	v_fma_f64 v[184:185], -v[200:201], v[6:7], v[184:185]
	ds_read2_b64 v[4:7], v19 offset0:33 offset1:34
	s_waitcnt lgkmcnt(2)
	v_fma_f64 v[132:133], -v[200:201], v[8:9], v[132:133]
	;; [unrolled: 4-line block ×3, first 2 shown]
	v_fma_f64 v[180:181], -v[200:201], v[2:3], v[180:181]
	s_waitcnt lgkmcnt(1)
	v_fma_f64 v[128:129], -v[200:201], v[4:5], v[128:129]
	ds_read2_b64 v[0:3], v19 offset0:37 offset1:38
	v_fma_f64 v[178:179], -v[200:201], v[6:7], v[178:179]
	ds_read2_b64 v[4:7], v19 offset0:39 offset1:40
	s_waitcnt lgkmcnt(2)
	v_fma_f64 v[126:127], -v[200:201], v[8:9], v[126:127]
	v_fma_f64 v[176:177], -v[200:201], v[10:11], v[176:177]
	s_waitcnt lgkmcnt(1)
	v_fma_f64 v[124:125], -v[200:201], v[0:1], v[124:125]
	ds_read2_b64 v[8:11], v19 offset0:41 offset1:42
	v_fma_f64 v[174:175], -v[200:201], v[2:3], v[174:175]
	ds_read2_b64 v[0:3], v19 offset0:43 offset1:44
	s_waitcnt lgkmcnt(2)
	v_fma_f64 v[122:123], -v[200:201], v[4:5], v[122:123]
	v_fma_f64 v[172:173], -v[200:201], v[6:7], v[172:173]
	ds_read2_b64 v[4:7], v19 offset0:45 offset1:46
	s_waitcnt lgkmcnt(2)
	v_fma_f64 v[120:121], -v[200:201], v[8:9], v[120:121]
	v_fma_f64 v[170:171], -v[200:201], v[10:11], v[170:171]
	s_waitcnt lgkmcnt(1)
	v_fma_f64 v[118:119], -v[200:201], v[0:1], v[118:119]
	v_fma_f64 v[168:169], -v[200:201], v[2:3], v[168:169]
	ds_read2_b64 v[0:3], v19 offset0:47 offset1:48
	s_waitcnt lgkmcnt(1)
	v_fma_f64 v[116:117], -v[200:201], v[4:5], v[116:117]
	ds_read2_b64 v[8:11], v19 offset0:49 offset1:50
	v_fma_f64 v[166:167], -v[200:201], v[6:7], v[166:167]
	ds_read2_b64 v[4:7], v19 offset0:51 offset1:52
	s_waitcnt lgkmcnt(2)
	v_fma_f64 v[114:115], -v[200:201], v[0:1], v[114:115]
	v_fma_f64 v[164:165], -v[200:201], v[2:3], v[164:165]
	s_waitcnt lgkmcnt(1)
	v_fma_f64 v[112:113], -v[200:201], v[8:9], v[112:113]
	v_fma_f64 v[162:163], -v[200:201], v[10:11], v[162:163]
	;; [unrolled: 3-line block ×3, first 2 shown]
.LBB105_66:
	s_or_b64 exec, exec, s[2:3]
	v_cmp_eq_u32_e32 vcc, 13, v20
	s_barrier
	s_and_saveexec_b64 s[2:3], vcc
	s_cbranch_execz .LBB105_69
; %bb.67:
	s_waitcnt vmcnt(48)
	v_mov_b32_e32 v0, v198
	v_mov_b32_e32 v1, v199
	s_waitcnt vmcnt(47)
	v_mov_b32_e32 v2, v146
	v_mov_b32_e32 v3, v147
	ds_write_b64 v18, v[148:149]
	ds_write2_b64 v19, v[0:1], v[2:3] offset0:14 offset1:15
	s_waitcnt vmcnt(46)
	v_mov_b32_e32 v0, v196
	v_mov_b32_e32 v1, v197
	s_waitcnt vmcnt(45)
	v_mov_b32_e32 v2, v144
	v_mov_b32_e32 v3, v145
	ds_write2_b64 v19, v[0:1], v[2:3] offset0:16 offset1:17
	s_waitcnt vmcnt(44)
	v_mov_b32_e32 v0, v194
	v_mov_b32_e32 v1, v195
	s_waitcnt vmcnt(43)
	v_mov_b32_e32 v2, v142
	v_mov_b32_e32 v3, v143
	;; [unrolled: 7-line block ×18, first 2 shown]
	ds_write2_b64 v19, v[0:1], v[2:3] offset0:50 offset1:51
	s_waitcnt vmcnt(10)
	ds_write_b64 v19, v[212:213] offset:416
	ds_read_b64 v[0:1], v18
	s_waitcnt lgkmcnt(0)
	v_cmp_neq_f64_e32 vcc, 0, v[0:1]
	s_and_b64 exec, exec, vcc
	s_cbranch_execz .LBB105_69
; %bb.68:
	v_div_scale_f64 v[2:3], s[6:7], v[0:1], v[0:1], 1.0
	v_rcp_f64_e32 v[4:5], v[2:3]
	v_div_scale_f64 v[6:7], vcc, 1.0, v[0:1], 1.0
	v_fma_f64 v[8:9], -v[2:3], v[4:5], 1.0
	v_fmac_f64_e32 v[4:5], v[4:5], v[8:9]
	v_fma_f64 v[8:9], -v[2:3], v[4:5], 1.0
	v_fmac_f64_e32 v[4:5], v[4:5], v[8:9]
	v_mul_f64 v[8:9], v[6:7], v[4:5]
	v_fma_f64 v[2:3], -v[2:3], v[8:9], v[6:7]
	v_div_fmas_f64 v[2:3], v[2:3], v[4:5], v[8:9]
	v_div_fixup_f64 v[0:1], v[2:3], v[0:1], 1.0
	ds_write_b64 v18, v[0:1]
.LBB105_69:
	s_or_b64 exec, exec, s[2:3]
	s_waitcnt lgkmcnt(0)
	s_barrier
	ds_read_b64 v[0:1], v18
	v_cmp_lt_u32_e32 vcc, 13, v20
	s_waitcnt lgkmcnt(0)
	buffer_store_dword v0, off, s[16:19], 0 offset:40 ; 4-byte Folded Spill
	s_nop 0
	buffer_store_dword v1, off, s[16:19], 0 offset:44 ; 4-byte Folded Spill
	s_and_saveexec_b64 s[2:3], vcc
	s_cbranch_execz .LBB105_71
; %bb.70:
	ds_read2_b64 v[0:3], v19 offset0:14 offset1:15
	ds_read2_b64 v[4:7], v19 offset0:16 offset1:17
	buffer_load_dword v8, off, s[16:19], 0 offset:40 ; 4-byte Folded Reload
	buffer_load_dword v9, off, s[16:19], 0 offset:44 ; 4-byte Folded Reload
	s_waitcnt vmcnt(0)
	v_mul_f64 v[148:149], v[8:9], v[148:149]
	s_waitcnt lgkmcnt(1)
	v_fma_f64 v[198:199], -v[148:149], v[0:1], v[198:199]
	ds_read2_b64 v[8:11], v19 offset0:18 offset1:19
	v_fma_f64 v[146:147], -v[148:149], v[2:3], v[146:147]
	ds_read2_b64 v[0:3], v19 offset0:20 offset1:21
	s_waitcnt lgkmcnt(2)
	v_fma_f64 v[196:197], -v[148:149], v[4:5], v[196:197]
	v_fma_f64 v[144:145], -v[148:149], v[6:7], v[144:145]
	ds_read2_b64 v[4:7], v19 offset0:22 offset1:23
	s_waitcnt lgkmcnt(2)
	v_fma_f64 v[194:195], -v[148:149], v[8:9], v[194:195]
	;; [unrolled: 4-line block ×3, first 2 shown]
	v_fma_f64 v[140:141], -v[148:149], v[2:3], v[140:141]
	s_waitcnt lgkmcnt(1)
	v_fma_f64 v[190:191], -v[148:149], v[4:5], v[190:191]
	ds_read2_b64 v[0:3], v19 offset0:26 offset1:27
	v_fma_f64 v[138:139], -v[148:149], v[6:7], v[138:139]
	ds_read2_b64 v[4:7], v19 offset0:28 offset1:29
	s_waitcnt lgkmcnt(2)
	v_fma_f64 v[188:189], -v[148:149], v[8:9], v[188:189]
	v_fma_f64 v[136:137], -v[148:149], v[10:11], v[136:137]
	s_waitcnt lgkmcnt(1)
	v_fma_f64 v[186:187], -v[148:149], v[0:1], v[186:187]
	ds_read2_b64 v[8:11], v19 offset0:30 offset1:31
	v_fma_f64 v[134:135], -v[148:149], v[2:3], v[134:135]
	ds_read2_b64 v[0:3], v19 offset0:32 offset1:33
	s_waitcnt lgkmcnt(2)
	v_fma_f64 v[184:185], -v[148:149], v[4:5], v[184:185]
	v_fma_f64 v[132:133], -v[148:149], v[6:7], v[132:133]
	ds_read2_b64 v[4:7], v19 offset0:34 offset1:35
	s_waitcnt lgkmcnt(2)
	v_fma_f64 v[182:183], -v[148:149], v[8:9], v[182:183]
	v_fma_f64 v[130:131], -v[148:149], v[10:11], v[130:131]
	ds_read2_b64 v[8:11], v19 offset0:36 offset1:37
	s_waitcnt lgkmcnt(2)
	v_fma_f64 v[180:181], -v[148:149], v[0:1], v[180:181]
	v_fma_f64 v[128:129], -v[148:149], v[2:3], v[128:129]
	s_waitcnt lgkmcnt(1)
	v_fma_f64 v[178:179], -v[148:149], v[4:5], v[178:179]
	ds_read2_b64 v[0:3], v19 offset0:38 offset1:39
	v_fma_f64 v[126:127], -v[148:149], v[6:7], v[126:127]
	ds_read2_b64 v[4:7], v19 offset0:40 offset1:41
	s_waitcnt lgkmcnt(2)
	v_fma_f64 v[176:177], -v[148:149], v[8:9], v[176:177]
	v_fma_f64 v[124:125], -v[148:149], v[10:11], v[124:125]
	s_waitcnt lgkmcnt(1)
	v_fma_f64 v[174:175], -v[148:149], v[0:1], v[174:175]
	ds_read2_b64 v[8:11], v19 offset0:42 offset1:43
	v_fma_f64 v[122:123], -v[148:149], v[2:3], v[122:123]
	ds_read2_b64 v[0:3], v19 offset0:44 offset1:45
	s_waitcnt lgkmcnt(2)
	v_fma_f64 v[172:173], -v[148:149], v[4:5], v[172:173]
	v_fma_f64 v[120:121], -v[148:149], v[6:7], v[120:121]
	ds_read2_b64 v[4:7], v19 offset0:46 offset1:47
	s_waitcnt lgkmcnt(2)
	v_fma_f64 v[170:171], -v[148:149], v[8:9], v[170:171]
	v_fma_f64 v[118:119], -v[148:149], v[10:11], v[118:119]
	s_waitcnt lgkmcnt(1)
	v_fma_f64 v[168:169], -v[148:149], v[0:1], v[168:169]
	v_fma_f64 v[116:117], -v[148:149], v[2:3], v[116:117]
	ds_read2_b64 v[0:3], v19 offset0:48 offset1:49
	s_waitcnt lgkmcnt(1)
	v_fma_f64 v[166:167], -v[148:149], v[4:5], v[166:167]
	ds_read2_b64 v[8:11], v19 offset0:50 offset1:51
	ds_read_b64 v[4:5], v19 offset:416
	v_fma_f64 v[114:115], -v[148:149], v[6:7], v[114:115]
	s_waitcnt lgkmcnt(2)
	v_fma_f64 v[164:165], -v[148:149], v[0:1], v[164:165]
	v_fma_f64 v[112:113], -v[148:149], v[2:3], v[112:113]
	s_waitcnt lgkmcnt(1)
	v_fma_f64 v[162:163], -v[148:149], v[8:9], v[162:163]
	;; [unrolled: 3-line block ×3, first 2 shown]
.LBB105_71:
	s_or_b64 exec, exec, s[2:3]
	v_cmp_eq_u32_e32 vcc, 14, v20
	s_waitcnt vmcnt(63) expcnt(7) lgkmcnt(15)
	s_barrier
	s_and_saveexec_b64 s[2:3], vcc
	s_cbranch_execz .LBB105_74
; %bb.72:
	s_waitcnt vmcnt(50)
	ds_write_b64 v18, v[198:199]
	s_waitcnt vmcnt(48)
	ds_write2_b64 v19, v[146:147], v[196:197] offset0:15 offset1:16
	s_waitcnt vmcnt(46)
	ds_write2_b64 v19, v[144:145], v[194:195] offset0:17 offset1:18
	;; [unrolled: 2-line block ×19, first 2 shown]
	ds_read_b64 v[0:1], v18
	s_waitcnt lgkmcnt(0)
	v_cmp_neq_f64_e32 vcc, 0, v[0:1]
	s_and_b64 exec, exec, vcc
	s_cbranch_execz .LBB105_74
; %bb.73:
	v_div_scale_f64 v[2:3], s[6:7], v[0:1], v[0:1], 1.0
	v_rcp_f64_e32 v[4:5], v[2:3]
	v_div_scale_f64 v[6:7], vcc, 1.0, v[0:1], 1.0
	v_fma_f64 v[8:9], -v[2:3], v[4:5], 1.0
	v_fmac_f64_e32 v[4:5], v[4:5], v[8:9]
	v_fma_f64 v[8:9], -v[2:3], v[4:5], 1.0
	v_fmac_f64_e32 v[4:5], v[4:5], v[8:9]
	v_mul_f64 v[8:9], v[6:7], v[4:5]
	v_fma_f64 v[2:3], -v[2:3], v[8:9], v[6:7]
	v_div_fmas_f64 v[2:3], v[2:3], v[4:5], v[8:9]
	v_div_fixup_f64 v[0:1], v[2:3], v[0:1], 1.0
	ds_write_b64 v18, v[0:1]
.LBB105_74:
	s_or_b64 exec, exec, s[2:3]
	s_waitcnt lgkmcnt(0)
	s_barrier
	ds_read_b64 v[0:1], v18
	v_cmp_lt_u32_e32 vcc, 14, v20
	s_waitcnt lgkmcnt(0)
	buffer_store_dword v0, off, s[16:19], 0 offset:48 ; 4-byte Folded Spill
	s_nop 0
	buffer_store_dword v1, off, s[16:19], 0 offset:52 ; 4-byte Folded Spill
	s_and_saveexec_b64 s[2:3], vcc
	s_cbranch_execz .LBB105_76
; %bb.75:
	buffer_load_dword v0, off, s[16:19], 0 offset:48 ; 4-byte Folded Reload
	buffer_load_dword v1, off, s[16:19], 0 offset:52 ; 4-byte Folded Reload
	s_waitcnt vmcnt(0)
	v_mul_f64 v[198:199], v[0:1], v[198:199]
	ds_read2_b64 v[0:3], v19 offset0:15 offset1:16
	s_waitcnt lgkmcnt(0)
	v_fma_f64 v[146:147], -v[198:199], v[0:1], v[146:147]
	v_fma_f64 v[196:197], -v[198:199], v[2:3], v[196:197]
	ds_read2_b64 v[0:3], v19 offset0:17 offset1:18
	s_waitcnt lgkmcnt(0)
	v_fma_f64 v[144:145], -v[198:199], v[0:1], v[144:145]
	v_fma_f64 v[194:195], -v[198:199], v[2:3], v[194:195]
	;; [unrolled: 4-line block ×19, first 2 shown]
.LBB105_76:
	s_or_b64 exec, exec, s[2:3]
	v_cmp_eq_u32_e32 vcc, 15, v20
	s_waitcnt vmcnt(63) expcnt(7) lgkmcnt(15)
	s_barrier
	s_and_saveexec_b64 s[2:3], vcc
	s_cbranch_execz .LBB105_79
; %bb.77:
	s_waitcnt vmcnt(50)
	v_mov_b32_e32 v0, v196
	v_mov_b32_e32 v1, v197
	s_waitcnt vmcnt(49)
	v_mov_b32_e32 v2, v144
	v_mov_b32_e32 v3, v145
	ds_write_b64 v18, v[146:147]
	ds_write2_b64 v19, v[0:1], v[2:3] offset0:16 offset1:17
	s_waitcnt vmcnt(48)
	v_mov_b32_e32 v0, v194
	v_mov_b32_e32 v1, v195
	s_waitcnt vmcnt(47)
	v_mov_b32_e32 v2, v142
	v_mov_b32_e32 v3, v143
	ds_write2_b64 v19, v[0:1], v[2:3] offset0:18 offset1:19
	s_waitcnt vmcnt(46)
	v_mov_b32_e32 v0, v192
	v_mov_b32_e32 v1, v193
	s_waitcnt vmcnt(45)
	v_mov_b32_e32 v2, v140
	v_mov_b32_e32 v3, v141
	;; [unrolled: 7-line block ×17, first 2 shown]
	ds_write2_b64 v19, v[0:1], v[2:3] offset0:50 offset1:51
	s_waitcnt vmcnt(14)
	ds_write_b64 v19, v[212:213] offset:416
	ds_read_b64 v[0:1], v18
	s_waitcnt lgkmcnt(0)
	v_cmp_neq_f64_e32 vcc, 0, v[0:1]
	s_and_b64 exec, exec, vcc
	s_cbranch_execz .LBB105_79
; %bb.78:
	v_div_scale_f64 v[2:3], s[6:7], v[0:1], v[0:1], 1.0
	v_rcp_f64_e32 v[4:5], v[2:3]
	v_div_scale_f64 v[6:7], vcc, 1.0, v[0:1], 1.0
	v_fma_f64 v[8:9], -v[2:3], v[4:5], 1.0
	v_fmac_f64_e32 v[4:5], v[4:5], v[8:9]
	v_fma_f64 v[8:9], -v[2:3], v[4:5], 1.0
	v_fmac_f64_e32 v[4:5], v[4:5], v[8:9]
	v_mul_f64 v[8:9], v[6:7], v[4:5]
	v_fma_f64 v[2:3], -v[2:3], v[8:9], v[6:7]
	v_div_fmas_f64 v[2:3], v[2:3], v[4:5], v[8:9]
	v_div_fixup_f64 v[0:1], v[2:3], v[0:1], 1.0
	ds_write_b64 v18, v[0:1]
.LBB105_79:
	s_or_b64 exec, exec, s[2:3]
	s_waitcnt lgkmcnt(0)
	s_barrier
	ds_read_b64 v[0:1], v18
	v_cmp_lt_u32_e32 vcc, 15, v20
	s_waitcnt lgkmcnt(0)
	buffer_store_dword v0, off, s[16:19], 0 offset:56 ; 4-byte Folded Spill
	s_nop 0
	buffer_store_dword v1, off, s[16:19], 0 offset:60 ; 4-byte Folded Spill
	s_and_saveexec_b64 s[2:3], vcc
	s_cbranch_execz .LBB105_81
; %bb.80:
	buffer_load_dword v0, off, s[16:19], 0 offset:56 ; 4-byte Folded Reload
	buffer_load_dword v1, off, s[16:19], 0 offset:60 ; 4-byte Folded Reload
	s_waitcnt vmcnt(0)
	v_mul_f64 v[146:147], v[0:1], v[146:147]
	ds_read2_b64 v[0:3], v19 offset0:16 offset1:17
	s_waitcnt lgkmcnt(0)
	v_fma_f64 v[196:197], -v[146:147], v[0:1], v[196:197]
	v_fma_f64 v[144:145], -v[146:147], v[2:3], v[144:145]
	ds_read2_b64 v[0:3], v19 offset0:18 offset1:19
	s_waitcnt lgkmcnt(0)
	v_fma_f64 v[194:195], -v[146:147], v[0:1], v[194:195]
	v_fma_f64 v[142:143], -v[146:147], v[2:3], v[142:143]
	;; [unrolled: 4-line block ×17, first 2 shown]
	ds_read2_b64 v[0:3], v19 offset0:50 offset1:51
	s_waitcnt lgkmcnt(0)
	v_fma_f64 v[162:163], -v[146:147], v[0:1], v[162:163]
	ds_read_b64 v[0:1], v19 offset:416
	v_fma_f64 v[110:111], -v[146:147], v[2:3], v[110:111]
	s_waitcnt lgkmcnt(0)
	v_fma_f64 v[212:213], -v[146:147], v[0:1], v[212:213]
.LBB105_81:
	s_or_b64 exec, exec, s[2:3]
	v_cmp_eq_u32_e32 vcc, 16, v20
	s_waitcnt vmcnt(63) expcnt(7) lgkmcnt(15)
	s_barrier
	s_and_saveexec_b64 s[2:3], vcc
	s_cbranch_execz .LBB105_84
; %bb.82:
	s_waitcnt vmcnt(52)
	ds_write_b64 v18, v[196:197]
	s_waitcnt vmcnt(50)
	ds_write2_b64 v19, v[144:145], v[194:195] offset0:17 offset1:18
	s_waitcnt vmcnt(48)
	ds_write2_b64 v19, v[142:143], v[192:193] offset0:19 offset1:20
	;; [unrolled: 2-line block ×18, first 2 shown]
	ds_read_b64 v[0:1], v18
	s_waitcnt lgkmcnt(0)
	v_cmp_neq_f64_e32 vcc, 0, v[0:1]
	s_and_b64 exec, exec, vcc
	s_cbranch_execz .LBB105_84
; %bb.83:
	v_div_scale_f64 v[2:3], s[6:7], v[0:1], v[0:1], 1.0
	v_rcp_f64_e32 v[4:5], v[2:3]
	v_div_scale_f64 v[6:7], vcc, 1.0, v[0:1], 1.0
	v_fma_f64 v[8:9], -v[2:3], v[4:5], 1.0
	v_fmac_f64_e32 v[4:5], v[4:5], v[8:9]
	v_fma_f64 v[8:9], -v[2:3], v[4:5], 1.0
	v_fmac_f64_e32 v[4:5], v[4:5], v[8:9]
	v_mul_f64 v[8:9], v[6:7], v[4:5]
	v_fma_f64 v[2:3], -v[2:3], v[8:9], v[6:7]
	v_div_fmas_f64 v[2:3], v[2:3], v[4:5], v[8:9]
	v_div_fixup_f64 v[0:1], v[2:3], v[0:1], 1.0
	ds_write_b64 v18, v[0:1]
.LBB105_84:
	s_or_b64 exec, exec, s[2:3]
	s_waitcnt lgkmcnt(0)
	s_barrier
	ds_read_b64 v[0:1], v18
	v_cmp_lt_u32_e32 vcc, 16, v20
	s_waitcnt lgkmcnt(0)
	buffer_store_dword v0, off, s[16:19], 0 offset:64 ; 4-byte Folded Spill
	s_nop 0
	buffer_store_dword v1, off, s[16:19], 0 offset:68 ; 4-byte Folded Spill
	s_and_saveexec_b64 s[2:3], vcc
	s_cbranch_execz .LBB105_86
; %bb.85:
	buffer_load_dword v0, off, s[16:19], 0 offset:64 ; 4-byte Folded Reload
	buffer_load_dword v1, off, s[16:19], 0 offset:68 ; 4-byte Folded Reload
	s_waitcnt vmcnt(0)
	v_mul_f64 v[196:197], v[0:1], v[196:197]
	ds_read2_b64 v[0:3], v19 offset0:17 offset1:18
	s_waitcnt lgkmcnt(0)
	v_fma_f64 v[144:145], -v[196:197], v[0:1], v[144:145]
	v_fma_f64 v[194:195], -v[196:197], v[2:3], v[194:195]
	ds_read2_b64 v[0:3], v19 offset0:19 offset1:20
	s_waitcnt lgkmcnt(0)
	v_fma_f64 v[142:143], -v[196:197], v[0:1], v[142:143]
	v_fma_f64 v[192:193], -v[196:197], v[2:3], v[192:193]
	;; [unrolled: 4-line block ×18, first 2 shown]
.LBB105_86:
	s_or_b64 exec, exec, s[2:3]
	v_cmp_eq_u32_e32 vcc, 17, v20
	s_waitcnt vmcnt(63) expcnt(7) lgkmcnt(15)
	s_barrier
	s_and_saveexec_b64 s[2:3], vcc
	s_cbranch_execz .LBB105_89
; %bb.87:
	s_waitcnt vmcnt(52)
	v_mov_b32_e32 v0, v194
	v_mov_b32_e32 v1, v195
	s_waitcnt vmcnt(51)
	v_mov_b32_e32 v2, v142
	v_mov_b32_e32 v3, v143
	ds_write_b64 v18, v[144:145]
	ds_write2_b64 v19, v[0:1], v[2:3] offset0:18 offset1:19
	s_waitcnt vmcnt(50)
	v_mov_b32_e32 v0, v192
	v_mov_b32_e32 v1, v193
	s_waitcnt vmcnt(49)
	v_mov_b32_e32 v2, v140
	v_mov_b32_e32 v3, v141
	ds_write2_b64 v19, v[0:1], v[2:3] offset0:20 offset1:21
	s_waitcnt vmcnt(48)
	v_mov_b32_e32 v0, v190
	v_mov_b32_e32 v1, v191
	s_waitcnt vmcnt(47)
	v_mov_b32_e32 v2, v138
	v_mov_b32_e32 v3, v139
	;; [unrolled: 7-line block ×16, first 2 shown]
	ds_write2_b64 v19, v[0:1], v[2:3] offset0:50 offset1:51
	s_waitcnt vmcnt(18)
	ds_write_b64 v19, v[212:213] offset:416
	ds_read_b64 v[0:1], v18
	s_waitcnt lgkmcnt(0)
	v_cmp_neq_f64_e32 vcc, 0, v[0:1]
	s_and_b64 exec, exec, vcc
	s_cbranch_execz .LBB105_89
; %bb.88:
	v_div_scale_f64 v[2:3], s[6:7], v[0:1], v[0:1], 1.0
	v_rcp_f64_e32 v[4:5], v[2:3]
	v_div_scale_f64 v[6:7], vcc, 1.0, v[0:1], 1.0
	v_fma_f64 v[8:9], -v[2:3], v[4:5], 1.0
	v_fmac_f64_e32 v[4:5], v[4:5], v[8:9]
	v_fma_f64 v[8:9], -v[2:3], v[4:5], 1.0
	v_fmac_f64_e32 v[4:5], v[4:5], v[8:9]
	v_mul_f64 v[8:9], v[6:7], v[4:5]
	v_fma_f64 v[2:3], -v[2:3], v[8:9], v[6:7]
	v_div_fmas_f64 v[2:3], v[2:3], v[4:5], v[8:9]
	v_div_fixup_f64 v[0:1], v[2:3], v[0:1], 1.0
	ds_write_b64 v18, v[0:1]
.LBB105_89:
	s_or_b64 exec, exec, s[2:3]
	s_waitcnt lgkmcnt(0)
	s_barrier
	ds_read_b64 v[0:1], v18
	v_cmp_lt_u32_e32 vcc, 17, v20
	s_waitcnt lgkmcnt(0)
	buffer_store_dword v0, off, s[16:19], 0 offset:72 ; 4-byte Folded Spill
	s_nop 0
	buffer_store_dword v1, off, s[16:19], 0 offset:76 ; 4-byte Folded Spill
	s_and_saveexec_b64 s[2:3], vcc
	s_cbranch_execz .LBB105_91
; %bb.90:
	buffer_load_dword v0, off, s[16:19], 0 offset:72 ; 4-byte Folded Reload
	buffer_load_dword v1, off, s[16:19], 0 offset:76 ; 4-byte Folded Reload
	s_waitcnt vmcnt(0)
	v_mul_f64 v[144:145], v[0:1], v[144:145]
	ds_read2_b64 v[0:3], v19 offset0:18 offset1:19
	s_waitcnt lgkmcnt(0)
	v_fma_f64 v[194:195], -v[144:145], v[0:1], v[194:195]
	v_fma_f64 v[142:143], -v[144:145], v[2:3], v[142:143]
	ds_read2_b64 v[0:3], v19 offset0:20 offset1:21
	s_waitcnt lgkmcnt(0)
	v_fma_f64 v[192:193], -v[144:145], v[0:1], v[192:193]
	v_fma_f64 v[140:141], -v[144:145], v[2:3], v[140:141]
	;; [unrolled: 4-line block ×16, first 2 shown]
	ds_read2_b64 v[0:3], v19 offset0:50 offset1:51
	s_waitcnt lgkmcnt(0)
	v_fma_f64 v[162:163], -v[144:145], v[0:1], v[162:163]
	ds_read_b64 v[0:1], v19 offset:416
	v_fma_f64 v[110:111], -v[144:145], v[2:3], v[110:111]
	s_waitcnt lgkmcnt(0)
	v_fma_f64 v[212:213], -v[144:145], v[0:1], v[212:213]
.LBB105_91:
	s_or_b64 exec, exec, s[2:3]
	v_cmp_eq_u32_e32 vcc, 18, v20
	s_waitcnt vmcnt(63) expcnt(7) lgkmcnt(15)
	s_barrier
	s_and_saveexec_b64 s[2:3], vcc
	s_cbranch_execz .LBB105_94
; %bb.92:
	s_waitcnt vmcnt(54)
	ds_write_b64 v18, v[194:195]
	s_waitcnt vmcnt(52)
	ds_write2_b64 v19, v[142:143], v[192:193] offset0:19 offset1:20
	s_waitcnt vmcnt(50)
	ds_write2_b64 v19, v[140:141], v[190:191] offset0:21 offset1:22
	;; [unrolled: 2-line block ×17, first 2 shown]
	ds_read_b64 v[0:1], v18
	s_waitcnt lgkmcnt(0)
	v_cmp_neq_f64_e32 vcc, 0, v[0:1]
	s_and_b64 exec, exec, vcc
	s_cbranch_execz .LBB105_94
; %bb.93:
	v_div_scale_f64 v[2:3], s[6:7], v[0:1], v[0:1], 1.0
	v_rcp_f64_e32 v[4:5], v[2:3]
	v_div_scale_f64 v[6:7], vcc, 1.0, v[0:1], 1.0
	v_fma_f64 v[8:9], -v[2:3], v[4:5], 1.0
	v_fmac_f64_e32 v[4:5], v[4:5], v[8:9]
	v_fma_f64 v[8:9], -v[2:3], v[4:5], 1.0
	v_fmac_f64_e32 v[4:5], v[4:5], v[8:9]
	v_mul_f64 v[8:9], v[6:7], v[4:5]
	v_fma_f64 v[2:3], -v[2:3], v[8:9], v[6:7]
	v_div_fmas_f64 v[2:3], v[2:3], v[4:5], v[8:9]
	v_div_fixup_f64 v[0:1], v[2:3], v[0:1], 1.0
	ds_write_b64 v18, v[0:1]
.LBB105_94:
	s_or_b64 exec, exec, s[2:3]
	s_waitcnt lgkmcnt(0)
	s_barrier
	ds_read_b64 v[0:1], v18
	v_cmp_lt_u32_e32 vcc, 18, v20
	s_waitcnt lgkmcnt(0)
	buffer_store_dword v0, off, s[16:19], 0 offset:80 ; 4-byte Folded Spill
	s_nop 0
	buffer_store_dword v1, off, s[16:19], 0 offset:84 ; 4-byte Folded Spill
	s_and_saveexec_b64 s[2:3], vcc
	s_cbranch_execz .LBB105_96
; %bb.95:
	buffer_load_dword v0, off, s[16:19], 0 offset:80 ; 4-byte Folded Reload
	buffer_load_dword v1, off, s[16:19], 0 offset:84 ; 4-byte Folded Reload
	s_waitcnt vmcnt(0)
	v_mul_f64 v[194:195], v[0:1], v[194:195]
	ds_read2_b64 v[0:3], v19 offset0:19 offset1:20
	s_waitcnt lgkmcnt(0)
	v_fma_f64 v[142:143], -v[194:195], v[0:1], v[142:143]
	v_fma_f64 v[192:193], -v[194:195], v[2:3], v[192:193]
	ds_read2_b64 v[0:3], v19 offset0:21 offset1:22
	s_waitcnt lgkmcnt(0)
	v_fma_f64 v[140:141], -v[194:195], v[0:1], v[140:141]
	v_fma_f64 v[190:191], -v[194:195], v[2:3], v[190:191]
	;; [unrolled: 4-line block ×17, first 2 shown]
.LBB105_96:
	s_or_b64 exec, exec, s[2:3]
	v_cmp_eq_u32_e32 vcc, 19, v20
	s_waitcnt vmcnt(63) expcnt(7) lgkmcnt(15)
	s_barrier
	s_and_saveexec_b64 s[2:3], vcc
	s_cbranch_execz .LBB105_99
; %bb.97:
	s_waitcnt vmcnt(54)
	v_mov_b32_e32 v0, v192
	v_mov_b32_e32 v1, v193
	s_waitcnt vmcnt(53)
	v_mov_b32_e32 v2, v140
	v_mov_b32_e32 v3, v141
	ds_write_b64 v18, v[142:143]
	ds_write2_b64 v19, v[0:1], v[2:3] offset0:20 offset1:21
	s_waitcnt vmcnt(52)
	v_mov_b32_e32 v0, v190
	v_mov_b32_e32 v1, v191
	s_waitcnt vmcnt(51)
	v_mov_b32_e32 v2, v138
	v_mov_b32_e32 v3, v139
	ds_write2_b64 v19, v[0:1], v[2:3] offset0:22 offset1:23
	s_waitcnt vmcnt(50)
	v_mov_b32_e32 v0, v188
	v_mov_b32_e32 v1, v189
	s_waitcnt vmcnt(49)
	v_mov_b32_e32 v2, v136
	v_mov_b32_e32 v3, v137
	;; [unrolled: 7-line block ×15, first 2 shown]
	ds_write2_b64 v19, v[0:1], v[2:3] offset0:50 offset1:51
	s_waitcnt vmcnt(22)
	ds_write_b64 v19, v[212:213] offset:416
	ds_read_b64 v[0:1], v18
	s_waitcnt lgkmcnt(0)
	v_cmp_neq_f64_e32 vcc, 0, v[0:1]
	s_and_b64 exec, exec, vcc
	s_cbranch_execz .LBB105_99
; %bb.98:
	v_div_scale_f64 v[2:3], s[6:7], v[0:1], v[0:1], 1.0
	v_rcp_f64_e32 v[4:5], v[2:3]
	v_div_scale_f64 v[6:7], vcc, 1.0, v[0:1], 1.0
	v_fma_f64 v[8:9], -v[2:3], v[4:5], 1.0
	v_fmac_f64_e32 v[4:5], v[4:5], v[8:9]
	v_fma_f64 v[8:9], -v[2:3], v[4:5], 1.0
	v_fmac_f64_e32 v[4:5], v[4:5], v[8:9]
	v_mul_f64 v[8:9], v[6:7], v[4:5]
	v_fma_f64 v[2:3], -v[2:3], v[8:9], v[6:7]
	v_div_fmas_f64 v[2:3], v[2:3], v[4:5], v[8:9]
	v_div_fixup_f64 v[0:1], v[2:3], v[0:1], 1.0
	ds_write_b64 v18, v[0:1]
.LBB105_99:
	s_or_b64 exec, exec, s[2:3]
	s_waitcnt lgkmcnt(0)
	s_barrier
	ds_read_b64 v[0:1], v18
	v_cmp_lt_u32_e32 vcc, 19, v20
	s_waitcnt lgkmcnt(0)
	buffer_store_dword v0, off, s[16:19], 0 offset:88 ; 4-byte Folded Spill
	s_nop 0
	buffer_store_dword v1, off, s[16:19], 0 offset:92 ; 4-byte Folded Spill
	s_and_saveexec_b64 s[2:3], vcc
	s_cbranch_execz .LBB105_101
; %bb.100:
	buffer_load_dword v0, off, s[16:19], 0 offset:88 ; 4-byte Folded Reload
	buffer_load_dword v1, off, s[16:19], 0 offset:92 ; 4-byte Folded Reload
	s_waitcnt vmcnt(0)
	v_mul_f64 v[142:143], v[0:1], v[142:143]
	ds_read2_b64 v[0:3], v19 offset0:20 offset1:21
	s_waitcnt lgkmcnt(0)
	v_fma_f64 v[192:193], -v[142:143], v[0:1], v[192:193]
	v_fma_f64 v[140:141], -v[142:143], v[2:3], v[140:141]
	ds_read2_b64 v[0:3], v19 offset0:22 offset1:23
	s_waitcnt lgkmcnt(0)
	v_fma_f64 v[190:191], -v[142:143], v[0:1], v[190:191]
	v_fma_f64 v[138:139], -v[142:143], v[2:3], v[138:139]
	;; [unrolled: 4-line block ×15, first 2 shown]
	ds_read2_b64 v[0:3], v19 offset0:50 offset1:51
	s_waitcnt lgkmcnt(0)
	v_fma_f64 v[162:163], -v[142:143], v[0:1], v[162:163]
	ds_read_b64 v[0:1], v19 offset:416
	v_fma_f64 v[110:111], -v[142:143], v[2:3], v[110:111]
	s_waitcnt lgkmcnt(0)
	v_fma_f64 v[212:213], -v[142:143], v[0:1], v[212:213]
.LBB105_101:
	s_or_b64 exec, exec, s[2:3]
	v_cmp_eq_u32_e32 vcc, 20, v20
	s_waitcnt vmcnt(63) expcnt(7) lgkmcnt(15)
	s_barrier
	s_and_saveexec_b64 s[2:3], vcc
	s_cbranch_execz .LBB105_104
; %bb.102:
	s_waitcnt vmcnt(56)
	ds_write_b64 v18, v[192:193]
	s_waitcnt vmcnt(54)
	ds_write2_b64 v19, v[140:141], v[190:191] offset0:21 offset1:22
	s_waitcnt vmcnt(52)
	ds_write2_b64 v19, v[138:139], v[188:189] offset0:23 offset1:24
	;; [unrolled: 2-line block ×16, first 2 shown]
	ds_read_b64 v[0:1], v18
	s_waitcnt lgkmcnt(0)
	v_cmp_neq_f64_e32 vcc, 0, v[0:1]
	s_and_b64 exec, exec, vcc
	s_cbranch_execz .LBB105_104
; %bb.103:
	v_div_scale_f64 v[2:3], s[6:7], v[0:1], v[0:1], 1.0
	v_rcp_f64_e32 v[4:5], v[2:3]
	v_div_scale_f64 v[6:7], vcc, 1.0, v[0:1], 1.0
	v_fma_f64 v[8:9], -v[2:3], v[4:5], 1.0
	v_fmac_f64_e32 v[4:5], v[4:5], v[8:9]
	v_fma_f64 v[8:9], -v[2:3], v[4:5], 1.0
	v_fmac_f64_e32 v[4:5], v[4:5], v[8:9]
	v_mul_f64 v[8:9], v[6:7], v[4:5]
	v_fma_f64 v[2:3], -v[2:3], v[8:9], v[6:7]
	v_div_fmas_f64 v[2:3], v[2:3], v[4:5], v[8:9]
	v_div_fixup_f64 v[0:1], v[2:3], v[0:1], 1.0
	ds_write_b64 v18, v[0:1]
.LBB105_104:
	s_or_b64 exec, exec, s[2:3]
	s_waitcnt lgkmcnt(0)
	s_barrier
	ds_read_b64 v[0:1], v18
	v_cmp_lt_u32_e32 vcc, 20, v20
	s_waitcnt lgkmcnt(0)
	buffer_store_dword v0, off, s[16:19], 0 offset:96 ; 4-byte Folded Spill
	s_nop 0
	buffer_store_dword v1, off, s[16:19], 0 offset:100 ; 4-byte Folded Spill
	s_and_saveexec_b64 s[2:3], vcc
	s_cbranch_execz .LBB105_106
; %bb.105:
	buffer_load_dword v0, off, s[16:19], 0 offset:96 ; 4-byte Folded Reload
	buffer_load_dword v1, off, s[16:19], 0 offset:100 ; 4-byte Folded Reload
	s_waitcnt vmcnt(0)
	v_mul_f64 v[192:193], v[0:1], v[192:193]
	ds_read2_b64 v[0:3], v19 offset0:21 offset1:22
	s_waitcnt lgkmcnt(0)
	v_fma_f64 v[140:141], -v[192:193], v[0:1], v[140:141]
	v_fma_f64 v[190:191], -v[192:193], v[2:3], v[190:191]
	ds_read2_b64 v[0:3], v19 offset0:23 offset1:24
	s_waitcnt lgkmcnt(0)
	v_fma_f64 v[138:139], -v[192:193], v[0:1], v[138:139]
	v_fma_f64 v[188:189], -v[192:193], v[2:3], v[188:189]
	;; [unrolled: 4-line block ×16, first 2 shown]
.LBB105_106:
	s_or_b64 exec, exec, s[2:3]
	v_cmp_eq_u32_e32 vcc, 21, v20
	s_waitcnt vmcnt(63) expcnt(7) lgkmcnt(15)
	s_barrier
	s_and_saveexec_b64 s[2:3], vcc
	s_cbranch_execz .LBB105_109
; %bb.107:
	s_waitcnt vmcnt(56)
	v_mov_b32_e32 v0, v190
	v_mov_b32_e32 v1, v191
	s_waitcnt vmcnt(55)
	v_mov_b32_e32 v2, v138
	v_mov_b32_e32 v3, v139
	ds_write_b64 v18, v[140:141]
	ds_write2_b64 v19, v[0:1], v[2:3] offset0:22 offset1:23
	s_waitcnt vmcnt(54)
	v_mov_b32_e32 v0, v188
	v_mov_b32_e32 v1, v189
	s_waitcnt vmcnt(53)
	v_mov_b32_e32 v2, v136
	v_mov_b32_e32 v3, v137
	ds_write2_b64 v19, v[0:1], v[2:3] offset0:24 offset1:25
	s_waitcnt vmcnt(52)
	v_mov_b32_e32 v0, v186
	v_mov_b32_e32 v1, v187
	s_waitcnt vmcnt(51)
	v_mov_b32_e32 v2, v134
	v_mov_b32_e32 v3, v135
	;; [unrolled: 7-line block ×14, first 2 shown]
	ds_write2_b64 v19, v[0:1], v[2:3] offset0:50 offset1:51
	s_waitcnt vmcnt(26)
	ds_write_b64 v19, v[212:213] offset:416
	ds_read_b64 v[0:1], v18
	s_waitcnt lgkmcnt(0)
	v_cmp_neq_f64_e32 vcc, 0, v[0:1]
	s_and_b64 exec, exec, vcc
	s_cbranch_execz .LBB105_109
; %bb.108:
	v_div_scale_f64 v[2:3], s[6:7], v[0:1], v[0:1], 1.0
	v_rcp_f64_e32 v[4:5], v[2:3]
	v_div_scale_f64 v[6:7], vcc, 1.0, v[0:1], 1.0
	v_fma_f64 v[8:9], -v[2:3], v[4:5], 1.0
	v_fmac_f64_e32 v[4:5], v[4:5], v[8:9]
	v_fma_f64 v[8:9], -v[2:3], v[4:5], 1.0
	v_fmac_f64_e32 v[4:5], v[4:5], v[8:9]
	v_mul_f64 v[8:9], v[6:7], v[4:5]
	v_fma_f64 v[2:3], -v[2:3], v[8:9], v[6:7]
	v_div_fmas_f64 v[2:3], v[2:3], v[4:5], v[8:9]
	v_div_fixup_f64 v[0:1], v[2:3], v[0:1], 1.0
	ds_write_b64 v18, v[0:1]
.LBB105_109:
	s_or_b64 exec, exec, s[2:3]
	s_waitcnt lgkmcnt(0)
	s_barrier
	ds_read_b64 v[0:1], v18
	v_cmp_lt_u32_e32 vcc, 21, v20
	s_waitcnt lgkmcnt(0)
	buffer_store_dword v0, off, s[16:19], 0 offset:104 ; 4-byte Folded Spill
	s_nop 0
	buffer_store_dword v1, off, s[16:19], 0 offset:108 ; 4-byte Folded Spill
	s_and_saveexec_b64 s[2:3], vcc
	s_cbranch_execz .LBB105_111
; %bb.110:
	buffer_load_dword v0, off, s[16:19], 0 offset:104 ; 4-byte Folded Reload
	buffer_load_dword v1, off, s[16:19], 0 offset:108 ; 4-byte Folded Reload
	s_waitcnt vmcnt(0)
	v_mul_f64 v[140:141], v[0:1], v[140:141]
	ds_read2_b64 v[0:3], v19 offset0:22 offset1:23
	s_waitcnt lgkmcnt(0)
	v_fma_f64 v[190:191], -v[140:141], v[0:1], v[190:191]
	v_fma_f64 v[138:139], -v[140:141], v[2:3], v[138:139]
	ds_read2_b64 v[0:3], v19 offset0:24 offset1:25
	s_waitcnt lgkmcnt(0)
	v_fma_f64 v[188:189], -v[140:141], v[0:1], v[188:189]
	v_fma_f64 v[136:137], -v[140:141], v[2:3], v[136:137]
	;; [unrolled: 4-line block ×14, first 2 shown]
	ds_read2_b64 v[0:3], v19 offset0:50 offset1:51
	s_waitcnt lgkmcnt(0)
	v_fma_f64 v[162:163], -v[140:141], v[0:1], v[162:163]
	ds_read_b64 v[0:1], v19 offset:416
	v_fma_f64 v[110:111], -v[140:141], v[2:3], v[110:111]
	s_waitcnt lgkmcnt(0)
	v_fma_f64 v[212:213], -v[140:141], v[0:1], v[212:213]
.LBB105_111:
	s_or_b64 exec, exec, s[2:3]
	v_cmp_eq_u32_e32 vcc, 22, v20
	s_waitcnt vmcnt(63) expcnt(7) lgkmcnt(15)
	s_barrier
	s_and_saveexec_b64 s[2:3], vcc
	s_cbranch_execz .LBB105_114
; %bb.112:
	s_waitcnt vmcnt(58)
	ds_write_b64 v18, v[190:191]
	s_waitcnt vmcnt(56)
	ds_write2_b64 v19, v[138:139], v[188:189] offset0:23 offset1:24
	s_waitcnt vmcnt(54)
	ds_write2_b64 v19, v[136:137], v[186:187] offset0:25 offset1:26
	;; [unrolled: 2-line block ×15, first 2 shown]
	ds_read_b64 v[0:1], v18
	s_waitcnt lgkmcnt(0)
	v_cmp_neq_f64_e32 vcc, 0, v[0:1]
	s_and_b64 exec, exec, vcc
	s_cbranch_execz .LBB105_114
; %bb.113:
	v_div_scale_f64 v[2:3], s[6:7], v[0:1], v[0:1], 1.0
	v_rcp_f64_e32 v[4:5], v[2:3]
	v_div_scale_f64 v[6:7], vcc, 1.0, v[0:1], 1.0
	v_fma_f64 v[8:9], -v[2:3], v[4:5], 1.0
	v_fmac_f64_e32 v[4:5], v[4:5], v[8:9]
	v_fma_f64 v[8:9], -v[2:3], v[4:5], 1.0
	v_fmac_f64_e32 v[4:5], v[4:5], v[8:9]
	v_mul_f64 v[8:9], v[6:7], v[4:5]
	v_fma_f64 v[2:3], -v[2:3], v[8:9], v[6:7]
	v_div_fmas_f64 v[2:3], v[2:3], v[4:5], v[8:9]
	v_div_fixup_f64 v[0:1], v[2:3], v[0:1], 1.0
	ds_write_b64 v18, v[0:1]
.LBB105_114:
	s_or_b64 exec, exec, s[2:3]
	s_waitcnt lgkmcnt(0)
	s_barrier
	ds_read_b64 v[0:1], v18
	v_cmp_lt_u32_e32 vcc, 22, v20
	s_waitcnt lgkmcnt(0)
	buffer_store_dword v0, off, s[16:19], 0 offset:112 ; 4-byte Folded Spill
	s_nop 0
	buffer_store_dword v1, off, s[16:19], 0 offset:116 ; 4-byte Folded Spill
	s_and_saveexec_b64 s[2:3], vcc
	s_cbranch_execz .LBB105_116
; %bb.115:
	buffer_load_dword v0, off, s[16:19], 0 offset:112 ; 4-byte Folded Reload
	buffer_load_dword v1, off, s[16:19], 0 offset:116 ; 4-byte Folded Reload
	s_waitcnt vmcnt(0)
	v_mul_f64 v[190:191], v[0:1], v[190:191]
	ds_read2_b64 v[0:3], v19 offset0:23 offset1:24
	s_waitcnt lgkmcnt(0)
	v_fma_f64 v[138:139], -v[190:191], v[0:1], v[138:139]
	v_fma_f64 v[188:189], -v[190:191], v[2:3], v[188:189]
	ds_read2_b64 v[0:3], v19 offset0:25 offset1:26
	s_waitcnt lgkmcnt(0)
	v_fma_f64 v[136:137], -v[190:191], v[0:1], v[136:137]
	v_fma_f64 v[186:187], -v[190:191], v[2:3], v[186:187]
	;; [unrolled: 4-line block ×15, first 2 shown]
.LBB105_116:
	s_or_b64 exec, exec, s[2:3]
	v_cmp_eq_u32_e32 vcc, 23, v20
	s_waitcnt vmcnt(63) expcnt(7) lgkmcnt(15)
	s_barrier
	s_and_saveexec_b64 s[2:3], vcc
	s_cbranch_execz .LBB105_119
; %bb.117:
	s_waitcnt vmcnt(58)
	v_mov_b32_e32 v0, v188
	v_mov_b32_e32 v1, v189
	s_waitcnt vmcnt(57)
	v_mov_b32_e32 v2, v136
	v_mov_b32_e32 v3, v137
	ds_write_b64 v18, v[138:139]
	ds_write2_b64 v19, v[0:1], v[2:3] offset0:24 offset1:25
	s_waitcnt vmcnt(56)
	v_mov_b32_e32 v0, v186
	v_mov_b32_e32 v1, v187
	s_waitcnt vmcnt(55)
	v_mov_b32_e32 v2, v134
	v_mov_b32_e32 v3, v135
	ds_write2_b64 v19, v[0:1], v[2:3] offset0:26 offset1:27
	s_waitcnt vmcnt(54)
	v_mov_b32_e32 v0, v184
	v_mov_b32_e32 v1, v185
	s_waitcnt vmcnt(53)
	v_mov_b32_e32 v2, v132
	v_mov_b32_e32 v3, v133
	;; [unrolled: 7-line block ×13, first 2 shown]
	ds_write2_b64 v19, v[0:1], v[2:3] offset0:50 offset1:51
	s_waitcnt vmcnt(30)
	ds_write_b64 v19, v[212:213] offset:416
	ds_read_b64 v[0:1], v18
	s_waitcnt lgkmcnt(0)
	v_cmp_neq_f64_e32 vcc, 0, v[0:1]
	s_and_b64 exec, exec, vcc
	s_cbranch_execz .LBB105_119
; %bb.118:
	v_div_scale_f64 v[2:3], s[6:7], v[0:1], v[0:1], 1.0
	v_rcp_f64_e32 v[4:5], v[2:3]
	v_div_scale_f64 v[6:7], vcc, 1.0, v[0:1], 1.0
	v_fma_f64 v[8:9], -v[2:3], v[4:5], 1.0
	v_fmac_f64_e32 v[4:5], v[4:5], v[8:9]
	v_fma_f64 v[8:9], -v[2:3], v[4:5], 1.0
	v_fmac_f64_e32 v[4:5], v[4:5], v[8:9]
	v_mul_f64 v[8:9], v[6:7], v[4:5]
	v_fma_f64 v[2:3], -v[2:3], v[8:9], v[6:7]
	v_div_fmas_f64 v[2:3], v[2:3], v[4:5], v[8:9]
	v_div_fixup_f64 v[0:1], v[2:3], v[0:1], 1.0
	ds_write_b64 v18, v[0:1]
.LBB105_119:
	s_or_b64 exec, exec, s[2:3]
	s_waitcnt lgkmcnt(0)
	s_barrier
	ds_read_b64 v[0:1], v18
	v_cmp_lt_u32_e32 vcc, 23, v20
	s_waitcnt lgkmcnt(0)
	buffer_store_dword v0, off, s[16:19], 0 offset:120 ; 4-byte Folded Spill
	s_nop 0
	buffer_store_dword v1, off, s[16:19], 0 offset:124 ; 4-byte Folded Spill
	s_and_saveexec_b64 s[2:3], vcc
	s_cbranch_execz .LBB105_121
; %bb.120:
	buffer_load_dword v0, off, s[16:19], 0 offset:120 ; 4-byte Folded Reload
	buffer_load_dword v1, off, s[16:19], 0 offset:124 ; 4-byte Folded Reload
	s_waitcnt vmcnt(0)
	v_mul_f64 v[138:139], v[0:1], v[138:139]
	ds_read2_b64 v[0:3], v19 offset0:24 offset1:25
	s_waitcnt lgkmcnt(0)
	v_fma_f64 v[188:189], -v[138:139], v[0:1], v[188:189]
	v_fma_f64 v[136:137], -v[138:139], v[2:3], v[136:137]
	ds_read2_b64 v[0:3], v19 offset0:26 offset1:27
	s_waitcnt lgkmcnt(0)
	v_fma_f64 v[186:187], -v[138:139], v[0:1], v[186:187]
	v_fma_f64 v[134:135], -v[138:139], v[2:3], v[134:135]
	;; [unrolled: 4-line block ×13, first 2 shown]
	ds_read2_b64 v[0:3], v19 offset0:50 offset1:51
	s_waitcnt lgkmcnt(0)
	v_fma_f64 v[162:163], -v[138:139], v[0:1], v[162:163]
	ds_read_b64 v[0:1], v19 offset:416
	v_fma_f64 v[110:111], -v[138:139], v[2:3], v[110:111]
	s_waitcnt lgkmcnt(0)
	v_fma_f64 v[212:213], -v[138:139], v[0:1], v[212:213]
.LBB105_121:
	s_or_b64 exec, exec, s[2:3]
	v_cmp_eq_u32_e32 vcc, 24, v20
	s_waitcnt vmcnt(63) expcnt(7) lgkmcnt(15)
	s_barrier
	s_and_saveexec_b64 s[2:3], vcc
	s_cbranch_execz .LBB105_124
; %bb.122:
	s_waitcnt vmcnt(60)
	ds_write_b64 v18, v[188:189]
	s_waitcnt vmcnt(58)
	ds_write2_b64 v19, v[136:137], v[186:187] offset0:25 offset1:26
	s_waitcnt vmcnt(56)
	ds_write2_b64 v19, v[134:135], v[184:185] offset0:27 offset1:28
	;; [unrolled: 2-line block ×14, first 2 shown]
	ds_read_b64 v[0:1], v18
	s_waitcnt lgkmcnt(0)
	v_cmp_neq_f64_e32 vcc, 0, v[0:1]
	s_and_b64 exec, exec, vcc
	s_cbranch_execz .LBB105_124
; %bb.123:
	v_div_scale_f64 v[2:3], s[6:7], v[0:1], v[0:1], 1.0
	v_rcp_f64_e32 v[4:5], v[2:3]
	v_div_scale_f64 v[6:7], vcc, 1.0, v[0:1], 1.0
	v_fma_f64 v[8:9], -v[2:3], v[4:5], 1.0
	v_fmac_f64_e32 v[4:5], v[4:5], v[8:9]
	v_fma_f64 v[8:9], -v[2:3], v[4:5], 1.0
	v_fmac_f64_e32 v[4:5], v[4:5], v[8:9]
	v_mul_f64 v[8:9], v[6:7], v[4:5]
	v_fma_f64 v[2:3], -v[2:3], v[8:9], v[6:7]
	v_div_fmas_f64 v[2:3], v[2:3], v[4:5], v[8:9]
	v_div_fixup_f64 v[0:1], v[2:3], v[0:1], 1.0
	ds_write_b64 v18, v[0:1]
.LBB105_124:
	s_or_b64 exec, exec, s[2:3]
	s_waitcnt lgkmcnt(0)
	s_barrier
	ds_read_b64 v[0:1], v18
	v_cmp_lt_u32_e32 vcc, 24, v20
	s_waitcnt lgkmcnt(0)
	buffer_store_dword v0, off, s[16:19], 0 offset:128 ; 4-byte Folded Spill
	s_nop 0
	buffer_store_dword v1, off, s[16:19], 0 offset:132 ; 4-byte Folded Spill
	s_and_saveexec_b64 s[2:3], vcc
	s_cbranch_execz .LBB105_126
; %bb.125:
	buffer_load_dword v0, off, s[16:19], 0 offset:128 ; 4-byte Folded Reload
	buffer_load_dword v1, off, s[16:19], 0 offset:132 ; 4-byte Folded Reload
	s_waitcnt vmcnt(0)
	v_mul_f64 v[188:189], v[0:1], v[188:189]
	ds_read2_b64 v[0:3], v19 offset0:25 offset1:26
	s_waitcnt lgkmcnt(0)
	v_fma_f64 v[136:137], -v[188:189], v[0:1], v[136:137]
	v_fma_f64 v[186:187], -v[188:189], v[2:3], v[186:187]
	ds_read2_b64 v[0:3], v19 offset0:27 offset1:28
	s_waitcnt lgkmcnt(0)
	v_fma_f64 v[134:135], -v[188:189], v[0:1], v[134:135]
	v_fma_f64 v[184:185], -v[188:189], v[2:3], v[184:185]
	;; [unrolled: 4-line block ×14, first 2 shown]
.LBB105_126:
	s_or_b64 exec, exec, s[2:3]
	v_cmp_eq_u32_e32 vcc, 25, v20
	s_waitcnt vmcnt(63) expcnt(7) lgkmcnt(15)
	s_barrier
	s_and_saveexec_b64 s[2:3], vcc
	s_cbranch_execz .LBB105_129
; %bb.127:
	s_waitcnt vmcnt(60)
	v_mov_b32_e32 v0, v186
	v_mov_b32_e32 v1, v187
	s_waitcnt vmcnt(59)
	v_mov_b32_e32 v2, v134
	v_mov_b32_e32 v3, v135
	ds_write_b64 v18, v[136:137]
	ds_write2_b64 v19, v[0:1], v[2:3] offset0:26 offset1:27
	s_waitcnt vmcnt(58)
	v_mov_b32_e32 v0, v184
	v_mov_b32_e32 v1, v185
	s_waitcnt vmcnt(57)
	v_mov_b32_e32 v2, v132
	v_mov_b32_e32 v3, v133
	ds_write2_b64 v19, v[0:1], v[2:3] offset0:28 offset1:29
	s_waitcnt vmcnt(56)
	v_mov_b32_e32 v0, v182
	v_mov_b32_e32 v1, v183
	s_waitcnt vmcnt(55)
	v_mov_b32_e32 v2, v130
	v_mov_b32_e32 v3, v131
	;; [unrolled: 7-line block ×12, first 2 shown]
	ds_write2_b64 v19, v[0:1], v[2:3] offset0:50 offset1:51
	s_waitcnt vmcnt(34)
	ds_write_b64 v19, v[212:213] offset:416
	ds_read_b64 v[0:1], v18
	s_waitcnt lgkmcnt(0)
	v_cmp_neq_f64_e32 vcc, 0, v[0:1]
	s_and_b64 exec, exec, vcc
	s_cbranch_execz .LBB105_129
; %bb.128:
	v_div_scale_f64 v[2:3], s[6:7], v[0:1], v[0:1], 1.0
	v_rcp_f64_e32 v[4:5], v[2:3]
	v_div_scale_f64 v[6:7], vcc, 1.0, v[0:1], 1.0
	v_fma_f64 v[8:9], -v[2:3], v[4:5], 1.0
	v_fmac_f64_e32 v[4:5], v[4:5], v[8:9]
	v_fma_f64 v[8:9], -v[2:3], v[4:5], 1.0
	v_fmac_f64_e32 v[4:5], v[4:5], v[8:9]
	v_mul_f64 v[8:9], v[6:7], v[4:5]
	v_fma_f64 v[2:3], -v[2:3], v[8:9], v[6:7]
	v_div_fmas_f64 v[2:3], v[2:3], v[4:5], v[8:9]
	v_div_fixup_f64 v[0:1], v[2:3], v[0:1], 1.0
	ds_write_b64 v18, v[0:1]
.LBB105_129:
	s_or_b64 exec, exec, s[2:3]
	s_waitcnt lgkmcnt(0)
	s_barrier
	ds_read_b64 v[0:1], v18
	v_cmp_lt_u32_e32 vcc, 25, v20
	s_waitcnt lgkmcnt(0)
	buffer_store_dword v0, off, s[16:19], 0 offset:136 ; 4-byte Folded Spill
	s_nop 0
	buffer_store_dword v1, off, s[16:19], 0 offset:140 ; 4-byte Folded Spill
	s_and_saveexec_b64 s[2:3], vcc
	s_cbranch_execz .LBB105_131
; %bb.130:
	buffer_load_dword v0, off, s[16:19], 0 offset:136 ; 4-byte Folded Reload
	buffer_load_dword v1, off, s[16:19], 0 offset:140 ; 4-byte Folded Reload
	s_waitcnt vmcnt(0)
	v_mul_f64 v[136:137], v[0:1], v[136:137]
	ds_read2_b64 v[0:3], v19 offset0:26 offset1:27
	s_waitcnt lgkmcnt(0)
	v_fma_f64 v[186:187], -v[136:137], v[0:1], v[186:187]
	v_fma_f64 v[134:135], -v[136:137], v[2:3], v[134:135]
	ds_read2_b64 v[0:3], v19 offset0:28 offset1:29
	s_waitcnt lgkmcnt(0)
	v_fma_f64 v[184:185], -v[136:137], v[0:1], v[184:185]
	v_fma_f64 v[132:133], -v[136:137], v[2:3], v[132:133]
	;; [unrolled: 4-line block ×12, first 2 shown]
	ds_read2_b64 v[0:3], v19 offset0:50 offset1:51
	s_waitcnt lgkmcnt(0)
	v_fma_f64 v[162:163], -v[136:137], v[0:1], v[162:163]
	ds_read_b64 v[0:1], v19 offset:416
	v_fma_f64 v[110:111], -v[136:137], v[2:3], v[110:111]
	s_waitcnt lgkmcnt(0)
	v_fma_f64 v[212:213], -v[136:137], v[0:1], v[212:213]
.LBB105_131:
	s_or_b64 exec, exec, s[2:3]
	v_cmp_eq_u32_e32 vcc, 26, v20
	s_waitcnt vmcnt(63) expcnt(7) lgkmcnt(15)
	s_barrier
	s_and_saveexec_b64 s[2:3], vcc
	s_cbranch_execz .LBB105_134
; %bb.132:
	s_waitcnt vmcnt(62)
	ds_write_b64 v18, v[186:187]
	s_waitcnt vmcnt(60)
	ds_write2_b64 v19, v[134:135], v[184:185] offset0:27 offset1:28
	s_waitcnt vmcnt(58)
	ds_write2_b64 v19, v[132:133], v[182:183] offset0:29 offset1:30
	;; [unrolled: 2-line block ×13, first 2 shown]
	ds_read_b64 v[0:1], v18
	s_waitcnt lgkmcnt(0)
	v_cmp_neq_f64_e32 vcc, 0, v[0:1]
	s_and_b64 exec, exec, vcc
	s_cbranch_execz .LBB105_134
; %bb.133:
	v_div_scale_f64 v[2:3], s[6:7], v[0:1], v[0:1], 1.0
	v_rcp_f64_e32 v[4:5], v[2:3]
	v_div_scale_f64 v[6:7], vcc, 1.0, v[0:1], 1.0
	v_fma_f64 v[8:9], -v[2:3], v[4:5], 1.0
	v_fmac_f64_e32 v[4:5], v[4:5], v[8:9]
	v_fma_f64 v[8:9], -v[2:3], v[4:5], 1.0
	v_fmac_f64_e32 v[4:5], v[4:5], v[8:9]
	v_mul_f64 v[8:9], v[6:7], v[4:5]
	v_fma_f64 v[2:3], -v[2:3], v[8:9], v[6:7]
	v_div_fmas_f64 v[2:3], v[2:3], v[4:5], v[8:9]
	v_div_fixup_f64 v[0:1], v[2:3], v[0:1], 1.0
	ds_write_b64 v18, v[0:1]
.LBB105_134:
	s_or_b64 exec, exec, s[2:3]
	s_waitcnt lgkmcnt(0)
	s_barrier
	ds_read_b64 v[0:1], v18
	v_cmp_lt_u32_e32 vcc, 26, v20
	s_waitcnt lgkmcnt(0)
	buffer_store_dword v0, off, s[16:19], 0 offset:144 ; 4-byte Folded Spill
	s_nop 0
	buffer_store_dword v1, off, s[16:19], 0 offset:148 ; 4-byte Folded Spill
	s_and_saveexec_b64 s[2:3], vcc
	s_cbranch_execz .LBB105_136
; %bb.135:
	buffer_load_dword v0, off, s[16:19], 0 offset:144 ; 4-byte Folded Reload
	buffer_load_dword v1, off, s[16:19], 0 offset:148 ; 4-byte Folded Reload
	s_waitcnt vmcnt(0)
	v_mul_f64 v[186:187], v[0:1], v[186:187]
	ds_read2_b64 v[0:3], v19 offset0:27 offset1:28
	s_waitcnt lgkmcnt(0)
	v_fma_f64 v[134:135], -v[186:187], v[0:1], v[134:135]
	v_fma_f64 v[184:185], -v[186:187], v[2:3], v[184:185]
	ds_read2_b64 v[0:3], v19 offset0:29 offset1:30
	s_waitcnt lgkmcnt(0)
	v_fma_f64 v[132:133], -v[186:187], v[0:1], v[132:133]
	v_fma_f64 v[182:183], -v[186:187], v[2:3], v[182:183]
	;; [unrolled: 4-line block ×13, first 2 shown]
.LBB105_136:
	s_or_b64 exec, exec, s[2:3]
	v_cmp_eq_u32_e32 vcc, 27, v20
	s_waitcnt vmcnt(63) expcnt(7) lgkmcnt(15)
	s_barrier
	s_and_saveexec_b64 s[2:3], vcc
	s_cbranch_execz .LBB105_139
; %bb.137:
	s_waitcnt vmcnt(62)
	v_mov_b32_e32 v0, v184
	v_mov_b32_e32 v1, v185
	s_waitcnt vmcnt(61)
	v_mov_b32_e32 v2, v132
	v_mov_b32_e32 v3, v133
	ds_write_b64 v18, v[134:135]
	ds_write2_b64 v19, v[0:1], v[2:3] offset0:28 offset1:29
	s_waitcnt vmcnt(60)
	v_mov_b32_e32 v0, v182
	v_mov_b32_e32 v1, v183
	s_waitcnt vmcnt(59)
	v_mov_b32_e32 v2, v130
	v_mov_b32_e32 v3, v131
	ds_write2_b64 v19, v[0:1], v[2:3] offset0:30 offset1:31
	s_waitcnt vmcnt(58)
	v_mov_b32_e32 v0, v180
	v_mov_b32_e32 v1, v181
	s_waitcnt vmcnt(57)
	v_mov_b32_e32 v2, v128
	v_mov_b32_e32 v3, v129
	;; [unrolled: 7-line block ×11, first 2 shown]
	ds_write2_b64 v19, v[0:1], v[2:3] offset0:50 offset1:51
	s_waitcnt vmcnt(38)
	ds_write_b64 v19, v[212:213] offset:416
	ds_read_b64 v[0:1], v18
	s_waitcnt lgkmcnt(0)
	v_cmp_neq_f64_e32 vcc, 0, v[0:1]
	s_and_b64 exec, exec, vcc
	s_cbranch_execz .LBB105_139
; %bb.138:
	v_div_scale_f64 v[2:3], s[6:7], v[0:1], v[0:1], 1.0
	v_rcp_f64_e32 v[4:5], v[2:3]
	v_div_scale_f64 v[6:7], vcc, 1.0, v[0:1], 1.0
	v_fma_f64 v[8:9], -v[2:3], v[4:5], 1.0
	v_fmac_f64_e32 v[4:5], v[4:5], v[8:9]
	v_fma_f64 v[8:9], -v[2:3], v[4:5], 1.0
	v_fmac_f64_e32 v[4:5], v[4:5], v[8:9]
	v_mul_f64 v[8:9], v[6:7], v[4:5]
	v_fma_f64 v[2:3], -v[2:3], v[8:9], v[6:7]
	v_div_fmas_f64 v[2:3], v[2:3], v[4:5], v[8:9]
	v_div_fixup_f64 v[0:1], v[2:3], v[0:1], 1.0
	ds_write_b64 v18, v[0:1]
.LBB105_139:
	s_or_b64 exec, exec, s[2:3]
	s_waitcnt lgkmcnt(0)
	s_barrier
	ds_read_b64 v[0:1], v18
	v_cmp_lt_u32_e32 vcc, 27, v20
	s_waitcnt lgkmcnt(0)
	buffer_store_dword v0, off, s[16:19], 0 offset:152 ; 4-byte Folded Spill
	s_nop 0
	buffer_store_dword v1, off, s[16:19], 0 offset:156 ; 4-byte Folded Spill
	s_and_saveexec_b64 s[2:3], vcc
	s_cbranch_execz .LBB105_141
; %bb.140:
	buffer_load_dword v0, off, s[16:19], 0 offset:152 ; 4-byte Folded Reload
	buffer_load_dword v1, off, s[16:19], 0 offset:156 ; 4-byte Folded Reload
	s_waitcnt vmcnt(0)
	v_mul_f64 v[134:135], v[0:1], v[134:135]
	ds_read2_b64 v[0:3], v19 offset0:28 offset1:29
	s_waitcnt lgkmcnt(0)
	v_fma_f64 v[184:185], -v[134:135], v[0:1], v[184:185]
	v_fma_f64 v[132:133], -v[134:135], v[2:3], v[132:133]
	ds_read2_b64 v[0:3], v19 offset0:30 offset1:31
	s_waitcnt lgkmcnt(0)
	v_fma_f64 v[182:183], -v[134:135], v[0:1], v[182:183]
	v_fma_f64 v[130:131], -v[134:135], v[2:3], v[130:131]
	;; [unrolled: 4-line block ×11, first 2 shown]
	ds_read2_b64 v[0:3], v19 offset0:50 offset1:51
	s_waitcnt lgkmcnt(0)
	v_fma_f64 v[162:163], -v[134:135], v[0:1], v[162:163]
	ds_read_b64 v[0:1], v19 offset:416
	v_fma_f64 v[110:111], -v[134:135], v[2:3], v[110:111]
	s_waitcnt lgkmcnt(0)
	v_fma_f64 v[212:213], -v[134:135], v[0:1], v[212:213]
.LBB105_141:
	s_or_b64 exec, exec, s[2:3]
	v_cmp_eq_u32_e32 vcc, 28, v20
	s_waitcnt vmcnt(63) expcnt(7) lgkmcnt(15)
	s_barrier
	s_and_saveexec_b64 s[2:3], vcc
	s_cbranch_execz .LBB105_144
; %bb.142:
	ds_write_b64 v18, v[184:185]
	s_waitcnt vmcnt(62)
	ds_write2_b64 v19, v[132:133], v[182:183] offset0:29 offset1:30
	s_waitcnt vmcnt(60)
	ds_write2_b64 v19, v[130:131], v[180:181] offset0:31 offset1:32
	s_waitcnt vmcnt(58)
	ds_write2_b64 v19, v[128:129], v[178:179] offset0:33 offset1:34
	s_waitcnt vmcnt(56)
	ds_write2_b64 v19, v[126:127], v[176:177] offset0:35 offset1:36
	s_waitcnt vmcnt(54)
	ds_write2_b64 v19, v[124:125], v[174:175] offset0:37 offset1:38
	s_waitcnt vmcnt(52)
	ds_write2_b64 v19, v[122:123], v[172:173] offset0:39 offset1:40
	s_waitcnt vmcnt(50)
	ds_write2_b64 v19, v[120:121], v[170:171] offset0:41 offset1:42
	s_waitcnt vmcnt(48)
	ds_write2_b64 v19, v[118:119], v[168:169] offset0:43 offset1:44
	s_waitcnt vmcnt(46)
	ds_write2_b64 v19, v[116:117], v[166:167] offset0:45 offset1:46
	s_waitcnt vmcnt(44)
	ds_write2_b64 v19, v[114:115], v[164:165] offset0:47 offset1:48
	s_waitcnt vmcnt(42)
	ds_write2_b64 v19, v[112:113], v[162:163] offset0:49 offset1:50
	s_waitcnt vmcnt(40)
	ds_write2_b64 v19, v[110:111], v[212:213] offset0:51 offset1:52
	ds_read_b64 v[0:1], v18
	s_waitcnt lgkmcnt(0)
	v_cmp_neq_f64_e32 vcc, 0, v[0:1]
	s_and_b64 exec, exec, vcc
	s_cbranch_execz .LBB105_144
; %bb.143:
	v_div_scale_f64 v[2:3], s[6:7], v[0:1], v[0:1], 1.0
	v_rcp_f64_e32 v[4:5], v[2:3]
	v_div_scale_f64 v[6:7], vcc, 1.0, v[0:1], 1.0
	v_fma_f64 v[8:9], -v[2:3], v[4:5], 1.0
	v_fmac_f64_e32 v[4:5], v[4:5], v[8:9]
	v_fma_f64 v[8:9], -v[2:3], v[4:5], 1.0
	v_fmac_f64_e32 v[4:5], v[4:5], v[8:9]
	v_mul_f64 v[8:9], v[6:7], v[4:5]
	v_fma_f64 v[2:3], -v[2:3], v[8:9], v[6:7]
	v_div_fmas_f64 v[2:3], v[2:3], v[4:5], v[8:9]
	v_div_fixup_f64 v[0:1], v[2:3], v[0:1], 1.0
	ds_write_b64 v18, v[0:1]
.LBB105_144:
	s_or_b64 exec, exec, s[2:3]
	s_waitcnt lgkmcnt(0)
	s_barrier
	ds_read_b64 v[0:1], v18
	v_cmp_lt_u32_e32 vcc, 28, v20
	s_waitcnt lgkmcnt(0)
	buffer_store_dword v0, off, s[16:19], 0 offset:160 ; 4-byte Folded Spill
	s_nop 0
	buffer_store_dword v1, off, s[16:19], 0 offset:164 ; 4-byte Folded Spill
	s_and_saveexec_b64 s[2:3], vcc
	s_cbranch_execz .LBB105_146
; %bb.145:
	buffer_load_dword v0, off, s[16:19], 0 offset:160 ; 4-byte Folded Reload
	buffer_load_dword v1, off, s[16:19], 0 offset:164 ; 4-byte Folded Reload
	s_waitcnt vmcnt(0)
	v_mul_f64 v[184:185], v[0:1], v[184:185]
	ds_read2_b64 v[0:3], v19 offset0:29 offset1:30
	s_waitcnt lgkmcnt(0)
	v_fma_f64 v[132:133], -v[184:185], v[0:1], v[132:133]
	v_fma_f64 v[182:183], -v[184:185], v[2:3], v[182:183]
	ds_read2_b64 v[0:3], v19 offset0:31 offset1:32
	s_waitcnt lgkmcnt(0)
	v_fma_f64 v[130:131], -v[184:185], v[0:1], v[130:131]
	v_fma_f64 v[180:181], -v[184:185], v[2:3], v[180:181]
	;; [unrolled: 4-line block ×12, first 2 shown]
.LBB105_146:
	s_or_b64 exec, exec, s[2:3]
	v_cmp_eq_u32_e32 vcc, 29, v20
	s_waitcnt vmcnt(63) expcnt(7) lgkmcnt(15)
	s_barrier
	s_and_saveexec_b64 s[2:3], vcc
	s_cbranch_execz .LBB105_149
; %bb.147:
	v_mov_b32_e32 v0, v182
	v_mov_b32_e32 v1, v183
	v_mov_b32_e32 v2, v130
	v_mov_b32_e32 v3, v131
	ds_write_b64 v18, v[132:133]
	ds_write2_b64 v19, v[0:1], v[2:3] offset0:30 offset1:31
	s_waitcnt vmcnt(62)
	v_mov_b32_e32 v0, v180
	v_mov_b32_e32 v1, v181
	s_waitcnt vmcnt(61)
	v_mov_b32_e32 v2, v128
	v_mov_b32_e32 v3, v129
	ds_write2_b64 v19, v[0:1], v[2:3] offset0:32 offset1:33
	s_waitcnt vmcnt(60)
	v_mov_b32_e32 v0, v178
	v_mov_b32_e32 v1, v179
	s_waitcnt vmcnt(59)
	v_mov_b32_e32 v2, v126
	v_mov_b32_e32 v3, v127
	;; [unrolled: 7-line block ×10, first 2 shown]
	ds_write2_b64 v19, v[0:1], v[2:3] offset0:50 offset1:51
	s_waitcnt vmcnt(42)
	ds_write_b64 v19, v[212:213] offset:416
	ds_read_b64 v[0:1], v18
	s_waitcnt lgkmcnt(0)
	v_cmp_neq_f64_e32 vcc, 0, v[0:1]
	s_and_b64 exec, exec, vcc
	s_cbranch_execz .LBB105_149
; %bb.148:
	v_div_scale_f64 v[2:3], s[6:7], v[0:1], v[0:1], 1.0
	v_rcp_f64_e32 v[4:5], v[2:3]
	v_div_scale_f64 v[6:7], vcc, 1.0, v[0:1], 1.0
	v_fma_f64 v[8:9], -v[2:3], v[4:5], 1.0
	v_fmac_f64_e32 v[4:5], v[4:5], v[8:9]
	v_fma_f64 v[8:9], -v[2:3], v[4:5], 1.0
	v_fmac_f64_e32 v[4:5], v[4:5], v[8:9]
	v_mul_f64 v[8:9], v[6:7], v[4:5]
	v_fma_f64 v[2:3], -v[2:3], v[8:9], v[6:7]
	v_div_fmas_f64 v[2:3], v[2:3], v[4:5], v[8:9]
	v_div_fixup_f64 v[0:1], v[2:3], v[0:1], 1.0
	ds_write_b64 v18, v[0:1]
.LBB105_149:
	s_or_b64 exec, exec, s[2:3]
	s_waitcnt lgkmcnt(0)
	s_barrier
	ds_read_b64 v[0:1], v18
	v_cmp_lt_u32_e32 vcc, 29, v20
	s_waitcnt lgkmcnt(0)
	buffer_store_dword v0, off, s[16:19], 0 offset:168 ; 4-byte Folded Spill
	s_nop 0
	buffer_store_dword v1, off, s[16:19], 0 offset:172 ; 4-byte Folded Spill
	s_and_saveexec_b64 s[2:3], vcc
	s_cbranch_execz .LBB105_151
; %bb.150:
	buffer_load_dword v0, off, s[16:19], 0 offset:168 ; 4-byte Folded Reload
	buffer_load_dword v1, off, s[16:19], 0 offset:172 ; 4-byte Folded Reload
	s_waitcnt vmcnt(0)
	v_mul_f64 v[132:133], v[0:1], v[132:133]
	ds_read2_b64 v[0:3], v19 offset0:30 offset1:31
	s_waitcnt lgkmcnt(0)
	v_fma_f64 v[182:183], -v[132:133], v[0:1], v[182:183]
	v_fma_f64 v[130:131], -v[132:133], v[2:3], v[130:131]
	ds_read2_b64 v[0:3], v19 offset0:32 offset1:33
	s_waitcnt lgkmcnt(0)
	v_fma_f64 v[180:181], -v[132:133], v[0:1], v[180:181]
	v_fma_f64 v[128:129], -v[132:133], v[2:3], v[128:129]
	;; [unrolled: 4-line block ×10, first 2 shown]
	ds_read2_b64 v[0:3], v19 offset0:50 offset1:51
	s_waitcnt lgkmcnt(0)
	v_fma_f64 v[162:163], -v[132:133], v[0:1], v[162:163]
	ds_read_b64 v[0:1], v19 offset:416
	v_fma_f64 v[110:111], -v[132:133], v[2:3], v[110:111]
	s_waitcnt lgkmcnt(0)
	v_fma_f64 v[212:213], -v[132:133], v[0:1], v[212:213]
.LBB105_151:
	s_or_b64 exec, exec, s[2:3]
	v_cmp_eq_u32_e32 vcc, 30, v20
	s_waitcnt vmcnt(63) expcnt(7) lgkmcnt(15)
	s_barrier
	s_and_saveexec_b64 s[2:3], vcc
	s_cbranch_execz .LBB105_154
; %bb.152:
	ds_write_b64 v18, v[182:183]
	ds_write2_b64 v19, v[130:131], v[180:181] offset0:31 offset1:32
	s_waitcnt vmcnt(62)
	ds_write2_b64 v19, v[128:129], v[178:179] offset0:33 offset1:34
	s_waitcnt vmcnt(60)
	;; [unrolled: 2-line block ×10, first 2 shown]
	ds_write2_b64 v19, v[110:111], v[212:213] offset0:51 offset1:52
	ds_read_b64 v[0:1], v18
	s_waitcnt lgkmcnt(0)
	v_cmp_neq_f64_e32 vcc, 0, v[0:1]
	s_and_b64 exec, exec, vcc
	s_cbranch_execz .LBB105_154
; %bb.153:
	v_div_scale_f64 v[2:3], s[6:7], v[0:1], v[0:1], 1.0
	v_rcp_f64_e32 v[4:5], v[2:3]
	v_div_scale_f64 v[6:7], vcc, 1.0, v[0:1], 1.0
	v_fma_f64 v[8:9], -v[2:3], v[4:5], 1.0
	v_fmac_f64_e32 v[4:5], v[4:5], v[8:9]
	v_fma_f64 v[8:9], -v[2:3], v[4:5], 1.0
	v_fmac_f64_e32 v[4:5], v[4:5], v[8:9]
	v_mul_f64 v[8:9], v[6:7], v[4:5]
	v_fma_f64 v[2:3], -v[2:3], v[8:9], v[6:7]
	v_div_fmas_f64 v[2:3], v[2:3], v[4:5], v[8:9]
	v_div_fixup_f64 v[0:1], v[2:3], v[0:1], 1.0
	ds_write_b64 v18, v[0:1]
.LBB105_154:
	s_or_b64 exec, exec, s[2:3]
	s_waitcnt lgkmcnt(0)
	s_barrier
	ds_read_b64 v[0:1], v18
	v_cmp_lt_u32_e32 vcc, 30, v20
	s_waitcnt lgkmcnt(0)
	buffer_store_dword v0, off, s[16:19], 0 offset:176 ; 4-byte Folded Spill
	s_nop 0
	buffer_store_dword v1, off, s[16:19], 0 offset:180 ; 4-byte Folded Spill
	s_and_saveexec_b64 s[2:3], vcc
	s_cbranch_execz .LBB105_156
; %bb.155:
	buffer_load_dword v0, off, s[16:19], 0 offset:176 ; 4-byte Folded Reload
	buffer_load_dword v1, off, s[16:19], 0 offset:180 ; 4-byte Folded Reload
	s_waitcnt vmcnt(0)
	v_mul_f64 v[182:183], v[0:1], v[182:183]
	ds_read2_b64 v[0:3], v19 offset0:31 offset1:32
	s_waitcnt lgkmcnt(0)
	v_fma_f64 v[130:131], -v[182:183], v[0:1], v[130:131]
	v_fma_f64 v[180:181], -v[182:183], v[2:3], v[180:181]
	ds_read2_b64 v[0:3], v19 offset0:33 offset1:34
	s_waitcnt lgkmcnt(0)
	v_fma_f64 v[128:129], -v[182:183], v[0:1], v[128:129]
	v_fma_f64 v[178:179], -v[182:183], v[2:3], v[178:179]
	;; [unrolled: 4-line block ×11, first 2 shown]
.LBB105_156:
	s_or_b64 exec, exec, s[2:3]
	v_cmp_eq_u32_e32 vcc, 31, v20
	s_waitcnt vmcnt(63) expcnt(7) lgkmcnt(15)
	s_barrier
	s_and_saveexec_b64 s[2:3], vcc
	s_cbranch_execz .LBB105_159
; %bb.157:
	v_mov_b32_e32 v0, v180
	v_mov_b32_e32 v1, v181
	;; [unrolled: 1-line block ×4, first 2 shown]
	ds_write_b64 v18, v[130:131]
	ds_write2_b64 v19, v[0:1], v[2:3] offset0:32 offset1:33
	v_mov_b32_e32 v0, v178
	v_mov_b32_e32 v1, v179
	v_mov_b32_e32 v2, v126
	v_mov_b32_e32 v3, v127
	ds_write2_b64 v19, v[0:1], v[2:3] offset0:34 offset1:35
	s_waitcnt vmcnt(62)
	v_mov_b32_e32 v0, v176
	v_mov_b32_e32 v1, v177
	s_waitcnt vmcnt(61)
	v_mov_b32_e32 v2, v124
	v_mov_b32_e32 v3, v125
	ds_write2_b64 v19, v[0:1], v[2:3] offset0:36 offset1:37
	s_waitcnt vmcnt(60)
	v_mov_b32_e32 v0, v174
	v_mov_b32_e32 v1, v175
	s_waitcnt vmcnt(59)
	v_mov_b32_e32 v2, v122
	v_mov_b32_e32 v3, v123
	;; [unrolled: 7-line block ×8, first 2 shown]
	ds_write2_b64 v19, v[0:1], v[2:3] offset0:50 offset1:51
	s_waitcnt vmcnt(46)
	ds_write_b64 v19, v[212:213] offset:416
	ds_read_b64 v[0:1], v18
	s_waitcnt lgkmcnt(0)
	v_cmp_neq_f64_e32 vcc, 0, v[0:1]
	s_and_b64 exec, exec, vcc
	s_cbranch_execz .LBB105_159
; %bb.158:
	v_div_scale_f64 v[2:3], s[6:7], v[0:1], v[0:1], 1.0
	v_rcp_f64_e32 v[4:5], v[2:3]
	v_div_scale_f64 v[6:7], vcc, 1.0, v[0:1], 1.0
	v_fma_f64 v[8:9], -v[2:3], v[4:5], 1.0
	v_fmac_f64_e32 v[4:5], v[4:5], v[8:9]
	v_fma_f64 v[8:9], -v[2:3], v[4:5], 1.0
	v_fmac_f64_e32 v[4:5], v[4:5], v[8:9]
	v_mul_f64 v[8:9], v[6:7], v[4:5]
	v_fma_f64 v[2:3], -v[2:3], v[8:9], v[6:7]
	v_div_fmas_f64 v[2:3], v[2:3], v[4:5], v[8:9]
	v_div_fixup_f64 v[0:1], v[2:3], v[0:1], 1.0
	ds_write_b64 v18, v[0:1]
.LBB105_159:
	s_or_b64 exec, exec, s[2:3]
	s_waitcnt lgkmcnt(0)
	s_barrier
	ds_read_b64 v[0:1], v18
	v_cmp_lt_u32_e32 vcc, 31, v20
	s_waitcnt lgkmcnt(0)
	buffer_store_dword v0, off, s[16:19], 0 offset:184 ; 4-byte Folded Spill
	s_nop 0
	buffer_store_dword v1, off, s[16:19], 0 offset:188 ; 4-byte Folded Spill
	s_and_saveexec_b64 s[2:3], vcc
	s_cbranch_execz .LBB105_161
; %bb.160:
	buffer_load_dword v0, off, s[16:19], 0 offset:184 ; 4-byte Folded Reload
	buffer_load_dword v1, off, s[16:19], 0 offset:188 ; 4-byte Folded Reload
	s_waitcnt vmcnt(0)
	v_mul_f64 v[130:131], v[0:1], v[130:131]
	ds_read2_b64 v[0:3], v19 offset0:32 offset1:33
	s_waitcnt lgkmcnt(0)
	v_fma_f64 v[180:181], -v[130:131], v[0:1], v[180:181]
	v_fma_f64 v[128:129], -v[130:131], v[2:3], v[128:129]
	ds_read2_b64 v[0:3], v19 offset0:34 offset1:35
	s_waitcnt lgkmcnt(0)
	v_fma_f64 v[178:179], -v[130:131], v[0:1], v[178:179]
	v_fma_f64 v[126:127], -v[130:131], v[2:3], v[126:127]
	;; [unrolled: 4-line block ×9, first 2 shown]
	ds_read2_b64 v[0:3], v19 offset0:50 offset1:51
	s_waitcnt lgkmcnt(0)
	v_fma_f64 v[162:163], -v[130:131], v[0:1], v[162:163]
	ds_read_b64 v[0:1], v19 offset:416
	v_fma_f64 v[110:111], -v[130:131], v[2:3], v[110:111]
	s_waitcnt lgkmcnt(0)
	v_fma_f64 v[212:213], -v[130:131], v[0:1], v[212:213]
.LBB105_161:
	s_or_b64 exec, exec, s[2:3]
	v_cmp_eq_u32_e32 vcc, 32, v20
	s_waitcnt vmcnt(63) expcnt(7) lgkmcnt(15)
	s_barrier
	s_and_saveexec_b64 s[2:3], vcc
	s_cbranch_execz .LBB105_164
; %bb.162:
	ds_write_b64 v18, v[180:181]
	ds_write2_b64 v19, v[128:129], v[178:179] offset0:33 offset1:34
	ds_write2_b64 v19, v[126:127], v[176:177] offset0:35 offset1:36
	s_waitcnt vmcnt(62)
	ds_write2_b64 v19, v[124:125], v[174:175] offset0:37 offset1:38
	s_waitcnt vmcnt(60)
	;; [unrolled: 2-line block ×8, first 2 shown]
	ds_write2_b64 v19, v[110:111], v[212:213] offset0:51 offset1:52
	ds_read_b64 v[0:1], v18
	s_waitcnt lgkmcnt(0)
	v_cmp_neq_f64_e32 vcc, 0, v[0:1]
	s_and_b64 exec, exec, vcc
	s_cbranch_execz .LBB105_164
; %bb.163:
	v_div_scale_f64 v[2:3], s[6:7], v[0:1], v[0:1], 1.0
	v_rcp_f64_e32 v[4:5], v[2:3]
	v_div_scale_f64 v[6:7], vcc, 1.0, v[0:1], 1.0
	v_fma_f64 v[8:9], -v[2:3], v[4:5], 1.0
	v_fmac_f64_e32 v[4:5], v[4:5], v[8:9]
	v_fma_f64 v[8:9], -v[2:3], v[4:5], 1.0
	v_fmac_f64_e32 v[4:5], v[4:5], v[8:9]
	v_mul_f64 v[8:9], v[6:7], v[4:5]
	v_fma_f64 v[2:3], -v[2:3], v[8:9], v[6:7]
	v_div_fmas_f64 v[2:3], v[2:3], v[4:5], v[8:9]
	v_div_fixup_f64 v[0:1], v[2:3], v[0:1], 1.0
	ds_write_b64 v18, v[0:1]
.LBB105_164:
	s_or_b64 exec, exec, s[2:3]
	s_waitcnt lgkmcnt(0)
	s_barrier
	ds_read_b64 v[0:1], v18
	v_cmp_lt_u32_e32 vcc, 32, v20
	s_waitcnt lgkmcnt(0)
	buffer_store_dword v0, off, s[16:19], 0 offset:192 ; 4-byte Folded Spill
	s_nop 0
	buffer_store_dword v1, off, s[16:19], 0 offset:196 ; 4-byte Folded Spill
	s_and_saveexec_b64 s[2:3], vcc
	s_cbranch_execz .LBB105_166
; %bb.165:
	buffer_load_dword v0, off, s[16:19], 0 offset:192 ; 4-byte Folded Reload
	buffer_load_dword v1, off, s[16:19], 0 offset:196 ; 4-byte Folded Reload
	s_waitcnt vmcnt(0)
	v_mul_f64 v[180:181], v[0:1], v[180:181]
	ds_read2_b64 v[0:3], v19 offset0:33 offset1:34
	s_waitcnt lgkmcnt(0)
	v_fma_f64 v[128:129], -v[180:181], v[0:1], v[128:129]
	v_fma_f64 v[178:179], -v[180:181], v[2:3], v[178:179]
	ds_read2_b64 v[0:3], v19 offset0:35 offset1:36
	s_waitcnt lgkmcnt(0)
	v_fma_f64 v[126:127], -v[180:181], v[0:1], v[126:127]
	v_fma_f64 v[176:177], -v[180:181], v[2:3], v[176:177]
	;; [unrolled: 4-line block ×10, first 2 shown]
.LBB105_166:
	s_or_b64 exec, exec, s[2:3]
	v_cmp_eq_u32_e32 vcc, 33, v20
	s_waitcnt vmcnt(63) expcnt(7) lgkmcnt(15)
	s_barrier
	s_and_saveexec_b64 s[2:3], vcc
	s_cbranch_execz .LBB105_169
; %bb.167:
	v_mov_b32_e32 v0, v178
	v_mov_b32_e32 v1, v179
	;; [unrolled: 1-line block ×4, first 2 shown]
	ds_write_b64 v18, v[128:129]
	ds_write2_b64 v19, v[0:1], v[2:3] offset0:34 offset1:35
	v_mov_b32_e32 v0, v176
	v_mov_b32_e32 v1, v177
	;; [unrolled: 1-line block ×4, first 2 shown]
	ds_write2_b64 v19, v[0:1], v[2:3] offset0:36 offset1:37
	v_mov_b32_e32 v0, v174
	v_mov_b32_e32 v1, v175
	;; [unrolled: 1-line block ×4, first 2 shown]
	ds_write2_b64 v19, v[0:1], v[2:3] offset0:38 offset1:39
	s_waitcnt vmcnt(62)
	v_mov_b32_e32 v0, v172
	v_mov_b32_e32 v1, v173
	s_waitcnt vmcnt(61)
	v_mov_b32_e32 v2, v120
	v_mov_b32_e32 v3, v121
	ds_write2_b64 v19, v[0:1], v[2:3] offset0:40 offset1:41
	s_waitcnt vmcnt(60)
	v_mov_b32_e32 v0, v170
	v_mov_b32_e32 v1, v171
	s_waitcnt vmcnt(59)
	v_mov_b32_e32 v2, v118
	v_mov_b32_e32 v3, v119
	;; [unrolled: 7-line block ×6, first 2 shown]
	ds_write2_b64 v19, v[0:1], v[2:3] offset0:50 offset1:51
	s_waitcnt vmcnt(50)
	ds_write_b64 v19, v[212:213] offset:416
	ds_read_b64 v[0:1], v18
	s_waitcnt lgkmcnt(0)
	v_cmp_neq_f64_e32 vcc, 0, v[0:1]
	s_and_b64 exec, exec, vcc
	s_cbranch_execz .LBB105_169
; %bb.168:
	v_div_scale_f64 v[2:3], s[6:7], v[0:1], v[0:1], 1.0
	v_rcp_f64_e32 v[4:5], v[2:3]
	v_div_scale_f64 v[6:7], vcc, 1.0, v[0:1], 1.0
	v_fma_f64 v[8:9], -v[2:3], v[4:5], 1.0
	v_fmac_f64_e32 v[4:5], v[4:5], v[8:9]
	v_fma_f64 v[8:9], -v[2:3], v[4:5], 1.0
	v_fmac_f64_e32 v[4:5], v[4:5], v[8:9]
	v_mul_f64 v[8:9], v[6:7], v[4:5]
	v_fma_f64 v[2:3], -v[2:3], v[8:9], v[6:7]
	v_div_fmas_f64 v[2:3], v[2:3], v[4:5], v[8:9]
	v_div_fixup_f64 v[0:1], v[2:3], v[0:1], 1.0
	ds_write_b64 v18, v[0:1]
.LBB105_169:
	s_or_b64 exec, exec, s[2:3]
	s_waitcnt lgkmcnt(0)
	s_barrier
	ds_read_b64 v[0:1], v18
	v_cmp_lt_u32_e32 vcc, 33, v20
	s_waitcnt lgkmcnt(0)
	buffer_store_dword v0, off, s[16:19], 0 offset:200 ; 4-byte Folded Spill
	s_nop 0
	buffer_store_dword v1, off, s[16:19], 0 offset:204 ; 4-byte Folded Spill
	s_and_saveexec_b64 s[2:3], vcc
	s_cbranch_execz .LBB105_171
; %bb.170:
	buffer_load_dword v0, off, s[16:19], 0 offset:200 ; 4-byte Folded Reload
	buffer_load_dword v1, off, s[16:19], 0 offset:204 ; 4-byte Folded Reload
	s_waitcnt vmcnt(0)
	v_mul_f64 v[128:129], v[0:1], v[128:129]
	ds_read2_b64 v[0:3], v19 offset0:34 offset1:35
	s_waitcnt lgkmcnt(0)
	v_fma_f64 v[178:179], -v[128:129], v[0:1], v[178:179]
	v_fma_f64 v[126:127], -v[128:129], v[2:3], v[126:127]
	ds_read2_b64 v[0:3], v19 offset0:36 offset1:37
	s_waitcnt lgkmcnt(0)
	v_fma_f64 v[176:177], -v[128:129], v[0:1], v[176:177]
	v_fma_f64 v[124:125], -v[128:129], v[2:3], v[124:125]
	;; [unrolled: 4-line block ×8, first 2 shown]
	ds_read2_b64 v[0:3], v19 offset0:50 offset1:51
	s_waitcnt lgkmcnt(0)
	v_fma_f64 v[162:163], -v[128:129], v[0:1], v[162:163]
	ds_read_b64 v[0:1], v19 offset:416
	v_fma_f64 v[110:111], -v[128:129], v[2:3], v[110:111]
	s_waitcnt lgkmcnt(0)
	v_fma_f64 v[212:213], -v[128:129], v[0:1], v[212:213]
.LBB105_171:
	s_or_b64 exec, exec, s[2:3]
	v_cmp_eq_u32_e32 vcc, 34, v20
	s_waitcnt vmcnt(63) expcnt(7) lgkmcnt(15)
	s_barrier
	s_and_saveexec_b64 s[2:3], vcc
	s_cbranch_execz .LBB105_174
; %bb.172:
	ds_write_b64 v18, v[178:179]
	ds_write2_b64 v19, v[126:127], v[176:177] offset0:35 offset1:36
	ds_write2_b64 v19, v[124:125], v[174:175] offset0:37 offset1:38
	;; [unrolled: 1-line block ×3, first 2 shown]
	s_waitcnt vmcnt(62)
	ds_write2_b64 v19, v[120:121], v[170:171] offset0:41 offset1:42
	s_waitcnt vmcnt(60)
	ds_write2_b64 v19, v[118:119], v[168:169] offset0:43 offset1:44
	s_waitcnt vmcnt(58)
	ds_write2_b64 v19, v[116:117], v[166:167] offset0:45 offset1:46
	s_waitcnt vmcnt(56)
	ds_write2_b64 v19, v[114:115], v[164:165] offset0:47 offset1:48
	s_waitcnt vmcnt(54)
	ds_write2_b64 v19, v[112:113], v[162:163] offset0:49 offset1:50
	s_waitcnt vmcnt(52)
	ds_write2_b64 v19, v[110:111], v[212:213] offset0:51 offset1:52
	ds_read_b64 v[0:1], v18
	s_waitcnt lgkmcnt(0)
	v_cmp_neq_f64_e32 vcc, 0, v[0:1]
	s_and_b64 exec, exec, vcc
	s_cbranch_execz .LBB105_174
; %bb.173:
	v_div_scale_f64 v[2:3], s[6:7], v[0:1], v[0:1], 1.0
	v_rcp_f64_e32 v[4:5], v[2:3]
	v_div_scale_f64 v[6:7], vcc, 1.0, v[0:1], 1.0
	v_fma_f64 v[8:9], -v[2:3], v[4:5], 1.0
	v_fmac_f64_e32 v[4:5], v[4:5], v[8:9]
	v_fma_f64 v[8:9], -v[2:3], v[4:5], 1.0
	v_fmac_f64_e32 v[4:5], v[4:5], v[8:9]
	v_mul_f64 v[8:9], v[6:7], v[4:5]
	v_fma_f64 v[2:3], -v[2:3], v[8:9], v[6:7]
	v_div_fmas_f64 v[2:3], v[2:3], v[4:5], v[8:9]
	v_div_fixup_f64 v[0:1], v[2:3], v[0:1], 1.0
	ds_write_b64 v18, v[0:1]
.LBB105_174:
	s_or_b64 exec, exec, s[2:3]
	s_waitcnt lgkmcnt(0)
	s_barrier
	ds_read_b64 v[0:1], v18
	v_cmp_lt_u32_e32 vcc, 34, v20
	s_waitcnt lgkmcnt(0)
	buffer_store_dword v0, off, s[16:19], 0 offset:208 ; 4-byte Folded Spill
	s_nop 0
	buffer_store_dword v1, off, s[16:19], 0 offset:212 ; 4-byte Folded Spill
	s_and_saveexec_b64 s[2:3], vcc
	s_cbranch_execz .LBB105_176
; %bb.175:
	buffer_load_dword v0, off, s[16:19], 0 offset:208 ; 4-byte Folded Reload
	buffer_load_dword v1, off, s[16:19], 0 offset:212 ; 4-byte Folded Reload
	s_waitcnt vmcnt(0)
	v_mul_f64 v[178:179], v[0:1], v[178:179]
	ds_read2_b64 v[0:3], v19 offset0:35 offset1:36
	s_waitcnt lgkmcnt(0)
	v_fma_f64 v[126:127], -v[178:179], v[0:1], v[126:127]
	v_fma_f64 v[176:177], -v[178:179], v[2:3], v[176:177]
	ds_read2_b64 v[0:3], v19 offset0:37 offset1:38
	s_waitcnt lgkmcnt(0)
	v_fma_f64 v[124:125], -v[178:179], v[0:1], v[124:125]
	v_fma_f64 v[174:175], -v[178:179], v[2:3], v[174:175]
	;; [unrolled: 4-line block ×9, first 2 shown]
.LBB105_176:
	s_or_b64 exec, exec, s[2:3]
	v_cmp_eq_u32_e32 vcc, 35, v20
	s_waitcnt vmcnt(63) expcnt(7) lgkmcnt(15)
	s_barrier
	s_and_saveexec_b64 s[2:3], vcc
	s_cbranch_execz .LBB105_179
; %bb.177:
	v_mov_b32_e32 v0, v176
	v_mov_b32_e32 v1, v177
	v_mov_b32_e32 v2, v124
	v_mov_b32_e32 v3, v125
	ds_write_b64 v18, v[126:127]
	ds_write2_b64 v19, v[0:1], v[2:3] offset0:36 offset1:37
	v_mov_b32_e32 v0, v174
	v_mov_b32_e32 v1, v175
	v_mov_b32_e32 v2, v122
	v_mov_b32_e32 v3, v123
	ds_write2_b64 v19, v[0:1], v[2:3] offset0:38 offset1:39
	v_mov_b32_e32 v0, v172
	v_mov_b32_e32 v1, v173
	v_mov_b32_e32 v2, v120
	v_mov_b32_e32 v3, v121
	;; [unrolled: 5-line block ×3, first 2 shown]
	ds_write2_b64 v19, v[0:1], v[2:3] offset0:42 offset1:43
	s_waitcnt vmcnt(62)
	v_mov_b32_e32 v0, v168
	v_mov_b32_e32 v1, v169
	s_waitcnt vmcnt(61)
	v_mov_b32_e32 v2, v116
	v_mov_b32_e32 v3, v117
	ds_write2_b64 v19, v[0:1], v[2:3] offset0:44 offset1:45
	s_waitcnt vmcnt(60)
	v_mov_b32_e32 v0, v166
	v_mov_b32_e32 v1, v167
	s_waitcnt vmcnt(59)
	v_mov_b32_e32 v2, v114
	v_mov_b32_e32 v3, v115
	;; [unrolled: 7-line block ×4, first 2 shown]
	ds_write2_b64 v19, v[0:1], v[2:3] offset0:50 offset1:51
	s_waitcnt vmcnt(54)
	ds_write_b64 v19, v[212:213] offset:416
	ds_read_b64 v[0:1], v18
	s_waitcnt lgkmcnt(0)
	v_cmp_neq_f64_e32 vcc, 0, v[0:1]
	s_and_b64 exec, exec, vcc
	s_cbranch_execz .LBB105_179
; %bb.178:
	v_div_scale_f64 v[2:3], s[6:7], v[0:1], v[0:1], 1.0
	v_rcp_f64_e32 v[4:5], v[2:3]
	v_div_scale_f64 v[6:7], vcc, 1.0, v[0:1], 1.0
	v_fma_f64 v[8:9], -v[2:3], v[4:5], 1.0
	v_fmac_f64_e32 v[4:5], v[4:5], v[8:9]
	v_fma_f64 v[8:9], -v[2:3], v[4:5], 1.0
	v_fmac_f64_e32 v[4:5], v[4:5], v[8:9]
	v_mul_f64 v[8:9], v[6:7], v[4:5]
	v_fma_f64 v[2:3], -v[2:3], v[8:9], v[6:7]
	v_div_fmas_f64 v[2:3], v[2:3], v[4:5], v[8:9]
	v_div_fixup_f64 v[0:1], v[2:3], v[0:1], 1.0
	ds_write_b64 v18, v[0:1]
.LBB105_179:
	s_or_b64 exec, exec, s[2:3]
	s_waitcnt lgkmcnt(0)
	s_barrier
	ds_read_b64 v[0:1], v18
	v_cmp_lt_u32_e32 vcc, 35, v20
	s_waitcnt lgkmcnt(0)
	buffer_store_dword v0, off, s[16:19], 0 offset:216 ; 4-byte Folded Spill
	s_nop 0
	buffer_store_dword v1, off, s[16:19], 0 offset:220 ; 4-byte Folded Spill
	s_and_saveexec_b64 s[2:3], vcc
	s_cbranch_execz .LBB105_181
; %bb.180:
	buffer_load_dword v0, off, s[16:19], 0 offset:216 ; 4-byte Folded Reload
	buffer_load_dword v1, off, s[16:19], 0 offset:220 ; 4-byte Folded Reload
	s_waitcnt vmcnt(0)
	v_mul_f64 v[126:127], v[0:1], v[126:127]
	ds_read2_b64 v[0:3], v19 offset0:36 offset1:37
	s_waitcnt lgkmcnt(0)
	v_fma_f64 v[176:177], -v[126:127], v[0:1], v[176:177]
	v_fma_f64 v[124:125], -v[126:127], v[2:3], v[124:125]
	ds_read2_b64 v[0:3], v19 offset0:38 offset1:39
	s_waitcnt lgkmcnt(0)
	v_fma_f64 v[174:175], -v[126:127], v[0:1], v[174:175]
	v_fma_f64 v[122:123], -v[126:127], v[2:3], v[122:123]
	ds_read2_b64 v[0:3], v19 offset0:40 offset1:41
	s_waitcnt lgkmcnt(0)
	v_fma_f64 v[172:173], -v[126:127], v[0:1], v[172:173]
	v_fma_f64 v[120:121], -v[126:127], v[2:3], v[120:121]
	ds_read2_b64 v[0:3], v19 offset0:42 offset1:43
	s_waitcnt lgkmcnt(0)
	v_fma_f64 v[170:171], -v[126:127], v[0:1], v[170:171]
	v_fma_f64 v[118:119], -v[126:127], v[2:3], v[118:119]
	ds_read2_b64 v[0:3], v19 offset0:44 offset1:45
	s_waitcnt lgkmcnt(0)
	v_fma_f64 v[168:169], -v[126:127], v[0:1], v[168:169]
	v_fma_f64 v[116:117], -v[126:127], v[2:3], v[116:117]
	ds_read2_b64 v[0:3], v19 offset0:46 offset1:47
	s_waitcnt lgkmcnt(0)
	v_fma_f64 v[166:167], -v[126:127], v[0:1], v[166:167]
	v_fma_f64 v[114:115], -v[126:127], v[2:3], v[114:115]
	ds_read2_b64 v[0:3], v19 offset0:48 offset1:49
	s_waitcnt lgkmcnt(0)
	v_fma_f64 v[164:165], -v[126:127], v[0:1], v[164:165]
	v_fma_f64 v[112:113], -v[126:127], v[2:3], v[112:113]
	ds_read2_b64 v[0:3], v19 offset0:50 offset1:51
	s_waitcnt lgkmcnt(0)
	v_fma_f64 v[162:163], -v[126:127], v[0:1], v[162:163]
	ds_read_b64 v[0:1], v19 offset:416
	v_fma_f64 v[110:111], -v[126:127], v[2:3], v[110:111]
	s_waitcnt lgkmcnt(0)
	v_fma_f64 v[212:213], -v[126:127], v[0:1], v[212:213]
.LBB105_181:
	s_or_b64 exec, exec, s[2:3]
	v_cmp_eq_u32_e32 vcc, 36, v20
	s_waitcnt vmcnt(63) expcnt(7) lgkmcnt(15)
	s_barrier
	s_and_saveexec_b64 s[2:3], vcc
	s_cbranch_execz .LBB105_184
; %bb.182:
	ds_write_b64 v18, v[176:177]
	ds_write2_b64 v19, v[124:125], v[174:175] offset0:37 offset1:38
	ds_write2_b64 v19, v[122:123], v[172:173] offset0:39 offset1:40
	;; [unrolled: 1-line block ×4, first 2 shown]
	s_waitcnt vmcnt(62)
	ds_write2_b64 v19, v[116:117], v[166:167] offset0:45 offset1:46
	s_waitcnt vmcnt(60)
	ds_write2_b64 v19, v[114:115], v[164:165] offset0:47 offset1:48
	;; [unrolled: 2-line block ×4, first 2 shown]
	ds_read_b64 v[0:1], v18
	s_waitcnt lgkmcnt(0)
	v_cmp_neq_f64_e32 vcc, 0, v[0:1]
	s_and_b64 exec, exec, vcc
	s_cbranch_execz .LBB105_184
; %bb.183:
	v_div_scale_f64 v[2:3], s[6:7], v[0:1], v[0:1], 1.0
	v_rcp_f64_e32 v[4:5], v[2:3]
	v_div_scale_f64 v[6:7], vcc, 1.0, v[0:1], 1.0
	v_fma_f64 v[8:9], -v[2:3], v[4:5], 1.0
	v_fmac_f64_e32 v[4:5], v[4:5], v[8:9]
	v_fma_f64 v[8:9], -v[2:3], v[4:5], 1.0
	v_fmac_f64_e32 v[4:5], v[4:5], v[8:9]
	v_mul_f64 v[8:9], v[6:7], v[4:5]
	v_fma_f64 v[2:3], -v[2:3], v[8:9], v[6:7]
	v_div_fmas_f64 v[2:3], v[2:3], v[4:5], v[8:9]
	v_div_fixup_f64 v[0:1], v[2:3], v[0:1], 1.0
	ds_write_b64 v18, v[0:1]
.LBB105_184:
	s_or_b64 exec, exec, s[2:3]
	s_waitcnt lgkmcnt(0)
	s_barrier
	ds_read_b64 v[0:1], v18
	v_cmp_lt_u32_e32 vcc, 36, v20
	s_waitcnt lgkmcnt(0)
	buffer_store_dword v0, off, s[16:19], 0 offset:224 ; 4-byte Folded Spill
	s_nop 0
	buffer_store_dword v1, off, s[16:19], 0 offset:228 ; 4-byte Folded Spill
	s_and_saveexec_b64 s[2:3], vcc
	s_cbranch_execz .LBB105_186
; %bb.185:
	buffer_load_dword v0, off, s[16:19], 0 offset:224 ; 4-byte Folded Reload
	buffer_load_dword v1, off, s[16:19], 0 offset:228 ; 4-byte Folded Reload
	s_waitcnt vmcnt(0)
	v_mul_f64 v[176:177], v[0:1], v[176:177]
	ds_read2_b64 v[0:3], v19 offset0:37 offset1:38
	s_waitcnt lgkmcnt(0)
	v_fma_f64 v[124:125], -v[176:177], v[0:1], v[124:125]
	v_fma_f64 v[174:175], -v[176:177], v[2:3], v[174:175]
	ds_read2_b64 v[0:3], v19 offset0:39 offset1:40
	s_waitcnt lgkmcnt(0)
	v_fma_f64 v[122:123], -v[176:177], v[0:1], v[122:123]
	v_fma_f64 v[172:173], -v[176:177], v[2:3], v[172:173]
	;; [unrolled: 4-line block ×8, first 2 shown]
.LBB105_186:
	s_or_b64 exec, exec, s[2:3]
	v_cmp_eq_u32_e32 vcc, 37, v20
	s_waitcnt vmcnt(63) expcnt(7) lgkmcnt(15)
	s_barrier
	s_and_saveexec_b64 s[2:3], vcc
	s_cbranch_execz .LBB105_189
; %bb.187:
	v_mov_b32_e32 v0, v174
	v_mov_b32_e32 v1, v175
	;; [unrolled: 1-line block ×4, first 2 shown]
	ds_write_b64 v18, v[124:125]
	ds_write2_b64 v19, v[0:1], v[2:3] offset0:38 offset1:39
	v_mov_b32_e32 v0, v172
	v_mov_b32_e32 v1, v173
	v_mov_b32_e32 v2, v120
	v_mov_b32_e32 v3, v121
	ds_write2_b64 v19, v[0:1], v[2:3] offset0:40 offset1:41
	v_mov_b32_e32 v0, v170
	v_mov_b32_e32 v1, v171
	v_mov_b32_e32 v2, v118
	v_mov_b32_e32 v3, v119
	;; [unrolled: 5-line block ×4, first 2 shown]
	ds_write2_b64 v19, v[0:1], v[2:3] offset0:46 offset1:47
	s_waitcnt vmcnt(62)
	v_mov_b32_e32 v0, v164
	v_mov_b32_e32 v1, v165
	s_waitcnt vmcnt(61)
	v_mov_b32_e32 v2, v112
	v_mov_b32_e32 v3, v113
	ds_write2_b64 v19, v[0:1], v[2:3] offset0:48 offset1:49
	s_waitcnt vmcnt(60)
	v_mov_b32_e32 v0, v162
	v_mov_b32_e32 v1, v163
	s_waitcnt vmcnt(59)
	v_mov_b32_e32 v2, v110
	v_mov_b32_e32 v3, v111
	ds_write2_b64 v19, v[0:1], v[2:3] offset0:50 offset1:51
	s_waitcnt vmcnt(58)
	ds_write_b64 v19, v[212:213] offset:416
	ds_read_b64 v[0:1], v18
	s_waitcnt lgkmcnt(0)
	v_cmp_neq_f64_e32 vcc, 0, v[0:1]
	s_and_b64 exec, exec, vcc
	s_cbranch_execz .LBB105_189
; %bb.188:
	v_div_scale_f64 v[2:3], s[6:7], v[0:1], v[0:1], 1.0
	v_rcp_f64_e32 v[4:5], v[2:3]
	v_div_scale_f64 v[6:7], vcc, 1.0, v[0:1], 1.0
	v_fma_f64 v[8:9], -v[2:3], v[4:5], 1.0
	v_fmac_f64_e32 v[4:5], v[4:5], v[8:9]
	v_fma_f64 v[8:9], -v[2:3], v[4:5], 1.0
	v_fmac_f64_e32 v[4:5], v[4:5], v[8:9]
	v_mul_f64 v[8:9], v[6:7], v[4:5]
	v_fma_f64 v[2:3], -v[2:3], v[8:9], v[6:7]
	v_div_fmas_f64 v[2:3], v[2:3], v[4:5], v[8:9]
	v_div_fixup_f64 v[0:1], v[2:3], v[0:1], 1.0
	ds_write_b64 v18, v[0:1]
.LBB105_189:
	s_or_b64 exec, exec, s[2:3]
	s_waitcnt lgkmcnt(0)
	s_barrier
	ds_read_b64 v[0:1], v18
	v_cmp_lt_u32_e32 vcc, 37, v20
	s_waitcnt lgkmcnt(0)
	buffer_store_dword v0, off, s[16:19], 0 offset:232 ; 4-byte Folded Spill
	s_nop 0
	buffer_store_dword v1, off, s[16:19], 0 offset:236 ; 4-byte Folded Spill
	s_and_saveexec_b64 s[2:3], vcc
	s_cbranch_execz .LBB105_191
; %bb.190:
	buffer_load_dword v0, off, s[16:19], 0 offset:232 ; 4-byte Folded Reload
	buffer_load_dword v1, off, s[16:19], 0 offset:236 ; 4-byte Folded Reload
	s_waitcnt vmcnt(0)
	v_mul_f64 v[124:125], v[0:1], v[124:125]
	ds_read2_b64 v[0:3], v19 offset0:38 offset1:39
	s_waitcnt lgkmcnt(0)
	v_fma_f64 v[174:175], -v[124:125], v[0:1], v[174:175]
	v_fma_f64 v[122:123], -v[124:125], v[2:3], v[122:123]
	ds_read2_b64 v[0:3], v19 offset0:40 offset1:41
	s_waitcnt lgkmcnt(0)
	v_fma_f64 v[172:173], -v[124:125], v[0:1], v[172:173]
	v_fma_f64 v[120:121], -v[124:125], v[2:3], v[120:121]
	;; [unrolled: 4-line block ×6, first 2 shown]
	ds_read2_b64 v[0:3], v19 offset0:50 offset1:51
	s_waitcnt lgkmcnt(0)
	v_fma_f64 v[162:163], -v[124:125], v[0:1], v[162:163]
	ds_read_b64 v[0:1], v19 offset:416
	v_fma_f64 v[110:111], -v[124:125], v[2:3], v[110:111]
	s_waitcnt lgkmcnt(0)
	v_fma_f64 v[212:213], -v[124:125], v[0:1], v[212:213]
.LBB105_191:
	s_or_b64 exec, exec, s[2:3]
	v_cmp_eq_u32_e32 vcc, 38, v20
	s_waitcnt vmcnt(63) expcnt(7) lgkmcnt(15)
	s_barrier
	s_and_saveexec_b64 s[2:3], vcc
	s_cbranch_execz .LBB105_194
; %bb.192:
	ds_write_b64 v18, v[174:175]
	ds_write2_b64 v19, v[122:123], v[172:173] offset0:39 offset1:40
	ds_write2_b64 v19, v[120:121], v[170:171] offset0:41 offset1:42
	;; [unrolled: 1-line block ×5, first 2 shown]
	s_waitcnt vmcnt(62)
	ds_write2_b64 v19, v[112:113], v[162:163] offset0:49 offset1:50
	s_waitcnt vmcnt(60)
	ds_write2_b64 v19, v[110:111], v[212:213] offset0:51 offset1:52
	ds_read_b64 v[0:1], v18
	s_waitcnt lgkmcnt(0)
	v_cmp_neq_f64_e32 vcc, 0, v[0:1]
	s_and_b64 exec, exec, vcc
	s_cbranch_execz .LBB105_194
; %bb.193:
	v_div_scale_f64 v[2:3], s[6:7], v[0:1], v[0:1], 1.0
	v_rcp_f64_e32 v[4:5], v[2:3]
	v_div_scale_f64 v[6:7], vcc, 1.0, v[0:1], 1.0
	v_fma_f64 v[8:9], -v[2:3], v[4:5], 1.0
	v_fmac_f64_e32 v[4:5], v[4:5], v[8:9]
	v_fma_f64 v[8:9], -v[2:3], v[4:5], 1.0
	v_fmac_f64_e32 v[4:5], v[4:5], v[8:9]
	v_mul_f64 v[8:9], v[6:7], v[4:5]
	v_fma_f64 v[2:3], -v[2:3], v[8:9], v[6:7]
	v_div_fmas_f64 v[2:3], v[2:3], v[4:5], v[8:9]
	v_div_fixup_f64 v[0:1], v[2:3], v[0:1], 1.0
	ds_write_b64 v18, v[0:1]
.LBB105_194:
	s_or_b64 exec, exec, s[2:3]
	s_waitcnt lgkmcnt(0)
	s_barrier
	ds_read_b64 v[0:1], v18
	v_cmp_lt_u32_e32 vcc, 38, v20
	s_and_saveexec_b64 s[2:3], vcc
	s_cbranch_execz .LBB105_196
; %bb.195:
	ds_read2_b64 v[4:7], v19 offset0:39 offset1:40
	s_waitcnt lgkmcnt(1)
	v_mul_f64 v[174:175], v[0:1], v[174:175]
	s_waitcnt lgkmcnt(0)
	v_fma_f64 v[122:123], -v[174:175], v[4:5], v[122:123]
	v_fma_f64 v[172:173], -v[174:175], v[6:7], v[172:173]
	ds_read2_b64 v[4:7], v19 offset0:41 offset1:42
	s_waitcnt lgkmcnt(0)
	v_fma_f64 v[120:121], -v[174:175], v[4:5], v[120:121]
	v_fma_f64 v[170:171], -v[174:175], v[6:7], v[170:171]
	ds_read2_b64 v[4:7], v19 offset0:43 offset1:44
	;; [unrolled: 4-line block ×5, first 2 shown]
	s_waitcnt lgkmcnt(0)
	v_fma_f64 v[112:113], -v[174:175], v[4:5], v[112:113]
	s_waitcnt vmcnt(62)
	v_fma_f64 v[162:163], -v[174:175], v[6:7], v[162:163]
	ds_read2_b64 v[4:7], v19 offset0:51 offset1:52
	s_waitcnt vmcnt(61) lgkmcnt(0)
	v_fma_f64 v[110:111], -v[174:175], v[4:5], v[110:111]
	s_waitcnt vmcnt(60)
	v_fma_f64 v[212:213], -v[174:175], v[6:7], v[212:213]
.LBB105_196:
	s_or_b64 exec, exec, s[2:3]
	v_cmp_eq_u32_e32 vcc, 39, v20
	s_waitcnt lgkmcnt(0)
	buffer_store_dword v0, off, s[16:19], 0 offset:272 ; 4-byte Folded Spill
	s_nop 0
	buffer_store_dword v1, off, s[16:19], 0 offset:276 ; 4-byte Folded Spill
	s_waitcnt vmcnt(63) expcnt(7) lgkmcnt(15)
	s_barrier
	s_and_saveexec_b64 s[2:3], vcc
	s_cbranch_execz .LBB105_199
; %bb.197:
	v_mov_b32_e32 v0, v172
	v_mov_b32_e32 v1, v173
	;; [unrolled: 1-line block ×4, first 2 shown]
	ds_write_b64 v18, v[122:123]
	ds_write2_b64 v19, v[0:1], v[4:5] offset0:40 offset1:41
	v_mov_b32_e32 v0, v170
	v_mov_b32_e32 v1, v171
	v_mov_b32_e32 v4, v118
	v_mov_b32_e32 v5, v119
	ds_write2_b64 v19, v[0:1], v[4:5] offset0:42 offset1:43
	v_mov_b32_e32 v0, v168
	v_mov_b32_e32 v1, v169
	v_mov_b32_e32 v4, v116
	v_mov_b32_e32 v5, v117
	;; [unrolled: 5-line block ×5, first 2 shown]
	ds_write2_b64 v19, v[0:1], v[4:5] offset0:50 offset1:51
	s_waitcnt vmcnt(62)
	ds_write_b64 v19, v[212:213] offset:416
	ds_read_b64 v[0:1], v18
	s_waitcnt lgkmcnt(0)
	v_cmp_neq_f64_e32 vcc, 0, v[0:1]
	s_and_b64 exec, exec, vcc
	s_cbranch_execz .LBB105_199
; %bb.198:
	v_div_scale_f64 v[4:5], s[6:7], v[0:1], v[0:1], 1.0
	v_rcp_f64_e32 v[6:7], v[4:5]
	v_div_scale_f64 v[8:9], vcc, 1.0, v[0:1], 1.0
	v_fma_f64 v[10:11], -v[4:5], v[6:7], 1.0
	v_fmac_f64_e32 v[6:7], v[6:7], v[10:11]
	v_fma_f64 v[10:11], -v[4:5], v[6:7], 1.0
	v_fmac_f64_e32 v[6:7], v[6:7], v[10:11]
	v_mul_f64 v[10:11], v[8:9], v[6:7]
	v_fma_f64 v[4:5], -v[4:5], v[10:11], v[8:9]
	v_div_fmas_f64 v[4:5], v[4:5], v[6:7], v[10:11]
	v_div_fixup_f64 v[0:1], v[4:5], v[0:1], 1.0
	ds_write_b64 v18, v[0:1]
.LBB105_199:
	s_or_b64 exec, exec, s[2:3]
	s_waitcnt lgkmcnt(0)
	s_barrier
	ds_read_b64 v[0:1], v18
	v_cmp_lt_u32_e32 vcc, 39, v20
	s_waitcnt lgkmcnt(0)
	buffer_store_dword v0, off, s[16:19], 0 offset:240 ; 4-byte Folded Spill
	s_nop 0
	buffer_store_dword v1, off, s[16:19], 0 offset:244 ; 4-byte Folded Spill
	s_and_saveexec_b64 s[2:3], vcc
	s_cbranch_execz .LBB105_201
; %bb.200:
	buffer_load_dword v0, off, s[16:19], 0 offset:240 ; 4-byte Folded Reload
	buffer_load_dword v1, off, s[16:19], 0 offset:244 ; 4-byte Folded Reload
	ds_read2_b64 v[4:7], v19 offset0:40 offset1:41
	s_waitcnt vmcnt(0)
	v_mul_f64 v[122:123], v[0:1], v[122:123]
	ds_read_b64 v[0:1], v19 offset:416
	s_waitcnt lgkmcnt(1)
	v_fma_f64 v[172:173], -v[122:123], v[4:5], v[172:173]
	v_fma_f64 v[120:121], -v[122:123], v[6:7], v[120:121]
	ds_read2_b64 v[4:7], v19 offset0:42 offset1:43
	s_waitcnt lgkmcnt(1)
	v_fma_f64 v[212:213], -v[122:123], v[0:1], v[212:213]
	s_waitcnt lgkmcnt(0)
	v_fma_f64 v[170:171], -v[122:123], v[4:5], v[170:171]
	v_fma_f64 v[118:119], -v[122:123], v[6:7], v[118:119]
	ds_read2_b64 v[4:7], v19 offset0:44 offset1:45
	s_waitcnt lgkmcnt(0)
	v_fma_f64 v[168:169], -v[122:123], v[4:5], v[168:169]
	v_fma_f64 v[116:117], -v[122:123], v[6:7], v[116:117]
	ds_read2_b64 v[4:7], v19 offset0:46 offset1:47
	;; [unrolled: 4-line block ×4, first 2 shown]
	s_waitcnt lgkmcnt(0)
	v_fma_f64 v[162:163], -v[122:123], v[4:5], v[162:163]
	v_fma_f64 v[110:111], -v[122:123], v[6:7], v[110:111]
.LBB105_201:
	s_or_b64 exec, exec, s[2:3]
	v_cmp_eq_u32_e32 vcc, 40, v20
	s_waitcnt vmcnt(63) expcnt(7) lgkmcnt(15)
	s_barrier
	s_and_saveexec_b64 s[2:3], vcc
	s_cbranch_execz .LBB105_204
; %bb.202:
	ds_write_b64 v18, v[172:173]
	ds_write2_b64 v19, v[120:121], v[170:171] offset0:41 offset1:42
	ds_write2_b64 v19, v[118:119], v[168:169] offset0:43 offset1:44
	;; [unrolled: 1-line block ×6, first 2 shown]
	ds_read_b64 v[0:1], v18
	s_waitcnt lgkmcnt(0)
	v_cmp_neq_f64_e32 vcc, 0, v[0:1]
	s_and_b64 exec, exec, vcc
	s_cbranch_execz .LBB105_204
; %bb.203:
	v_div_scale_f64 v[4:5], s[6:7], v[0:1], v[0:1], 1.0
	v_rcp_f64_e32 v[6:7], v[4:5]
	v_div_scale_f64 v[8:9], vcc, 1.0, v[0:1], 1.0
	v_fma_f64 v[10:11], -v[4:5], v[6:7], 1.0
	v_fmac_f64_e32 v[6:7], v[6:7], v[10:11]
	v_fma_f64 v[10:11], -v[4:5], v[6:7], 1.0
	v_fmac_f64_e32 v[6:7], v[6:7], v[10:11]
	v_mul_f64 v[10:11], v[8:9], v[6:7]
	v_fma_f64 v[4:5], -v[4:5], v[10:11], v[8:9]
	v_div_fmas_f64 v[4:5], v[4:5], v[6:7], v[10:11]
	v_div_fixup_f64 v[0:1], v[4:5], v[0:1], 1.0
	ds_write_b64 v18, v[0:1]
.LBB105_204:
	s_or_b64 exec, exec, s[2:3]
	s_waitcnt lgkmcnt(0)
	s_barrier
	ds_read_b64 v[0:1], v18
	v_cmp_lt_u32_e32 vcc, 40, v20
	s_and_saveexec_b64 s[2:3], vcc
	s_cbranch_execz .LBB105_206
; %bb.205:
	ds_read2_b64 v[4:7], v19 offset0:41 offset1:42
	s_waitcnt lgkmcnt(1)
	v_mul_f64 v[172:173], v[0:1], v[172:173]
	s_waitcnt lgkmcnt(0)
	v_fma_f64 v[120:121], -v[172:173], v[4:5], v[120:121]
	v_fma_f64 v[170:171], -v[172:173], v[6:7], v[170:171]
	ds_read2_b64 v[4:7], v19 offset0:43 offset1:44
	s_waitcnt lgkmcnt(0)
	v_fma_f64 v[118:119], -v[172:173], v[4:5], v[118:119]
	v_fma_f64 v[168:169], -v[172:173], v[6:7], v[168:169]
	ds_read2_b64 v[4:7], v19 offset0:45 offset1:46
	;; [unrolled: 4-line block ×5, first 2 shown]
	s_waitcnt lgkmcnt(0)
	v_fma_f64 v[110:111], -v[172:173], v[4:5], v[110:111]
	v_fma_f64 v[212:213], -v[172:173], v[6:7], v[212:213]
.LBB105_206:
	s_or_b64 exec, exec, s[2:3]
	v_cmp_eq_u32_e32 vcc, 41, v20
	s_waitcnt lgkmcnt(0)
	buffer_store_dword v0, off, s[16:19], 0 offset:280 ; 4-byte Folded Spill
	s_nop 0
	buffer_store_dword v1, off, s[16:19], 0 offset:284 ; 4-byte Folded Spill
	s_waitcnt vmcnt(63) expcnt(7) lgkmcnt(15)
	s_barrier
	s_and_saveexec_b64 s[2:3], vcc
	s_cbranch_execz .LBB105_209
; %bb.207:
	v_mov_b32_e32 v0, v170
	v_mov_b32_e32 v1, v171
	;; [unrolled: 1-line block ×4, first 2 shown]
	ds_write_b64 v18, v[120:121]
	ds_write2_b64 v19, v[0:1], v[4:5] offset0:42 offset1:43
	v_mov_b32_e32 v0, v168
	v_mov_b32_e32 v1, v169
	v_mov_b32_e32 v4, v116
	v_mov_b32_e32 v5, v117
	ds_write2_b64 v19, v[0:1], v[4:5] offset0:44 offset1:45
	v_mov_b32_e32 v0, v166
	v_mov_b32_e32 v1, v167
	v_mov_b32_e32 v4, v114
	v_mov_b32_e32 v5, v115
	;; [unrolled: 5-line block ×4, first 2 shown]
	ds_write2_b64 v19, v[0:1], v[4:5] offset0:50 offset1:51
	ds_write_b64 v19, v[212:213] offset:416
	ds_read_b64 v[0:1], v18
	s_waitcnt lgkmcnt(0)
	v_cmp_neq_f64_e32 vcc, 0, v[0:1]
	s_and_b64 exec, exec, vcc
	s_cbranch_execz .LBB105_209
; %bb.208:
	v_div_scale_f64 v[4:5], s[6:7], v[0:1], v[0:1], 1.0
	v_rcp_f64_e32 v[6:7], v[4:5]
	v_div_scale_f64 v[8:9], vcc, 1.0, v[0:1], 1.0
	v_fma_f64 v[10:11], -v[4:5], v[6:7], 1.0
	v_fmac_f64_e32 v[6:7], v[6:7], v[10:11]
	v_fma_f64 v[10:11], -v[4:5], v[6:7], 1.0
	v_fmac_f64_e32 v[6:7], v[6:7], v[10:11]
	v_mul_f64 v[10:11], v[8:9], v[6:7]
	v_fma_f64 v[4:5], -v[4:5], v[10:11], v[8:9]
	v_div_fmas_f64 v[4:5], v[4:5], v[6:7], v[10:11]
	v_div_fixup_f64 v[0:1], v[4:5], v[0:1], 1.0
	ds_write_b64 v18, v[0:1]
.LBB105_209:
	s_or_b64 exec, exec, s[2:3]
	s_waitcnt lgkmcnt(0)
	s_barrier
	ds_read_b64 v[0:1], v18
	v_cmp_lt_u32_e32 vcc, 41, v20
	s_waitcnt lgkmcnt(0)
	buffer_store_dword v0, off, s[16:19], 0 offset:248 ; 4-byte Folded Spill
	s_nop 0
	buffer_store_dword v1, off, s[16:19], 0 offset:252 ; 4-byte Folded Spill
	s_and_saveexec_b64 s[2:3], vcc
	s_cbranch_execz .LBB105_211
; %bb.210:
	buffer_load_dword v0, off, s[16:19], 0 offset:248 ; 4-byte Folded Reload
	buffer_load_dword v1, off, s[16:19], 0 offset:252 ; 4-byte Folded Reload
	ds_read2_b64 v[4:7], v19 offset0:42 offset1:43
	s_waitcnt vmcnt(0)
	v_mul_f64 v[120:121], v[0:1], v[120:121]
	ds_read_b64 v[0:1], v19 offset:416
	s_waitcnt lgkmcnt(1)
	v_fma_f64 v[170:171], -v[120:121], v[4:5], v[170:171]
	v_fma_f64 v[118:119], -v[120:121], v[6:7], v[118:119]
	ds_read2_b64 v[4:7], v19 offset0:44 offset1:45
	s_waitcnt lgkmcnt(1)
	v_fma_f64 v[212:213], -v[120:121], v[0:1], v[212:213]
	s_waitcnt lgkmcnt(0)
	v_fma_f64 v[168:169], -v[120:121], v[4:5], v[168:169]
	v_fma_f64 v[116:117], -v[120:121], v[6:7], v[116:117]
	ds_read2_b64 v[4:7], v19 offset0:46 offset1:47
	s_waitcnt lgkmcnt(0)
	v_fma_f64 v[166:167], -v[120:121], v[4:5], v[166:167]
	v_fma_f64 v[114:115], -v[120:121], v[6:7], v[114:115]
	ds_read2_b64 v[4:7], v19 offset0:48 offset1:49
	;; [unrolled: 4-line block ×3, first 2 shown]
	s_waitcnt lgkmcnt(0)
	v_fma_f64 v[162:163], -v[120:121], v[4:5], v[162:163]
	v_fma_f64 v[110:111], -v[120:121], v[6:7], v[110:111]
.LBB105_211:
	s_or_b64 exec, exec, s[2:3]
	v_cmp_eq_u32_e32 vcc, 42, v20
	s_waitcnt vmcnt(63) expcnt(7) lgkmcnt(15)
	s_barrier
	s_and_saveexec_b64 s[2:3], vcc
	s_cbranch_execz .LBB105_214
; %bb.212:
	ds_write_b64 v18, v[170:171]
	ds_write2_b64 v19, v[118:119], v[168:169] offset0:43 offset1:44
	ds_write2_b64 v19, v[116:117], v[166:167] offset0:45 offset1:46
	;; [unrolled: 1-line block ×5, first 2 shown]
	ds_read_b64 v[0:1], v18
	s_waitcnt lgkmcnt(0)
	v_cmp_neq_f64_e32 vcc, 0, v[0:1]
	s_and_b64 exec, exec, vcc
	s_cbranch_execz .LBB105_214
; %bb.213:
	v_div_scale_f64 v[4:5], s[6:7], v[0:1], v[0:1], 1.0
	v_rcp_f64_e32 v[6:7], v[4:5]
	v_div_scale_f64 v[8:9], vcc, 1.0, v[0:1], 1.0
	v_fma_f64 v[10:11], -v[4:5], v[6:7], 1.0
	v_fmac_f64_e32 v[6:7], v[6:7], v[10:11]
	v_fma_f64 v[10:11], -v[4:5], v[6:7], 1.0
	v_fmac_f64_e32 v[6:7], v[6:7], v[10:11]
	v_mul_f64 v[10:11], v[8:9], v[6:7]
	v_fma_f64 v[4:5], -v[4:5], v[10:11], v[8:9]
	v_div_fmas_f64 v[4:5], v[4:5], v[6:7], v[10:11]
	v_div_fixup_f64 v[0:1], v[4:5], v[0:1], 1.0
	ds_write_b64 v18, v[0:1]
.LBB105_214:
	s_or_b64 exec, exec, s[2:3]
	s_waitcnt lgkmcnt(0)
	s_barrier
	ds_read_b64 v[0:1], v18
	v_cmp_lt_u32_e32 vcc, 42, v20
	s_and_saveexec_b64 s[2:3], vcc
	s_cbranch_execz .LBB105_216
; %bb.215:
	ds_read2_b64 v[4:7], v19 offset0:43 offset1:44
	s_waitcnt lgkmcnt(1)
	v_mul_f64 v[170:171], v[0:1], v[170:171]
	s_waitcnt lgkmcnt(0)
	v_fma_f64 v[118:119], -v[170:171], v[4:5], v[118:119]
	v_fma_f64 v[168:169], -v[170:171], v[6:7], v[168:169]
	ds_read2_b64 v[4:7], v19 offset0:45 offset1:46
	s_waitcnt lgkmcnt(0)
	v_fma_f64 v[116:117], -v[170:171], v[4:5], v[116:117]
	v_fma_f64 v[166:167], -v[170:171], v[6:7], v[166:167]
	ds_read2_b64 v[4:7], v19 offset0:47 offset1:48
	;; [unrolled: 4-line block ×4, first 2 shown]
	s_waitcnt lgkmcnt(0)
	v_fma_f64 v[110:111], -v[170:171], v[4:5], v[110:111]
	v_fma_f64 v[212:213], -v[170:171], v[6:7], v[212:213]
.LBB105_216:
	s_or_b64 exec, exec, s[2:3]
	v_cmp_eq_u32_e32 vcc, 43, v20
	s_waitcnt lgkmcnt(0)
	buffer_store_dword v0, off, s[16:19], 0 offset:288 ; 4-byte Folded Spill
	s_nop 0
	buffer_store_dword v1, off, s[16:19], 0 offset:292 ; 4-byte Folded Spill
	s_waitcnt vmcnt(63) expcnt(7) lgkmcnt(15)
	s_barrier
	s_and_saveexec_b64 s[2:3], vcc
	s_cbranch_execz .LBB105_219
; %bb.217:
	v_mov_b32_e32 v0, v168
	v_mov_b32_e32 v1, v169
	v_mov_b32_e32 v4, v116
	v_mov_b32_e32 v5, v117
	ds_write_b64 v18, v[118:119]
	ds_write2_b64 v19, v[0:1], v[4:5] offset0:44 offset1:45
	v_mov_b32_e32 v0, v166
	v_mov_b32_e32 v1, v167
	v_mov_b32_e32 v4, v114
	v_mov_b32_e32 v5, v115
	ds_write2_b64 v19, v[0:1], v[4:5] offset0:46 offset1:47
	v_mov_b32_e32 v0, v164
	v_mov_b32_e32 v1, v165
	v_mov_b32_e32 v4, v112
	v_mov_b32_e32 v5, v113
	;; [unrolled: 5-line block ×3, first 2 shown]
	ds_write2_b64 v19, v[0:1], v[4:5] offset0:50 offset1:51
	ds_write_b64 v19, v[212:213] offset:416
	ds_read_b64 v[0:1], v18
	s_waitcnt lgkmcnt(0)
	v_cmp_neq_f64_e32 vcc, 0, v[0:1]
	s_and_b64 exec, exec, vcc
	s_cbranch_execz .LBB105_219
; %bb.218:
	v_div_scale_f64 v[4:5], s[6:7], v[0:1], v[0:1], 1.0
	v_rcp_f64_e32 v[6:7], v[4:5]
	v_div_scale_f64 v[8:9], vcc, 1.0, v[0:1], 1.0
	v_fma_f64 v[10:11], -v[4:5], v[6:7], 1.0
	v_fmac_f64_e32 v[6:7], v[6:7], v[10:11]
	v_fma_f64 v[10:11], -v[4:5], v[6:7], 1.0
	v_fmac_f64_e32 v[6:7], v[6:7], v[10:11]
	v_mul_f64 v[10:11], v[8:9], v[6:7]
	v_fma_f64 v[4:5], -v[4:5], v[10:11], v[8:9]
	v_div_fmas_f64 v[4:5], v[4:5], v[6:7], v[10:11]
	v_div_fixup_f64 v[0:1], v[4:5], v[0:1], 1.0
	ds_write_b64 v18, v[0:1]
.LBB105_219:
	s_or_b64 exec, exec, s[2:3]
	s_waitcnt lgkmcnt(0)
	s_barrier
	ds_read_b64 v[0:1], v18
	v_cmp_lt_u32_e32 vcc, 43, v20
	s_waitcnt lgkmcnt(0)
	buffer_store_dword v0, off, s[16:19], 0 offset:256 ; 4-byte Folded Spill
	s_nop 0
	buffer_store_dword v1, off, s[16:19], 0 offset:260 ; 4-byte Folded Spill
	s_and_saveexec_b64 s[2:3], vcc
	s_cbranch_execz .LBB105_221
; %bb.220:
	buffer_load_dword v0, off, s[16:19], 0 offset:256 ; 4-byte Folded Reload
	buffer_load_dword v1, off, s[16:19], 0 offset:260 ; 4-byte Folded Reload
	ds_read2_b64 v[4:7], v19 offset0:44 offset1:45
	s_waitcnt vmcnt(0)
	v_mul_f64 v[118:119], v[0:1], v[118:119]
	ds_read_b64 v[0:1], v19 offset:416
	s_waitcnt lgkmcnt(1)
	v_fma_f64 v[168:169], -v[118:119], v[4:5], v[168:169]
	v_fma_f64 v[116:117], -v[118:119], v[6:7], v[116:117]
	ds_read2_b64 v[4:7], v19 offset0:46 offset1:47
	s_waitcnt lgkmcnt(1)
	v_fma_f64 v[212:213], -v[118:119], v[0:1], v[212:213]
	s_waitcnt lgkmcnt(0)
	v_fma_f64 v[166:167], -v[118:119], v[4:5], v[166:167]
	v_fma_f64 v[114:115], -v[118:119], v[6:7], v[114:115]
	ds_read2_b64 v[4:7], v19 offset0:48 offset1:49
	s_waitcnt lgkmcnt(0)
	v_fma_f64 v[164:165], -v[118:119], v[4:5], v[164:165]
	v_fma_f64 v[112:113], -v[118:119], v[6:7], v[112:113]
	ds_read2_b64 v[4:7], v19 offset0:50 offset1:51
	s_waitcnt lgkmcnt(0)
	v_fma_f64 v[162:163], -v[118:119], v[4:5], v[162:163]
	v_fma_f64 v[110:111], -v[118:119], v[6:7], v[110:111]
.LBB105_221:
	s_or_b64 exec, exec, s[2:3]
	v_cmp_eq_u32_e32 vcc, 44, v20
	s_waitcnt vmcnt(63) expcnt(7) lgkmcnt(15)
	s_barrier
	s_and_saveexec_b64 s[2:3], vcc
	s_cbranch_execz .LBB105_224
; %bb.222:
	ds_write_b64 v18, v[168:169]
	ds_write2_b64 v19, v[116:117], v[166:167] offset0:45 offset1:46
	ds_write2_b64 v19, v[114:115], v[164:165] offset0:47 offset1:48
	;; [unrolled: 1-line block ×4, first 2 shown]
	ds_read_b64 v[0:1], v18
	s_waitcnt lgkmcnt(0)
	v_cmp_neq_f64_e32 vcc, 0, v[0:1]
	s_and_b64 exec, exec, vcc
	s_cbranch_execz .LBB105_224
; %bb.223:
	v_div_scale_f64 v[4:5], s[6:7], v[0:1], v[0:1], 1.0
	v_rcp_f64_e32 v[6:7], v[4:5]
	v_div_scale_f64 v[8:9], vcc, 1.0, v[0:1], 1.0
	v_fma_f64 v[10:11], -v[4:5], v[6:7], 1.0
	v_fmac_f64_e32 v[6:7], v[6:7], v[10:11]
	v_fma_f64 v[10:11], -v[4:5], v[6:7], 1.0
	v_fmac_f64_e32 v[6:7], v[6:7], v[10:11]
	v_mul_f64 v[10:11], v[8:9], v[6:7]
	v_fma_f64 v[4:5], -v[4:5], v[10:11], v[8:9]
	v_div_fmas_f64 v[4:5], v[4:5], v[6:7], v[10:11]
	v_div_fixup_f64 v[0:1], v[4:5], v[0:1], 1.0
	ds_write_b64 v18, v[0:1]
.LBB105_224:
	s_or_b64 exec, exec, s[2:3]
	s_waitcnt lgkmcnt(0)
	s_barrier
	ds_read_b64 v[0:1], v18
	v_cmp_lt_u32_e32 vcc, 44, v20
	s_waitcnt lgkmcnt(0)
	buffer_store_dword v0, off, s[16:19], 0 offset:264 ; 4-byte Folded Spill
	s_nop 0
	buffer_store_dword v1, off, s[16:19], 0 offset:268 ; 4-byte Folded Spill
	s_and_saveexec_b64 s[2:3], vcc
	s_cbranch_execz .LBB105_226
; %bb.225:
	buffer_load_dword v0, off, s[16:19], 0 offset:264 ; 4-byte Folded Reload
	buffer_load_dword v1, off, s[16:19], 0 offset:268 ; 4-byte Folded Reload
	ds_read2_b64 v[4:7], v19 offset0:45 offset1:46
	s_waitcnt vmcnt(0)
	v_mul_f64 v[168:169], v[0:1], v[168:169]
	s_waitcnt lgkmcnt(0)
	v_fma_f64 v[116:117], -v[168:169], v[4:5], v[116:117]
	v_fma_f64 v[166:167], -v[168:169], v[6:7], v[166:167]
	ds_read2_b64 v[4:7], v19 offset0:47 offset1:48
	s_waitcnt lgkmcnt(0)
	v_fma_f64 v[114:115], -v[168:169], v[4:5], v[114:115]
	v_fma_f64 v[164:165], -v[168:169], v[6:7], v[164:165]
	ds_read2_b64 v[4:7], v19 offset0:49 offset1:50
	;; [unrolled: 4-line block ×3, first 2 shown]
	s_waitcnt lgkmcnt(0)
	v_fma_f64 v[110:111], -v[168:169], v[4:5], v[110:111]
	v_fma_f64 v[212:213], -v[168:169], v[6:7], v[212:213]
.LBB105_226:
	s_or_b64 exec, exec, s[2:3]
	v_cmp_eq_u32_e32 vcc, 45, v20
	s_waitcnt vmcnt(63) expcnt(7) lgkmcnt(15)
	s_barrier
	s_and_saveexec_b64 s[2:3], vcc
	s_cbranch_execz .LBB105_229
; %bb.227:
	v_mov_b32_e32 v4, v166
	v_mov_b32_e32 v5, v167
	;; [unrolled: 1-line block ×4, first 2 shown]
	ds_write_b64 v18, v[116:117]
	ds_write2_b64 v19, v[4:5], v[6:7] offset0:46 offset1:47
	v_mov_b32_e32 v4, v164
	v_mov_b32_e32 v5, v165
	;; [unrolled: 1-line block ×4, first 2 shown]
	ds_write2_b64 v19, v[4:5], v[6:7] offset0:48 offset1:49
	v_mov_b32_e32 v4, v162
	v_mov_b32_e32 v5, v163
	;; [unrolled: 1-line block ×4, first 2 shown]
	ds_write2_b64 v19, v[4:5], v[6:7] offset0:50 offset1:51
	ds_write_b64 v19, v[212:213] offset:416
	ds_read_b64 v[4:5], v18
	s_waitcnt lgkmcnt(0)
	v_cmp_neq_f64_e32 vcc, 0, v[4:5]
	s_and_b64 exec, exec, vcc
	s_cbranch_execz .LBB105_229
; %bb.228:
	v_div_scale_f64 v[6:7], s[6:7], v[4:5], v[4:5], 1.0
	v_rcp_f64_e32 v[8:9], v[6:7]
	v_div_scale_f64 v[10:11], vcc, 1.0, v[4:5], 1.0
	v_fma_f64 v[12:13], -v[6:7], v[8:9], 1.0
	v_fmac_f64_e32 v[8:9], v[8:9], v[12:13]
	v_fma_f64 v[12:13], -v[6:7], v[8:9], 1.0
	v_fmac_f64_e32 v[8:9], v[8:9], v[12:13]
	v_mul_f64 v[12:13], v[10:11], v[8:9]
	v_fma_f64 v[6:7], -v[6:7], v[12:13], v[10:11]
	v_div_fmas_f64 v[6:7], v[6:7], v[8:9], v[12:13]
	v_div_fixup_f64 v[4:5], v[6:7], v[4:5], 1.0
	ds_write_b64 v18, v[4:5]
.LBB105_229:
	s_or_b64 exec, exec, s[2:3]
	s_waitcnt lgkmcnt(0)
	s_barrier
	ds_read_b64 v[4:5], v18
	v_cmp_lt_u32_e32 vcc, 45, v20
	s_and_saveexec_b64 s[2:3], vcc
	s_cbranch_execz .LBB105_231
; %bb.230:
	ds_read2_b64 v[6:9], v19 offset0:46 offset1:47
	s_waitcnt lgkmcnt(1)
	v_mul_f64 v[116:117], v[4:5], v[116:117]
	s_waitcnt lgkmcnt(0)
	v_fma_f64 v[166:167], -v[116:117], v[6:7], v[166:167]
	v_fma_f64 v[114:115], -v[116:117], v[8:9], v[114:115]
	ds_read2_b64 v[6:9], v19 offset0:48 offset1:49
	s_waitcnt lgkmcnt(0)
	v_fma_f64 v[164:165], -v[116:117], v[6:7], v[164:165]
	v_fma_f64 v[112:113], -v[116:117], v[8:9], v[112:113]
	ds_read2_b64 v[6:9], v19 offset0:50 offset1:51
	s_waitcnt lgkmcnt(0)
	v_fma_f64 v[162:163], -v[116:117], v[6:7], v[162:163]
	ds_read_b64 v[6:7], v19 offset:416
	v_fma_f64 v[110:111], -v[116:117], v[8:9], v[110:111]
	s_waitcnt lgkmcnt(0)
	v_fma_f64 v[212:213], -v[116:117], v[6:7], v[212:213]
.LBB105_231:
	s_or_b64 exec, exec, s[2:3]
	v_cmp_eq_u32_e32 vcc, 46, v20
	s_waitcnt lgkmcnt(0)
	s_barrier
	s_and_saveexec_b64 s[2:3], vcc
	s_cbranch_execz .LBB105_234
; %bb.232:
	ds_write_b64 v18, v[166:167]
	ds_write2_b64 v19, v[114:115], v[164:165] offset0:47 offset1:48
	ds_write2_b64 v19, v[112:113], v[162:163] offset0:49 offset1:50
	;; [unrolled: 1-line block ×3, first 2 shown]
	ds_read_b64 v[6:7], v18
	s_waitcnt lgkmcnt(0)
	v_cmp_neq_f64_e32 vcc, 0, v[6:7]
	s_and_b64 exec, exec, vcc
	s_cbranch_execz .LBB105_234
; %bb.233:
	v_div_scale_f64 v[8:9], s[6:7], v[6:7], v[6:7], 1.0
	v_rcp_f64_e32 v[10:11], v[8:9]
	v_div_scale_f64 v[12:13], vcc, 1.0, v[6:7], 1.0
	v_fma_f64 v[14:15], -v[8:9], v[10:11], 1.0
	v_fmac_f64_e32 v[10:11], v[10:11], v[14:15]
	v_fma_f64 v[14:15], -v[8:9], v[10:11], 1.0
	v_fmac_f64_e32 v[10:11], v[10:11], v[14:15]
	v_mul_f64 v[14:15], v[12:13], v[10:11]
	v_fma_f64 v[8:9], -v[8:9], v[14:15], v[12:13]
	v_div_fmas_f64 v[8:9], v[8:9], v[10:11], v[14:15]
	v_div_fixup_f64 v[6:7], v[8:9], v[6:7], 1.0
	ds_write_b64 v18, v[6:7]
.LBB105_234:
	s_or_b64 exec, exec, s[2:3]
	s_waitcnt lgkmcnt(0)
	s_barrier
	ds_read_b64 v[6:7], v18
	v_cmp_lt_u32_e32 vcc, 46, v20
	s_and_saveexec_b64 s[2:3], vcc
	s_cbranch_execz .LBB105_236
; %bb.235:
	ds_read2_b64 v[8:11], v19 offset0:47 offset1:48
	s_waitcnt lgkmcnt(1)
	v_mul_f64 v[166:167], v[6:7], v[166:167]
	s_waitcnt lgkmcnt(0)
	v_fma_f64 v[114:115], -v[166:167], v[8:9], v[114:115]
	v_fma_f64 v[164:165], -v[166:167], v[10:11], v[164:165]
	ds_read2_b64 v[8:11], v19 offset0:49 offset1:50
	s_waitcnt lgkmcnt(0)
	v_fma_f64 v[112:113], -v[166:167], v[8:9], v[112:113]
	v_fma_f64 v[162:163], -v[166:167], v[10:11], v[162:163]
	ds_read2_b64 v[8:11], v19 offset0:51 offset1:52
	s_waitcnt lgkmcnt(0)
	v_fma_f64 v[110:111], -v[166:167], v[8:9], v[110:111]
	v_fma_f64 v[212:213], -v[166:167], v[10:11], v[212:213]
.LBB105_236:
	s_or_b64 exec, exec, s[2:3]
	v_cmp_eq_u32_e32 vcc, 47, v20
	s_waitcnt lgkmcnt(0)
	s_barrier
	s_and_saveexec_b64 s[2:3], vcc
	s_cbranch_execz .LBB105_239
; %bb.237:
	v_mov_b32_e32 v8, v164
	v_mov_b32_e32 v9, v165
	;; [unrolled: 1-line block ×4, first 2 shown]
	ds_write_b64 v18, v[114:115]
	ds_write2_b64 v19, v[8:9], v[10:11] offset0:48 offset1:49
	v_mov_b32_e32 v8, v162
	v_mov_b32_e32 v9, v163
	;; [unrolled: 1-line block ×4, first 2 shown]
	ds_write2_b64 v19, v[8:9], v[10:11] offset0:50 offset1:51
	ds_write_b64 v19, v[212:213] offset:416
	ds_read_b64 v[8:9], v18
	s_waitcnt lgkmcnt(0)
	v_cmp_neq_f64_e32 vcc, 0, v[8:9]
	s_and_b64 exec, exec, vcc
	s_cbranch_execz .LBB105_239
; %bb.238:
	v_div_scale_f64 v[10:11], s[6:7], v[8:9], v[8:9], 1.0
	v_rcp_f64_e32 v[12:13], v[10:11]
	v_div_scale_f64 v[14:15], vcc, 1.0, v[8:9], 1.0
	v_fma_f64 v[16:17], -v[10:11], v[12:13], 1.0
	v_fmac_f64_e32 v[12:13], v[12:13], v[16:17]
	v_fma_f64 v[16:17], -v[10:11], v[12:13], 1.0
	v_fmac_f64_e32 v[12:13], v[12:13], v[16:17]
	v_mul_f64 v[16:17], v[14:15], v[12:13]
	v_fma_f64 v[10:11], -v[10:11], v[16:17], v[14:15]
	v_div_fmas_f64 v[10:11], v[10:11], v[12:13], v[16:17]
	v_div_fixup_f64 v[8:9], v[10:11], v[8:9], 1.0
	ds_write_b64 v18, v[8:9]
.LBB105_239:
	s_or_b64 exec, exec, s[2:3]
	s_waitcnt lgkmcnt(0)
	s_barrier
	ds_read_b64 v[8:9], v18
	v_cmp_lt_u32_e32 vcc, 47, v20
	s_and_saveexec_b64 s[2:3], vcc
	s_cbranch_execz .LBB105_241
; %bb.240:
	ds_read2_b64 v[10:13], v19 offset0:48 offset1:49
	s_waitcnt lgkmcnt(1)
	v_mul_f64 v[114:115], v[8:9], v[114:115]
	s_waitcnt lgkmcnt(0)
	v_fma_f64 v[164:165], -v[114:115], v[10:11], v[164:165]
	v_fma_f64 v[112:113], -v[114:115], v[12:13], v[112:113]
	ds_read2_b64 v[10:13], v19 offset0:50 offset1:51
	s_waitcnt lgkmcnt(0)
	v_fma_f64 v[162:163], -v[114:115], v[10:11], v[162:163]
	ds_read_b64 v[10:11], v19 offset:416
	v_fma_f64 v[110:111], -v[114:115], v[12:13], v[110:111]
	s_waitcnt lgkmcnt(0)
	v_fma_f64 v[212:213], -v[114:115], v[10:11], v[212:213]
.LBB105_241:
	s_or_b64 exec, exec, s[2:3]
	v_cmp_eq_u32_e32 vcc, 48, v20
	s_waitcnt lgkmcnt(0)
	s_barrier
	s_and_saveexec_b64 s[2:3], vcc
	s_cbranch_execz .LBB105_244
; %bb.242:
	ds_write_b64 v18, v[164:165]
	ds_write2_b64 v19, v[112:113], v[162:163] offset0:49 offset1:50
	ds_write2_b64 v19, v[110:111], v[212:213] offset0:51 offset1:52
	ds_read_b64 v[10:11], v18
	s_waitcnt lgkmcnt(0)
	v_cmp_neq_f64_e32 vcc, 0, v[10:11]
	s_and_b64 exec, exec, vcc
	s_cbranch_execz .LBB105_244
; %bb.243:
	v_div_scale_f64 v[12:13], s[6:7], v[10:11], v[10:11], 1.0
	v_rcp_f64_e32 v[14:15], v[12:13]
	v_div_scale_f64 v[16:17], vcc, 1.0, v[10:11], 1.0
	v_fma_f64 v[22:23], -v[12:13], v[14:15], 1.0
	v_fmac_f64_e32 v[14:15], v[14:15], v[22:23]
	v_fma_f64 v[22:23], -v[12:13], v[14:15], 1.0
	v_fmac_f64_e32 v[14:15], v[14:15], v[22:23]
	v_mul_f64 v[22:23], v[16:17], v[14:15]
	v_fma_f64 v[12:13], -v[12:13], v[22:23], v[16:17]
	v_div_fmas_f64 v[12:13], v[12:13], v[14:15], v[22:23]
	v_div_fixup_f64 v[10:11], v[12:13], v[10:11], 1.0
	ds_write_b64 v18, v[10:11]
.LBB105_244:
	s_or_b64 exec, exec, s[2:3]
	s_waitcnt lgkmcnt(0)
	s_barrier
	ds_read_b64 v[10:11], v18
	v_cmp_lt_u32_e32 vcc, 48, v20
	s_and_saveexec_b64 s[2:3], vcc
	s_cbranch_execz .LBB105_246
; %bb.245:
	ds_read2_b64 v[12:15], v19 offset0:49 offset1:50
	s_waitcnt lgkmcnt(1)
	v_mul_f64 v[164:165], v[10:11], v[164:165]
	s_waitcnt lgkmcnt(0)
	v_fma_f64 v[112:113], -v[164:165], v[12:13], v[112:113]
	v_fma_f64 v[162:163], -v[164:165], v[14:15], v[162:163]
	ds_read2_b64 v[12:15], v19 offset0:51 offset1:52
	s_waitcnt lgkmcnt(0)
	v_fma_f64 v[110:111], -v[164:165], v[12:13], v[110:111]
	v_fma_f64 v[212:213], -v[164:165], v[14:15], v[212:213]
.LBB105_246:
	s_or_b64 exec, exec, s[2:3]
	v_cmp_eq_u32_e32 vcc, 49, v20
	s_waitcnt lgkmcnt(0)
	s_barrier
	s_and_saveexec_b64 s[2:3], vcc
	s_cbranch_execz .LBB105_249
; %bb.247:
	v_mov_b32_e32 v12, v162
	v_mov_b32_e32 v13, v163
	v_mov_b32_e32 v14, v110
	v_mov_b32_e32 v15, v111
	ds_write_b64 v18, v[112:113]
	ds_write2_b64 v19, v[12:13], v[14:15] offset0:50 offset1:51
	ds_write_b64 v19, v[212:213] offset:416
	ds_read_b64 v[12:13], v18
	s_waitcnt lgkmcnt(0)
	v_cmp_neq_f64_e32 vcc, 0, v[12:13]
	s_and_b64 exec, exec, vcc
	s_cbranch_execz .LBB105_249
; %bb.248:
	v_div_scale_f64 v[14:15], s[6:7], v[12:13], v[12:13], 1.0
	v_rcp_f64_e32 v[16:17], v[14:15]
	v_div_scale_f64 v[22:23], vcc, 1.0, v[12:13], 1.0
	v_fma_f64 v[24:25], -v[14:15], v[16:17], 1.0
	v_fmac_f64_e32 v[16:17], v[16:17], v[24:25]
	v_fma_f64 v[24:25], -v[14:15], v[16:17], 1.0
	v_fmac_f64_e32 v[16:17], v[16:17], v[24:25]
	v_mul_f64 v[24:25], v[22:23], v[16:17]
	v_fma_f64 v[14:15], -v[14:15], v[24:25], v[22:23]
	v_div_fmas_f64 v[14:15], v[14:15], v[16:17], v[24:25]
	v_div_fixup_f64 v[12:13], v[14:15], v[12:13], 1.0
	ds_write_b64 v18, v[12:13]
.LBB105_249:
	s_or_b64 exec, exec, s[2:3]
	s_waitcnt lgkmcnt(0)
	s_barrier
	ds_read_b64 v[12:13], v18
	v_cmp_lt_u32_e32 vcc, 49, v20
	s_and_saveexec_b64 s[2:3], vcc
	s_cbranch_execz .LBB105_251
; %bb.250:
	ds_read2_b64 v[14:17], v19 offset0:50 offset1:51
	s_waitcnt lgkmcnt(1)
	v_mul_f64 v[112:113], v[12:13], v[112:113]
	s_waitcnt lgkmcnt(0)
	v_fma_f64 v[162:163], -v[112:113], v[14:15], v[162:163]
	ds_read_b64 v[14:15], v19 offset:416
	v_fma_f64 v[110:111], -v[112:113], v[16:17], v[110:111]
	s_waitcnt lgkmcnt(0)
	v_fma_f64 v[212:213], -v[112:113], v[14:15], v[212:213]
.LBB105_251:
	s_or_b64 exec, exec, s[2:3]
	v_cmp_eq_u32_e32 vcc, 50, v20
	s_waitcnt lgkmcnt(0)
	s_barrier
	s_and_saveexec_b64 s[2:3], vcc
	s_cbranch_execz .LBB105_254
; %bb.252:
	ds_write_b64 v18, v[162:163]
	ds_write2_b64 v19, v[110:111], v[212:213] offset0:51 offset1:52
	ds_read_b64 v[14:15], v18
	s_waitcnt lgkmcnt(0)
	v_cmp_neq_f64_e32 vcc, 0, v[14:15]
	s_and_b64 exec, exec, vcc
	s_cbranch_execz .LBB105_254
; %bb.253:
	v_div_scale_f64 v[16:17], s[6:7], v[14:15], v[14:15], 1.0
	v_rcp_f64_e32 v[22:23], v[16:17]
	v_pk_mov_b32 v[2:3], v[216:217], v[216:217] op_sel:[0,1]
	v_pk_mov_b32 v[216:217], v[26:27], v[26:27] op_sel:[0,1]
	v_div_scale_f64 v[24:25], vcc, 1.0, v[14:15], 1.0
	v_fma_f64 v[26:27], -v[16:17], v[22:23], 1.0
	v_fmac_f64_e32 v[22:23], v[22:23], v[26:27]
	v_fma_f64 v[26:27], -v[16:17], v[22:23], 1.0
	v_fmac_f64_e32 v[22:23], v[22:23], v[26:27]
	v_mul_f64 v[26:27], v[24:25], v[22:23]
	v_fma_f64 v[16:17], -v[16:17], v[26:27], v[24:25]
	v_div_fmas_f64 v[16:17], v[16:17], v[22:23], v[26:27]
	v_pk_mov_b32 v[26:27], v[216:217], v[216:217] op_sel:[0,1]
	v_pk_mov_b32 v[216:217], v[2:3], v[2:3] op_sel:[0,1]
	v_div_fixup_f64 v[14:15], v[16:17], v[14:15], 1.0
	ds_write_b64 v18, v[14:15]
.LBB105_254:
	s_or_b64 exec, exec, s[2:3]
	s_waitcnt lgkmcnt(0)
	s_barrier
	ds_read_b64 v[14:15], v18
	v_cmp_lt_u32_e32 vcc, 50, v20
	s_and_saveexec_b64 s[2:3], vcc
	s_cbranch_execz .LBB105_256
; %bb.255:
	ds_read2_b64 v[22:25], v19 offset0:51 offset1:52
	s_waitcnt lgkmcnt(1)
	v_mul_f64 v[162:163], v[14:15], v[162:163]
	s_waitcnt lgkmcnt(0)
	v_fma_f64 v[110:111], -v[162:163], v[22:23], v[110:111]
	v_fma_f64 v[212:213], -v[162:163], v[24:25], v[212:213]
.LBB105_256:
	s_or_b64 exec, exec, s[2:3]
	v_cmp_eq_u32_e32 vcc, 51, v20
	s_waitcnt lgkmcnt(0)
	s_barrier
	s_and_saveexec_b64 s[2:3], vcc
	s_cbranch_execz .LBB105_259
; %bb.257:
	ds_write_b64 v18, v[110:111]
	ds_write_b64 v19, v[212:213] offset:416
	ds_read_b64 v[16:17], v18
	s_waitcnt lgkmcnt(0)
	v_cmp_neq_f64_e32 vcc, 0, v[16:17]
	s_and_b64 exec, exec, vcc
	s_cbranch_execz .LBB105_259
; %bb.258:
	v_div_scale_f64 v[22:23], s[6:7], v[16:17], v[16:17], 1.0
	v_rcp_f64_e32 v[24:25], v[22:23]
	v_pk_mov_b32 v[0:1], v[154:155], v[154:155] op_sel:[0,1]
	v_pk_mov_b32 v[154:155], v[206:207], v[206:207] op_sel:[0,1]
	;; [unrolled: 1-line block ×52, first 2 shown]
	v_fma_f64 v[28:29], -v[22:23], v[24:25], 1.0
	v_fmac_f64_e32 v[24:25], v[24:25], v[28:29]
	v_fma_f64 v[28:29], -v[22:23], v[24:25], 1.0
	v_pk_mov_b32 v[2:3], v[246:247], v[246:247] op_sel:[0,1]
	v_pk_mov_b32 v[246:247], v[244:245], v[244:245] op_sel:[0,1]
	;; [unrolled: 1-line block ×17, first 2 shown]
	v_div_scale_f64 v[26:27], vcc, 1.0, v[16:17], 1.0
	v_fmac_f64_e32 v[24:25], v[24:25], v[28:29]
	v_mul_f64 v[28:29], v[26:27], v[24:25]
	v_fma_f64 v[22:23], -v[22:23], v[28:29], v[26:27]
	s_nop 0
	v_div_fmas_f64 v[22:23], v[22:23], v[24:25], v[28:29]
	v_pk_mov_b32 v[26:27], v[218:219], v[218:219] op_sel:[0,1]
	v_pk_mov_b32 v[218:219], v[220:221], v[220:221] op_sel:[0,1]
	;; [unrolled: 1-line block ×69, first 2 shown]
	v_div_fixup_f64 v[16:17], v[22:23], v[16:17], 1.0
	ds_write_b64 v18, v[16:17]
.LBB105_259:
	s_or_b64 exec, exec, s[2:3]
	s_waitcnt lgkmcnt(0)
	s_barrier
	ds_read_b64 v[16:17], v18
	v_cmp_lt_u32_e32 vcc, 51, v20
	s_and_saveexec_b64 s[2:3], vcc
	s_cbranch_execz .LBB105_261
; %bb.260:
	ds_read_b64 v[22:23], v19 offset:416
	s_waitcnt lgkmcnt(1)
	v_mul_f64 v[110:111], v[16:17], v[110:111]
	s_waitcnt lgkmcnt(0)
	v_fma_f64 v[212:213], -v[110:111], v[22:23], v[212:213]
.LBB105_261:
	s_or_b64 exec, exec, s[2:3]
	v_cmp_eq_u32_e32 vcc, 52, v20
	s_waitcnt lgkmcnt(0)
	s_barrier
	s_and_saveexec_b64 s[2:3], vcc
	s_cbranch_execz .LBB105_264
; %bb.262:
	v_cmp_neq_f64_e32 vcc, 0, v[212:213]
	ds_write_b64 v18, v[212:213]
	s_and_b64 exec, exec, vcc
	s_cbranch_execz .LBB105_264
; %bb.263:
	v_div_scale_f64 v[22:23], s[6:7], v[212:213], v[212:213], 1.0
	v_rcp_f64_e32 v[24:25], v[22:23]
	v_pk_mov_b32 v[0:1], v[154:155], v[154:155] op_sel:[0,1]
	v_pk_mov_b32 v[154:155], v[206:207], v[206:207] op_sel:[0,1]
	;; [unrolled: 1-line block ×53, first 2 shown]
	v_fma_f64 v[28:29], -v[22:23], v[24:25], 1.0
	v_fmac_f64_e32 v[24:25], v[24:25], v[28:29]
	v_fma_f64 v[28:29], -v[22:23], v[24:25], 1.0
	v_pk_mov_b32 v[2:3], v[246:247], v[246:247] op_sel:[0,1]
	v_pk_mov_b32 v[246:247], v[244:245], v[244:245] op_sel:[0,1]
	;; [unrolled: 1-line block ×17, first 2 shown]
	v_div_scale_f64 v[26:27], vcc, 1.0, v[212:213], 1.0
	v_fmac_f64_e32 v[24:25], v[24:25], v[28:29]
	v_mul_f64 v[28:29], v[26:27], v[24:25]
	v_fma_f64 v[22:23], -v[22:23], v[28:29], v[26:27]
	s_nop 0
	v_div_fmas_f64 v[22:23], v[22:23], v[24:25], v[28:29]
	v_pk_mov_b32 v[26:27], v[218:219], v[218:219] op_sel:[0,1]
	v_pk_mov_b32 v[218:219], v[220:221], v[220:221] op_sel:[0,1]
	;; [unrolled: 1-line block ×70, first 2 shown]
	v_div_fixup_f64 v[22:23], v[22:23], v[212:213], 1.0
	ds_write_b64 v18, v[22:23]
.LBB105_264:
	s_or_b64 exec, exec, s[2:3]
	s_waitcnt lgkmcnt(0)
	s_barrier
	ds_read_b64 v[18:19], v18
	s_waitcnt lgkmcnt(0)
	s_barrier
	s_and_saveexec_b64 s[2:3], s[0:1]
	s_cbranch_execz .LBB105_267
; %bb.265:
	buffer_load_dword v0, off, s[16:19], 0  ; 4-byte Folded Reload
	buffer_load_dword v1, off, s[16:19], 0 offset:4 ; 4-byte Folded Reload
	v_cmp_eq_f64_e32 vcc, 0, v[244:245]
	v_cmp_neq_f64_e64 s[0:1], 0, v[246:247]
	v_cndmask_b32_e64 v21, 0, 1, vcc
	s_or_b64 vcc, s[0:1], vcc
	v_cndmask_b32_e32 v21, 2, v21, vcc
	v_cmp_eq_f64_e32 vcc, 0, v[216:217]
	v_cmp_eq_u32_e64 s[0:1], 0, v21
	s_and_b64 s[0:1], vcc, s[0:1]
	v_cndmask_b32_e64 v21, v21, 3, s[0:1]
	v_cmp_eq_f64_e32 vcc, 0, v[248:249]
	v_cmp_eq_u32_e64 s[0:1], 0, v21
	s_and_b64 s[0:1], vcc, s[0:1]
	v_cndmask_b32_e64 v21, v21, 4, s[0:1]
	;; [unrolled: 4-line block ×6, first 2 shown]
	v_cmp_eq_u32_e64 s[0:1], 0, v21
	s_load_dwordx2 s[4:5], s[4:5], 0x28
	v_lshlrev_b64 v[22:23], 2, v[28:29]
	s_waitcnt lgkmcnt(0)
	v_mov_b32_e32 v24, s5
	s_waitcnt vmcnt(0)
	v_cmp_eq_f64_e32 vcc, 0, v[0:1]
	buffer_load_dword v0, off, s[16:19], 0 offset:8 ; 4-byte Folded Reload
	buffer_load_dword v1, off, s[16:19], 0 offset:12 ; 4-byte Folded Reload
	s_and_b64 s[0:1], vcc, s[0:1]
	v_cndmask_b32_e64 v21, v21, 9, s[0:1]
	v_cmp_eq_u32_e64 s[0:1], 0, v21
	s_waitcnt vmcnt(0)
	v_cmp_eq_f64_e32 vcc, 0, v[0:1]
	buffer_load_dword v0, off, s[16:19], 0 offset:16 ; 4-byte Folded Reload
	buffer_load_dword v1, off, s[16:19], 0 offset:20 ; 4-byte Folded Reload
	s_and_b64 s[0:1], vcc, s[0:1]
	v_cndmask_b32_e64 v21, v21, 10, s[0:1]
	v_cmp_eq_u32_e64 s[0:1], 0, v21
	s_waitcnt vmcnt(0)
	v_cmp_eq_f64_e32 vcc, 0, v[0:1]
	buffer_load_dword v0, off, s[16:19], 0 offset:24 ; 4-byte Folded Reload
	buffer_load_dword v1, off, s[16:19], 0 offset:28 ; 4-byte Folded Reload
	s_and_b64 s[0:1], vcc, s[0:1]
	v_cndmask_b32_e64 v21, v21, 11, s[0:1]
	v_cmp_eq_u32_e64 s[0:1], 0, v21
	s_waitcnt vmcnt(0)
	v_cmp_eq_f64_e32 vcc, 0, v[0:1]
	buffer_load_dword v0, off, s[16:19], 0 offset:32 ; 4-byte Folded Reload
	buffer_load_dword v1, off, s[16:19], 0 offset:36 ; 4-byte Folded Reload
	s_and_b64 s[0:1], vcc, s[0:1]
	v_cndmask_b32_e64 v21, v21, 12, s[0:1]
	v_cmp_eq_u32_e64 s[0:1], 0, v21
	s_waitcnt vmcnt(0)
	v_cmp_eq_f64_e32 vcc, 0, v[0:1]
	buffer_load_dword v0, off, s[16:19], 0 offset:40 ; 4-byte Folded Reload
	buffer_load_dword v1, off, s[16:19], 0 offset:44 ; 4-byte Folded Reload
	s_and_b64 s[0:1], vcc, s[0:1]
	v_cndmask_b32_e64 v21, v21, 13, s[0:1]
	v_cmp_eq_u32_e64 s[0:1], 0, v21
	s_waitcnt vmcnt(0)
	v_cmp_eq_f64_e32 vcc, 0, v[0:1]
	buffer_load_dword v0, off, s[16:19], 0 offset:48 ; 4-byte Folded Reload
	buffer_load_dword v1, off, s[16:19], 0 offset:52 ; 4-byte Folded Reload
	s_and_b64 s[0:1], vcc, s[0:1]
	v_cndmask_b32_e64 v21, v21, 14, s[0:1]
	v_cmp_eq_u32_e64 s[0:1], 0, v21
	s_waitcnt vmcnt(0)
	v_cmp_eq_f64_e32 vcc, 0, v[0:1]
	buffer_load_dword v0, off, s[16:19], 0 offset:56 ; 4-byte Folded Reload
	buffer_load_dword v1, off, s[16:19], 0 offset:60 ; 4-byte Folded Reload
	s_and_b64 s[0:1], vcc, s[0:1]
	v_cndmask_b32_e64 v21, v21, 15, s[0:1]
	v_cmp_eq_u32_e64 s[0:1], 0, v21
	s_waitcnt vmcnt(0)
	v_cmp_eq_f64_e32 vcc, 0, v[0:1]
	buffer_load_dword v0, off, s[16:19], 0 offset:64 ; 4-byte Folded Reload
	buffer_load_dword v1, off, s[16:19], 0 offset:68 ; 4-byte Folded Reload
	s_and_b64 s[0:1], vcc, s[0:1]
	v_cndmask_b32_e64 v21, v21, 16, s[0:1]
	v_cmp_eq_u32_e64 s[0:1], 0, v21
	s_waitcnt vmcnt(0)
	v_cmp_eq_f64_e32 vcc, 0, v[0:1]
	buffer_load_dword v0, off, s[16:19], 0 offset:72 ; 4-byte Folded Reload
	buffer_load_dword v1, off, s[16:19], 0 offset:76 ; 4-byte Folded Reload
	s_and_b64 s[0:1], vcc, s[0:1]
	v_cndmask_b32_e64 v21, v21, 17, s[0:1]
	v_cmp_eq_u32_e64 s[0:1], 0, v21
	s_waitcnt vmcnt(0)
	v_cmp_eq_f64_e32 vcc, 0, v[0:1]
	buffer_load_dword v0, off, s[16:19], 0 offset:80 ; 4-byte Folded Reload
	buffer_load_dword v1, off, s[16:19], 0 offset:84 ; 4-byte Folded Reload
	s_and_b64 s[0:1], vcc, s[0:1]
	v_cndmask_b32_e64 v21, v21, 18, s[0:1]
	v_cmp_eq_u32_e64 s[0:1], 0, v21
	s_waitcnt vmcnt(0)
	v_cmp_eq_f64_e32 vcc, 0, v[0:1]
	buffer_load_dword v0, off, s[16:19], 0 offset:88 ; 4-byte Folded Reload
	buffer_load_dword v1, off, s[16:19], 0 offset:92 ; 4-byte Folded Reload
	s_and_b64 s[0:1], vcc, s[0:1]
	v_cndmask_b32_e64 v21, v21, 19, s[0:1]
	v_cmp_eq_u32_e64 s[0:1], 0, v21
	s_waitcnt vmcnt(0)
	v_cmp_eq_f64_e32 vcc, 0, v[0:1]
	buffer_load_dword v0, off, s[16:19], 0 offset:96 ; 4-byte Folded Reload
	buffer_load_dword v1, off, s[16:19], 0 offset:100 ; 4-byte Folded Reload
	s_and_b64 s[0:1], vcc, s[0:1]
	v_cndmask_b32_e64 v21, v21, 20, s[0:1]
	v_cmp_eq_u32_e64 s[0:1], 0, v21
	s_waitcnt vmcnt(0)
	v_cmp_eq_f64_e32 vcc, 0, v[0:1]
	buffer_load_dword v0, off, s[16:19], 0 offset:104 ; 4-byte Folded Reload
	buffer_load_dword v1, off, s[16:19], 0 offset:108 ; 4-byte Folded Reload
	s_and_b64 s[0:1], vcc, s[0:1]
	v_cndmask_b32_e64 v21, v21, 21, s[0:1]
	v_cmp_eq_u32_e64 s[0:1], 0, v21
	s_waitcnt vmcnt(0)
	v_cmp_eq_f64_e32 vcc, 0, v[0:1]
	buffer_load_dword v0, off, s[16:19], 0 offset:112 ; 4-byte Folded Reload
	buffer_load_dword v1, off, s[16:19], 0 offset:116 ; 4-byte Folded Reload
	s_and_b64 s[0:1], vcc, s[0:1]
	v_cndmask_b32_e64 v21, v21, 22, s[0:1]
	v_cmp_eq_u32_e64 s[0:1], 0, v21
	s_waitcnt vmcnt(0)
	v_cmp_eq_f64_e32 vcc, 0, v[0:1]
	buffer_load_dword v0, off, s[16:19], 0 offset:120 ; 4-byte Folded Reload
	buffer_load_dword v1, off, s[16:19], 0 offset:124 ; 4-byte Folded Reload
	s_and_b64 s[0:1], vcc, s[0:1]
	v_cndmask_b32_e64 v21, v21, 23, s[0:1]
	v_cmp_eq_u32_e64 s[0:1], 0, v21
	s_waitcnt vmcnt(0)
	v_cmp_eq_f64_e32 vcc, 0, v[0:1]
	buffer_load_dword v0, off, s[16:19], 0 offset:128 ; 4-byte Folded Reload
	buffer_load_dword v1, off, s[16:19], 0 offset:132 ; 4-byte Folded Reload
	s_and_b64 s[0:1], vcc, s[0:1]
	v_cndmask_b32_e64 v21, v21, 24, s[0:1]
	v_cmp_eq_u32_e64 s[0:1], 0, v21
	s_waitcnt vmcnt(0)
	v_cmp_eq_f64_e32 vcc, 0, v[0:1]
	buffer_load_dword v0, off, s[16:19], 0 offset:136 ; 4-byte Folded Reload
	buffer_load_dword v1, off, s[16:19], 0 offset:140 ; 4-byte Folded Reload
	s_and_b64 s[0:1], vcc, s[0:1]
	v_cndmask_b32_e64 v21, v21, 25, s[0:1]
	v_cmp_eq_u32_e64 s[0:1], 0, v21
	s_waitcnt vmcnt(0)
	v_cmp_eq_f64_e32 vcc, 0, v[0:1]
	buffer_load_dword v0, off, s[16:19], 0 offset:144 ; 4-byte Folded Reload
	buffer_load_dword v1, off, s[16:19], 0 offset:148 ; 4-byte Folded Reload
	s_and_b64 s[0:1], vcc, s[0:1]
	v_cndmask_b32_e64 v21, v21, 26, s[0:1]
	v_cmp_eq_u32_e64 s[0:1], 0, v21
	s_waitcnt vmcnt(0)
	v_cmp_eq_f64_e32 vcc, 0, v[0:1]
	buffer_load_dword v0, off, s[16:19], 0 offset:152 ; 4-byte Folded Reload
	buffer_load_dword v1, off, s[16:19], 0 offset:156 ; 4-byte Folded Reload
	s_and_b64 s[0:1], vcc, s[0:1]
	v_cndmask_b32_e64 v21, v21, 27, s[0:1]
	v_cmp_eq_u32_e64 s[0:1], 0, v21
	s_waitcnt vmcnt(0)
	v_cmp_eq_f64_e32 vcc, 0, v[0:1]
	buffer_load_dword v0, off, s[16:19], 0 offset:160 ; 4-byte Folded Reload
	buffer_load_dword v1, off, s[16:19], 0 offset:164 ; 4-byte Folded Reload
	s_and_b64 s[0:1], vcc, s[0:1]
	v_cndmask_b32_e64 v21, v21, 28, s[0:1]
	v_cmp_eq_u32_e64 s[0:1], 0, v21
	s_waitcnt vmcnt(0)
	v_cmp_eq_f64_e32 vcc, 0, v[0:1]
	buffer_load_dword v0, off, s[16:19], 0 offset:168 ; 4-byte Folded Reload
	buffer_load_dword v1, off, s[16:19], 0 offset:172 ; 4-byte Folded Reload
	s_and_b64 s[0:1], vcc, s[0:1]
	v_cndmask_b32_e64 v21, v21, 29, s[0:1]
	v_cmp_eq_u32_e64 s[0:1], 0, v21
	s_waitcnt vmcnt(0)
	v_cmp_eq_f64_e32 vcc, 0, v[0:1]
	buffer_load_dword v0, off, s[16:19], 0 offset:176 ; 4-byte Folded Reload
	buffer_load_dword v1, off, s[16:19], 0 offset:180 ; 4-byte Folded Reload
	s_and_b64 s[0:1], vcc, s[0:1]
	v_cndmask_b32_e64 v21, v21, 30, s[0:1]
	v_cmp_eq_u32_e64 s[0:1], 0, v21
	s_waitcnt vmcnt(0)
	v_cmp_eq_f64_e32 vcc, 0, v[0:1]
	buffer_load_dword v0, off, s[16:19], 0 offset:184 ; 4-byte Folded Reload
	buffer_load_dword v1, off, s[16:19], 0 offset:188 ; 4-byte Folded Reload
	s_and_b64 s[0:1], vcc, s[0:1]
	v_cndmask_b32_e64 v21, v21, 31, s[0:1]
	v_cmp_eq_u32_e64 s[0:1], 0, v21
	s_waitcnt vmcnt(0)
	v_cmp_eq_f64_e32 vcc, 0, v[0:1]
	buffer_load_dword v0, off, s[16:19], 0 offset:192 ; 4-byte Folded Reload
	buffer_load_dword v1, off, s[16:19], 0 offset:196 ; 4-byte Folded Reload
	s_and_b64 s[0:1], vcc, s[0:1]
	v_cndmask_b32_e64 v21, v21, 32, s[0:1]
	v_cmp_eq_u32_e64 s[0:1], 0, v21
	s_waitcnt vmcnt(0)
	v_cmp_eq_f64_e32 vcc, 0, v[0:1]
	buffer_load_dword v0, off, s[16:19], 0 offset:200 ; 4-byte Folded Reload
	buffer_load_dword v1, off, s[16:19], 0 offset:204 ; 4-byte Folded Reload
	s_and_b64 s[0:1], vcc, s[0:1]
	v_cndmask_b32_e64 v21, v21, 33, s[0:1]
	v_add_co_u32_e64 v216, s[0:1], s4, v22
	v_addc_co_u32_e64 v217, s[0:1], v24, v23, s[0:1]
	global_load_dword v22, v[216:217], off
	v_cmp_eq_u32_e64 s[0:1], 0, v21
	s_waitcnt vmcnt(1)
	v_cmp_eq_f64_e32 vcc, 0, v[0:1]
	buffer_load_dword v0, off, s[16:19], 0 offset:208 ; 4-byte Folded Reload
	buffer_load_dword v1, off, s[16:19], 0 offset:212 ; 4-byte Folded Reload
	s_and_b64 s[0:1], vcc, s[0:1]
	v_cndmask_b32_e64 v21, v21, 34, s[0:1]
	v_cmp_eq_u32_e64 s[0:1], 0, v21
	s_waitcnt vmcnt(0)
	v_cmp_eq_f64_e32 vcc, 0, v[0:1]
	buffer_load_dword v0, off, s[16:19], 0 offset:216 ; 4-byte Folded Reload
	buffer_load_dword v1, off, s[16:19], 0 offset:220 ; 4-byte Folded Reload
	s_and_b64 s[0:1], vcc, s[0:1]
	v_cndmask_b32_e64 v21, v21, 35, s[0:1]
	;; [unrolled: 7-line block ×11, first 2 shown]
	v_cmp_eq_u32_e64 s[0:1], 0, v2
	s_waitcnt vmcnt(0)
	v_cmp_eq_f64_e32 vcc, 0, v[0:1]
	s_and_b64 s[0:1], vcc, s[0:1]
	v_cndmask_b32_e64 v0, v2, 45, s[0:1]
	v_cmp_eq_f64_e32 vcc, 0, v[4:5]
	v_cmp_eq_u32_e64 s[0:1], 0, v0
	s_and_b64 s[0:1], vcc, s[0:1]
	v_cndmask_b32_e64 v0, v0, 46, s[0:1]
	v_cmp_eq_f64_e32 vcc, 0, v[6:7]
	v_cmp_eq_u32_e64 s[0:1], 0, v0
	;; [unrolled: 4-line block ×8, first 2 shown]
	s_and_b64 s[0:1], vcc, s[0:1]
	v_cndmask_b32_e64 v0, v0, 53, s[0:1]
	v_cmp_eq_u32_e32 vcc, 0, v22
	v_cmp_ne_u32_e64 s[0:1], 0, v0
	s_and_b64 s[0:1], vcc, s[0:1]
	s_and_b64 exec, exec, s[0:1]
	s_cbranch_execz .LBB105_267
; %bb.266:
	v_add_u32_e32 v0, s9, v0
	global_store_dword v[216:217], v0, off
.LBB105_267:
	s_or_b64 exec, exec, s[2:3]
	v_mul_f64 v[0:1], v[18:19], v[212:213]
	v_cmp_lt_u32_e32 vcc, 52, v20
	v_cndmask_b32_e32 v1, v213, v1, vcc
	v_cndmask_b32_e32 v0, v212, v0, vcc
	global_store_dwordx2 v[240:241], v[108:109], off
	global_store_dwordx2 v[242:243], v[160:161], off
	;; [unrolled: 1-line block ×53, first 2 shown]
.LBB105_268:
	s_endpgm
	.section	.rodata,"a",@progbits
	.p2align	6, 0x0
	.amdhsa_kernel _ZN9rocsolver6v33100L23getf2_npvt_small_kernelILi53EdiiPKPdEEvT1_T3_lS5_lPT2_S5_S5_
		.amdhsa_group_segment_fixed_size 0
		.amdhsa_private_segment_fixed_size 300
		.amdhsa_kernarg_size 312
		.amdhsa_user_sgpr_count 6
		.amdhsa_user_sgpr_private_segment_buffer 1
		.amdhsa_user_sgpr_dispatch_ptr 0
		.amdhsa_user_sgpr_queue_ptr 0
		.amdhsa_user_sgpr_kernarg_segment_ptr 1
		.amdhsa_user_sgpr_dispatch_id 0
		.amdhsa_user_sgpr_flat_scratch_init 0
		.amdhsa_user_sgpr_kernarg_preload_length 0
		.amdhsa_user_sgpr_kernarg_preload_offset 0
		.amdhsa_user_sgpr_private_segment_size 0
		.amdhsa_uses_dynamic_stack 0
		.amdhsa_system_sgpr_private_segment_wavefront_offset 1
		.amdhsa_system_sgpr_workgroup_id_x 1
		.amdhsa_system_sgpr_workgroup_id_y 1
		.amdhsa_system_sgpr_workgroup_id_z 0
		.amdhsa_system_sgpr_workgroup_info 0
		.amdhsa_system_vgpr_workitem_id 1
		.amdhsa_next_free_vgpr 256
		.amdhsa_next_free_sgpr 20
		.amdhsa_accum_offset 256
		.amdhsa_reserve_vcc 1
		.amdhsa_reserve_flat_scratch 0
		.amdhsa_float_round_mode_32 0
		.amdhsa_float_round_mode_16_64 0
		.amdhsa_float_denorm_mode_32 3
		.amdhsa_float_denorm_mode_16_64 3
		.amdhsa_dx10_clamp 1
		.amdhsa_ieee_mode 1
		.amdhsa_fp16_overflow 0
		.amdhsa_tg_split 0
		.amdhsa_exception_fp_ieee_invalid_op 0
		.amdhsa_exception_fp_denorm_src 0
		.amdhsa_exception_fp_ieee_div_zero 0
		.amdhsa_exception_fp_ieee_overflow 0
		.amdhsa_exception_fp_ieee_underflow 0
		.amdhsa_exception_fp_ieee_inexact 0
		.amdhsa_exception_int_div_zero 0
	.end_amdhsa_kernel
	.section	.text._ZN9rocsolver6v33100L23getf2_npvt_small_kernelILi53EdiiPKPdEEvT1_T3_lS5_lPT2_S5_S5_,"axG",@progbits,_ZN9rocsolver6v33100L23getf2_npvt_small_kernelILi53EdiiPKPdEEvT1_T3_lS5_lPT2_S5_S5_,comdat
.Lfunc_end105:
	.size	_ZN9rocsolver6v33100L23getf2_npvt_small_kernelILi53EdiiPKPdEEvT1_T3_lS5_lPT2_S5_S5_, .Lfunc_end105-_ZN9rocsolver6v33100L23getf2_npvt_small_kernelILi53EdiiPKPdEEvT1_T3_lS5_lPT2_S5_S5_
                                        ; -- End function
	.section	.AMDGPU.csdata,"",@progbits
; Kernel info:
; codeLenInByte = 52540
; NumSgprs: 24
; NumVgprs: 256
; NumAgprs: 0
; TotalNumVgprs: 256
; ScratchSize: 300
; MemoryBound: 0
; FloatMode: 240
; IeeeMode: 1
; LDSByteSize: 0 bytes/workgroup (compile time only)
; SGPRBlocks: 2
; VGPRBlocks: 31
; NumSGPRsForWavesPerEU: 24
; NumVGPRsForWavesPerEU: 256
; AccumOffset: 256
; Occupancy: 2
; WaveLimiterHint : 1
; COMPUTE_PGM_RSRC2:SCRATCH_EN: 1
; COMPUTE_PGM_RSRC2:USER_SGPR: 6
; COMPUTE_PGM_RSRC2:TRAP_HANDLER: 0
; COMPUTE_PGM_RSRC2:TGID_X_EN: 1
; COMPUTE_PGM_RSRC2:TGID_Y_EN: 1
; COMPUTE_PGM_RSRC2:TGID_Z_EN: 0
; COMPUTE_PGM_RSRC2:TIDIG_COMP_CNT: 1
; COMPUTE_PGM_RSRC3_GFX90A:ACCUM_OFFSET: 63
; COMPUTE_PGM_RSRC3_GFX90A:TG_SPLIT: 0
	.section	.text._ZN9rocsolver6v33100L18getf2_small_kernelILi54EdiiPKPdEEvT1_T3_lS5_lPS5_llPT2_S5_S5_S7_l,"axG",@progbits,_ZN9rocsolver6v33100L18getf2_small_kernelILi54EdiiPKPdEEvT1_T3_lS5_lPS5_llPT2_S5_S5_S7_l,comdat
	.globl	_ZN9rocsolver6v33100L18getf2_small_kernelILi54EdiiPKPdEEvT1_T3_lS5_lPS5_llPT2_S5_S5_S7_l ; -- Begin function _ZN9rocsolver6v33100L18getf2_small_kernelILi54EdiiPKPdEEvT1_T3_lS5_lPS5_llPT2_S5_S5_S7_l
	.p2align	8
	.type	_ZN9rocsolver6v33100L18getf2_small_kernelILi54EdiiPKPdEEvT1_T3_lS5_lPS5_llPT2_S5_S5_S7_l,@function
_ZN9rocsolver6v33100L18getf2_small_kernelILi54EdiiPKPdEEvT1_T3_lS5_lPS5_llPT2_S5_S5_S7_l: ; @_ZN9rocsolver6v33100L18getf2_small_kernelILi54EdiiPKPdEEvT1_T3_lS5_lPS5_llPT2_S5_S5_S7_l
; %bb.0:
	s_load_dword s0, s[4:5], 0x6c
	s_load_dwordx2 s[12:13], s[4:5], 0x48
	v_bfe_u32 v112, v0, 10, 10
	s_waitcnt lgkmcnt(0)
	s_lshr_b32 s0, s0, 16
	s_mul_i32 s7, s7, s0
	v_add_u32_e32 v2, s7, v112
	v_cmp_gt_i32_e32 vcc, s12, v2
	s_and_saveexec_b64 s[0:1], vcc
	s_cbranch_execz .LBB106_915
; %bb.1:
	s_load_dwordx4 s[0:3], s[4:5], 0x8
	s_load_dwordx4 s[8:11], s[4:5], 0x50
	v_ashrrev_i32_e32 v3, 31, v2
	v_lshlrev_b64 v[4:5], 3, v[2:3]
	s_waitcnt lgkmcnt(0)
	v_mov_b32_e32 v1, s1
	v_add_co_u32_e32 v4, vcc, s0, v4
	v_addc_co_u32_e32 v5, vcc, v1, v5, vcc
	global_load_dwordx2 v[6:7], v[4:5], off
	s_cmp_eq_u64 s[8:9], 0
	s_cselect_b64 s[6:7], -1, 0
	s_and_b64 vcc, exec, s[6:7]
	v_pk_mov_b32 v[4:5], 0, 0
	s_cbranch_vccnz .LBB106_3
; %bb.2:
	v_mul_lo_u32 v1, v3, s10
	v_mul_lo_u32 v8, v2, s11
	v_mad_u64_u32 v[4:5], s[0:1], v2, s10, 0
	v_add3_u32 v5, v5, v8, v1
	v_lshlrev_b64 v[4:5], 2, v[4:5]
	v_mov_b32_e32 v1, s9
	v_add_co_u32_e32 v4, vcc, s8, v4
	v_addc_co_u32_e32 v5, vcc, v1, v5, vcc
.LBB106_3:
	s_load_dword s8, s[4:5], 0x18
	s_load_dword s18, s[4:5], 0x0
	s_lshl_b64 s[0:1], s[2:3], 3
	v_and_b32_e32 v120, 0x3ff, v0
	v_mov_b32_e32 v1, s1
	s_waitcnt lgkmcnt(0)
	s_add_i32 s12, s8, s8
	s_waitcnt vmcnt(0)
	v_add_co_u32_e32 v118, vcc, s0, v6
	v_add_u32_e32 v6, s12, v120
	v_addc_co_u32_e32 v119, vcc, v7, v1, vcc
	v_ashrrev_i32_e32 v7, 31, v6
	v_lshlrev_b64 v[0:1], 3, v[6:7]
	v_add_u32_e32 v8, s8, v6
	v_add_co_u32_e32 v0, vcc, v118, v0
	v_ashrrev_i32_e32 v9, 31, v8
	v_addc_co_u32_e32 v1, vcc, v119, v1, vcc
	v_lshlrev_b64 v[6:7], 3, v[8:9]
	v_add_u32_e32 v8, s8, v8
	v_add_co_u32_e32 v6, vcc, v118, v6
	v_ashrrev_i32_e32 v9, 31, v8
	v_addc_co_u32_e32 v7, vcc, v119, v7, vcc
	;; [unrolled: 5-line block ×51, first 2 shown]
	v_lshlrev_b64 v[22:23], 3, v[22:23]
	v_add_co_u32_e32 v172, vcc, v118, v22
	v_addc_co_u32_e32 v173, vcc, v119, v23, vcc
	v_lshlrev_b32_e32 v113, 3, v120
	v_add_co_u32_e32 v22, vcc, v118, v113
	s_ashr_i32 s9, s8, 31
	v_addc_co_u32_e32 v23, vcc, 0, v119, vcc
	s_lshl_b64 s[10:11], s[8:9], 3
	v_mov_b32_e32 v53, s11
	v_add_co_u32_e32 v52, vcc, s10, v22
	v_addc_co_u32_e32 v53, vcc, v23, v53, vcc
	s_max_i32 s0, s18, 54
	global_load_dwordx2 v[108:109], v[22:23], off
	global_load_dwordx2 v[106:107], v[52:53], off
	;; [unrolled: 1-line block ×5, first 2 shown]
                                        ; kill: killed $vgpr6 killed $vgpr7
                                        ; kill: killed $vgpr22 killed $vgpr23
                                        ; kill: killed $vgpr0 killed $vgpr1
                                        ; kill: killed $vgpr52 killed $vgpr53
                                        ; kill: killed $vgpr10 killed $vgpr11
	global_load_dwordx2 v[98:99], v[8:9], off
	global_load_dwordx2 v[96:97], v[12:13], off
	;; [unrolled: 1-line block ×5, first 2 shown]
                                        ; kill: killed $vgpr8 killed $vgpr9
                                        ; kill: killed $vgpr14 killed $vgpr15
                                        ; kill: killed $vgpr20 killed $vgpr21
                                        ; kill: killed $vgpr12 killed $vgpr13
                                        ; kill: killed $vgpr16 killed $vgpr17
	global_load_dwordx2 v[88:89], v[18:19], off
	global_load_dwordx2 v[86:87], v[24:25], off
	;; [unrolled: 1-line block ×5, first 2 shown]
                                        ; kill: killed $vgpr24 killed $vgpr25
                                        ; kill: killed $vgpr28 killed $vgpr29
                                        ; kill: killed $vgpr18 killed $vgpr19
                                        ; kill: killed $vgpr26 killed $vgpr27
                                        ; kill: killed $vgpr30 killed $vgpr31
	global_load_dwordx2 v[78:79], v[32:33], off
	global_load_dwordx2 v[76:77], v[34:35], off
	;; [unrolled: 1-line block ×5, first 2 shown]
                                        ; kill: killed $vgpr34 killed $vgpr35
                                        ; kill: killed $vgpr38 killed $vgpr39
                                        ; kill: killed $vgpr32 killed $vgpr33
                                        ; kill: killed $vgpr36 killed $vgpr37
                                        ; kill: killed $vgpr40 killed $vgpr41
	global_load_dwordx2 v[68:69], v[42:43], off
	global_load_dwordx2 v[66:67], v[44:45], off
	;; [unrolled: 1-line block ×5, first 2 shown]
                                        ; kill: killed $vgpr42 killed $vgpr43
                                        ; kill: killed $vgpr46 killed $vgpr47
                                        ; kill: killed $vgpr50 killed $vgpr51
                                        ; kill: killed $vgpr44 killed $vgpr45
                                        ; kill: killed $vgpr48 killed $vgpr49
	global_load_dwordx2 v[58:59], v[110:111], off
	global_load_dwordx2 v[56:57], v[114:115], off
	;; [unrolled: 1-line block ×4, first 2 shown]
	s_nop 0
	global_load_dwordx2 v[50:51], v[124:125], off
                                        ; kill: killed $vgpr114 killed $vgpr115
                                        ; kill: killed $vgpr122 killed $vgpr123
                                        ; kill: killed $vgpr110 killed $vgpr111
                                        ; kill: killed $vgpr116 killed $vgpr117
                                        ; kill: killed $vgpr124 killed $vgpr125
	global_load_dwordx2 v[48:49], v[126:127], off
	global_load_dwordx2 v[46:47], v[128:129], off
	;; [unrolled: 1-line block ×5, first 2 shown]
                                        ; kill: killed $vgpr132 killed $vgpr133
                                        ; kill: killed $vgpr126 killed $vgpr127
                                        ; kill: killed $vgpr130 killed $vgpr131
                                        ; kill: killed $vgpr134 killed $vgpr135
                                        ; kill: killed $vgpr128 killed $vgpr129
	global_load_dwordx2 v[38:39], v[136:137], off
	global_load_dwordx2 v[36:37], v[138:139], off
	global_load_dwordx2 v[34:35], v[140:141], off
	global_load_dwordx2 v[32:33], v[142:143], off
	global_load_dwordx2 v[30:31], v[144:145], off
                                        ; kill: killed $vgpr136 killed $vgpr137
                                        ; kill: killed $vgpr140 killed $vgpr141
                                        ; kill: killed $vgpr144 killed $vgpr145
                                        ; kill: killed $vgpr138 killed $vgpr139
                                        ; kill: killed $vgpr142 killed $vgpr143
	global_load_dwordx2 v[28:29], v[146:147], off
	global_load_dwordx2 v[26:27], v[148:149], off
	;; [unrolled: 1-line block ×5, first 2 shown]
                                        ; kill: killed $vgpr148 killed $vgpr149
                                        ; kill: killed $vgpr152 killed $vgpr153
                                        ; kill: killed $vgpr146 killed $vgpr147
                                        ; kill: killed $vgpr150 killed $vgpr151
                                        ; kill: killed $vgpr154 killed $vgpr155
	global_load_dwordx2 v[18:19], v[156:157], off
	global_load_dwordx2 v[16:17], v[158:159], off
	global_load_dwordx2 v[14:15], v[160:161], off
	global_load_dwordx2 v[12:13], v[162:163], off
	global_load_dwordx2 v[10:11], v[164:165], off
                                        ; kill: killed $vgpr162 killed $vgpr163
                                        ; kill: killed $vgpr156 killed $vgpr157
                                        ; kill: killed $vgpr160 killed $vgpr161
                                        ; kill: killed $vgpr164 killed $vgpr165
                                        ; kill: killed $vgpr158 killed $vgpr159
	global_load_dwordx2 v[8:9], v[166:167], off
	global_load_dwordx2 v[6:7], v[168:169], off
	;; [unrolled: 1-line block ×4, first 2 shown]
	v_mul_lo_u32 v114, s0, v112
	v_lshl_add_u32 v116, v114, 3, 0
	v_add_u32_e32 v112, v116, v113
	s_waitcnt vmcnt(53)
	ds_write_b64 v112, v[108:109]
	s_waitcnt lgkmcnt(0)
	s_barrier
	ds_read_b64 v[112:113], v116
	s_cmp_lt_i32 s18, 2
	v_lshlrev_b32_e32 v121, 3, v114
	v_mov_b32_e32 v114, 0
	s_cbranch_scc1 .LBB106_6
; %bb.4:
	v_add3_u32 v115, v121, 0, 8
	s_mov_b32 s0, 1
	v_mov_b32_e32 v114, 0
.LBB106_5:                              ; =>This Inner Loop Header: Depth=1
	ds_read_b64 v[122:123], v115
	v_mov_b32_e32 v117, s0
	s_add_i32 s0, s0, 1
	v_add_u32_e32 v115, 8, v115
	s_cmp_eq_u32 s18, s0
	s_waitcnt lgkmcnt(0)
	v_cmp_lt_f64_e64 vcc, |v[112:113]|, |v[122:123]|
	v_cndmask_b32_e32 v113, v113, v123, vcc
	v_cndmask_b32_e32 v112, v112, v122, vcc
	;; [unrolled: 1-line block ×3, first 2 shown]
	s_cbranch_scc0 .LBB106_5
.LBB106_6:
	v_cmp_ne_u32_e32 vcc, v120, v114
                                        ; implicit-def: $vgpr117
	s_and_saveexec_b64 s[0:1], vcc
	s_xor_b64 s[0:1], exec, s[0:1]
	s_cbranch_execz .LBB106_12
; %bb.7:
	v_cmp_eq_u32_e32 vcc, 0, v120
	s_and_saveexec_b64 s[2:3], vcc
	s_cbranch_execz .LBB106_11
; %bb.8:
	v_cmp_ne_u32_e32 vcc, 0, v114
	s_xor_b64 s[14:15], s[6:7], -1
	s_and_b64 s[16:17], s[14:15], vcc
	s_and_saveexec_b64 s[14:15], s[16:17]
	s_cbranch_execz .LBB106_10
; %bb.9:
	v_ashrrev_i32_e32 v115, 31, v114
	v_lshlrev_b64 v[122:123], 2, v[114:115]
	v_add_co_u32_e32 v122, vcc, v4, v122
	v_addc_co_u32_e32 v123, vcc, v5, v123, vcc
	flat_load_dword v115, v[122:123]
	flat_load_dword v117, v[4:5]
	s_waitcnt vmcnt(0) lgkmcnt(0)
	flat_store_dword v[4:5], v115
	flat_store_dword v[122:123], v117
.LBB106_10:
	s_or_b64 exec, exec, s[14:15]
	v_mov_b32_e32 v120, v114
.LBB106_11:
	s_or_b64 exec, exec, s[2:3]
	v_mov_b32_e32 v117, v120
                                        ; implicit-def: $vgpr120
.LBB106_12:
	s_or_saveexec_b64 s[0:1], s[0:1]
	v_mov_b32_e32 v115, v117
	s_xor_b64 exec, exec, s[0:1]
	s_cbranch_execz .LBB106_14
; %bb.13:
	v_mov_b32_e32 v117, 0
	v_mov_b32_e32 v115, v120
	s_waitcnt vmcnt(0)
	ds_write2_b64 v116, v[106:107], v[104:105] offset0:1 offset1:2
	ds_write2_b64 v116, v[102:103], v[100:101] offset0:3 offset1:4
	;; [unrolled: 1-line block ×26, first 2 shown]
	ds_write_b64 v116, v[110:111] offset:424
.LBB106_14:
	s_or_b64 exec, exec, s[0:1]
	s_waitcnt lgkmcnt(0)
	v_cmp_eq_f64_e64 s[0:1], 0, v[112:113]
	v_cmp_lt_i32_e32 vcc, 0, v117
	s_barrier
	s_and_saveexec_b64 s[2:3], vcc
	s_cbranch_execz .LBB106_16
; %bb.15:
	v_div_scale_f64 v[122:123], s[14:15], v[112:113], v[112:113], 1.0
	v_rcp_f64_e32 v[124:125], v[122:123]
	v_div_scale_f64 v[126:127], vcc, 1.0, v[112:113], 1.0
	ds_read2_b64 v[130:133], v116 offset0:5 offset1:6
	v_fma_f64 v[128:129], -v[122:123], v[124:125], 1.0
	v_fmac_f64_e32 v[124:125], v[124:125], v[128:129]
	v_fma_f64 v[128:129], -v[122:123], v[124:125], 1.0
	v_fmac_f64_e32 v[124:125], v[124:125], v[128:129]
	v_mul_f64 v[128:129], v[126:127], v[124:125]
	v_fma_f64 v[122:123], -v[122:123], v[128:129], v[126:127]
	v_div_fmas_f64 v[122:123], v[122:123], v[124:125], v[128:129]
	v_div_fixup_f64 v[126:127], v[122:123], v[112:113], 1.0
	ds_read2_b64 v[122:125], v116 offset0:1 offset1:2
	v_cndmask_b32_e64 v113, v127, v113, s[0:1]
	v_cndmask_b32_e64 v112, v126, v112, s[0:1]
	ds_read2_b64 v[126:129], v116 offset0:3 offset1:4
	v_mul_f64 v[108:109], v[112:113], v[108:109]
	s_waitcnt vmcnt(0) lgkmcnt(0)
	v_fma_f64 v[106:107], -v[108:109], v[122:123], v[106:107]
	v_fma_f64 v[104:105], -v[108:109], v[124:125], v[104:105]
	ds_read2_b64 v[122:125], v116 offset0:7 offset1:8
	v_fma_f64 v[102:103], -v[108:109], v[126:127], v[102:103]
	v_fma_f64 v[100:101], -v[108:109], v[128:129], v[100:101]
	ds_read2_b64 v[126:129], v116 offset0:9 offset1:10
	;; [unrolled: 3-line block ×3, first 2 shown]
	s_waitcnt lgkmcnt(2)
	v_fma_f64 v[94:95], -v[108:109], v[122:123], v[94:95]
	v_fma_f64 v[92:93], -v[108:109], v[124:125], v[92:93]
	s_waitcnt lgkmcnt(1)
	v_fma_f64 v[90:91], -v[108:109], v[126:127], v[90:91]
	ds_read2_b64 v[122:125], v116 offset0:13 offset1:14
	v_fma_f64 v[88:89], -v[108:109], v[128:129], v[88:89]
	ds_read2_b64 v[126:129], v116 offset0:15 offset1:16
	s_waitcnt lgkmcnt(2)
	v_fma_f64 v[86:87], -v[108:109], v[130:131], v[86:87]
	v_fma_f64 v[84:85], -v[108:109], v[132:133], v[84:85]
	s_waitcnt lgkmcnt(1)
	v_fma_f64 v[82:83], -v[108:109], v[122:123], v[82:83]
	ds_read2_b64 v[130:133], v116 offset0:17 offset1:18
	v_fma_f64 v[80:81], -v[108:109], v[124:125], v[80:81]
	ds_read2_b64 v[122:125], v116 offset0:19 offset1:20
	s_waitcnt lgkmcnt(2)
	v_fma_f64 v[78:79], -v[108:109], v[126:127], v[78:79]
	v_fma_f64 v[76:77], -v[108:109], v[128:129], v[76:77]
	ds_read2_b64 v[126:129], v116 offset0:21 offset1:22
	s_waitcnt lgkmcnt(2)
	v_fma_f64 v[74:75], -v[108:109], v[130:131], v[74:75]
	v_fma_f64 v[72:73], -v[108:109], v[132:133], v[72:73]
	ds_read2_b64 v[130:133], v116 offset0:23 offset1:24
	s_waitcnt lgkmcnt(2)
	v_fma_f64 v[70:71], -v[108:109], v[122:123], v[70:71]
	v_fma_f64 v[68:69], -v[108:109], v[124:125], v[68:69]
	s_waitcnt lgkmcnt(1)
	v_fma_f64 v[66:67], -v[108:109], v[126:127], v[66:67]
	ds_read2_b64 v[122:125], v116 offset0:25 offset1:26
	v_fma_f64 v[64:65], -v[108:109], v[128:129], v[64:65]
	ds_read2_b64 v[126:129], v116 offset0:27 offset1:28
	s_waitcnt lgkmcnt(2)
	v_fma_f64 v[62:63], -v[108:109], v[130:131], v[62:63]
	v_fma_f64 v[60:61], -v[108:109], v[132:133], v[60:61]
	s_waitcnt lgkmcnt(1)
	v_fma_f64 v[58:59], -v[108:109], v[122:123], v[58:59]
	ds_read2_b64 v[130:133], v116 offset0:29 offset1:30
	v_fma_f64 v[56:57], -v[108:109], v[124:125], v[56:57]
	ds_read2_b64 v[122:125], v116 offset0:31 offset1:32
	s_waitcnt lgkmcnt(2)
	v_fma_f64 v[54:55], -v[108:109], v[126:127], v[54:55]
	v_fma_f64 v[52:53], -v[108:109], v[128:129], v[52:53]
	ds_read2_b64 v[126:129], v116 offset0:33 offset1:34
	s_waitcnt lgkmcnt(2)
	v_fma_f64 v[50:51], -v[108:109], v[130:131], v[50:51]
	v_fma_f64 v[48:49], -v[108:109], v[132:133], v[48:49]
	ds_read2_b64 v[130:133], v116 offset0:35 offset1:36
	;; [unrolled: 24-line block ×3, first 2 shown]
	s_waitcnt lgkmcnt(2)
	v_fma_f64 v[22:23], -v[108:109], v[122:123], v[22:23]
	v_fma_f64 v[20:21], -v[108:109], v[124:125], v[20:21]
	s_waitcnt lgkmcnt(1)
	v_fma_f64 v[18:19], -v[108:109], v[126:127], v[18:19]
	v_fma_f64 v[16:17], -v[108:109], v[128:129], v[16:17]
	ds_read2_b64 v[122:125], v116 offset0:49 offset1:50
	ds_read2_b64 v[126:129], v116 offset0:51 offset1:52
	ds_read_b64 v[112:113], v116 offset:424
	s_waitcnt lgkmcnt(3)
	v_fma_f64 v[14:15], -v[108:109], v[130:131], v[14:15]
	v_fma_f64 v[12:13], -v[108:109], v[132:133], v[12:13]
	s_waitcnt lgkmcnt(2)
	v_fma_f64 v[10:11], -v[108:109], v[122:123], v[10:11]
	v_fma_f64 v[8:9], -v[108:109], v[124:125], v[8:9]
	;; [unrolled: 3-line block ×3, first 2 shown]
	s_waitcnt lgkmcnt(0)
	v_fma_f64 v[110:111], -v[108:109], v[112:113], v[110:111]
.LBB106_16:
	s_or_b64 exec, exec, s[2:3]
	v_lshl_add_u32 v112, v117, 3, v116
	s_barrier
	s_waitcnt vmcnt(0)
	ds_write_b64 v112, v[106:107]
	s_waitcnt lgkmcnt(0)
	s_barrier
	ds_read_b64 v[112:113], v116 offset:8
	s_cmp_lt_i32 s18, 3
	v_mov_b32_e32 v114, 1
	s_cbranch_scc1 .LBB106_19
; %bb.17:
	v_add3_u32 v120, v121, 0, 16
	s_mov_b32 s2, 2
	v_mov_b32_e32 v114, 1
.LBB106_18:                             ; =>This Inner Loop Header: Depth=1
	ds_read_b64 v[122:123], v120
	v_mov_b32_e32 v124, s2
	s_add_i32 s2, s2, 1
	v_add_u32_e32 v120, 8, v120
	s_cmp_lg_u32 s18, s2
	s_waitcnt lgkmcnt(0)
	v_cmp_lt_f64_e64 vcc, |v[112:113]|, |v[122:123]|
	v_cndmask_b32_e32 v113, v113, v123, vcc
	v_cndmask_b32_e32 v112, v112, v122, vcc
	v_cndmask_b32_e32 v114, v114, v124, vcc
	s_cbranch_scc1 .LBB106_18
.LBB106_19:
	v_cmp_ne_u32_e32 vcc, v117, v114
	s_and_saveexec_b64 s[2:3], vcc
	s_xor_b64 s[2:3], exec, s[2:3]
	s_cbranch_execz .LBB106_25
; %bb.20:
	v_cmp_eq_u32_e32 vcc, 1, v117
	s_and_saveexec_b64 s[14:15], vcc
	s_cbranch_execz .LBB106_24
; %bb.21:
	v_cmp_ne_u32_e32 vcc, 1, v114
	s_xor_b64 s[16:17], s[6:7], -1
	s_and_b64 s[20:21], s[16:17], vcc
	s_and_saveexec_b64 s[16:17], s[20:21]
	s_cbranch_execz .LBB106_23
; %bb.22:
	v_ashrrev_i32_e32 v115, 31, v114
	v_lshlrev_b64 v[122:123], 2, v[114:115]
	v_add_co_u32_e32 v122, vcc, v4, v122
	v_addc_co_u32_e32 v123, vcc, v5, v123, vcc
	flat_load_dword v115, v[122:123]
	flat_load_dword v117, v[4:5] offset:4
	s_waitcnt vmcnt(0) lgkmcnt(0)
	flat_store_dword v[4:5], v115 offset:4
	flat_store_dword v[122:123], v117
.LBB106_23:
	s_or_b64 exec, exec, s[16:17]
	v_mov_b32_e32 v115, v114
	v_mov_b32_e32 v117, v114
.LBB106_24:
	s_or_b64 exec, exec, s[14:15]
.LBB106_25:
	s_andn2_saveexec_b64 s[2:3], s[2:3]
	s_cbranch_execz .LBB106_27
; %bb.26:
	v_mov_b32_e32 v122, v104
	v_mov_b32_e32 v123, v105
	v_mov_b32_e32 v124, v102
	v_mov_b32_e32 v125, v103
	ds_write2_b64 v116, v[122:123], v[124:125] offset0:2 offset1:3
	v_mov_b32_e32 v122, v100
	v_mov_b32_e32 v123, v101
	v_mov_b32_e32 v124, v98
	v_mov_b32_e32 v125, v99
	ds_write2_b64 v116, v[122:123], v[124:125] offset0:4 offset1:5
	;; [unrolled: 5-line block ×25, first 2 shown]
	v_mov_b32_e32 v122, v0
	v_mov_b32_e32 v123, v1
	;; [unrolled: 1-line block ×3, first 2 shown]
	ds_write2_b64 v116, v[122:123], v[110:111] offset0:52 offset1:53
.LBB106_27:
	s_or_b64 exec, exec, s[2:3]
	s_waitcnt lgkmcnt(0)
	v_cmp_neq_f64_e64 s[2:3], 0, v[112:113]
	v_cmp_lt_i32_e32 vcc, 1, v117
	s_barrier
	s_and_saveexec_b64 s[14:15], vcc
	s_cbranch_execz .LBB106_29
; %bb.28:
	v_div_scale_f64 v[122:123], s[16:17], v[112:113], v[112:113], 1.0
	v_rcp_f64_e32 v[124:125], v[122:123]
	v_div_scale_f64 v[126:127], vcc, 1.0, v[112:113], 1.0
	ds_read2_b64 v[130:133], v116 offset0:6 offset1:7
	v_fma_f64 v[128:129], -v[122:123], v[124:125], 1.0
	v_fmac_f64_e32 v[124:125], v[124:125], v[128:129]
	v_fma_f64 v[128:129], -v[122:123], v[124:125], 1.0
	v_fmac_f64_e32 v[124:125], v[124:125], v[128:129]
	v_mul_f64 v[128:129], v[126:127], v[124:125]
	v_fma_f64 v[122:123], -v[122:123], v[128:129], v[126:127]
	v_div_fmas_f64 v[122:123], v[122:123], v[124:125], v[128:129]
	v_div_fixup_f64 v[126:127], v[122:123], v[112:113], 1.0
	ds_read2_b64 v[122:125], v116 offset0:2 offset1:3
	v_cndmask_b32_e64 v113, v113, v127, s[2:3]
	v_cndmask_b32_e64 v112, v112, v126, s[2:3]
	ds_read2_b64 v[126:129], v116 offset0:4 offset1:5
	v_mul_f64 v[106:107], v[112:113], v[106:107]
	s_waitcnt lgkmcnt(0)
	v_fma_f64 v[104:105], -v[106:107], v[122:123], v[104:105]
	v_fma_f64 v[102:103], -v[106:107], v[124:125], v[102:103]
	ds_read2_b64 v[122:125], v116 offset0:8 offset1:9
	v_fma_f64 v[100:101], -v[106:107], v[126:127], v[100:101]
	v_fma_f64 v[98:99], -v[106:107], v[128:129], v[98:99]
	ds_read2_b64 v[126:129], v116 offset0:10 offset1:11
	;; [unrolled: 3-line block ×3, first 2 shown]
	s_waitcnt lgkmcnt(0)
	v_fma_f64 v[92:93], -v[106:107], v[122:123], v[92:93]
	v_fma_f64 v[90:91], -v[106:107], v[124:125], v[90:91]
	;; [unrolled: 1-line block ×3, first 2 shown]
	ds_read2_b64 v[122:125], v116 offset0:14 offset1:15
	v_fma_f64 v[86:87], -v[106:107], v[128:129], v[86:87]
	ds_read2_b64 v[126:129], v116 offset0:16 offset1:17
	v_fma_f64 v[84:85], -v[106:107], v[130:131], v[84:85]
	v_fma_f64 v[82:83], -v[106:107], v[132:133], v[82:83]
	s_waitcnt lgkmcnt(0)
	v_fma_f64 v[80:81], -v[106:107], v[122:123], v[80:81]
	ds_read2_b64 v[130:133], v116 offset0:18 offset1:19
	v_fma_f64 v[78:79], -v[106:107], v[124:125], v[78:79]
	ds_read2_b64 v[122:125], v116 offset0:20 offset1:21
	v_fma_f64 v[76:77], -v[106:107], v[126:127], v[76:77]
	v_fma_f64 v[74:75], -v[106:107], v[128:129], v[74:75]
	ds_read2_b64 v[126:129], v116 offset0:22 offset1:23
	s_waitcnt lgkmcnt(0)
	v_fma_f64 v[72:73], -v[106:107], v[130:131], v[72:73]
	v_fma_f64 v[70:71], -v[106:107], v[132:133], v[70:71]
	ds_read2_b64 v[130:133], v116 offset0:24 offset1:25
	v_fma_f64 v[68:69], -v[106:107], v[122:123], v[68:69]
	v_fma_f64 v[66:67], -v[106:107], v[124:125], v[66:67]
	;; [unrolled: 1-line block ×3, first 2 shown]
	ds_read2_b64 v[122:125], v116 offset0:26 offset1:27
	v_fma_f64 v[62:63], -v[106:107], v[128:129], v[62:63]
	ds_read2_b64 v[126:129], v116 offset0:28 offset1:29
	s_waitcnt lgkmcnt(0)
	v_fma_f64 v[60:61], -v[106:107], v[130:131], v[60:61]
	v_fma_f64 v[58:59], -v[106:107], v[132:133], v[58:59]
	;; [unrolled: 1-line block ×3, first 2 shown]
	ds_read2_b64 v[130:133], v116 offset0:30 offset1:31
	v_fma_f64 v[54:55], -v[106:107], v[124:125], v[54:55]
	ds_read2_b64 v[122:125], v116 offset0:32 offset1:33
	v_fma_f64 v[52:53], -v[106:107], v[126:127], v[52:53]
	v_fma_f64 v[50:51], -v[106:107], v[128:129], v[50:51]
	ds_read2_b64 v[126:129], v116 offset0:34 offset1:35
	s_waitcnt lgkmcnt(0)
	v_fma_f64 v[48:49], -v[106:107], v[130:131], v[48:49]
	v_fma_f64 v[46:47], -v[106:107], v[132:133], v[46:47]
	ds_read2_b64 v[130:133], v116 offset0:36 offset1:37
	v_fma_f64 v[44:45], -v[106:107], v[122:123], v[44:45]
	v_fma_f64 v[42:43], -v[106:107], v[124:125], v[42:43]
	;; [unrolled: 1-line block ×3, first 2 shown]
	ds_read2_b64 v[122:125], v116 offset0:38 offset1:39
	v_fma_f64 v[38:39], -v[106:107], v[128:129], v[38:39]
	ds_read2_b64 v[126:129], v116 offset0:40 offset1:41
	s_waitcnt lgkmcnt(0)
	v_fma_f64 v[36:37], -v[106:107], v[130:131], v[36:37]
	v_fma_f64 v[34:35], -v[106:107], v[132:133], v[34:35]
	;; [unrolled: 1-line block ×3, first 2 shown]
	ds_read2_b64 v[130:133], v116 offset0:42 offset1:43
	v_fma_f64 v[30:31], -v[106:107], v[124:125], v[30:31]
	ds_read2_b64 v[122:125], v116 offset0:44 offset1:45
	v_fma_f64 v[28:29], -v[106:107], v[126:127], v[28:29]
	v_fma_f64 v[26:27], -v[106:107], v[128:129], v[26:27]
	ds_read2_b64 v[126:129], v116 offset0:46 offset1:47
	s_waitcnt lgkmcnt(0)
	v_fma_f64 v[24:25], -v[106:107], v[130:131], v[24:25]
	v_fma_f64 v[22:23], -v[106:107], v[132:133], v[22:23]
	;; [unrolled: 1-line block ×4, first 2 shown]
	ds_read2_b64 v[122:125], v116 offset0:48 offset1:49
	v_fma_f64 v[16:17], -v[106:107], v[126:127], v[16:17]
	ds_read2_b64 v[130:133], v116 offset0:50 offset1:51
	v_fma_f64 v[14:15], -v[106:107], v[128:129], v[14:15]
	ds_read2_b64 v[126:129], v116 offset0:52 offset1:53
	s_waitcnt lgkmcnt(0)
	v_fma_f64 v[12:13], -v[106:107], v[122:123], v[12:13]
	v_fma_f64 v[10:11], -v[106:107], v[124:125], v[10:11]
	;; [unrolled: 1-line block ×6, first 2 shown]
.LBB106_29:
	s_or_b64 exec, exec, s[14:15]
	v_lshl_add_u32 v112, v117, 3, v116
	s_barrier
	ds_write_b64 v112, v[104:105]
	s_waitcnt lgkmcnt(0)
	s_barrier
	ds_read_b64 v[112:113], v116 offset:16
	s_mov_b32 s9, 3
	s_cmp_lt_i32 s18, 4
	v_mov_b32_e32 v114, 2
	s_cbranch_scc1 .LBB106_32
; %bb.30:
	v_add3_u32 v120, v121, 0, 24
	v_mov_b32_e32 v114, 2
.LBB106_31:                             ; =>This Inner Loop Header: Depth=1
	ds_read_b64 v[122:123], v120
	v_mov_b32_e32 v124, s9
	s_add_i32 s9, s9, 1
	v_add_u32_e32 v120, 8, v120
	s_cmp_lg_u32 s18, s9
	s_waitcnt lgkmcnt(0)
	v_cmp_lt_f64_e64 vcc, |v[112:113]|, |v[122:123]|
	v_cndmask_b32_e32 v113, v113, v123, vcc
	v_cndmask_b32_e32 v112, v112, v122, vcc
	;; [unrolled: 1-line block ×3, first 2 shown]
	s_cbranch_scc1 .LBB106_31
.LBB106_32:
	v_cndmask_b32_e64 v120, 2, 1, s[0:1]
	v_cndmask_b32_e64 v122, 0, 1, s[0:1]
	;; [unrolled: 1-line block ×3, first 2 shown]
	s_waitcnt lgkmcnt(0)
	v_cmp_eq_f64_e32 vcc, 0, v[112:113]
	s_and_saveexec_b64 s[0:1], vcc
	s_xor_b64 s[0:1], exec, s[0:1]
; %bb.33:
	v_cmp_ne_u32_e32 vcc, 0, v120
	v_cndmask_b32_e32 v120, 3, v120, vcc
; %bb.34:
	s_andn2_saveexec_b64 s[0:1], s[0:1]
; %bb.35:
	v_div_scale_f64 v[122:123], s[2:3], v[112:113], v[112:113], 1.0
	v_rcp_f64_e32 v[124:125], v[122:123]
	v_div_scale_f64 v[126:127], vcc, 1.0, v[112:113], 1.0
	v_fma_f64 v[128:129], -v[122:123], v[124:125], 1.0
	v_fmac_f64_e32 v[124:125], v[124:125], v[128:129]
	v_fma_f64 v[128:129], -v[122:123], v[124:125], 1.0
	v_fmac_f64_e32 v[124:125], v[124:125], v[128:129]
	v_mul_f64 v[128:129], v[126:127], v[124:125]
	v_fma_f64 v[122:123], -v[122:123], v[128:129], v[126:127]
	v_div_fmas_f64 v[122:123], v[122:123], v[124:125], v[128:129]
	v_div_fixup_f64 v[112:113], v[122:123], v[112:113], 1.0
; %bb.36:
	s_or_b64 exec, exec, s[0:1]
	v_cmp_ne_u32_e32 vcc, v117, v114
	s_and_saveexec_b64 s[0:1], vcc
	s_xor_b64 s[0:1], exec, s[0:1]
	s_cbranch_execz .LBB106_42
; %bb.37:
	v_cmp_eq_u32_e32 vcc, 2, v117
	s_and_saveexec_b64 s[2:3], vcc
	s_cbranch_execz .LBB106_41
; %bb.38:
	v_cmp_ne_u32_e32 vcc, 2, v114
	s_xor_b64 s[14:15], s[6:7], -1
	s_and_b64 s[16:17], s[14:15], vcc
	s_and_saveexec_b64 s[14:15], s[16:17]
	s_cbranch_execz .LBB106_40
; %bb.39:
	v_ashrrev_i32_e32 v115, 31, v114
	v_lshlrev_b64 v[122:123], 2, v[114:115]
	v_add_co_u32_e32 v122, vcc, v4, v122
	v_addc_co_u32_e32 v123, vcc, v5, v123, vcc
	flat_load_dword v115, v[122:123]
	flat_load_dword v117, v[4:5] offset:8
	s_waitcnt vmcnt(0) lgkmcnt(0)
	flat_store_dword v[4:5], v115 offset:8
	flat_store_dword v[122:123], v117
.LBB106_40:
	s_or_b64 exec, exec, s[14:15]
	v_mov_b32_e32 v115, v114
	v_mov_b32_e32 v117, v114
.LBB106_41:
	s_or_b64 exec, exec, s[2:3]
.LBB106_42:
	s_andn2_saveexec_b64 s[0:1], s[0:1]
	s_cbranch_execz .LBB106_44
; %bb.43:
	v_mov_b32_e32 v117, 2
	ds_write2_b64 v116, v[102:103], v[100:101] offset0:3 offset1:4
	ds_write2_b64 v116, v[98:99], v[96:97] offset0:5 offset1:6
	;; [unrolled: 1-line block ×25, first 2 shown]
	ds_write_b64 v116, v[110:111] offset:424
.LBB106_44:
	s_or_b64 exec, exec, s[0:1]
	v_cmp_lt_i32_e32 vcc, 2, v117
	s_waitcnt lgkmcnt(0)
	s_barrier
	s_and_saveexec_b64 s[0:1], vcc
	s_cbranch_execz .LBB106_46
; %bb.45:
	ds_read2_b64 v[122:125], v116 offset0:3 offset1:4
	ds_read2_b64 v[126:129], v116 offset0:5 offset1:6
	v_mul_f64 v[104:105], v[112:113], v[104:105]
	ds_read2_b64 v[130:133], v116 offset0:7 offset1:8
	ds_read_b64 v[112:113], v116 offset:424
	s_waitcnt lgkmcnt(0)
	v_fma_f64 v[102:103], -v[104:105], v[122:123], v[102:103]
	v_fma_f64 v[100:101], -v[104:105], v[124:125], v[100:101]
	ds_read2_b64 v[122:125], v116 offset0:9 offset1:10
	v_fma_f64 v[98:99], -v[104:105], v[126:127], v[98:99]
	v_fma_f64 v[96:97], -v[104:105], v[128:129], v[96:97]
	;; [unrolled: 1-line block ×3, first 2 shown]
	ds_read2_b64 v[126:129], v116 offset0:11 offset1:12
	v_fma_f64 v[92:93], -v[104:105], v[132:133], v[92:93]
	ds_read2_b64 v[130:133], v116 offset0:13 offset1:14
	s_waitcnt lgkmcnt(0)
	v_fma_f64 v[90:91], -v[104:105], v[122:123], v[90:91]
	v_fma_f64 v[88:89], -v[104:105], v[124:125], v[88:89]
	ds_read2_b64 v[122:125], v116 offset0:15 offset1:16
	v_fma_f64 v[86:87], -v[104:105], v[126:127], v[86:87]
	v_fma_f64 v[84:85], -v[104:105], v[128:129], v[84:85]
	ds_read2_b64 v[126:129], v116 offset0:17 offset1:18
	v_fma_f64 v[82:83], -v[104:105], v[130:131], v[82:83]
	v_fma_f64 v[80:81], -v[104:105], v[132:133], v[80:81]
	s_waitcnt lgkmcnt(0)
	v_fma_f64 v[78:79], -v[104:105], v[122:123], v[78:79]
	ds_read2_b64 v[130:133], v116 offset0:19 offset1:20
	v_fma_f64 v[76:77], -v[104:105], v[124:125], v[76:77]
	ds_read2_b64 v[122:125], v116 offset0:21 offset1:22
	v_fma_f64 v[74:75], -v[104:105], v[126:127], v[74:75]
	v_fma_f64 v[72:73], -v[104:105], v[128:129], v[72:73]
	s_waitcnt lgkmcnt(0)
	v_fma_f64 v[70:71], -v[104:105], v[130:131], v[70:71]
	ds_read2_b64 v[126:129], v116 offset0:23 offset1:24
	v_fma_f64 v[68:69], -v[104:105], v[132:133], v[68:69]
	ds_read2_b64 v[130:133], v116 offset0:25 offset1:26
	v_fma_f64 v[66:67], -v[104:105], v[122:123], v[66:67]
	v_fma_f64 v[64:65], -v[104:105], v[124:125], v[64:65]
	ds_read2_b64 v[122:125], v116 offset0:27 offset1:28
	s_waitcnt lgkmcnt(0)
	v_fma_f64 v[62:63], -v[104:105], v[126:127], v[62:63]
	v_fma_f64 v[60:61], -v[104:105], v[128:129], v[60:61]
	ds_read2_b64 v[126:129], v116 offset0:29 offset1:30
	v_fma_f64 v[58:59], -v[104:105], v[130:131], v[58:59]
	v_fma_f64 v[56:57], -v[104:105], v[132:133], v[56:57]
	;; [unrolled: 1-line block ×3, first 2 shown]
	ds_read2_b64 v[130:133], v116 offset0:31 offset1:32
	v_fma_f64 v[52:53], -v[104:105], v[124:125], v[52:53]
	ds_read2_b64 v[122:125], v116 offset0:33 offset1:34
	s_waitcnt lgkmcnt(0)
	v_fma_f64 v[50:51], -v[104:105], v[126:127], v[50:51]
	v_fma_f64 v[48:49], -v[104:105], v[128:129], v[48:49]
	;; [unrolled: 1-line block ×3, first 2 shown]
	ds_read2_b64 v[126:129], v116 offset0:35 offset1:36
	v_fma_f64 v[44:45], -v[104:105], v[132:133], v[44:45]
	ds_read2_b64 v[130:133], v116 offset0:37 offset1:38
	v_fma_f64 v[42:43], -v[104:105], v[122:123], v[42:43]
	v_fma_f64 v[40:41], -v[104:105], v[124:125], v[40:41]
	ds_read2_b64 v[122:125], v116 offset0:39 offset1:40
	s_waitcnt lgkmcnt(0)
	v_fma_f64 v[38:39], -v[104:105], v[126:127], v[38:39]
	v_fma_f64 v[36:37], -v[104:105], v[128:129], v[36:37]
	ds_read2_b64 v[126:129], v116 offset0:41 offset1:42
	v_fma_f64 v[34:35], -v[104:105], v[130:131], v[34:35]
	v_fma_f64 v[32:33], -v[104:105], v[132:133], v[32:33]
	;; [unrolled: 1-line block ×3, first 2 shown]
	ds_read2_b64 v[130:133], v116 offset0:43 offset1:44
	v_fma_f64 v[28:29], -v[104:105], v[124:125], v[28:29]
	ds_read2_b64 v[122:125], v116 offset0:45 offset1:46
	s_waitcnt lgkmcnt(0)
	v_fma_f64 v[26:27], -v[104:105], v[126:127], v[26:27]
	v_fma_f64 v[24:25], -v[104:105], v[128:129], v[24:25]
	;; [unrolled: 1-line block ×3, first 2 shown]
	ds_read2_b64 v[126:129], v116 offset0:47 offset1:48
	v_fma_f64 v[20:21], -v[104:105], v[132:133], v[20:21]
	v_fma_f64 v[18:19], -v[104:105], v[122:123], v[18:19]
	;; [unrolled: 1-line block ×3, first 2 shown]
	ds_read2_b64 v[122:125], v116 offset0:49 offset1:50
	ds_read2_b64 v[130:133], v116 offset0:51 offset1:52
	s_waitcnt lgkmcnt(0)
	v_fma_f64 v[14:15], -v[104:105], v[126:127], v[14:15]
	v_fma_f64 v[12:13], -v[104:105], v[128:129], v[12:13]
	;; [unrolled: 1-line block ×7, first 2 shown]
.LBB106_46:
	s_or_b64 exec, exec, s[0:1]
	v_lshl_add_u32 v112, v117, 3, v116
	s_barrier
	ds_write_b64 v112, v[102:103]
	s_waitcnt lgkmcnt(0)
	s_barrier
	ds_read_b64 v[112:113], v116 offset:24
	s_cmp_lt_i32 s18, 5
	v_mov_b32_e32 v114, 3
	s_cbranch_scc1 .LBB106_49
; %bb.47:
	v_add3_u32 v122, v121, 0, 32
	s_mov_b32 s0, 4
	v_mov_b32_e32 v114, 3
.LBB106_48:                             ; =>This Inner Loop Header: Depth=1
	ds_read_b64 v[124:125], v122
	v_mov_b32_e32 v123, s0
	s_add_i32 s0, s0, 1
	v_add_u32_e32 v122, 8, v122
	s_cmp_lg_u32 s18, s0
	s_waitcnt lgkmcnt(0)
	v_cmp_lt_f64_e64 vcc, |v[112:113]|, |v[124:125]|
	v_cndmask_b32_e32 v113, v113, v125, vcc
	v_cndmask_b32_e32 v112, v112, v124, vcc
	;; [unrolled: 1-line block ×3, first 2 shown]
	s_cbranch_scc1 .LBB106_48
.LBB106_49:
	s_waitcnt lgkmcnt(0)
	v_cmp_eq_f64_e32 vcc, 0, v[112:113]
	s_and_saveexec_b64 s[0:1], vcc
	s_xor_b64 s[0:1], exec, s[0:1]
; %bb.50:
	v_cmp_ne_u32_e32 vcc, 0, v120
	v_cndmask_b32_e32 v120, 4, v120, vcc
; %bb.51:
	s_andn2_saveexec_b64 s[0:1], s[0:1]
; %bb.52:
	v_div_scale_f64 v[122:123], s[2:3], v[112:113], v[112:113], 1.0
	v_rcp_f64_e32 v[124:125], v[122:123]
	v_div_scale_f64 v[126:127], vcc, 1.0, v[112:113], 1.0
	v_fma_f64 v[128:129], -v[122:123], v[124:125], 1.0
	v_fmac_f64_e32 v[124:125], v[124:125], v[128:129]
	v_fma_f64 v[128:129], -v[122:123], v[124:125], 1.0
	v_fmac_f64_e32 v[124:125], v[124:125], v[128:129]
	v_mul_f64 v[128:129], v[126:127], v[124:125]
	v_fma_f64 v[122:123], -v[122:123], v[128:129], v[126:127]
	v_div_fmas_f64 v[122:123], v[122:123], v[124:125], v[128:129]
	v_div_fixup_f64 v[112:113], v[122:123], v[112:113], 1.0
; %bb.53:
	s_or_b64 exec, exec, s[0:1]
	v_cmp_ne_u32_e32 vcc, v117, v114
	s_and_saveexec_b64 s[0:1], vcc
	s_xor_b64 s[0:1], exec, s[0:1]
	s_cbranch_execz .LBB106_59
; %bb.54:
	v_cmp_eq_u32_e32 vcc, 3, v117
	s_and_saveexec_b64 s[2:3], vcc
	s_cbranch_execz .LBB106_58
; %bb.55:
	v_cmp_ne_u32_e32 vcc, 3, v114
	s_xor_b64 s[14:15], s[6:7], -1
	s_and_b64 s[16:17], s[14:15], vcc
	s_and_saveexec_b64 s[14:15], s[16:17]
	s_cbranch_execz .LBB106_57
; %bb.56:
	v_ashrrev_i32_e32 v115, 31, v114
	v_lshlrev_b64 v[122:123], 2, v[114:115]
	v_add_co_u32_e32 v122, vcc, v4, v122
	v_addc_co_u32_e32 v123, vcc, v5, v123, vcc
	flat_load_dword v115, v[122:123]
	flat_load_dword v117, v[4:5] offset:12
	s_waitcnt vmcnt(0) lgkmcnt(0)
	flat_store_dword v[4:5], v115 offset:12
	flat_store_dword v[122:123], v117
.LBB106_57:
	s_or_b64 exec, exec, s[14:15]
	v_mov_b32_e32 v115, v114
	v_mov_b32_e32 v117, v114
.LBB106_58:
	s_or_b64 exec, exec, s[2:3]
.LBB106_59:
	s_andn2_saveexec_b64 s[0:1], s[0:1]
	s_cbranch_execz .LBB106_61
; %bb.60:
	v_mov_b32_e32 v122, v100
	v_mov_b32_e32 v123, v101
	v_mov_b32_e32 v124, v98
	v_mov_b32_e32 v125, v99
	ds_write2_b64 v116, v[122:123], v[124:125] offset0:4 offset1:5
	v_mov_b32_e32 v122, v96
	v_mov_b32_e32 v123, v97
	v_mov_b32_e32 v124, v94
	v_mov_b32_e32 v125, v95
	ds_write2_b64 v116, v[122:123], v[124:125] offset0:6 offset1:7
	;; [unrolled: 5-line block ×24, first 2 shown]
	v_mov_b32_e32 v122, v0
	v_mov_b32_e32 v123, v1
	;; [unrolled: 1-line block ×3, first 2 shown]
	ds_write2_b64 v116, v[122:123], v[110:111] offset0:52 offset1:53
.LBB106_61:
	s_or_b64 exec, exec, s[0:1]
	v_cmp_lt_i32_e32 vcc, 3, v117
	s_waitcnt lgkmcnt(0)
	s_barrier
	s_and_saveexec_b64 s[0:1], vcc
	s_cbranch_execz .LBB106_63
; %bb.62:
	ds_read2_b64 v[122:125], v116 offset0:4 offset1:5
	ds_read2_b64 v[126:129], v116 offset0:6 offset1:7
	v_mul_f64 v[102:103], v[112:113], v[102:103]
	ds_read2_b64 v[130:133], v116 offset0:8 offset1:9
	s_waitcnt lgkmcnt(0)
	v_fma_f64 v[100:101], -v[102:103], v[122:123], v[100:101]
	v_fma_f64 v[98:99], -v[102:103], v[124:125], v[98:99]
	ds_read2_b64 v[122:125], v116 offset0:10 offset1:11
	v_fma_f64 v[96:97], -v[102:103], v[126:127], v[96:97]
	v_fma_f64 v[94:95], -v[102:103], v[128:129], v[94:95]
	;; [unrolled: 1-line block ×3, first 2 shown]
	ds_read2_b64 v[126:129], v116 offset0:12 offset1:13
	v_fma_f64 v[90:91], -v[102:103], v[132:133], v[90:91]
	ds_read2_b64 v[130:133], v116 offset0:14 offset1:15
	s_waitcnt lgkmcnt(0)
	v_fma_f64 v[88:89], -v[102:103], v[122:123], v[88:89]
	v_fma_f64 v[86:87], -v[102:103], v[124:125], v[86:87]
	ds_read2_b64 v[122:125], v116 offset0:16 offset1:17
	v_fma_f64 v[84:85], -v[102:103], v[126:127], v[84:85]
	v_fma_f64 v[82:83], -v[102:103], v[128:129], v[82:83]
	ds_read2_b64 v[126:129], v116 offset0:18 offset1:19
	v_fma_f64 v[80:81], -v[102:103], v[130:131], v[80:81]
	v_fma_f64 v[78:79], -v[102:103], v[132:133], v[78:79]
	s_waitcnt lgkmcnt(0)
	v_fma_f64 v[76:77], -v[102:103], v[122:123], v[76:77]
	ds_read2_b64 v[130:133], v116 offset0:20 offset1:21
	v_fma_f64 v[74:75], -v[102:103], v[124:125], v[74:75]
	ds_read2_b64 v[122:125], v116 offset0:22 offset1:23
	v_fma_f64 v[72:73], -v[102:103], v[126:127], v[72:73]
	v_fma_f64 v[70:71], -v[102:103], v[128:129], v[70:71]
	s_waitcnt lgkmcnt(0)
	v_fma_f64 v[68:69], -v[102:103], v[130:131], v[68:69]
	ds_read2_b64 v[126:129], v116 offset0:24 offset1:25
	v_fma_f64 v[66:67], -v[102:103], v[132:133], v[66:67]
	ds_read2_b64 v[130:133], v116 offset0:26 offset1:27
	v_fma_f64 v[64:65], -v[102:103], v[122:123], v[64:65]
	v_fma_f64 v[62:63], -v[102:103], v[124:125], v[62:63]
	ds_read2_b64 v[122:125], v116 offset0:28 offset1:29
	s_waitcnt lgkmcnt(0)
	v_fma_f64 v[60:61], -v[102:103], v[126:127], v[60:61]
	v_fma_f64 v[58:59], -v[102:103], v[128:129], v[58:59]
	ds_read2_b64 v[126:129], v116 offset0:30 offset1:31
	v_fma_f64 v[56:57], -v[102:103], v[130:131], v[56:57]
	v_fma_f64 v[54:55], -v[102:103], v[132:133], v[54:55]
	;; [unrolled: 1-line block ×3, first 2 shown]
	ds_read2_b64 v[130:133], v116 offset0:32 offset1:33
	v_fma_f64 v[50:51], -v[102:103], v[124:125], v[50:51]
	ds_read2_b64 v[122:125], v116 offset0:34 offset1:35
	s_waitcnt lgkmcnt(0)
	v_fma_f64 v[48:49], -v[102:103], v[126:127], v[48:49]
	v_fma_f64 v[46:47], -v[102:103], v[128:129], v[46:47]
	;; [unrolled: 1-line block ×3, first 2 shown]
	ds_read2_b64 v[126:129], v116 offset0:36 offset1:37
	v_fma_f64 v[42:43], -v[102:103], v[132:133], v[42:43]
	ds_read2_b64 v[130:133], v116 offset0:38 offset1:39
	v_fma_f64 v[40:41], -v[102:103], v[122:123], v[40:41]
	v_fma_f64 v[38:39], -v[102:103], v[124:125], v[38:39]
	ds_read2_b64 v[122:125], v116 offset0:40 offset1:41
	s_waitcnt lgkmcnt(0)
	v_fma_f64 v[36:37], -v[102:103], v[126:127], v[36:37]
	v_fma_f64 v[34:35], -v[102:103], v[128:129], v[34:35]
	ds_read2_b64 v[126:129], v116 offset0:42 offset1:43
	v_fma_f64 v[32:33], -v[102:103], v[130:131], v[32:33]
	v_fma_f64 v[30:31], -v[102:103], v[132:133], v[30:31]
	;; [unrolled: 1-line block ×3, first 2 shown]
	ds_read2_b64 v[130:133], v116 offset0:44 offset1:45
	v_fma_f64 v[26:27], -v[102:103], v[124:125], v[26:27]
	ds_read2_b64 v[122:125], v116 offset0:46 offset1:47
	s_waitcnt lgkmcnt(0)
	v_fma_f64 v[24:25], -v[102:103], v[126:127], v[24:25]
	v_fma_f64 v[22:23], -v[102:103], v[128:129], v[22:23]
	;; [unrolled: 1-line block ×4, first 2 shown]
	ds_read2_b64 v[126:129], v116 offset0:48 offset1:49
	ds_read2_b64 v[130:133], v116 offset0:50 offset1:51
	v_fma_f64 v[16:17], -v[102:103], v[122:123], v[16:17]
	v_fma_f64 v[14:15], -v[102:103], v[124:125], v[14:15]
	ds_read2_b64 v[122:125], v116 offset0:52 offset1:53
	s_waitcnt lgkmcnt(0)
	v_fma_f64 v[12:13], -v[102:103], v[126:127], v[12:13]
	v_fma_f64 v[10:11], -v[102:103], v[128:129], v[10:11]
	;; [unrolled: 1-line block ×6, first 2 shown]
.LBB106_63:
	s_or_b64 exec, exec, s[0:1]
	v_lshl_add_u32 v112, v117, 3, v116
	s_barrier
	ds_write_b64 v112, v[100:101]
	s_waitcnt lgkmcnt(0)
	s_barrier
	ds_read_b64 v[112:113], v116 offset:32
	s_cmp_lt_i32 s18, 6
	v_mov_b32_e32 v114, 4
	s_cbranch_scc1 .LBB106_66
; %bb.64:
	v_add3_u32 v122, v121, 0, 40
	s_mov_b32 s0, 5
	v_mov_b32_e32 v114, 4
.LBB106_65:                             ; =>This Inner Loop Header: Depth=1
	ds_read_b64 v[124:125], v122
	v_mov_b32_e32 v123, s0
	s_add_i32 s0, s0, 1
	v_add_u32_e32 v122, 8, v122
	s_cmp_lg_u32 s18, s0
	s_waitcnt lgkmcnt(0)
	v_cmp_lt_f64_e64 vcc, |v[112:113]|, |v[124:125]|
	v_cndmask_b32_e32 v113, v113, v125, vcc
	v_cndmask_b32_e32 v112, v112, v124, vcc
	;; [unrolled: 1-line block ×3, first 2 shown]
	s_cbranch_scc1 .LBB106_65
.LBB106_66:
	s_waitcnt lgkmcnt(0)
	v_cmp_eq_f64_e32 vcc, 0, v[112:113]
	s_and_saveexec_b64 s[0:1], vcc
	s_xor_b64 s[0:1], exec, s[0:1]
; %bb.67:
	v_cmp_ne_u32_e32 vcc, 0, v120
	v_cndmask_b32_e32 v120, 5, v120, vcc
; %bb.68:
	s_andn2_saveexec_b64 s[0:1], s[0:1]
; %bb.69:
	v_div_scale_f64 v[122:123], s[2:3], v[112:113], v[112:113], 1.0
	v_rcp_f64_e32 v[124:125], v[122:123]
	v_div_scale_f64 v[126:127], vcc, 1.0, v[112:113], 1.0
	v_fma_f64 v[128:129], -v[122:123], v[124:125], 1.0
	v_fmac_f64_e32 v[124:125], v[124:125], v[128:129]
	v_fma_f64 v[128:129], -v[122:123], v[124:125], 1.0
	v_fmac_f64_e32 v[124:125], v[124:125], v[128:129]
	v_mul_f64 v[128:129], v[126:127], v[124:125]
	v_fma_f64 v[122:123], -v[122:123], v[128:129], v[126:127]
	v_div_fmas_f64 v[122:123], v[122:123], v[124:125], v[128:129]
	v_div_fixup_f64 v[112:113], v[122:123], v[112:113], 1.0
; %bb.70:
	s_or_b64 exec, exec, s[0:1]
	v_cmp_ne_u32_e32 vcc, v117, v114
	s_and_saveexec_b64 s[0:1], vcc
	s_xor_b64 s[0:1], exec, s[0:1]
	s_cbranch_execz .LBB106_76
; %bb.71:
	v_cmp_eq_u32_e32 vcc, 4, v117
	s_and_saveexec_b64 s[2:3], vcc
	s_cbranch_execz .LBB106_75
; %bb.72:
	v_cmp_ne_u32_e32 vcc, 4, v114
	s_xor_b64 s[14:15], s[6:7], -1
	s_and_b64 s[16:17], s[14:15], vcc
	s_and_saveexec_b64 s[14:15], s[16:17]
	s_cbranch_execz .LBB106_74
; %bb.73:
	v_ashrrev_i32_e32 v115, 31, v114
	v_lshlrev_b64 v[122:123], 2, v[114:115]
	v_add_co_u32_e32 v122, vcc, v4, v122
	v_addc_co_u32_e32 v123, vcc, v5, v123, vcc
	flat_load_dword v115, v[122:123]
	flat_load_dword v117, v[4:5] offset:16
	s_waitcnt vmcnt(0) lgkmcnt(0)
	flat_store_dword v[4:5], v115 offset:16
	flat_store_dword v[122:123], v117
.LBB106_74:
	s_or_b64 exec, exec, s[14:15]
	v_mov_b32_e32 v115, v114
	v_mov_b32_e32 v117, v114
.LBB106_75:
	s_or_b64 exec, exec, s[2:3]
.LBB106_76:
	s_andn2_saveexec_b64 s[0:1], s[0:1]
	s_cbranch_execz .LBB106_78
; %bb.77:
	v_mov_b32_e32 v117, 4
	ds_write2_b64 v116, v[98:99], v[96:97] offset0:5 offset1:6
	ds_write2_b64 v116, v[94:95], v[92:93] offset0:7 offset1:8
	;; [unrolled: 1-line block ×24, first 2 shown]
	ds_write_b64 v116, v[110:111] offset:424
.LBB106_78:
	s_or_b64 exec, exec, s[0:1]
	v_cmp_lt_i32_e32 vcc, 4, v117
	s_waitcnt lgkmcnt(0)
	s_barrier
	s_and_saveexec_b64 s[0:1], vcc
	s_cbranch_execz .LBB106_80
; %bb.79:
	ds_read2_b64 v[122:125], v116 offset0:5 offset1:6
	ds_read2_b64 v[126:129], v116 offset0:7 offset1:8
	;; [unrolled: 1-line block ×3, first 2 shown]
	v_mul_f64 v[100:101], v[112:113], v[100:101]
	ds_read_b64 v[112:113], v116 offset:424
	s_waitcnt lgkmcnt(0)
	v_fma_f64 v[98:99], -v[100:101], v[122:123], v[98:99]
	v_fma_f64 v[96:97], -v[100:101], v[124:125], v[96:97]
	ds_read2_b64 v[122:125], v116 offset0:11 offset1:12
	v_fma_f64 v[94:95], -v[100:101], v[126:127], v[94:95]
	v_fma_f64 v[92:93], -v[100:101], v[128:129], v[92:93]
	v_fma_f64 v[90:91], -v[100:101], v[130:131], v[90:91]
	ds_read2_b64 v[126:129], v116 offset0:13 offset1:14
	v_fma_f64 v[88:89], -v[100:101], v[132:133], v[88:89]
	ds_read2_b64 v[130:133], v116 offset0:15 offset1:16
	s_waitcnt lgkmcnt(0)
	v_fma_f64 v[86:87], -v[100:101], v[122:123], v[86:87]
	v_fma_f64 v[84:85], -v[100:101], v[124:125], v[84:85]
	v_fma_f64 v[82:83], -v[100:101], v[126:127], v[82:83]
	ds_read2_b64 v[122:125], v116 offset0:17 offset1:18
	v_fma_f64 v[80:81], -v[100:101], v[128:129], v[80:81]
	ds_read2_b64 v[126:129], v116 offset0:19 offset1:20
	v_fma_f64 v[78:79], -v[100:101], v[130:131], v[78:79]
	v_fma_f64 v[76:77], -v[100:101], v[132:133], v[76:77]
	ds_read2_b64 v[130:133], v116 offset0:21 offset1:22
	s_waitcnt lgkmcnt(0)
	v_fma_f64 v[74:75], -v[100:101], v[122:123], v[74:75]
	v_fma_f64 v[72:73], -v[100:101], v[124:125], v[72:73]
	ds_read2_b64 v[122:125], v116 offset0:23 offset1:24
	v_fma_f64 v[70:71], -v[100:101], v[126:127], v[70:71]
	v_fma_f64 v[68:69], -v[100:101], v[128:129], v[68:69]
	v_fma_f64 v[66:67], -v[100:101], v[130:131], v[66:67]
	ds_read2_b64 v[126:129], v116 offset0:25 offset1:26
	v_fma_f64 v[64:65], -v[100:101], v[132:133], v[64:65]
	ds_read2_b64 v[130:133], v116 offset0:27 offset1:28
	s_waitcnt lgkmcnt(0)
	v_fma_f64 v[62:63], -v[100:101], v[122:123], v[62:63]
	v_fma_f64 v[60:61], -v[100:101], v[124:125], v[60:61]
	v_fma_f64 v[58:59], -v[100:101], v[126:127], v[58:59]
	ds_read2_b64 v[122:125], v116 offset0:29 offset1:30
	v_fma_f64 v[56:57], -v[100:101], v[128:129], v[56:57]
	ds_read2_b64 v[126:129], v116 offset0:31 offset1:32
	v_fma_f64 v[54:55], -v[100:101], v[130:131], v[54:55]
	v_fma_f64 v[52:53], -v[100:101], v[132:133], v[52:53]
	ds_read2_b64 v[130:133], v116 offset0:33 offset1:34
	;; [unrolled: 20-line block ×3, first 2 shown]
	s_waitcnt lgkmcnt(0)
	v_fma_f64 v[26:27], -v[100:101], v[122:123], v[26:27]
	v_fma_f64 v[24:25], -v[100:101], v[124:125], v[24:25]
	ds_read2_b64 v[122:125], v116 offset0:47 offset1:48
	v_fma_f64 v[22:23], -v[100:101], v[126:127], v[22:23]
	v_fma_f64 v[20:21], -v[100:101], v[128:129], v[20:21]
	;; [unrolled: 1-line block ×4, first 2 shown]
	ds_read2_b64 v[126:129], v116 offset0:49 offset1:50
	ds_read2_b64 v[130:133], v116 offset0:51 offset1:52
	s_waitcnt lgkmcnt(0)
	v_fma_f64 v[14:15], -v[100:101], v[122:123], v[14:15]
	v_fma_f64 v[12:13], -v[100:101], v[124:125], v[12:13]
	;; [unrolled: 1-line block ×7, first 2 shown]
.LBB106_80:
	s_or_b64 exec, exec, s[0:1]
	v_lshl_add_u32 v112, v117, 3, v116
	s_barrier
	ds_write_b64 v112, v[98:99]
	s_waitcnt lgkmcnt(0)
	s_barrier
	ds_read_b64 v[112:113], v116 offset:40
	s_cmp_lt_i32 s18, 7
	v_mov_b32_e32 v114, 5
	s_cbranch_scc1 .LBB106_83
; %bb.81:
	v_add3_u32 v122, v121, 0, 48
	s_mov_b32 s0, 6
	v_mov_b32_e32 v114, 5
.LBB106_82:                             ; =>This Inner Loop Header: Depth=1
	ds_read_b64 v[124:125], v122
	v_mov_b32_e32 v123, s0
	s_add_i32 s0, s0, 1
	v_add_u32_e32 v122, 8, v122
	s_cmp_lg_u32 s18, s0
	s_waitcnt lgkmcnt(0)
	v_cmp_lt_f64_e64 vcc, |v[112:113]|, |v[124:125]|
	v_cndmask_b32_e32 v113, v113, v125, vcc
	v_cndmask_b32_e32 v112, v112, v124, vcc
	;; [unrolled: 1-line block ×3, first 2 shown]
	s_cbranch_scc1 .LBB106_82
.LBB106_83:
	s_waitcnt lgkmcnt(0)
	v_cmp_eq_f64_e32 vcc, 0, v[112:113]
	s_and_saveexec_b64 s[0:1], vcc
	s_xor_b64 s[0:1], exec, s[0:1]
; %bb.84:
	v_cmp_ne_u32_e32 vcc, 0, v120
	v_cndmask_b32_e32 v120, 6, v120, vcc
; %bb.85:
	s_andn2_saveexec_b64 s[0:1], s[0:1]
; %bb.86:
	v_div_scale_f64 v[122:123], s[2:3], v[112:113], v[112:113], 1.0
	v_rcp_f64_e32 v[124:125], v[122:123]
	v_div_scale_f64 v[126:127], vcc, 1.0, v[112:113], 1.0
	v_fma_f64 v[128:129], -v[122:123], v[124:125], 1.0
	v_fmac_f64_e32 v[124:125], v[124:125], v[128:129]
	v_fma_f64 v[128:129], -v[122:123], v[124:125], 1.0
	v_fmac_f64_e32 v[124:125], v[124:125], v[128:129]
	v_mul_f64 v[128:129], v[126:127], v[124:125]
	v_fma_f64 v[122:123], -v[122:123], v[128:129], v[126:127]
	v_div_fmas_f64 v[122:123], v[122:123], v[124:125], v[128:129]
	v_div_fixup_f64 v[112:113], v[122:123], v[112:113], 1.0
; %bb.87:
	s_or_b64 exec, exec, s[0:1]
	v_cmp_ne_u32_e32 vcc, v117, v114
	s_and_saveexec_b64 s[0:1], vcc
	s_xor_b64 s[0:1], exec, s[0:1]
	s_cbranch_execz .LBB106_93
; %bb.88:
	v_cmp_eq_u32_e32 vcc, 5, v117
	s_and_saveexec_b64 s[2:3], vcc
	s_cbranch_execz .LBB106_92
; %bb.89:
	v_cmp_ne_u32_e32 vcc, 5, v114
	s_xor_b64 s[14:15], s[6:7], -1
	s_and_b64 s[16:17], s[14:15], vcc
	s_and_saveexec_b64 s[14:15], s[16:17]
	s_cbranch_execz .LBB106_91
; %bb.90:
	v_ashrrev_i32_e32 v115, 31, v114
	v_lshlrev_b64 v[122:123], 2, v[114:115]
	v_add_co_u32_e32 v122, vcc, v4, v122
	v_addc_co_u32_e32 v123, vcc, v5, v123, vcc
	flat_load_dword v115, v[122:123]
	flat_load_dword v117, v[4:5] offset:20
	s_waitcnt vmcnt(0) lgkmcnt(0)
	flat_store_dword v[4:5], v115 offset:20
	flat_store_dword v[122:123], v117
.LBB106_91:
	s_or_b64 exec, exec, s[14:15]
	v_mov_b32_e32 v115, v114
	v_mov_b32_e32 v117, v114
.LBB106_92:
	s_or_b64 exec, exec, s[2:3]
.LBB106_93:
	s_andn2_saveexec_b64 s[0:1], s[0:1]
	s_cbranch_execz .LBB106_95
; %bb.94:
	v_mov_b32_e32 v122, v96
	v_mov_b32_e32 v123, v97
	v_mov_b32_e32 v124, v94
	v_mov_b32_e32 v125, v95
	ds_write2_b64 v116, v[122:123], v[124:125] offset0:6 offset1:7
	v_mov_b32_e32 v122, v92
	v_mov_b32_e32 v123, v93
	v_mov_b32_e32 v124, v90
	v_mov_b32_e32 v125, v91
	ds_write2_b64 v116, v[122:123], v[124:125] offset0:8 offset1:9
	v_mov_b32_e32 v122, v88
	v_mov_b32_e32 v123, v89
	v_mov_b32_e32 v124, v86
	v_mov_b32_e32 v125, v87
	ds_write2_b64 v116, v[122:123], v[124:125] offset0:10 offset1:11
	v_mov_b32_e32 v122, v84
	v_mov_b32_e32 v123, v85
	v_mov_b32_e32 v124, v82
	v_mov_b32_e32 v125, v83
	ds_write2_b64 v116, v[122:123], v[124:125] offset0:12 offset1:13
	v_mov_b32_e32 v122, v80
	v_mov_b32_e32 v123, v81
	v_mov_b32_e32 v124, v78
	v_mov_b32_e32 v125, v79
	ds_write2_b64 v116, v[122:123], v[124:125] offset0:14 offset1:15
	v_mov_b32_e32 v122, v76
	v_mov_b32_e32 v123, v77
	v_mov_b32_e32 v124, v74
	v_mov_b32_e32 v125, v75
	ds_write2_b64 v116, v[122:123], v[124:125] offset0:16 offset1:17
	v_mov_b32_e32 v122, v72
	v_mov_b32_e32 v123, v73
	v_mov_b32_e32 v124, v70
	v_mov_b32_e32 v125, v71
	ds_write2_b64 v116, v[122:123], v[124:125] offset0:18 offset1:19
	v_mov_b32_e32 v122, v68
	v_mov_b32_e32 v123, v69
	v_mov_b32_e32 v124, v66
	v_mov_b32_e32 v125, v67
	ds_write2_b64 v116, v[122:123], v[124:125] offset0:20 offset1:21
	v_mov_b32_e32 v122, v64
	v_mov_b32_e32 v123, v65
	v_mov_b32_e32 v124, v62
	v_mov_b32_e32 v125, v63
	ds_write2_b64 v116, v[122:123], v[124:125] offset0:22 offset1:23
	v_mov_b32_e32 v122, v60
	v_mov_b32_e32 v123, v61
	v_mov_b32_e32 v124, v58
	v_mov_b32_e32 v125, v59
	ds_write2_b64 v116, v[122:123], v[124:125] offset0:24 offset1:25
	v_mov_b32_e32 v122, v56
	v_mov_b32_e32 v123, v57
	v_mov_b32_e32 v124, v54
	v_mov_b32_e32 v125, v55
	ds_write2_b64 v116, v[122:123], v[124:125] offset0:26 offset1:27
	v_mov_b32_e32 v122, v52
	v_mov_b32_e32 v123, v53
	v_mov_b32_e32 v124, v50
	v_mov_b32_e32 v125, v51
	ds_write2_b64 v116, v[122:123], v[124:125] offset0:28 offset1:29
	v_mov_b32_e32 v122, v48
	v_mov_b32_e32 v123, v49
	v_mov_b32_e32 v124, v46
	v_mov_b32_e32 v125, v47
	ds_write2_b64 v116, v[122:123], v[124:125] offset0:30 offset1:31
	v_mov_b32_e32 v122, v44
	v_mov_b32_e32 v123, v45
	v_mov_b32_e32 v124, v42
	v_mov_b32_e32 v125, v43
	ds_write2_b64 v116, v[122:123], v[124:125] offset0:32 offset1:33
	v_mov_b32_e32 v122, v40
	v_mov_b32_e32 v123, v41
	v_mov_b32_e32 v124, v38
	v_mov_b32_e32 v125, v39
	ds_write2_b64 v116, v[122:123], v[124:125] offset0:34 offset1:35
	v_mov_b32_e32 v122, v36
	v_mov_b32_e32 v123, v37
	v_mov_b32_e32 v124, v34
	v_mov_b32_e32 v125, v35
	ds_write2_b64 v116, v[122:123], v[124:125] offset0:36 offset1:37
	v_mov_b32_e32 v122, v32
	v_mov_b32_e32 v123, v33
	v_mov_b32_e32 v124, v30
	v_mov_b32_e32 v125, v31
	ds_write2_b64 v116, v[122:123], v[124:125] offset0:38 offset1:39
	v_mov_b32_e32 v122, v28
	v_mov_b32_e32 v123, v29
	v_mov_b32_e32 v124, v26
	v_mov_b32_e32 v125, v27
	ds_write2_b64 v116, v[122:123], v[124:125] offset0:40 offset1:41
	v_mov_b32_e32 v122, v24
	v_mov_b32_e32 v123, v25
	v_mov_b32_e32 v124, v22
	v_mov_b32_e32 v125, v23
	ds_write2_b64 v116, v[122:123], v[124:125] offset0:42 offset1:43
	v_mov_b32_e32 v122, v20
	v_mov_b32_e32 v123, v21
	v_mov_b32_e32 v124, v18
	v_mov_b32_e32 v125, v19
	ds_write2_b64 v116, v[122:123], v[124:125] offset0:44 offset1:45
	v_mov_b32_e32 v122, v16
	v_mov_b32_e32 v123, v17
	v_mov_b32_e32 v124, v14
	v_mov_b32_e32 v125, v15
	ds_write2_b64 v116, v[122:123], v[124:125] offset0:46 offset1:47
	v_mov_b32_e32 v122, v12
	v_mov_b32_e32 v123, v13
	v_mov_b32_e32 v124, v10
	v_mov_b32_e32 v125, v11
	ds_write2_b64 v116, v[122:123], v[124:125] offset0:48 offset1:49
	v_mov_b32_e32 v122, v8
	v_mov_b32_e32 v123, v9
	v_mov_b32_e32 v124, v6
	v_mov_b32_e32 v125, v7
	ds_write2_b64 v116, v[122:123], v[124:125] offset0:50 offset1:51
	v_mov_b32_e32 v122, v0
	v_mov_b32_e32 v123, v1
	v_mov_b32_e32 v117, 5
	ds_write2_b64 v116, v[122:123], v[110:111] offset0:52 offset1:53
.LBB106_95:
	s_or_b64 exec, exec, s[0:1]
	v_cmp_lt_i32_e32 vcc, 5, v117
	s_waitcnt lgkmcnt(0)
	s_barrier
	s_and_saveexec_b64 s[0:1], vcc
	s_cbranch_execz .LBB106_97
; %bb.96:
	ds_read2_b64 v[122:125], v116 offset0:6 offset1:7
	ds_read2_b64 v[126:129], v116 offset0:8 offset1:9
	ds_read2_b64 v[130:133], v116 offset0:10 offset1:11
	v_mul_f64 v[98:99], v[112:113], v[98:99]
	s_waitcnt lgkmcnt(0)
	v_fma_f64 v[96:97], -v[98:99], v[122:123], v[96:97]
	v_fma_f64 v[94:95], -v[98:99], v[124:125], v[94:95]
	ds_read2_b64 v[122:125], v116 offset0:12 offset1:13
	v_fma_f64 v[92:93], -v[98:99], v[126:127], v[92:93]
	v_fma_f64 v[90:91], -v[98:99], v[128:129], v[90:91]
	v_fma_f64 v[88:89], -v[98:99], v[130:131], v[88:89]
	ds_read2_b64 v[126:129], v116 offset0:14 offset1:15
	v_fma_f64 v[86:87], -v[98:99], v[132:133], v[86:87]
	ds_read2_b64 v[130:133], v116 offset0:16 offset1:17
	s_waitcnt lgkmcnt(0)
	v_fma_f64 v[84:85], -v[98:99], v[122:123], v[84:85]
	v_fma_f64 v[82:83], -v[98:99], v[124:125], v[82:83]
	v_fma_f64 v[80:81], -v[98:99], v[126:127], v[80:81]
	ds_read2_b64 v[122:125], v116 offset0:18 offset1:19
	v_fma_f64 v[78:79], -v[98:99], v[128:129], v[78:79]
	ds_read2_b64 v[126:129], v116 offset0:20 offset1:21
	v_fma_f64 v[76:77], -v[98:99], v[130:131], v[76:77]
	v_fma_f64 v[74:75], -v[98:99], v[132:133], v[74:75]
	ds_read2_b64 v[130:133], v116 offset0:22 offset1:23
	s_waitcnt lgkmcnt(0)
	v_fma_f64 v[72:73], -v[98:99], v[122:123], v[72:73]
	v_fma_f64 v[70:71], -v[98:99], v[124:125], v[70:71]
	ds_read2_b64 v[122:125], v116 offset0:24 offset1:25
	v_fma_f64 v[68:69], -v[98:99], v[126:127], v[68:69]
	v_fma_f64 v[66:67], -v[98:99], v[128:129], v[66:67]
	v_fma_f64 v[64:65], -v[98:99], v[130:131], v[64:65]
	ds_read2_b64 v[126:129], v116 offset0:26 offset1:27
	v_fma_f64 v[62:63], -v[98:99], v[132:133], v[62:63]
	ds_read2_b64 v[130:133], v116 offset0:28 offset1:29
	s_waitcnt lgkmcnt(0)
	v_fma_f64 v[60:61], -v[98:99], v[122:123], v[60:61]
	v_fma_f64 v[58:59], -v[98:99], v[124:125], v[58:59]
	v_fma_f64 v[56:57], -v[98:99], v[126:127], v[56:57]
	ds_read2_b64 v[122:125], v116 offset0:30 offset1:31
	v_fma_f64 v[54:55], -v[98:99], v[128:129], v[54:55]
	ds_read2_b64 v[126:129], v116 offset0:32 offset1:33
	v_fma_f64 v[52:53], -v[98:99], v[130:131], v[52:53]
	v_fma_f64 v[50:51], -v[98:99], v[132:133], v[50:51]
	ds_read2_b64 v[130:133], v116 offset0:34 offset1:35
	;; [unrolled: 20-line block ×3, first 2 shown]
	s_waitcnt lgkmcnt(0)
	v_fma_f64 v[24:25], -v[98:99], v[122:123], v[24:25]
	v_fma_f64 v[22:23], -v[98:99], v[124:125], v[22:23]
	ds_read2_b64 v[122:125], v116 offset0:48 offset1:49
	v_fma_f64 v[20:21], -v[98:99], v[126:127], v[20:21]
	v_fma_f64 v[18:19], -v[98:99], v[128:129], v[18:19]
	;; [unrolled: 1-line block ×3, first 2 shown]
	ds_read2_b64 v[126:129], v116 offset0:50 offset1:51
	v_fma_f64 v[14:15], -v[98:99], v[132:133], v[14:15]
	ds_read2_b64 v[130:133], v116 offset0:52 offset1:53
	s_waitcnt lgkmcnt(0)
	v_fma_f64 v[12:13], -v[98:99], v[122:123], v[12:13]
	v_fma_f64 v[10:11], -v[98:99], v[124:125], v[10:11]
	;; [unrolled: 1-line block ×6, first 2 shown]
.LBB106_97:
	s_or_b64 exec, exec, s[0:1]
	v_lshl_add_u32 v112, v117, 3, v116
	s_barrier
	ds_write_b64 v112, v[96:97]
	s_waitcnt lgkmcnt(0)
	s_barrier
	ds_read_b64 v[112:113], v116 offset:48
	s_cmp_lt_i32 s18, 8
	v_mov_b32_e32 v114, 6
	s_cbranch_scc1 .LBB106_100
; %bb.98:
	v_add3_u32 v122, v121, 0, 56
	s_mov_b32 s0, 7
	v_mov_b32_e32 v114, 6
.LBB106_99:                             ; =>This Inner Loop Header: Depth=1
	ds_read_b64 v[124:125], v122
	v_mov_b32_e32 v123, s0
	s_add_i32 s0, s0, 1
	v_add_u32_e32 v122, 8, v122
	s_cmp_lg_u32 s18, s0
	s_waitcnt lgkmcnt(0)
	v_cmp_lt_f64_e64 vcc, |v[112:113]|, |v[124:125]|
	v_cndmask_b32_e32 v113, v113, v125, vcc
	v_cndmask_b32_e32 v112, v112, v124, vcc
	;; [unrolled: 1-line block ×3, first 2 shown]
	s_cbranch_scc1 .LBB106_99
.LBB106_100:
	s_waitcnt lgkmcnt(0)
	v_cmp_eq_f64_e32 vcc, 0, v[112:113]
	s_and_saveexec_b64 s[0:1], vcc
	s_xor_b64 s[0:1], exec, s[0:1]
; %bb.101:
	v_cmp_ne_u32_e32 vcc, 0, v120
	v_cndmask_b32_e32 v120, 7, v120, vcc
; %bb.102:
	s_andn2_saveexec_b64 s[0:1], s[0:1]
; %bb.103:
	v_div_scale_f64 v[122:123], s[2:3], v[112:113], v[112:113], 1.0
	v_rcp_f64_e32 v[124:125], v[122:123]
	v_div_scale_f64 v[126:127], vcc, 1.0, v[112:113], 1.0
	v_fma_f64 v[128:129], -v[122:123], v[124:125], 1.0
	v_fmac_f64_e32 v[124:125], v[124:125], v[128:129]
	v_fma_f64 v[128:129], -v[122:123], v[124:125], 1.0
	v_fmac_f64_e32 v[124:125], v[124:125], v[128:129]
	v_mul_f64 v[128:129], v[126:127], v[124:125]
	v_fma_f64 v[122:123], -v[122:123], v[128:129], v[126:127]
	v_div_fmas_f64 v[122:123], v[122:123], v[124:125], v[128:129]
	v_div_fixup_f64 v[112:113], v[122:123], v[112:113], 1.0
; %bb.104:
	s_or_b64 exec, exec, s[0:1]
	v_cmp_ne_u32_e32 vcc, v117, v114
	s_and_saveexec_b64 s[0:1], vcc
	s_xor_b64 s[0:1], exec, s[0:1]
	s_cbranch_execz .LBB106_110
; %bb.105:
	v_cmp_eq_u32_e32 vcc, 6, v117
	s_and_saveexec_b64 s[2:3], vcc
	s_cbranch_execz .LBB106_109
; %bb.106:
	v_cmp_ne_u32_e32 vcc, 6, v114
	s_xor_b64 s[14:15], s[6:7], -1
	s_and_b64 s[16:17], s[14:15], vcc
	s_and_saveexec_b64 s[14:15], s[16:17]
	s_cbranch_execz .LBB106_108
; %bb.107:
	v_ashrrev_i32_e32 v115, 31, v114
	v_lshlrev_b64 v[122:123], 2, v[114:115]
	v_add_co_u32_e32 v122, vcc, v4, v122
	v_addc_co_u32_e32 v123, vcc, v5, v123, vcc
	flat_load_dword v115, v[122:123]
	flat_load_dword v117, v[4:5] offset:24
	s_waitcnt vmcnt(0) lgkmcnt(0)
	flat_store_dword v[4:5], v115 offset:24
	flat_store_dword v[122:123], v117
.LBB106_108:
	s_or_b64 exec, exec, s[14:15]
	v_mov_b32_e32 v115, v114
	v_mov_b32_e32 v117, v114
.LBB106_109:
	s_or_b64 exec, exec, s[2:3]
.LBB106_110:
	s_andn2_saveexec_b64 s[0:1], s[0:1]
	s_cbranch_execz .LBB106_112
; %bb.111:
	v_mov_b32_e32 v117, 6
	ds_write2_b64 v116, v[94:95], v[92:93] offset0:7 offset1:8
	ds_write2_b64 v116, v[90:91], v[88:89] offset0:9 offset1:10
	;; [unrolled: 1-line block ×23, first 2 shown]
	ds_write_b64 v116, v[110:111] offset:424
.LBB106_112:
	s_or_b64 exec, exec, s[0:1]
	v_cmp_lt_i32_e32 vcc, 6, v117
	s_waitcnt lgkmcnt(0)
	s_barrier
	s_and_saveexec_b64 s[0:1], vcc
	s_cbranch_execz .LBB106_114
; %bb.113:
	ds_read2_b64 v[122:125], v116 offset0:7 offset1:8
	ds_read2_b64 v[126:129], v116 offset0:9 offset1:10
	v_mul_f64 v[96:97], v[112:113], v[96:97]
	ds_read2_b64 v[130:133], v116 offset0:11 offset1:12
	ds_read_b64 v[112:113], v116 offset:424
	s_waitcnt lgkmcnt(0)
	v_fma_f64 v[94:95], -v[96:97], v[122:123], v[94:95]
	v_fma_f64 v[92:93], -v[96:97], v[124:125], v[92:93]
	ds_read2_b64 v[122:125], v116 offset0:13 offset1:14
	v_fma_f64 v[90:91], -v[96:97], v[126:127], v[90:91]
	v_fma_f64 v[88:89], -v[96:97], v[128:129], v[88:89]
	ds_read2_b64 v[126:129], v116 offset0:15 offset1:16
	v_fma_f64 v[86:87], -v[96:97], v[130:131], v[86:87]
	v_fma_f64 v[84:85], -v[96:97], v[132:133], v[84:85]
	ds_read2_b64 v[130:133], v116 offset0:17 offset1:18
	s_waitcnt lgkmcnt(0)
	v_fma_f64 v[82:83], -v[96:97], v[122:123], v[82:83]
	v_fma_f64 v[80:81], -v[96:97], v[124:125], v[80:81]
	;; [unrolled: 1-line block ×3, first 2 shown]
	ds_read2_b64 v[122:125], v116 offset0:19 offset1:20
	v_fma_f64 v[76:77], -v[96:97], v[128:129], v[76:77]
	ds_read2_b64 v[126:129], v116 offset0:21 offset1:22
	v_fma_f64 v[74:75], -v[96:97], v[130:131], v[74:75]
	v_fma_f64 v[72:73], -v[96:97], v[132:133], v[72:73]
	s_waitcnt lgkmcnt(0)
	v_fma_f64 v[70:71], -v[96:97], v[122:123], v[70:71]
	ds_read2_b64 v[130:133], v116 offset0:23 offset1:24
	v_fma_f64 v[68:69], -v[96:97], v[124:125], v[68:69]
	ds_read2_b64 v[122:125], v116 offset0:25 offset1:26
	v_fma_f64 v[66:67], -v[96:97], v[126:127], v[66:67]
	v_fma_f64 v[64:65], -v[96:97], v[128:129], v[64:65]
	ds_read2_b64 v[126:129], v116 offset0:27 offset1:28
	s_waitcnt lgkmcnt(0)
	v_fma_f64 v[62:63], -v[96:97], v[130:131], v[62:63]
	v_fma_f64 v[60:61], -v[96:97], v[132:133], v[60:61]
	ds_read2_b64 v[130:133], v116 offset0:29 offset1:30
	v_fma_f64 v[58:59], -v[96:97], v[122:123], v[58:59]
	v_fma_f64 v[56:57], -v[96:97], v[124:125], v[56:57]
	;; [unrolled: 1-line block ×3, first 2 shown]
	ds_read2_b64 v[122:125], v116 offset0:31 offset1:32
	v_fma_f64 v[52:53], -v[96:97], v[128:129], v[52:53]
	ds_read2_b64 v[126:129], v116 offset0:33 offset1:34
	s_waitcnt lgkmcnt(0)
	v_fma_f64 v[50:51], -v[96:97], v[130:131], v[50:51]
	v_fma_f64 v[48:49], -v[96:97], v[132:133], v[48:49]
	;; [unrolled: 1-line block ×3, first 2 shown]
	ds_read2_b64 v[130:133], v116 offset0:35 offset1:36
	v_fma_f64 v[44:45], -v[96:97], v[124:125], v[44:45]
	ds_read2_b64 v[122:125], v116 offset0:37 offset1:38
	v_fma_f64 v[42:43], -v[96:97], v[126:127], v[42:43]
	v_fma_f64 v[40:41], -v[96:97], v[128:129], v[40:41]
	ds_read2_b64 v[126:129], v116 offset0:39 offset1:40
	s_waitcnt lgkmcnt(0)
	v_fma_f64 v[38:39], -v[96:97], v[130:131], v[38:39]
	v_fma_f64 v[36:37], -v[96:97], v[132:133], v[36:37]
	ds_read2_b64 v[130:133], v116 offset0:41 offset1:42
	v_fma_f64 v[34:35], -v[96:97], v[122:123], v[34:35]
	v_fma_f64 v[32:33], -v[96:97], v[124:125], v[32:33]
	;; [unrolled: 1-line block ×3, first 2 shown]
	ds_read2_b64 v[122:125], v116 offset0:43 offset1:44
	v_fma_f64 v[28:29], -v[96:97], v[128:129], v[28:29]
	ds_read2_b64 v[126:129], v116 offset0:45 offset1:46
	s_waitcnt lgkmcnt(0)
	v_fma_f64 v[26:27], -v[96:97], v[130:131], v[26:27]
	v_fma_f64 v[24:25], -v[96:97], v[132:133], v[24:25]
	v_fma_f64 v[22:23], -v[96:97], v[122:123], v[22:23]
	ds_read2_b64 v[130:133], v116 offset0:47 offset1:48
	v_fma_f64 v[20:21], -v[96:97], v[124:125], v[20:21]
	ds_read2_b64 v[122:125], v116 offset0:49 offset1:50
	v_fma_f64 v[18:19], -v[96:97], v[126:127], v[18:19]
	v_fma_f64 v[16:17], -v[96:97], v[128:129], v[16:17]
	ds_read2_b64 v[126:129], v116 offset0:51 offset1:52
	s_waitcnt lgkmcnt(0)
	v_fma_f64 v[14:15], -v[96:97], v[130:131], v[14:15]
	v_fma_f64 v[12:13], -v[96:97], v[132:133], v[12:13]
	v_fma_f64 v[10:11], -v[96:97], v[122:123], v[10:11]
	v_fma_f64 v[8:9], -v[96:97], v[124:125], v[8:9]
	v_fma_f64 v[6:7], -v[96:97], v[126:127], v[6:7]
	v_fma_f64 v[0:1], -v[96:97], v[128:129], v[0:1]
	v_fma_f64 v[110:111], -v[96:97], v[112:113], v[110:111]
.LBB106_114:
	s_or_b64 exec, exec, s[0:1]
	v_lshl_add_u32 v112, v117, 3, v116
	s_barrier
	ds_write_b64 v112, v[94:95]
	s_waitcnt lgkmcnt(0)
	s_barrier
	ds_read_b64 v[112:113], v116 offset:56
	s_cmp_lt_i32 s18, 9
	v_mov_b32_e32 v114, 7
	s_cbranch_scc1 .LBB106_117
; %bb.115:
	v_add3_u32 v121, v121, 0, 64
	s_mov_b32 s0, 8
	v_mov_b32_e32 v114, 7
.LBB106_116:                            ; =>This Inner Loop Header: Depth=1
	ds_read_b64 v[122:123], v121
	v_mov_b32_e32 v124, s0
	s_add_i32 s0, s0, 1
	v_add_u32_e32 v121, 8, v121
	s_cmp_lg_u32 s18, s0
	s_waitcnt lgkmcnt(0)
	v_cmp_lt_f64_e64 vcc, |v[112:113]|, |v[122:123]|
	v_cndmask_b32_e32 v113, v113, v123, vcc
	v_cndmask_b32_e32 v112, v112, v122, vcc
	;; [unrolled: 1-line block ×3, first 2 shown]
	s_cbranch_scc1 .LBB106_116
.LBB106_117:
	s_waitcnt lgkmcnt(0)
	v_cmp_eq_f64_e32 vcc, 0, v[112:113]
	s_and_saveexec_b64 s[0:1], vcc
	s_xor_b64 s[0:1], exec, s[0:1]
; %bb.118:
	v_cmp_ne_u32_e32 vcc, 0, v120
	v_cndmask_b32_e32 v120, 8, v120, vcc
; %bb.119:
	s_andn2_saveexec_b64 s[0:1], s[0:1]
; %bb.120:
	v_div_scale_f64 v[122:123], s[2:3], v[112:113], v[112:113], 1.0
	v_rcp_f64_e32 v[124:125], v[122:123]
	v_div_scale_f64 v[126:127], vcc, 1.0, v[112:113], 1.0
	v_fma_f64 v[128:129], -v[122:123], v[124:125], 1.0
	v_fmac_f64_e32 v[124:125], v[124:125], v[128:129]
	v_fma_f64 v[128:129], -v[122:123], v[124:125], 1.0
	v_fmac_f64_e32 v[124:125], v[124:125], v[128:129]
	v_mul_f64 v[128:129], v[126:127], v[124:125]
	v_fma_f64 v[122:123], -v[122:123], v[128:129], v[126:127]
	v_div_fmas_f64 v[122:123], v[122:123], v[124:125], v[128:129]
	v_div_fixup_f64 v[112:113], v[122:123], v[112:113], 1.0
; %bb.121:
	s_or_b64 exec, exec, s[0:1]
	v_cmp_ne_u32_e32 vcc, v117, v114
	s_and_saveexec_b64 s[0:1], vcc
	s_xor_b64 s[0:1], exec, s[0:1]
	s_cbranch_execz .LBB106_127
; %bb.122:
	v_cmp_eq_u32_e32 vcc, 7, v117
	s_and_saveexec_b64 s[2:3], vcc
	s_cbranch_execz .LBB106_126
; %bb.123:
	v_cmp_ne_u32_e32 vcc, 7, v114
	s_xor_b64 s[14:15], s[6:7], -1
	s_and_b64 s[16:17], s[14:15], vcc
	s_and_saveexec_b64 s[14:15], s[16:17]
	s_cbranch_execz .LBB106_125
; %bb.124:
	v_ashrrev_i32_e32 v115, 31, v114
	v_lshlrev_b64 v[122:123], 2, v[114:115]
	v_add_co_u32_e32 v122, vcc, v4, v122
	v_addc_co_u32_e32 v123, vcc, v5, v123, vcc
	flat_load_dword v115, v[122:123]
	flat_load_dword v117, v[4:5] offset:28
	s_waitcnt vmcnt(0) lgkmcnt(0)
	flat_store_dword v[4:5], v115 offset:28
	flat_store_dword v[122:123], v117
.LBB106_125:
	s_or_b64 exec, exec, s[14:15]
	v_mov_b32_e32 v115, v114
	v_mov_b32_e32 v117, v114
.LBB106_126:
	s_or_b64 exec, exec, s[2:3]
.LBB106_127:
	s_andn2_saveexec_b64 s[0:1], s[0:1]
	s_cbranch_execz .LBB106_129
; %bb.128:
	v_mov_b32_e32 v122, v92
	v_mov_b32_e32 v123, v93
	v_mov_b32_e32 v124, v90
	v_mov_b32_e32 v125, v91
	ds_write2_b64 v116, v[122:123], v[124:125] offset0:8 offset1:9
	v_mov_b32_e32 v122, v88
	v_mov_b32_e32 v123, v89
	v_mov_b32_e32 v124, v86
	v_mov_b32_e32 v125, v87
	ds_write2_b64 v116, v[122:123], v[124:125] offset0:10 offset1:11
	;; [unrolled: 5-line block ×22, first 2 shown]
	v_mov_b32_e32 v122, v0
	v_mov_b32_e32 v123, v1
	;; [unrolled: 1-line block ×3, first 2 shown]
	ds_write2_b64 v116, v[122:123], v[110:111] offset0:52 offset1:53
.LBB106_129:
	s_or_b64 exec, exec, s[0:1]
	v_cmp_lt_i32_e32 vcc, 7, v117
	s_waitcnt lgkmcnt(0)
	s_barrier
	s_and_saveexec_b64 s[0:1], vcc
	s_cbranch_execz .LBB106_131
; %bb.130:
	ds_read2_b64 v[122:125], v116 offset0:8 offset1:9
	ds_read2_b64 v[126:129], v116 offset0:10 offset1:11
	v_mul_f64 v[94:95], v[112:113], v[94:95]
	ds_read2_b64 v[130:133], v116 offset0:12 offset1:13
	s_waitcnt lgkmcnt(0)
	v_fma_f64 v[92:93], -v[94:95], v[122:123], v[92:93]
	v_fma_f64 v[90:91], -v[94:95], v[124:125], v[90:91]
	ds_read2_b64 v[122:125], v116 offset0:14 offset1:15
	v_fma_f64 v[88:89], -v[94:95], v[126:127], v[88:89]
	v_fma_f64 v[86:87], -v[94:95], v[128:129], v[86:87]
	ds_read2_b64 v[126:129], v116 offset0:16 offset1:17
	;; [unrolled: 3-line block ×3, first 2 shown]
	s_waitcnt lgkmcnt(0)
	v_fma_f64 v[80:81], -v[94:95], v[122:123], v[80:81]
	v_fma_f64 v[78:79], -v[94:95], v[124:125], v[78:79]
	;; [unrolled: 1-line block ×3, first 2 shown]
	ds_read2_b64 v[122:125], v116 offset0:20 offset1:21
	v_fma_f64 v[74:75], -v[94:95], v[128:129], v[74:75]
	ds_read2_b64 v[126:129], v116 offset0:22 offset1:23
	v_fma_f64 v[72:73], -v[94:95], v[130:131], v[72:73]
	v_fma_f64 v[70:71], -v[94:95], v[132:133], v[70:71]
	s_waitcnt lgkmcnt(0)
	v_fma_f64 v[68:69], -v[94:95], v[122:123], v[68:69]
	ds_read2_b64 v[130:133], v116 offset0:24 offset1:25
	v_fma_f64 v[66:67], -v[94:95], v[124:125], v[66:67]
	ds_read2_b64 v[122:125], v116 offset0:26 offset1:27
	v_fma_f64 v[64:65], -v[94:95], v[126:127], v[64:65]
	v_fma_f64 v[62:63], -v[94:95], v[128:129], v[62:63]
	ds_read2_b64 v[126:129], v116 offset0:28 offset1:29
	s_waitcnt lgkmcnt(0)
	v_fma_f64 v[60:61], -v[94:95], v[130:131], v[60:61]
	v_fma_f64 v[58:59], -v[94:95], v[132:133], v[58:59]
	ds_read2_b64 v[130:133], v116 offset0:30 offset1:31
	v_fma_f64 v[56:57], -v[94:95], v[122:123], v[56:57]
	v_fma_f64 v[54:55], -v[94:95], v[124:125], v[54:55]
	;; [unrolled: 1-line block ×3, first 2 shown]
	ds_read2_b64 v[122:125], v116 offset0:32 offset1:33
	v_fma_f64 v[50:51], -v[94:95], v[128:129], v[50:51]
	ds_read2_b64 v[126:129], v116 offset0:34 offset1:35
	s_waitcnt lgkmcnt(0)
	v_fma_f64 v[48:49], -v[94:95], v[130:131], v[48:49]
	v_fma_f64 v[46:47], -v[94:95], v[132:133], v[46:47]
	;; [unrolled: 1-line block ×3, first 2 shown]
	ds_read2_b64 v[130:133], v116 offset0:36 offset1:37
	v_fma_f64 v[42:43], -v[94:95], v[124:125], v[42:43]
	ds_read2_b64 v[122:125], v116 offset0:38 offset1:39
	v_fma_f64 v[40:41], -v[94:95], v[126:127], v[40:41]
	v_fma_f64 v[38:39], -v[94:95], v[128:129], v[38:39]
	ds_read2_b64 v[126:129], v116 offset0:40 offset1:41
	s_waitcnt lgkmcnt(0)
	v_fma_f64 v[36:37], -v[94:95], v[130:131], v[36:37]
	v_fma_f64 v[34:35], -v[94:95], v[132:133], v[34:35]
	ds_read2_b64 v[130:133], v116 offset0:42 offset1:43
	v_fma_f64 v[32:33], -v[94:95], v[122:123], v[32:33]
	v_fma_f64 v[30:31], -v[94:95], v[124:125], v[30:31]
	;; [unrolled: 1-line block ×3, first 2 shown]
	ds_read2_b64 v[122:125], v116 offset0:44 offset1:45
	v_fma_f64 v[26:27], -v[94:95], v[128:129], v[26:27]
	ds_read2_b64 v[126:129], v116 offset0:46 offset1:47
	s_waitcnt lgkmcnt(0)
	v_fma_f64 v[24:25], -v[94:95], v[130:131], v[24:25]
	v_fma_f64 v[22:23], -v[94:95], v[132:133], v[22:23]
	;; [unrolled: 1-line block ×4, first 2 shown]
	ds_read2_b64 v[122:125], v116 offset0:48 offset1:49
	ds_read2_b64 v[130:133], v116 offset0:50 offset1:51
	v_fma_f64 v[16:17], -v[94:95], v[126:127], v[16:17]
	v_fma_f64 v[14:15], -v[94:95], v[128:129], v[14:15]
	ds_read2_b64 v[126:129], v116 offset0:52 offset1:53
	s_waitcnt lgkmcnt(0)
	v_fma_f64 v[12:13], -v[94:95], v[122:123], v[12:13]
	v_fma_f64 v[10:11], -v[94:95], v[124:125], v[10:11]
	;; [unrolled: 1-line block ×6, first 2 shown]
.LBB106_131:
	s_or_b64 exec, exec, s[0:1]
	v_lshl_add_u32 v112, v117, 3, v116
	s_barrier
	ds_write_b64 v112, v[92:93]
	s_waitcnt lgkmcnt(0)
	s_barrier
	ds_read_b64 v[112:113], v116 offset:64
	s_cmp_lt_i32 s18, 10
	v_mov_b32_e32 v114, 8
	s_cbranch_scc1 .LBB106_134
; %bb.132:
	v_add_u32_e32 v121, 0x48, v116
	s_mov_b32 s0, 9
	v_mov_b32_e32 v114, 8
.LBB106_133:                            ; =>This Inner Loop Header: Depth=1
	ds_read_b64 v[122:123], v121
	v_mov_b32_e32 v124, s0
	s_add_i32 s0, s0, 1
	v_add_u32_e32 v121, 8, v121
	s_cmp_lg_u32 s18, s0
	s_waitcnt lgkmcnt(0)
	v_cmp_lt_f64_e64 vcc, |v[112:113]|, |v[122:123]|
	v_cndmask_b32_e32 v113, v113, v123, vcc
	v_cndmask_b32_e32 v112, v112, v122, vcc
	v_cndmask_b32_e32 v114, v114, v124, vcc
	s_cbranch_scc1 .LBB106_133
.LBB106_134:
	s_waitcnt lgkmcnt(0)
	v_cmp_eq_f64_e32 vcc, 0, v[112:113]
	s_and_saveexec_b64 s[0:1], vcc
	s_xor_b64 s[0:1], exec, s[0:1]
; %bb.135:
	v_cmp_ne_u32_e32 vcc, 0, v120
	v_cndmask_b32_e32 v120, 9, v120, vcc
; %bb.136:
	s_andn2_saveexec_b64 s[0:1], s[0:1]
; %bb.137:
	v_div_scale_f64 v[122:123], s[2:3], v[112:113], v[112:113], 1.0
	v_rcp_f64_e32 v[124:125], v[122:123]
	v_div_scale_f64 v[126:127], vcc, 1.0, v[112:113], 1.0
	v_fma_f64 v[128:129], -v[122:123], v[124:125], 1.0
	v_fmac_f64_e32 v[124:125], v[124:125], v[128:129]
	v_fma_f64 v[128:129], -v[122:123], v[124:125], 1.0
	v_fmac_f64_e32 v[124:125], v[124:125], v[128:129]
	v_mul_f64 v[128:129], v[126:127], v[124:125]
	v_fma_f64 v[122:123], -v[122:123], v[128:129], v[126:127]
	v_div_fmas_f64 v[122:123], v[122:123], v[124:125], v[128:129]
	v_div_fixup_f64 v[112:113], v[122:123], v[112:113], 1.0
; %bb.138:
	s_or_b64 exec, exec, s[0:1]
	v_cmp_ne_u32_e32 vcc, v117, v114
	s_and_saveexec_b64 s[0:1], vcc
	s_xor_b64 s[0:1], exec, s[0:1]
	s_cbranch_execz .LBB106_144
; %bb.139:
	v_cmp_eq_u32_e32 vcc, 8, v117
	s_and_saveexec_b64 s[2:3], vcc
	s_cbranch_execz .LBB106_143
; %bb.140:
	v_cmp_ne_u32_e32 vcc, 8, v114
	s_xor_b64 s[14:15], s[6:7], -1
	s_and_b64 s[16:17], s[14:15], vcc
	s_and_saveexec_b64 s[14:15], s[16:17]
	s_cbranch_execz .LBB106_142
; %bb.141:
	v_ashrrev_i32_e32 v115, 31, v114
	v_lshlrev_b64 v[122:123], 2, v[114:115]
	v_add_co_u32_e32 v122, vcc, v4, v122
	v_addc_co_u32_e32 v123, vcc, v5, v123, vcc
	flat_load_dword v115, v[122:123]
	flat_load_dword v117, v[4:5] offset:32
	s_waitcnt vmcnt(0) lgkmcnt(0)
	flat_store_dword v[4:5], v115 offset:32
	flat_store_dword v[122:123], v117
.LBB106_142:
	s_or_b64 exec, exec, s[14:15]
	v_mov_b32_e32 v115, v114
	v_mov_b32_e32 v117, v114
.LBB106_143:
	s_or_b64 exec, exec, s[2:3]
.LBB106_144:
	s_andn2_saveexec_b64 s[0:1], s[0:1]
	s_cbranch_execz .LBB106_146
; %bb.145:
	v_mov_b32_e32 v117, 8
	ds_write2_b64 v116, v[90:91], v[88:89] offset0:9 offset1:10
	ds_write2_b64 v116, v[86:87], v[84:85] offset0:11 offset1:12
	;; [unrolled: 1-line block ×22, first 2 shown]
	ds_write_b64 v116, v[110:111] offset:424
.LBB106_146:
	s_or_b64 exec, exec, s[0:1]
	v_cmp_lt_i32_e32 vcc, 8, v117
	s_waitcnt lgkmcnt(0)
	s_barrier
	s_and_saveexec_b64 s[0:1], vcc
	s_cbranch_execz .LBB106_148
; %bb.147:
	ds_read2_b64 v[122:125], v116 offset0:9 offset1:10
	ds_read2_b64 v[126:129], v116 offset0:11 offset1:12
	v_mul_f64 v[92:93], v[112:113], v[92:93]
	ds_read2_b64 v[130:133], v116 offset0:13 offset1:14
	ds_read_b64 v[112:113], v116 offset:424
	s_waitcnt lgkmcnt(0)
	v_fma_f64 v[90:91], -v[92:93], v[122:123], v[90:91]
	v_fma_f64 v[88:89], -v[92:93], v[124:125], v[88:89]
	ds_read2_b64 v[122:125], v116 offset0:15 offset1:16
	v_fma_f64 v[86:87], -v[92:93], v[126:127], v[86:87]
	v_fma_f64 v[84:85], -v[92:93], v[128:129], v[84:85]
	;; [unrolled: 1-line block ×3, first 2 shown]
	ds_read2_b64 v[126:129], v116 offset0:17 offset1:18
	v_fma_f64 v[80:81], -v[92:93], v[132:133], v[80:81]
	ds_read2_b64 v[130:133], v116 offset0:19 offset1:20
	s_waitcnt lgkmcnt(0)
	v_fma_f64 v[78:79], -v[92:93], v[122:123], v[78:79]
	v_fma_f64 v[76:77], -v[92:93], v[124:125], v[76:77]
	ds_read2_b64 v[122:125], v116 offset0:21 offset1:22
	v_fma_f64 v[74:75], -v[92:93], v[126:127], v[74:75]
	v_fma_f64 v[72:73], -v[92:93], v[128:129], v[72:73]
	ds_read2_b64 v[126:129], v116 offset0:23 offset1:24
	v_fma_f64 v[70:71], -v[92:93], v[130:131], v[70:71]
	v_fma_f64 v[68:69], -v[92:93], v[132:133], v[68:69]
	s_waitcnt lgkmcnt(0)
	v_fma_f64 v[66:67], -v[92:93], v[122:123], v[66:67]
	ds_read2_b64 v[130:133], v116 offset0:25 offset1:26
	v_fma_f64 v[64:65], -v[92:93], v[124:125], v[64:65]
	ds_read2_b64 v[122:125], v116 offset0:27 offset1:28
	v_fma_f64 v[62:63], -v[92:93], v[126:127], v[62:63]
	v_fma_f64 v[60:61], -v[92:93], v[128:129], v[60:61]
	s_waitcnt lgkmcnt(0)
	v_fma_f64 v[58:59], -v[92:93], v[130:131], v[58:59]
	ds_read2_b64 v[126:129], v116 offset0:29 offset1:30
	v_fma_f64 v[56:57], -v[92:93], v[132:133], v[56:57]
	ds_read2_b64 v[130:133], v116 offset0:31 offset1:32
	v_fma_f64 v[54:55], -v[92:93], v[122:123], v[54:55]
	v_fma_f64 v[52:53], -v[92:93], v[124:125], v[52:53]
	ds_read2_b64 v[122:125], v116 offset0:33 offset1:34
	s_waitcnt lgkmcnt(0)
	v_fma_f64 v[50:51], -v[92:93], v[126:127], v[50:51]
	v_fma_f64 v[48:49], -v[92:93], v[128:129], v[48:49]
	ds_read2_b64 v[126:129], v116 offset0:35 offset1:36
	v_fma_f64 v[46:47], -v[92:93], v[130:131], v[46:47]
	v_fma_f64 v[44:45], -v[92:93], v[132:133], v[44:45]
	;; [unrolled: 1-line block ×3, first 2 shown]
	ds_read2_b64 v[130:133], v116 offset0:37 offset1:38
	v_fma_f64 v[40:41], -v[92:93], v[124:125], v[40:41]
	ds_read2_b64 v[122:125], v116 offset0:39 offset1:40
	s_waitcnt lgkmcnt(0)
	v_fma_f64 v[38:39], -v[92:93], v[126:127], v[38:39]
	v_fma_f64 v[36:37], -v[92:93], v[128:129], v[36:37]
	v_fma_f64 v[34:35], -v[92:93], v[130:131], v[34:35]
	ds_read2_b64 v[126:129], v116 offset0:41 offset1:42
	v_fma_f64 v[32:33], -v[92:93], v[132:133], v[32:33]
	ds_read2_b64 v[130:133], v116 offset0:43 offset1:44
	v_fma_f64 v[30:31], -v[92:93], v[122:123], v[30:31]
	v_fma_f64 v[28:29], -v[92:93], v[124:125], v[28:29]
	ds_read2_b64 v[122:125], v116 offset0:45 offset1:46
	s_waitcnt lgkmcnt(0)
	v_fma_f64 v[26:27], -v[92:93], v[126:127], v[26:27]
	v_fma_f64 v[24:25], -v[92:93], v[128:129], v[24:25]
	ds_read2_b64 v[126:129], v116 offset0:47 offset1:48
	v_fma_f64 v[22:23], -v[92:93], v[130:131], v[22:23]
	v_fma_f64 v[20:21], -v[92:93], v[132:133], v[20:21]
	;; [unrolled: 1-line block ×4, first 2 shown]
	ds_read2_b64 v[122:125], v116 offset0:49 offset1:50
	ds_read2_b64 v[130:133], v116 offset0:51 offset1:52
	s_waitcnt lgkmcnt(0)
	v_fma_f64 v[14:15], -v[92:93], v[126:127], v[14:15]
	v_fma_f64 v[12:13], -v[92:93], v[128:129], v[12:13]
	;; [unrolled: 1-line block ×7, first 2 shown]
.LBB106_148:
	s_or_b64 exec, exec, s[0:1]
	v_lshl_add_u32 v112, v117, 3, v116
	s_barrier
	ds_write_b64 v112, v[90:91]
	s_waitcnt lgkmcnt(0)
	s_barrier
	ds_read_b64 v[112:113], v116 offset:72
	s_cmp_lt_i32 s18, 11
	v_mov_b32_e32 v114, 9
	s_cbranch_scc1 .LBB106_151
; %bb.149:
	v_add_u32_e32 v121, 0x50, v116
	s_mov_b32 s0, 10
	v_mov_b32_e32 v114, 9
.LBB106_150:                            ; =>This Inner Loop Header: Depth=1
	ds_read_b64 v[122:123], v121
	v_mov_b32_e32 v124, s0
	s_add_i32 s0, s0, 1
	v_add_u32_e32 v121, 8, v121
	s_cmp_lg_u32 s18, s0
	s_waitcnt lgkmcnt(0)
	v_cmp_lt_f64_e64 vcc, |v[112:113]|, |v[122:123]|
	v_cndmask_b32_e32 v113, v113, v123, vcc
	v_cndmask_b32_e32 v112, v112, v122, vcc
	;; [unrolled: 1-line block ×3, first 2 shown]
	s_cbranch_scc1 .LBB106_150
.LBB106_151:
	s_waitcnt lgkmcnt(0)
	v_cmp_eq_f64_e32 vcc, 0, v[112:113]
	s_and_saveexec_b64 s[0:1], vcc
	s_xor_b64 s[0:1], exec, s[0:1]
; %bb.152:
	v_cmp_ne_u32_e32 vcc, 0, v120
	v_cndmask_b32_e32 v120, 10, v120, vcc
; %bb.153:
	s_andn2_saveexec_b64 s[0:1], s[0:1]
; %bb.154:
	v_div_scale_f64 v[122:123], s[2:3], v[112:113], v[112:113], 1.0
	v_rcp_f64_e32 v[124:125], v[122:123]
	v_div_scale_f64 v[126:127], vcc, 1.0, v[112:113], 1.0
	v_fma_f64 v[128:129], -v[122:123], v[124:125], 1.0
	v_fmac_f64_e32 v[124:125], v[124:125], v[128:129]
	v_fma_f64 v[128:129], -v[122:123], v[124:125], 1.0
	v_fmac_f64_e32 v[124:125], v[124:125], v[128:129]
	v_mul_f64 v[128:129], v[126:127], v[124:125]
	v_fma_f64 v[122:123], -v[122:123], v[128:129], v[126:127]
	v_div_fmas_f64 v[122:123], v[122:123], v[124:125], v[128:129]
	v_div_fixup_f64 v[112:113], v[122:123], v[112:113], 1.0
; %bb.155:
	s_or_b64 exec, exec, s[0:1]
	v_cmp_ne_u32_e32 vcc, v117, v114
	s_and_saveexec_b64 s[0:1], vcc
	s_xor_b64 s[0:1], exec, s[0:1]
	s_cbranch_execz .LBB106_161
; %bb.156:
	v_cmp_eq_u32_e32 vcc, 9, v117
	s_and_saveexec_b64 s[2:3], vcc
	s_cbranch_execz .LBB106_160
; %bb.157:
	v_cmp_ne_u32_e32 vcc, 9, v114
	s_xor_b64 s[14:15], s[6:7], -1
	s_and_b64 s[16:17], s[14:15], vcc
	s_and_saveexec_b64 s[14:15], s[16:17]
	s_cbranch_execz .LBB106_159
; %bb.158:
	v_ashrrev_i32_e32 v115, 31, v114
	v_lshlrev_b64 v[122:123], 2, v[114:115]
	v_add_co_u32_e32 v122, vcc, v4, v122
	v_addc_co_u32_e32 v123, vcc, v5, v123, vcc
	flat_load_dword v115, v[122:123]
	flat_load_dword v117, v[4:5] offset:36
	s_waitcnt vmcnt(0) lgkmcnt(0)
	flat_store_dword v[4:5], v115 offset:36
	flat_store_dword v[122:123], v117
.LBB106_159:
	s_or_b64 exec, exec, s[14:15]
	v_mov_b32_e32 v115, v114
	v_mov_b32_e32 v117, v114
.LBB106_160:
	s_or_b64 exec, exec, s[2:3]
.LBB106_161:
	s_andn2_saveexec_b64 s[0:1], s[0:1]
	s_cbranch_execz .LBB106_163
; %bb.162:
	v_mov_b32_e32 v122, v88
	v_mov_b32_e32 v123, v89
	v_mov_b32_e32 v124, v86
	v_mov_b32_e32 v125, v87
	ds_write2_b64 v116, v[122:123], v[124:125] offset0:10 offset1:11
	v_mov_b32_e32 v122, v84
	v_mov_b32_e32 v123, v85
	v_mov_b32_e32 v124, v82
	v_mov_b32_e32 v125, v83
	ds_write2_b64 v116, v[122:123], v[124:125] offset0:12 offset1:13
	;; [unrolled: 5-line block ×21, first 2 shown]
	v_mov_b32_e32 v122, v0
	v_mov_b32_e32 v123, v1
	;; [unrolled: 1-line block ×3, first 2 shown]
	ds_write2_b64 v116, v[122:123], v[110:111] offset0:52 offset1:53
.LBB106_163:
	s_or_b64 exec, exec, s[0:1]
	v_cmp_lt_i32_e32 vcc, 9, v117
	s_waitcnt lgkmcnt(0)
	s_barrier
	s_and_saveexec_b64 s[0:1], vcc
	s_cbranch_execz .LBB106_165
; %bb.164:
	ds_read2_b64 v[122:125], v116 offset0:10 offset1:11
	ds_read2_b64 v[126:129], v116 offset0:12 offset1:13
	v_mul_f64 v[90:91], v[112:113], v[90:91]
	ds_read2_b64 v[130:133], v116 offset0:14 offset1:15
	s_waitcnt lgkmcnt(0)
	v_fma_f64 v[88:89], -v[90:91], v[122:123], v[88:89]
	v_fma_f64 v[86:87], -v[90:91], v[124:125], v[86:87]
	ds_read2_b64 v[122:125], v116 offset0:16 offset1:17
	v_fma_f64 v[84:85], -v[90:91], v[126:127], v[84:85]
	v_fma_f64 v[82:83], -v[90:91], v[128:129], v[82:83]
	;; [unrolled: 1-line block ×3, first 2 shown]
	ds_read2_b64 v[126:129], v116 offset0:18 offset1:19
	v_fma_f64 v[78:79], -v[90:91], v[132:133], v[78:79]
	ds_read2_b64 v[130:133], v116 offset0:20 offset1:21
	s_waitcnt lgkmcnt(0)
	v_fma_f64 v[76:77], -v[90:91], v[122:123], v[76:77]
	v_fma_f64 v[74:75], -v[90:91], v[124:125], v[74:75]
	ds_read2_b64 v[122:125], v116 offset0:22 offset1:23
	v_fma_f64 v[72:73], -v[90:91], v[126:127], v[72:73]
	v_fma_f64 v[70:71], -v[90:91], v[128:129], v[70:71]
	ds_read2_b64 v[126:129], v116 offset0:24 offset1:25
	v_fma_f64 v[68:69], -v[90:91], v[130:131], v[68:69]
	v_fma_f64 v[66:67], -v[90:91], v[132:133], v[66:67]
	s_waitcnt lgkmcnt(0)
	v_fma_f64 v[64:65], -v[90:91], v[122:123], v[64:65]
	ds_read2_b64 v[130:133], v116 offset0:26 offset1:27
	v_fma_f64 v[62:63], -v[90:91], v[124:125], v[62:63]
	ds_read2_b64 v[122:125], v116 offset0:28 offset1:29
	v_fma_f64 v[60:61], -v[90:91], v[126:127], v[60:61]
	v_fma_f64 v[58:59], -v[90:91], v[128:129], v[58:59]
	s_waitcnt lgkmcnt(0)
	v_fma_f64 v[56:57], -v[90:91], v[130:131], v[56:57]
	ds_read2_b64 v[126:129], v116 offset0:30 offset1:31
	v_fma_f64 v[54:55], -v[90:91], v[132:133], v[54:55]
	ds_read2_b64 v[130:133], v116 offset0:32 offset1:33
	v_fma_f64 v[52:53], -v[90:91], v[122:123], v[52:53]
	v_fma_f64 v[50:51], -v[90:91], v[124:125], v[50:51]
	ds_read2_b64 v[122:125], v116 offset0:34 offset1:35
	s_waitcnt lgkmcnt(0)
	v_fma_f64 v[48:49], -v[90:91], v[126:127], v[48:49]
	v_fma_f64 v[46:47], -v[90:91], v[128:129], v[46:47]
	ds_read2_b64 v[126:129], v116 offset0:36 offset1:37
	v_fma_f64 v[44:45], -v[90:91], v[130:131], v[44:45]
	v_fma_f64 v[42:43], -v[90:91], v[132:133], v[42:43]
	;; [unrolled: 1-line block ×3, first 2 shown]
	ds_read2_b64 v[130:133], v116 offset0:38 offset1:39
	v_fma_f64 v[38:39], -v[90:91], v[124:125], v[38:39]
	ds_read2_b64 v[122:125], v116 offset0:40 offset1:41
	s_waitcnt lgkmcnt(0)
	v_fma_f64 v[36:37], -v[90:91], v[126:127], v[36:37]
	v_fma_f64 v[34:35], -v[90:91], v[128:129], v[34:35]
	;; [unrolled: 1-line block ×3, first 2 shown]
	ds_read2_b64 v[126:129], v116 offset0:42 offset1:43
	v_fma_f64 v[30:31], -v[90:91], v[132:133], v[30:31]
	ds_read2_b64 v[130:133], v116 offset0:44 offset1:45
	v_fma_f64 v[28:29], -v[90:91], v[122:123], v[28:29]
	v_fma_f64 v[26:27], -v[90:91], v[124:125], v[26:27]
	ds_read2_b64 v[122:125], v116 offset0:46 offset1:47
	s_waitcnt lgkmcnt(0)
	v_fma_f64 v[24:25], -v[90:91], v[126:127], v[24:25]
	v_fma_f64 v[22:23], -v[90:91], v[128:129], v[22:23]
	ds_read2_b64 v[126:129], v116 offset0:48 offset1:49
	v_fma_f64 v[20:21], -v[90:91], v[130:131], v[20:21]
	v_fma_f64 v[18:19], -v[90:91], v[132:133], v[18:19]
	;; [unrolled: 1-line block ×3, first 2 shown]
	ds_read2_b64 v[130:133], v116 offset0:50 offset1:51
	v_fma_f64 v[14:15], -v[90:91], v[124:125], v[14:15]
	ds_read2_b64 v[122:125], v116 offset0:52 offset1:53
	s_waitcnt lgkmcnt(0)
	v_fma_f64 v[12:13], -v[90:91], v[126:127], v[12:13]
	v_fma_f64 v[10:11], -v[90:91], v[128:129], v[10:11]
	v_fma_f64 v[8:9], -v[90:91], v[130:131], v[8:9]
	v_fma_f64 v[6:7], -v[90:91], v[132:133], v[6:7]
	v_fma_f64 v[0:1], -v[90:91], v[122:123], v[0:1]
	v_fma_f64 v[110:111], -v[90:91], v[124:125], v[110:111]
.LBB106_165:
	s_or_b64 exec, exec, s[0:1]
	v_lshl_add_u32 v112, v117, 3, v116
	s_barrier
	ds_write_b64 v112, v[88:89]
	s_waitcnt lgkmcnt(0)
	s_barrier
	ds_read_b64 v[112:113], v116 offset:80
	s_cmp_lt_i32 s18, 12
	v_mov_b32_e32 v114, 10
	s_cbranch_scc1 .LBB106_168
; %bb.166:
	v_add_u32_e32 v121, 0x58, v116
	s_mov_b32 s0, 11
	v_mov_b32_e32 v114, 10
.LBB106_167:                            ; =>This Inner Loop Header: Depth=1
	ds_read_b64 v[122:123], v121
	v_mov_b32_e32 v124, s0
	s_add_i32 s0, s0, 1
	v_add_u32_e32 v121, 8, v121
	s_cmp_lg_u32 s18, s0
	s_waitcnt lgkmcnt(0)
	v_cmp_lt_f64_e64 vcc, |v[112:113]|, |v[122:123]|
	v_cndmask_b32_e32 v113, v113, v123, vcc
	v_cndmask_b32_e32 v112, v112, v122, vcc
	;; [unrolled: 1-line block ×3, first 2 shown]
	s_cbranch_scc1 .LBB106_167
.LBB106_168:
	s_waitcnt lgkmcnt(0)
	v_cmp_eq_f64_e32 vcc, 0, v[112:113]
	s_and_saveexec_b64 s[0:1], vcc
	s_xor_b64 s[0:1], exec, s[0:1]
; %bb.169:
	v_cmp_ne_u32_e32 vcc, 0, v120
	v_cndmask_b32_e32 v120, 11, v120, vcc
; %bb.170:
	s_andn2_saveexec_b64 s[0:1], s[0:1]
; %bb.171:
	v_div_scale_f64 v[122:123], s[2:3], v[112:113], v[112:113], 1.0
	v_rcp_f64_e32 v[124:125], v[122:123]
	v_div_scale_f64 v[126:127], vcc, 1.0, v[112:113], 1.0
	v_fma_f64 v[128:129], -v[122:123], v[124:125], 1.0
	v_fmac_f64_e32 v[124:125], v[124:125], v[128:129]
	v_fma_f64 v[128:129], -v[122:123], v[124:125], 1.0
	v_fmac_f64_e32 v[124:125], v[124:125], v[128:129]
	v_mul_f64 v[128:129], v[126:127], v[124:125]
	v_fma_f64 v[122:123], -v[122:123], v[128:129], v[126:127]
	v_div_fmas_f64 v[122:123], v[122:123], v[124:125], v[128:129]
	v_div_fixup_f64 v[112:113], v[122:123], v[112:113], 1.0
; %bb.172:
	s_or_b64 exec, exec, s[0:1]
	v_cmp_ne_u32_e32 vcc, v117, v114
	s_and_saveexec_b64 s[0:1], vcc
	s_xor_b64 s[0:1], exec, s[0:1]
	s_cbranch_execz .LBB106_178
; %bb.173:
	v_cmp_eq_u32_e32 vcc, 10, v117
	s_and_saveexec_b64 s[2:3], vcc
	s_cbranch_execz .LBB106_177
; %bb.174:
	v_cmp_ne_u32_e32 vcc, 10, v114
	s_xor_b64 s[14:15], s[6:7], -1
	s_and_b64 s[16:17], s[14:15], vcc
	s_and_saveexec_b64 s[14:15], s[16:17]
	s_cbranch_execz .LBB106_176
; %bb.175:
	v_ashrrev_i32_e32 v115, 31, v114
	v_lshlrev_b64 v[122:123], 2, v[114:115]
	v_add_co_u32_e32 v122, vcc, v4, v122
	v_addc_co_u32_e32 v123, vcc, v5, v123, vcc
	flat_load_dword v115, v[122:123]
	flat_load_dword v117, v[4:5] offset:40
	s_waitcnt vmcnt(0) lgkmcnt(0)
	flat_store_dword v[4:5], v115 offset:40
	flat_store_dword v[122:123], v117
.LBB106_176:
	s_or_b64 exec, exec, s[14:15]
	v_mov_b32_e32 v115, v114
	v_mov_b32_e32 v117, v114
.LBB106_177:
	s_or_b64 exec, exec, s[2:3]
.LBB106_178:
	s_andn2_saveexec_b64 s[0:1], s[0:1]
	s_cbranch_execz .LBB106_180
; %bb.179:
	v_mov_b32_e32 v117, 10
	ds_write2_b64 v116, v[86:87], v[84:85] offset0:11 offset1:12
	ds_write2_b64 v116, v[82:83], v[80:81] offset0:13 offset1:14
	;; [unrolled: 1-line block ×21, first 2 shown]
	ds_write_b64 v116, v[110:111] offset:424
.LBB106_180:
	s_or_b64 exec, exec, s[0:1]
	v_cmp_lt_i32_e32 vcc, 10, v117
	s_waitcnt lgkmcnt(0)
	s_barrier
	s_and_saveexec_b64 s[0:1], vcc
	s_cbranch_execz .LBB106_182
; %bb.181:
	ds_read2_b64 v[122:125], v116 offset0:11 offset1:12
	ds_read2_b64 v[126:129], v116 offset0:13 offset1:14
	ds_read2_b64 v[130:133], v116 offset0:15 offset1:16
	v_mul_f64 v[88:89], v[112:113], v[88:89]
	ds_read_b64 v[112:113], v116 offset:424
	s_waitcnt lgkmcnt(0)
	v_fma_f64 v[86:87], -v[88:89], v[122:123], v[86:87]
	v_fma_f64 v[84:85], -v[88:89], v[124:125], v[84:85]
	ds_read2_b64 v[122:125], v116 offset0:17 offset1:18
	v_fma_f64 v[82:83], -v[88:89], v[126:127], v[82:83]
	v_fma_f64 v[80:81], -v[88:89], v[128:129], v[80:81]
	v_fma_f64 v[78:79], -v[88:89], v[130:131], v[78:79]
	ds_read2_b64 v[126:129], v116 offset0:19 offset1:20
	v_fma_f64 v[76:77], -v[88:89], v[132:133], v[76:77]
	ds_read2_b64 v[130:133], v116 offset0:21 offset1:22
	s_waitcnt lgkmcnt(0)
	v_fma_f64 v[74:75], -v[88:89], v[122:123], v[74:75]
	v_fma_f64 v[72:73], -v[88:89], v[124:125], v[72:73]
	v_fma_f64 v[70:71], -v[88:89], v[126:127], v[70:71]
	ds_read2_b64 v[122:125], v116 offset0:23 offset1:24
	v_fma_f64 v[68:69], -v[88:89], v[128:129], v[68:69]
	ds_read2_b64 v[126:129], v116 offset0:25 offset1:26
	v_fma_f64 v[66:67], -v[88:89], v[130:131], v[66:67]
	v_fma_f64 v[64:65], -v[88:89], v[132:133], v[64:65]
	ds_read2_b64 v[130:133], v116 offset0:27 offset1:28
	s_waitcnt lgkmcnt(0)
	v_fma_f64 v[62:63], -v[88:89], v[122:123], v[62:63]
	v_fma_f64 v[60:61], -v[88:89], v[124:125], v[60:61]
	ds_read2_b64 v[122:125], v116 offset0:29 offset1:30
	v_fma_f64 v[58:59], -v[88:89], v[126:127], v[58:59]
	v_fma_f64 v[56:57], -v[88:89], v[128:129], v[56:57]
	v_fma_f64 v[54:55], -v[88:89], v[130:131], v[54:55]
	ds_read2_b64 v[126:129], v116 offset0:31 offset1:32
	v_fma_f64 v[52:53], -v[88:89], v[132:133], v[52:53]
	ds_read2_b64 v[130:133], v116 offset0:33 offset1:34
	s_waitcnt lgkmcnt(0)
	v_fma_f64 v[50:51], -v[88:89], v[122:123], v[50:51]
	v_fma_f64 v[48:49], -v[88:89], v[124:125], v[48:49]
	v_fma_f64 v[46:47], -v[88:89], v[126:127], v[46:47]
	ds_read2_b64 v[122:125], v116 offset0:35 offset1:36
	v_fma_f64 v[44:45], -v[88:89], v[128:129], v[44:45]
	ds_read2_b64 v[126:129], v116 offset0:37 offset1:38
	v_fma_f64 v[42:43], -v[88:89], v[130:131], v[42:43]
	v_fma_f64 v[40:41], -v[88:89], v[132:133], v[40:41]
	ds_read2_b64 v[130:133], v116 offset0:39 offset1:40
	;; [unrolled: 20-line block ×3, first 2 shown]
	s_waitcnt lgkmcnt(0)
	v_fma_f64 v[14:15], -v[88:89], v[122:123], v[14:15]
	v_fma_f64 v[12:13], -v[88:89], v[124:125], v[12:13]
	;; [unrolled: 1-line block ×7, first 2 shown]
.LBB106_182:
	s_or_b64 exec, exec, s[0:1]
	v_lshl_add_u32 v112, v117, 3, v116
	s_barrier
	ds_write_b64 v112, v[86:87]
	s_waitcnt lgkmcnt(0)
	s_barrier
	ds_read_b64 v[112:113], v116 offset:88
	s_cmp_lt_i32 s18, 13
	v_mov_b32_e32 v114, 11
	s_cbranch_scc1 .LBB106_185
; %bb.183:
	v_add_u32_e32 v121, 0x60, v116
	s_mov_b32 s0, 12
	v_mov_b32_e32 v114, 11
.LBB106_184:                            ; =>This Inner Loop Header: Depth=1
	ds_read_b64 v[122:123], v121
	v_mov_b32_e32 v124, s0
	s_add_i32 s0, s0, 1
	v_add_u32_e32 v121, 8, v121
	s_cmp_lg_u32 s18, s0
	s_waitcnt lgkmcnt(0)
	v_cmp_lt_f64_e64 vcc, |v[112:113]|, |v[122:123]|
	v_cndmask_b32_e32 v113, v113, v123, vcc
	v_cndmask_b32_e32 v112, v112, v122, vcc
	;; [unrolled: 1-line block ×3, first 2 shown]
	s_cbranch_scc1 .LBB106_184
.LBB106_185:
	s_waitcnt lgkmcnt(0)
	v_cmp_eq_f64_e32 vcc, 0, v[112:113]
	s_and_saveexec_b64 s[0:1], vcc
	s_xor_b64 s[0:1], exec, s[0:1]
; %bb.186:
	v_cmp_ne_u32_e32 vcc, 0, v120
	v_cndmask_b32_e32 v120, 12, v120, vcc
; %bb.187:
	s_andn2_saveexec_b64 s[0:1], s[0:1]
; %bb.188:
	v_div_scale_f64 v[122:123], s[2:3], v[112:113], v[112:113], 1.0
	v_rcp_f64_e32 v[124:125], v[122:123]
	v_div_scale_f64 v[126:127], vcc, 1.0, v[112:113], 1.0
	v_fma_f64 v[128:129], -v[122:123], v[124:125], 1.0
	v_fmac_f64_e32 v[124:125], v[124:125], v[128:129]
	v_fma_f64 v[128:129], -v[122:123], v[124:125], 1.0
	v_fmac_f64_e32 v[124:125], v[124:125], v[128:129]
	v_mul_f64 v[128:129], v[126:127], v[124:125]
	v_fma_f64 v[122:123], -v[122:123], v[128:129], v[126:127]
	v_div_fmas_f64 v[122:123], v[122:123], v[124:125], v[128:129]
	v_div_fixup_f64 v[112:113], v[122:123], v[112:113], 1.0
; %bb.189:
	s_or_b64 exec, exec, s[0:1]
	v_cmp_ne_u32_e32 vcc, v117, v114
	s_and_saveexec_b64 s[0:1], vcc
	s_xor_b64 s[0:1], exec, s[0:1]
	s_cbranch_execz .LBB106_195
; %bb.190:
	v_cmp_eq_u32_e32 vcc, 11, v117
	s_and_saveexec_b64 s[2:3], vcc
	s_cbranch_execz .LBB106_194
; %bb.191:
	v_cmp_ne_u32_e32 vcc, 11, v114
	s_xor_b64 s[14:15], s[6:7], -1
	s_and_b64 s[16:17], s[14:15], vcc
	s_and_saveexec_b64 s[14:15], s[16:17]
	s_cbranch_execz .LBB106_193
; %bb.192:
	v_ashrrev_i32_e32 v115, 31, v114
	v_lshlrev_b64 v[122:123], 2, v[114:115]
	v_add_co_u32_e32 v122, vcc, v4, v122
	v_addc_co_u32_e32 v123, vcc, v5, v123, vcc
	flat_load_dword v115, v[122:123]
	flat_load_dword v117, v[4:5] offset:44
	s_waitcnt vmcnt(0) lgkmcnt(0)
	flat_store_dword v[4:5], v115 offset:44
	flat_store_dword v[122:123], v117
.LBB106_193:
	s_or_b64 exec, exec, s[14:15]
	v_mov_b32_e32 v115, v114
	v_mov_b32_e32 v117, v114
.LBB106_194:
	s_or_b64 exec, exec, s[2:3]
.LBB106_195:
	s_andn2_saveexec_b64 s[0:1], s[0:1]
	s_cbranch_execz .LBB106_197
; %bb.196:
	v_mov_b32_e32 v122, v84
	v_mov_b32_e32 v123, v85
	v_mov_b32_e32 v124, v82
	v_mov_b32_e32 v125, v83
	ds_write2_b64 v116, v[122:123], v[124:125] offset0:12 offset1:13
	v_mov_b32_e32 v122, v80
	v_mov_b32_e32 v123, v81
	v_mov_b32_e32 v124, v78
	v_mov_b32_e32 v125, v79
	ds_write2_b64 v116, v[122:123], v[124:125] offset0:14 offset1:15
	;; [unrolled: 5-line block ×20, first 2 shown]
	v_mov_b32_e32 v122, v0
	v_mov_b32_e32 v123, v1
	;; [unrolled: 1-line block ×3, first 2 shown]
	ds_write2_b64 v116, v[122:123], v[110:111] offset0:52 offset1:53
.LBB106_197:
	s_or_b64 exec, exec, s[0:1]
	v_cmp_lt_i32_e32 vcc, 11, v117
	s_waitcnt lgkmcnt(0)
	s_barrier
	s_and_saveexec_b64 s[0:1], vcc
	s_cbranch_execz .LBB106_199
; %bb.198:
	ds_read2_b64 v[122:125], v116 offset0:12 offset1:13
	ds_read2_b64 v[126:129], v116 offset0:14 offset1:15
	;; [unrolled: 1-line block ×3, first 2 shown]
	v_mul_f64 v[86:87], v[112:113], v[86:87]
	s_waitcnt lgkmcnt(0)
	v_fma_f64 v[84:85], -v[86:87], v[122:123], v[84:85]
	v_fma_f64 v[82:83], -v[86:87], v[124:125], v[82:83]
	ds_read2_b64 v[122:125], v116 offset0:18 offset1:19
	v_fma_f64 v[80:81], -v[86:87], v[126:127], v[80:81]
	v_fma_f64 v[78:79], -v[86:87], v[128:129], v[78:79]
	;; [unrolled: 1-line block ×3, first 2 shown]
	ds_read2_b64 v[126:129], v116 offset0:20 offset1:21
	v_fma_f64 v[74:75], -v[86:87], v[132:133], v[74:75]
	ds_read2_b64 v[130:133], v116 offset0:22 offset1:23
	s_waitcnt lgkmcnt(0)
	v_fma_f64 v[72:73], -v[86:87], v[122:123], v[72:73]
	v_fma_f64 v[70:71], -v[86:87], v[124:125], v[70:71]
	v_fma_f64 v[68:69], -v[86:87], v[126:127], v[68:69]
	ds_read2_b64 v[122:125], v116 offset0:24 offset1:25
	v_fma_f64 v[66:67], -v[86:87], v[128:129], v[66:67]
	ds_read2_b64 v[126:129], v116 offset0:26 offset1:27
	v_fma_f64 v[64:65], -v[86:87], v[130:131], v[64:65]
	v_fma_f64 v[62:63], -v[86:87], v[132:133], v[62:63]
	ds_read2_b64 v[130:133], v116 offset0:28 offset1:29
	s_waitcnt lgkmcnt(0)
	v_fma_f64 v[60:61], -v[86:87], v[122:123], v[60:61]
	v_fma_f64 v[58:59], -v[86:87], v[124:125], v[58:59]
	ds_read2_b64 v[122:125], v116 offset0:30 offset1:31
	v_fma_f64 v[56:57], -v[86:87], v[126:127], v[56:57]
	v_fma_f64 v[54:55], -v[86:87], v[128:129], v[54:55]
	;; [unrolled: 1-line block ×3, first 2 shown]
	ds_read2_b64 v[126:129], v116 offset0:32 offset1:33
	v_fma_f64 v[50:51], -v[86:87], v[132:133], v[50:51]
	ds_read2_b64 v[130:133], v116 offset0:34 offset1:35
	s_waitcnt lgkmcnt(0)
	v_fma_f64 v[48:49], -v[86:87], v[122:123], v[48:49]
	v_fma_f64 v[46:47], -v[86:87], v[124:125], v[46:47]
	;; [unrolled: 1-line block ×3, first 2 shown]
	ds_read2_b64 v[122:125], v116 offset0:36 offset1:37
	v_fma_f64 v[42:43], -v[86:87], v[128:129], v[42:43]
	ds_read2_b64 v[126:129], v116 offset0:38 offset1:39
	v_fma_f64 v[40:41], -v[86:87], v[130:131], v[40:41]
	v_fma_f64 v[38:39], -v[86:87], v[132:133], v[38:39]
	ds_read2_b64 v[130:133], v116 offset0:40 offset1:41
	s_waitcnt lgkmcnt(0)
	v_fma_f64 v[36:37], -v[86:87], v[122:123], v[36:37]
	v_fma_f64 v[34:35], -v[86:87], v[124:125], v[34:35]
	ds_read2_b64 v[122:125], v116 offset0:42 offset1:43
	v_fma_f64 v[32:33], -v[86:87], v[126:127], v[32:33]
	v_fma_f64 v[30:31], -v[86:87], v[128:129], v[30:31]
	v_fma_f64 v[28:29], -v[86:87], v[130:131], v[28:29]
	ds_read2_b64 v[126:129], v116 offset0:44 offset1:45
	v_fma_f64 v[26:27], -v[86:87], v[132:133], v[26:27]
	ds_read2_b64 v[130:133], v116 offset0:46 offset1:47
	s_waitcnt lgkmcnt(0)
	v_fma_f64 v[24:25], -v[86:87], v[122:123], v[24:25]
	v_fma_f64 v[22:23], -v[86:87], v[124:125], v[22:23]
	;; [unrolled: 1-line block ×4, first 2 shown]
	ds_read2_b64 v[122:125], v116 offset0:48 offset1:49
	ds_read2_b64 v[126:129], v116 offset0:50 offset1:51
	v_fma_f64 v[16:17], -v[86:87], v[130:131], v[16:17]
	v_fma_f64 v[14:15], -v[86:87], v[132:133], v[14:15]
	ds_read2_b64 v[130:133], v116 offset0:52 offset1:53
	s_waitcnt lgkmcnt(0)
	v_fma_f64 v[12:13], -v[86:87], v[122:123], v[12:13]
	v_fma_f64 v[10:11], -v[86:87], v[124:125], v[10:11]
	;; [unrolled: 1-line block ×6, first 2 shown]
.LBB106_199:
	s_or_b64 exec, exec, s[0:1]
	v_lshl_add_u32 v112, v117, 3, v116
	s_barrier
	ds_write_b64 v112, v[84:85]
	s_waitcnt lgkmcnt(0)
	s_barrier
	ds_read_b64 v[112:113], v116 offset:96
	s_cmp_lt_i32 s18, 14
	v_mov_b32_e32 v114, 12
	s_cbranch_scc1 .LBB106_202
; %bb.200:
	v_add_u32_e32 v121, 0x68, v116
	s_mov_b32 s0, 13
	v_mov_b32_e32 v114, 12
.LBB106_201:                            ; =>This Inner Loop Header: Depth=1
	ds_read_b64 v[122:123], v121
	v_mov_b32_e32 v124, s0
	s_add_i32 s0, s0, 1
	v_add_u32_e32 v121, 8, v121
	s_cmp_lg_u32 s18, s0
	s_waitcnt lgkmcnt(0)
	v_cmp_lt_f64_e64 vcc, |v[112:113]|, |v[122:123]|
	v_cndmask_b32_e32 v113, v113, v123, vcc
	v_cndmask_b32_e32 v112, v112, v122, vcc
	;; [unrolled: 1-line block ×3, first 2 shown]
	s_cbranch_scc1 .LBB106_201
.LBB106_202:
	s_waitcnt lgkmcnt(0)
	v_cmp_eq_f64_e32 vcc, 0, v[112:113]
	s_and_saveexec_b64 s[0:1], vcc
	s_xor_b64 s[0:1], exec, s[0:1]
; %bb.203:
	v_cmp_ne_u32_e32 vcc, 0, v120
	v_cndmask_b32_e32 v120, 13, v120, vcc
; %bb.204:
	s_andn2_saveexec_b64 s[0:1], s[0:1]
; %bb.205:
	v_div_scale_f64 v[122:123], s[2:3], v[112:113], v[112:113], 1.0
	v_rcp_f64_e32 v[124:125], v[122:123]
	v_div_scale_f64 v[126:127], vcc, 1.0, v[112:113], 1.0
	v_fma_f64 v[128:129], -v[122:123], v[124:125], 1.0
	v_fmac_f64_e32 v[124:125], v[124:125], v[128:129]
	v_fma_f64 v[128:129], -v[122:123], v[124:125], 1.0
	v_fmac_f64_e32 v[124:125], v[124:125], v[128:129]
	v_mul_f64 v[128:129], v[126:127], v[124:125]
	v_fma_f64 v[122:123], -v[122:123], v[128:129], v[126:127]
	v_div_fmas_f64 v[122:123], v[122:123], v[124:125], v[128:129]
	v_div_fixup_f64 v[112:113], v[122:123], v[112:113], 1.0
; %bb.206:
	s_or_b64 exec, exec, s[0:1]
	v_cmp_ne_u32_e32 vcc, v117, v114
	s_and_saveexec_b64 s[0:1], vcc
	s_xor_b64 s[0:1], exec, s[0:1]
	s_cbranch_execz .LBB106_212
; %bb.207:
	v_cmp_eq_u32_e32 vcc, 12, v117
	s_and_saveexec_b64 s[2:3], vcc
	s_cbranch_execz .LBB106_211
; %bb.208:
	v_cmp_ne_u32_e32 vcc, 12, v114
	s_xor_b64 s[14:15], s[6:7], -1
	s_and_b64 s[16:17], s[14:15], vcc
	s_and_saveexec_b64 s[14:15], s[16:17]
	s_cbranch_execz .LBB106_210
; %bb.209:
	v_ashrrev_i32_e32 v115, 31, v114
	v_lshlrev_b64 v[122:123], 2, v[114:115]
	v_add_co_u32_e32 v122, vcc, v4, v122
	v_addc_co_u32_e32 v123, vcc, v5, v123, vcc
	flat_load_dword v115, v[122:123]
	flat_load_dword v117, v[4:5] offset:48
	s_waitcnt vmcnt(0) lgkmcnt(0)
	flat_store_dword v[4:5], v115 offset:48
	flat_store_dword v[122:123], v117
.LBB106_210:
	s_or_b64 exec, exec, s[14:15]
	v_mov_b32_e32 v115, v114
	v_mov_b32_e32 v117, v114
.LBB106_211:
	s_or_b64 exec, exec, s[2:3]
.LBB106_212:
	s_andn2_saveexec_b64 s[0:1], s[0:1]
	s_cbranch_execz .LBB106_214
; %bb.213:
	v_mov_b32_e32 v117, 12
	ds_write2_b64 v116, v[82:83], v[80:81] offset0:13 offset1:14
	ds_write2_b64 v116, v[78:79], v[76:77] offset0:15 offset1:16
	;; [unrolled: 1-line block ×20, first 2 shown]
	ds_write_b64 v116, v[110:111] offset:424
.LBB106_214:
	s_or_b64 exec, exec, s[0:1]
	v_cmp_lt_i32_e32 vcc, 12, v117
	s_waitcnt lgkmcnt(0)
	s_barrier
	s_and_saveexec_b64 s[0:1], vcc
	s_cbranch_execz .LBB106_216
; %bb.215:
	ds_read2_b64 v[122:125], v116 offset0:13 offset1:14
	ds_read2_b64 v[126:129], v116 offset0:15 offset1:16
	v_mul_f64 v[84:85], v[112:113], v[84:85]
	ds_read2_b64 v[130:133], v116 offset0:17 offset1:18
	ds_read_b64 v[112:113], v116 offset:424
	s_waitcnt lgkmcnt(0)
	v_fma_f64 v[82:83], -v[84:85], v[122:123], v[82:83]
	v_fma_f64 v[80:81], -v[84:85], v[124:125], v[80:81]
	ds_read2_b64 v[122:125], v116 offset0:19 offset1:20
	v_fma_f64 v[78:79], -v[84:85], v[126:127], v[78:79]
	v_fma_f64 v[76:77], -v[84:85], v[128:129], v[76:77]
	ds_read2_b64 v[126:129], v116 offset0:21 offset1:22
	v_fma_f64 v[74:75], -v[84:85], v[130:131], v[74:75]
	v_fma_f64 v[72:73], -v[84:85], v[132:133], v[72:73]
	ds_read2_b64 v[130:133], v116 offset0:23 offset1:24
	s_waitcnt lgkmcnt(0)
	v_fma_f64 v[70:71], -v[84:85], v[122:123], v[70:71]
	v_fma_f64 v[68:69], -v[84:85], v[124:125], v[68:69]
	;; [unrolled: 1-line block ×3, first 2 shown]
	ds_read2_b64 v[122:125], v116 offset0:25 offset1:26
	v_fma_f64 v[64:65], -v[84:85], v[128:129], v[64:65]
	ds_read2_b64 v[126:129], v116 offset0:27 offset1:28
	v_fma_f64 v[62:63], -v[84:85], v[130:131], v[62:63]
	v_fma_f64 v[60:61], -v[84:85], v[132:133], v[60:61]
	s_waitcnt lgkmcnt(0)
	v_fma_f64 v[58:59], -v[84:85], v[122:123], v[58:59]
	ds_read2_b64 v[130:133], v116 offset0:29 offset1:30
	v_fma_f64 v[56:57], -v[84:85], v[124:125], v[56:57]
	ds_read2_b64 v[122:125], v116 offset0:31 offset1:32
	v_fma_f64 v[54:55], -v[84:85], v[126:127], v[54:55]
	v_fma_f64 v[52:53], -v[84:85], v[128:129], v[52:53]
	ds_read2_b64 v[126:129], v116 offset0:33 offset1:34
	s_waitcnt lgkmcnt(0)
	v_fma_f64 v[50:51], -v[84:85], v[130:131], v[50:51]
	v_fma_f64 v[48:49], -v[84:85], v[132:133], v[48:49]
	ds_read2_b64 v[130:133], v116 offset0:35 offset1:36
	v_fma_f64 v[46:47], -v[84:85], v[122:123], v[46:47]
	v_fma_f64 v[44:45], -v[84:85], v[124:125], v[44:45]
	;; [unrolled: 1-line block ×3, first 2 shown]
	ds_read2_b64 v[122:125], v116 offset0:37 offset1:38
	v_fma_f64 v[40:41], -v[84:85], v[128:129], v[40:41]
	ds_read2_b64 v[126:129], v116 offset0:39 offset1:40
	s_waitcnt lgkmcnt(0)
	v_fma_f64 v[38:39], -v[84:85], v[130:131], v[38:39]
	v_fma_f64 v[36:37], -v[84:85], v[132:133], v[36:37]
	;; [unrolled: 1-line block ×3, first 2 shown]
	ds_read2_b64 v[130:133], v116 offset0:41 offset1:42
	v_fma_f64 v[32:33], -v[84:85], v[124:125], v[32:33]
	ds_read2_b64 v[122:125], v116 offset0:43 offset1:44
	v_fma_f64 v[30:31], -v[84:85], v[126:127], v[30:31]
	v_fma_f64 v[28:29], -v[84:85], v[128:129], v[28:29]
	ds_read2_b64 v[126:129], v116 offset0:45 offset1:46
	s_waitcnt lgkmcnt(0)
	v_fma_f64 v[26:27], -v[84:85], v[130:131], v[26:27]
	v_fma_f64 v[24:25], -v[84:85], v[132:133], v[24:25]
	ds_read2_b64 v[130:133], v116 offset0:47 offset1:48
	v_fma_f64 v[22:23], -v[84:85], v[122:123], v[22:23]
	v_fma_f64 v[20:21], -v[84:85], v[124:125], v[20:21]
	;; [unrolled: 1-line block ×4, first 2 shown]
	ds_read2_b64 v[122:125], v116 offset0:49 offset1:50
	ds_read2_b64 v[126:129], v116 offset0:51 offset1:52
	s_waitcnt lgkmcnt(0)
	v_fma_f64 v[14:15], -v[84:85], v[130:131], v[14:15]
	v_fma_f64 v[12:13], -v[84:85], v[132:133], v[12:13]
	;; [unrolled: 1-line block ×7, first 2 shown]
.LBB106_216:
	s_or_b64 exec, exec, s[0:1]
	v_lshl_add_u32 v112, v117, 3, v116
	s_barrier
	ds_write_b64 v112, v[82:83]
	s_waitcnt lgkmcnt(0)
	s_barrier
	ds_read_b64 v[112:113], v116 offset:104
	s_cmp_lt_i32 s18, 15
	v_mov_b32_e32 v114, 13
	s_cbranch_scc1 .LBB106_219
; %bb.217:
	v_add_u32_e32 v121, 0x70, v116
	s_mov_b32 s0, 14
	v_mov_b32_e32 v114, 13
.LBB106_218:                            ; =>This Inner Loop Header: Depth=1
	ds_read_b64 v[122:123], v121
	v_mov_b32_e32 v124, s0
	s_add_i32 s0, s0, 1
	v_add_u32_e32 v121, 8, v121
	s_cmp_lg_u32 s18, s0
	s_waitcnt lgkmcnt(0)
	v_cmp_lt_f64_e64 vcc, |v[112:113]|, |v[122:123]|
	v_cndmask_b32_e32 v113, v113, v123, vcc
	v_cndmask_b32_e32 v112, v112, v122, vcc
	;; [unrolled: 1-line block ×3, first 2 shown]
	s_cbranch_scc1 .LBB106_218
.LBB106_219:
	s_waitcnt lgkmcnt(0)
	v_cmp_eq_f64_e32 vcc, 0, v[112:113]
	s_and_saveexec_b64 s[0:1], vcc
	s_xor_b64 s[0:1], exec, s[0:1]
; %bb.220:
	v_cmp_ne_u32_e32 vcc, 0, v120
	v_cndmask_b32_e32 v120, 14, v120, vcc
; %bb.221:
	s_andn2_saveexec_b64 s[0:1], s[0:1]
; %bb.222:
	v_div_scale_f64 v[122:123], s[2:3], v[112:113], v[112:113], 1.0
	v_rcp_f64_e32 v[124:125], v[122:123]
	v_div_scale_f64 v[126:127], vcc, 1.0, v[112:113], 1.0
	v_fma_f64 v[128:129], -v[122:123], v[124:125], 1.0
	v_fmac_f64_e32 v[124:125], v[124:125], v[128:129]
	v_fma_f64 v[128:129], -v[122:123], v[124:125], 1.0
	v_fmac_f64_e32 v[124:125], v[124:125], v[128:129]
	v_mul_f64 v[128:129], v[126:127], v[124:125]
	v_fma_f64 v[122:123], -v[122:123], v[128:129], v[126:127]
	v_div_fmas_f64 v[122:123], v[122:123], v[124:125], v[128:129]
	v_div_fixup_f64 v[112:113], v[122:123], v[112:113], 1.0
; %bb.223:
	s_or_b64 exec, exec, s[0:1]
	v_cmp_ne_u32_e32 vcc, v117, v114
	s_and_saveexec_b64 s[0:1], vcc
	s_xor_b64 s[0:1], exec, s[0:1]
	s_cbranch_execz .LBB106_229
; %bb.224:
	v_cmp_eq_u32_e32 vcc, 13, v117
	s_and_saveexec_b64 s[2:3], vcc
	s_cbranch_execz .LBB106_228
; %bb.225:
	v_cmp_ne_u32_e32 vcc, 13, v114
	s_xor_b64 s[14:15], s[6:7], -1
	s_and_b64 s[16:17], s[14:15], vcc
	s_and_saveexec_b64 s[14:15], s[16:17]
	s_cbranch_execz .LBB106_227
; %bb.226:
	v_ashrrev_i32_e32 v115, 31, v114
	v_lshlrev_b64 v[122:123], 2, v[114:115]
	v_add_co_u32_e32 v122, vcc, v4, v122
	v_addc_co_u32_e32 v123, vcc, v5, v123, vcc
	flat_load_dword v115, v[122:123]
	flat_load_dword v117, v[4:5] offset:52
	s_waitcnt vmcnt(0) lgkmcnt(0)
	flat_store_dword v[4:5], v115 offset:52
	flat_store_dword v[122:123], v117
.LBB106_227:
	s_or_b64 exec, exec, s[14:15]
	v_mov_b32_e32 v115, v114
	v_mov_b32_e32 v117, v114
.LBB106_228:
	s_or_b64 exec, exec, s[2:3]
.LBB106_229:
	s_andn2_saveexec_b64 s[0:1], s[0:1]
	s_cbranch_execz .LBB106_231
; %bb.230:
	v_mov_b32_e32 v122, v80
	v_mov_b32_e32 v123, v81
	v_mov_b32_e32 v124, v78
	v_mov_b32_e32 v125, v79
	ds_write2_b64 v116, v[122:123], v[124:125] offset0:14 offset1:15
	v_mov_b32_e32 v122, v76
	v_mov_b32_e32 v123, v77
	v_mov_b32_e32 v124, v74
	v_mov_b32_e32 v125, v75
	ds_write2_b64 v116, v[122:123], v[124:125] offset0:16 offset1:17
	;; [unrolled: 5-line block ×19, first 2 shown]
	v_mov_b32_e32 v122, v0
	v_mov_b32_e32 v123, v1
	;; [unrolled: 1-line block ×3, first 2 shown]
	ds_write2_b64 v116, v[122:123], v[110:111] offset0:52 offset1:53
.LBB106_231:
	s_or_b64 exec, exec, s[0:1]
	v_cmp_lt_i32_e32 vcc, 13, v117
	s_waitcnt lgkmcnt(0)
	s_barrier
	s_and_saveexec_b64 s[0:1], vcc
	s_cbranch_execz .LBB106_233
; %bb.232:
	ds_read2_b64 v[122:125], v116 offset0:14 offset1:15
	ds_read2_b64 v[126:129], v116 offset0:16 offset1:17
	v_mul_f64 v[82:83], v[112:113], v[82:83]
	ds_read2_b64 v[130:133], v116 offset0:18 offset1:19
	s_waitcnt lgkmcnt(0)
	v_fma_f64 v[80:81], -v[82:83], v[122:123], v[80:81]
	v_fma_f64 v[78:79], -v[82:83], v[124:125], v[78:79]
	ds_read2_b64 v[122:125], v116 offset0:20 offset1:21
	v_fma_f64 v[76:77], -v[82:83], v[126:127], v[76:77]
	v_fma_f64 v[74:75], -v[82:83], v[128:129], v[74:75]
	ds_read2_b64 v[126:129], v116 offset0:22 offset1:23
	;; [unrolled: 3-line block ×3, first 2 shown]
	s_waitcnt lgkmcnt(0)
	v_fma_f64 v[68:69], -v[82:83], v[122:123], v[68:69]
	v_fma_f64 v[66:67], -v[82:83], v[124:125], v[66:67]
	;; [unrolled: 1-line block ×3, first 2 shown]
	ds_read2_b64 v[122:125], v116 offset0:26 offset1:27
	v_fma_f64 v[62:63], -v[82:83], v[128:129], v[62:63]
	ds_read2_b64 v[126:129], v116 offset0:28 offset1:29
	v_fma_f64 v[60:61], -v[82:83], v[130:131], v[60:61]
	v_fma_f64 v[58:59], -v[82:83], v[132:133], v[58:59]
	s_waitcnt lgkmcnt(0)
	v_fma_f64 v[56:57], -v[82:83], v[122:123], v[56:57]
	ds_read2_b64 v[130:133], v116 offset0:30 offset1:31
	v_fma_f64 v[54:55], -v[82:83], v[124:125], v[54:55]
	ds_read2_b64 v[122:125], v116 offset0:32 offset1:33
	v_fma_f64 v[52:53], -v[82:83], v[126:127], v[52:53]
	v_fma_f64 v[50:51], -v[82:83], v[128:129], v[50:51]
	ds_read2_b64 v[126:129], v116 offset0:34 offset1:35
	s_waitcnt lgkmcnt(0)
	v_fma_f64 v[48:49], -v[82:83], v[130:131], v[48:49]
	v_fma_f64 v[46:47], -v[82:83], v[132:133], v[46:47]
	ds_read2_b64 v[130:133], v116 offset0:36 offset1:37
	v_fma_f64 v[44:45], -v[82:83], v[122:123], v[44:45]
	v_fma_f64 v[42:43], -v[82:83], v[124:125], v[42:43]
	;; [unrolled: 1-line block ×3, first 2 shown]
	ds_read2_b64 v[122:125], v116 offset0:38 offset1:39
	v_fma_f64 v[38:39], -v[82:83], v[128:129], v[38:39]
	ds_read2_b64 v[126:129], v116 offset0:40 offset1:41
	s_waitcnt lgkmcnt(0)
	v_fma_f64 v[36:37], -v[82:83], v[130:131], v[36:37]
	v_fma_f64 v[34:35], -v[82:83], v[132:133], v[34:35]
	;; [unrolled: 1-line block ×3, first 2 shown]
	ds_read2_b64 v[130:133], v116 offset0:42 offset1:43
	v_fma_f64 v[30:31], -v[82:83], v[124:125], v[30:31]
	ds_read2_b64 v[122:125], v116 offset0:44 offset1:45
	v_fma_f64 v[28:29], -v[82:83], v[126:127], v[28:29]
	v_fma_f64 v[26:27], -v[82:83], v[128:129], v[26:27]
	ds_read2_b64 v[126:129], v116 offset0:46 offset1:47
	s_waitcnt lgkmcnt(0)
	v_fma_f64 v[24:25], -v[82:83], v[130:131], v[24:25]
	v_fma_f64 v[22:23], -v[82:83], v[132:133], v[22:23]
	;; [unrolled: 1-line block ×4, first 2 shown]
	ds_read2_b64 v[122:125], v116 offset0:48 offset1:49
	v_fma_f64 v[16:17], -v[82:83], v[126:127], v[16:17]
	ds_read2_b64 v[130:133], v116 offset0:50 offset1:51
	v_fma_f64 v[14:15], -v[82:83], v[128:129], v[14:15]
	ds_read2_b64 v[126:129], v116 offset0:52 offset1:53
	s_waitcnt lgkmcnt(0)
	v_fma_f64 v[12:13], -v[82:83], v[122:123], v[12:13]
	v_fma_f64 v[10:11], -v[82:83], v[124:125], v[10:11]
	;; [unrolled: 1-line block ×6, first 2 shown]
.LBB106_233:
	s_or_b64 exec, exec, s[0:1]
	v_lshl_add_u32 v112, v117, 3, v116
	s_barrier
	ds_write_b64 v112, v[80:81]
	s_waitcnt lgkmcnt(0)
	s_barrier
	ds_read_b64 v[112:113], v116 offset:112
	s_cmp_lt_i32 s18, 16
	v_mov_b32_e32 v114, 14
	s_cbranch_scc1 .LBB106_236
; %bb.234:
	v_add_u32_e32 v121, 0x78, v116
	s_mov_b32 s0, 15
	v_mov_b32_e32 v114, 14
.LBB106_235:                            ; =>This Inner Loop Header: Depth=1
	ds_read_b64 v[122:123], v121
	v_mov_b32_e32 v124, s0
	s_add_i32 s0, s0, 1
	v_add_u32_e32 v121, 8, v121
	s_cmp_lg_u32 s18, s0
	s_waitcnt lgkmcnt(0)
	v_cmp_lt_f64_e64 vcc, |v[112:113]|, |v[122:123]|
	v_cndmask_b32_e32 v113, v113, v123, vcc
	v_cndmask_b32_e32 v112, v112, v122, vcc
	;; [unrolled: 1-line block ×3, first 2 shown]
	s_cbranch_scc1 .LBB106_235
.LBB106_236:
	s_waitcnt lgkmcnt(0)
	v_cmp_eq_f64_e32 vcc, 0, v[112:113]
	s_and_saveexec_b64 s[0:1], vcc
	s_xor_b64 s[0:1], exec, s[0:1]
; %bb.237:
	v_cmp_ne_u32_e32 vcc, 0, v120
	v_cndmask_b32_e32 v120, 15, v120, vcc
; %bb.238:
	s_andn2_saveexec_b64 s[0:1], s[0:1]
; %bb.239:
	v_div_scale_f64 v[122:123], s[2:3], v[112:113], v[112:113], 1.0
	v_rcp_f64_e32 v[124:125], v[122:123]
	v_div_scale_f64 v[126:127], vcc, 1.0, v[112:113], 1.0
	v_fma_f64 v[128:129], -v[122:123], v[124:125], 1.0
	v_fmac_f64_e32 v[124:125], v[124:125], v[128:129]
	v_fma_f64 v[128:129], -v[122:123], v[124:125], 1.0
	v_fmac_f64_e32 v[124:125], v[124:125], v[128:129]
	v_mul_f64 v[128:129], v[126:127], v[124:125]
	v_fma_f64 v[122:123], -v[122:123], v[128:129], v[126:127]
	v_div_fmas_f64 v[122:123], v[122:123], v[124:125], v[128:129]
	v_div_fixup_f64 v[112:113], v[122:123], v[112:113], 1.0
; %bb.240:
	s_or_b64 exec, exec, s[0:1]
	v_cmp_ne_u32_e32 vcc, v117, v114
	s_and_saveexec_b64 s[0:1], vcc
	s_xor_b64 s[0:1], exec, s[0:1]
	s_cbranch_execz .LBB106_246
; %bb.241:
	v_cmp_eq_u32_e32 vcc, 14, v117
	s_and_saveexec_b64 s[2:3], vcc
	s_cbranch_execz .LBB106_245
; %bb.242:
	v_cmp_ne_u32_e32 vcc, 14, v114
	s_xor_b64 s[14:15], s[6:7], -1
	s_and_b64 s[16:17], s[14:15], vcc
	s_and_saveexec_b64 s[14:15], s[16:17]
	s_cbranch_execz .LBB106_244
; %bb.243:
	v_ashrrev_i32_e32 v115, 31, v114
	v_lshlrev_b64 v[122:123], 2, v[114:115]
	v_add_co_u32_e32 v122, vcc, v4, v122
	v_addc_co_u32_e32 v123, vcc, v5, v123, vcc
	flat_load_dword v115, v[122:123]
	flat_load_dword v117, v[4:5] offset:56
	s_waitcnt vmcnt(0) lgkmcnt(0)
	flat_store_dword v[4:5], v115 offset:56
	flat_store_dword v[122:123], v117
.LBB106_244:
	s_or_b64 exec, exec, s[14:15]
	v_mov_b32_e32 v115, v114
	v_mov_b32_e32 v117, v114
.LBB106_245:
	s_or_b64 exec, exec, s[2:3]
.LBB106_246:
	s_andn2_saveexec_b64 s[0:1], s[0:1]
	s_cbranch_execz .LBB106_248
; %bb.247:
	v_mov_b32_e32 v117, 14
	ds_write2_b64 v116, v[78:79], v[76:77] offset0:15 offset1:16
	ds_write2_b64 v116, v[74:75], v[72:73] offset0:17 offset1:18
	;; [unrolled: 1-line block ×19, first 2 shown]
	ds_write_b64 v116, v[110:111] offset:424
.LBB106_248:
	s_or_b64 exec, exec, s[0:1]
	v_cmp_lt_i32_e32 vcc, 14, v117
	s_waitcnt lgkmcnt(0)
	s_barrier
	s_and_saveexec_b64 s[0:1], vcc
	s_cbranch_execz .LBB106_250
; %bb.249:
	ds_read2_b64 v[122:125], v116 offset0:15 offset1:16
	ds_read2_b64 v[126:129], v116 offset0:17 offset1:18
	v_mul_f64 v[80:81], v[112:113], v[80:81]
	ds_read2_b64 v[130:133], v116 offset0:19 offset1:20
	ds_read_b64 v[112:113], v116 offset:424
	s_waitcnt lgkmcnt(0)
	v_fma_f64 v[78:79], -v[80:81], v[122:123], v[78:79]
	v_fma_f64 v[76:77], -v[80:81], v[124:125], v[76:77]
	ds_read2_b64 v[122:125], v116 offset0:21 offset1:22
	v_fma_f64 v[74:75], -v[80:81], v[126:127], v[74:75]
	v_fma_f64 v[72:73], -v[80:81], v[128:129], v[72:73]
	;; [unrolled: 1-line block ×3, first 2 shown]
	ds_read2_b64 v[126:129], v116 offset0:23 offset1:24
	v_fma_f64 v[68:69], -v[80:81], v[132:133], v[68:69]
	ds_read2_b64 v[130:133], v116 offset0:25 offset1:26
	s_waitcnt lgkmcnt(0)
	v_fma_f64 v[66:67], -v[80:81], v[122:123], v[66:67]
	v_fma_f64 v[64:65], -v[80:81], v[124:125], v[64:65]
	ds_read2_b64 v[122:125], v116 offset0:27 offset1:28
	v_fma_f64 v[62:63], -v[80:81], v[126:127], v[62:63]
	v_fma_f64 v[60:61], -v[80:81], v[128:129], v[60:61]
	ds_read2_b64 v[126:129], v116 offset0:29 offset1:30
	v_fma_f64 v[58:59], -v[80:81], v[130:131], v[58:59]
	v_fma_f64 v[56:57], -v[80:81], v[132:133], v[56:57]
	s_waitcnt lgkmcnt(0)
	v_fma_f64 v[54:55], -v[80:81], v[122:123], v[54:55]
	ds_read2_b64 v[130:133], v116 offset0:31 offset1:32
	v_fma_f64 v[52:53], -v[80:81], v[124:125], v[52:53]
	ds_read2_b64 v[122:125], v116 offset0:33 offset1:34
	v_fma_f64 v[50:51], -v[80:81], v[126:127], v[50:51]
	v_fma_f64 v[48:49], -v[80:81], v[128:129], v[48:49]
	s_waitcnt lgkmcnt(0)
	v_fma_f64 v[46:47], -v[80:81], v[130:131], v[46:47]
	ds_read2_b64 v[126:129], v116 offset0:35 offset1:36
	v_fma_f64 v[44:45], -v[80:81], v[132:133], v[44:45]
	ds_read2_b64 v[130:133], v116 offset0:37 offset1:38
	v_fma_f64 v[42:43], -v[80:81], v[122:123], v[42:43]
	v_fma_f64 v[40:41], -v[80:81], v[124:125], v[40:41]
	ds_read2_b64 v[122:125], v116 offset0:39 offset1:40
	s_waitcnt lgkmcnt(0)
	v_fma_f64 v[38:39], -v[80:81], v[126:127], v[38:39]
	v_fma_f64 v[36:37], -v[80:81], v[128:129], v[36:37]
	ds_read2_b64 v[126:129], v116 offset0:41 offset1:42
	v_fma_f64 v[34:35], -v[80:81], v[130:131], v[34:35]
	v_fma_f64 v[32:33], -v[80:81], v[132:133], v[32:33]
	v_fma_f64 v[30:31], -v[80:81], v[122:123], v[30:31]
	ds_read2_b64 v[130:133], v116 offset0:43 offset1:44
	v_fma_f64 v[28:29], -v[80:81], v[124:125], v[28:29]
	ds_read2_b64 v[122:125], v116 offset0:45 offset1:46
	s_waitcnt lgkmcnt(0)
	v_fma_f64 v[26:27], -v[80:81], v[126:127], v[26:27]
	v_fma_f64 v[24:25], -v[80:81], v[128:129], v[24:25]
	;; [unrolled: 1-line block ×3, first 2 shown]
	ds_read2_b64 v[126:129], v116 offset0:47 offset1:48
	v_fma_f64 v[20:21], -v[80:81], v[132:133], v[20:21]
	v_fma_f64 v[18:19], -v[80:81], v[122:123], v[18:19]
	;; [unrolled: 1-line block ×3, first 2 shown]
	ds_read2_b64 v[122:125], v116 offset0:49 offset1:50
	ds_read2_b64 v[130:133], v116 offset0:51 offset1:52
	s_waitcnt lgkmcnt(0)
	v_fma_f64 v[14:15], -v[80:81], v[126:127], v[14:15]
	v_fma_f64 v[12:13], -v[80:81], v[128:129], v[12:13]
	;; [unrolled: 1-line block ×7, first 2 shown]
.LBB106_250:
	s_or_b64 exec, exec, s[0:1]
	v_lshl_add_u32 v112, v117, 3, v116
	s_barrier
	ds_write_b64 v112, v[78:79]
	s_waitcnt lgkmcnt(0)
	s_barrier
	ds_read_b64 v[112:113], v116 offset:120
	s_cmp_lt_i32 s18, 17
	v_mov_b32_e32 v114, 15
	s_cbranch_scc1 .LBB106_253
; %bb.251:
	v_add_u32_e32 v121, 0x80, v116
	s_mov_b32 s0, 16
	v_mov_b32_e32 v114, 15
.LBB106_252:                            ; =>This Inner Loop Header: Depth=1
	ds_read_b64 v[122:123], v121
	v_mov_b32_e32 v124, s0
	s_add_i32 s0, s0, 1
	v_add_u32_e32 v121, 8, v121
	s_cmp_lg_u32 s18, s0
	s_waitcnt lgkmcnt(0)
	v_cmp_lt_f64_e64 vcc, |v[112:113]|, |v[122:123]|
	v_cndmask_b32_e32 v113, v113, v123, vcc
	v_cndmask_b32_e32 v112, v112, v122, vcc
	;; [unrolled: 1-line block ×3, first 2 shown]
	s_cbranch_scc1 .LBB106_252
.LBB106_253:
	s_waitcnt lgkmcnt(0)
	v_cmp_eq_f64_e32 vcc, 0, v[112:113]
	s_and_saveexec_b64 s[0:1], vcc
	s_xor_b64 s[0:1], exec, s[0:1]
; %bb.254:
	v_cmp_ne_u32_e32 vcc, 0, v120
	v_cndmask_b32_e32 v120, 16, v120, vcc
; %bb.255:
	s_andn2_saveexec_b64 s[0:1], s[0:1]
; %bb.256:
	v_div_scale_f64 v[122:123], s[2:3], v[112:113], v[112:113], 1.0
	v_rcp_f64_e32 v[124:125], v[122:123]
	v_div_scale_f64 v[126:127], vcc, 1.0, v[112:113], 1.0
	v_fma_f64 v[128:129], -v[122:123], v[124:125], 1.0
	v_fmac_f64_e32 v[124:125], v[124:125], v[128:129]
	v_fma_f64 v[128:129], -v[122:123], v[124:125], 1.0
	v_fmac_f64_e32 v[124:125], v[124:125], v[128:129]
	v_mul_f64 v[128:129], v[126:127], v[124:125]
	v_fma_f64 v[122:123], -v[122:123], v[128:129], v[126:127]
	v_div_fmas_f64 v[122:123], v[122:123], v[124:125], v[128:129]
	v_div_fixup_f64 v[112:113], v[122:123], v[112:113], 1.0
; %bb.257:
	s_or_b64 exec, exec, s[0:1]
	v_cmp_ne_u32_e32 vcc, v117, v114
	s_and_saveexec_b64 s[0:1], vcc
	s_xor_b64 s[0:1], exec, s[0:1]
	s_cbranch_execz .LBB106_263
; %bb.258:
	v_cmp_eq_u32_e32 vcc, 15, v117
	s_and_saveexec_b64 s[2:3], vcc
	s_cbranch_execz .LBB106_262
; %bb.259:
	v_cmp_ne_u32_e32 vcc, 15, v114
	s_xor_b64 s[14:15], s[6:7], -1
	s_and_b64 s[16:17], s[14:15], vcc
	s_and_saveexec_b64 s[14:15], s[16:17]
	s_cbranch_execz .LBB106_261
; %bb.260:
	v_ashrrev_i32_e32 v115, 31, v114
	v_lshlrev_b64 v[122:123], 2, v[114:115]
	v_add_co_u32_e32 v122, vcc, v4, v122
	v_addc_co_u32_e32 v123, vcc, v5, v123, vcc
	flat_load_dword v115, v[122:123]
	flat_load_dword v117, v[4:5] offset:60
	s_waitcnt vmcnt(0) lgkmcnt(0)
	flat_store_dword v[4:5], v115 offset:60
	flat_store_dword v[122:123], v117
.LBB106_261:
	s_or_b64 exec, exec, s[14:15]
	v_mov_b32_e32 v115, v114
	v_mov_b32_e32 v117, v114
.LBB106_262:
	s_or_b64 exec, exec, s[2:3]
.LBB106_263:
	s_andn2_saveexec_b64 s[0:1], s[0:1]
	s_cbranch_execz .LBB106_265
; %bb.264:
	v_mov_b32_e32 v122, v76
	v_mov_b32_e32 v123, v77
	v_mov_b32_e32 v124, v74
	v_mov_b32_e32 v125, v75
	ds_write2_b64 v116, v[122:123], v[124:125] offset0:16 offset1:17
	v_mov_b32_e32 v122, v72
	v_mov_b32_e32 v123, v73
	v_mov_b32_e32 v124, v70
	v_mov_b32_e32 v125, v71
	ds_write2_b64 v116, v[122:123], v[124:125] offset0:18 offset1:19
	;; [unrolled: 5-line block ×18, first 2 shown]
	v_mov_b32_e32 v122, v0
	v_mov_b32_e32 v123, v1
	;; [unrolled: 1-line block ×3, first 2 shown]
	ds_write2_b64 v116, v[122:123], v[110:111] offset0:52 offset1:53
.LBB106_265:
	s_or_b64 exec, exec, s[0:1]
	v_cmp_lt_i32_e32 vcc, 15, v117
	s_waitcnt lgkmcnt(0)
	s_barrier
	s_and_saveexec_b64 s[0:1], vcc
	s_cbranch_execz .LBB106_267
; %bb.266:
	ds_read2_b64 v[122:125], v116 offset0:16 offset1:17
	ds_read2_b64 v[126:129], v116 offset0:18 offset1:19
	v_mul_f64 v[78:79], v[112:113], v[78:79]
	ds_read2_b64 v[130:133], v116 offset0:20 offset1:21
	s_waitcnt lgkmcnt(0)
	v_fma_f64 v[76:77], -v[78:79], v[122:123], v[76:77]
	v_fma_f64 v[74:75], -v[78:79], v[124:125], v[74:75]
	ds_read2_b64 v[122:125], v116 offset0:22 offset1:23
	v_fma_f64 v[72:73], -v[78:79], v[126:127], v[72:73]
	v_fma_f64 v[70:71], -v[78:79], v[128:129], v[70:71]
	;; [unrolled: 1-line block ×3, first 2 shown]
	ds_read2_b64 v[126:129], v116 offset0:24 offset1:25
	v_fma_f64 v[66:67], -v[78:79], v[132:133], v[66:67]
	ds_read2_b64 v[130:133], v116 offset0:26 offset1:27
	s_waitcnt lgkmcnt(0)
	v_fma_f64 v[64:65], -v[78:79], v[122:123], v[64:65]
	v_fma_f64 v[62:63], -v[78:79], v[124:125], v[62:63]
	ds_read2_b64 v[122:125], v116 offset0:28 offset1:29
	v_fma_f64 v[60:61], -v[78:79], v[126:127], v[60:61]
	v_fma_f64 v[58:59], -v[78:79], v[128:129], v[58:59]
	ds_read2_b64 v[126:129], v116 offset0:30 offset1:31
	v_fma_f64 v[56:57], -v[78:79], v[130:131], v[56:57]
	v_fma_f64 v[54:55], -v[78:79], v[132:133], v[54:55]
	s_waitcnt lgkmcnt(0)
	v_fma_f64 v[52:53], -v[78:79], v[122:123], v[52:53]
	ds_read2_b64 v[130:133], v116 offset0:32 offset1:33
	v_fma_f64 v[50:51], -v[78:79], v[124:125], v[50:51]
	ds_read2_b64 v[122:125], v116 offset0:34 offset1:35
	v_fma_f64 v[48:49], -v[78:79], v[126:127], v[48:49]
	v_fma_f64 v[46:47], -v[78:79], v[128:129], v[46:47]
	s_waitcnt lgkmcnt(0)
	v_fma_f64 v[44:45], -v[78:79], v[130:131], v[44:45]
	ds_read2_b64 v[126:129], v116 offset0:36 offset1:37
	v_fma_f64 v[42:43], -v[78:79], v[132:133], v[42:43]
	ds_read2_b64 v[130:133], v116 offset0:38 offset1:39
	v_fma_f64 v[40:41], -v[78:79], v[122:123], v[40:41]
	v_fma_f64 v[38:39], -v[78:79], v[124:125], v[38:39]
	ds_read2_b64 v[122:125], v116 offset0:40 offset1:41
	s_waitcnt lgkmcnt(0)
	v_fma_f64 v[36:37], -v[78:79], v[126:127], v[36:37]
	v_fma_f64 v[34:35], -v[78:79], v[128:129], v[34:35]
	ds_read2_b64 v[126:129], v116 offset0:42 offset1:43
	v_fma_f64 v[32:33], -v[78:79], v[130:131], v[32:33]
	v_fma_f64 v[30:31], -v[78:79], v[132:133], v[30:31]
	;; [unrolled: 1-line block ×3, first 2 shown]
	ds_read2_b64 v[130:133], v116 offset0:44 offset1:45
	v_fma_f64 v[26:27], -v[78:79], v[124:125], v[26:27]
	ds_read2_b64 v[122:125], v116 offset0:46 offset1:47
	s_waitcnt lgkmcnt(0)
	v_fma_f64 v[24:25], -v[78:79], v[126:127], v[24:25]
	v_fma_f64 v[22:23], -v[78:79], v[128:129], v[22:23]
	;; [unrolled: 1-line block ×4, first 2 shown]
	ds_read2_b64 v[126:129], v116 offset0:48 offset1:49
	ds_read2_b64 v[130:133], v116 offset0:50 offset1:51
	v_fma_f64 v[16:17], -v[78:79], v[122:123], v[16:17]
	v_fma_f64 v[14:15], -v[78:79], v[124:125], v[14:15]
	ds_read2_b64 v[122:125], v116 offset0:52 offset1:53
	s_waitcnt lgkmcnt(0)
	v_fma_f64 v[12:13], -v[78:79], v[126:127], v[12:13]
	v_fma_f64 v[10:11], -v[78:79], v[128:129], v[10:11]
	;; [unrolled: 1-line block ×6, first 2 shown]
.LBB106_267:
	s_or_b64 exec, exec, s[0:1]
	v_lshl_add_u32 v112, v117, 3, v116
	s_barrier
	ds_write_b64 v112, v[76:77]
	s_waitcnt lgkmcnt(0)
	s_barrier
	ds_read_b64 v[112:113], v116 offset:128
	s_cmp_lt_i32 s18, 18
	v_mov_b32_e32 v114, 16
	s_cbranch_scc1 .LBB106_270
; %bb.268:
	v_add_u32_e32 v121, 0x88, v116
	s_mov_b32 s0, 17
	v_mov_b32_e32 v114, 16
.LBB106_269:                            ; =>This Inner Loop Header: Depth=1
	ds_read_b64 v[122:123], v121
	v_mov_b32_e32 v124, s0
	s_add_i32 s0, s0, 1
	v_add_u32_e32 v121, 8, v121
	s_cmp_lg_u32 s18, s0
	s_waitcnt lgkmcnt(0)
	v_cmp_lt_f64_e64 vcc, |v[112:113]|, |v[122:123]|
	v_cndmask_b32_e32 v113, v113, v123, vcc
	v_cndmask_b32_e32 v112, v112, v122, vcc
	;; [unrolled: 1-line block ×3, first 2 shown]
	s_cbranch_scc1 .LBB106_269
.LBB106_270:
	s_waitcnt lgkmcnt(0)
	v_cmp_eq_f64_e32 vcc, 0, v[112:113]
	s_and_saveexec_b64 s[0:1], vcc
	s_xor_b64 s[0:1], exec, s[0:1]
; %bb.271:
	v_cmp_ne_u32_e32 vcc, 0, v120
	v_cndmask_b32_e32 v120, 17, v120, vcc
; %bb.272:
	s_andn2_saveexec_b64 s[0:1], s[0:1]
; %bb.273:
	v_div_scale_f64 v[122:123], s[2:3], v[112:113], v[112:113], 1.0
	v_rcp_f64_e32 v[124:125], v[122:123]
	v_div_scale_f64 v[126:127], vcc, 1.0, v[112:113], 1.0
	v_fma_f64 v[128:129], -v[122:123], v[124:125], 1.0
	v_fmac_f64_e32 v[124:125], v[124:125], v[128:129]
	v_fma_f64 v[128:129], -v[122:123], v[124:125], 1.0
	v_fmac_f64_e32 v[124:125], v[124:125], v[128:129]
	v_mul_f64 v[128:129], v[126:127], v[124:125]
	v_fma_f64 v[122:123], -v[122:123], v[128:129], v[126:127]
	v_div_fmas_f64 v[122:123], v[122:123], v[124:125], v[128:129]
	v_div_fixup_f64 v[112:113], v[122:123], v[112:113], 1.0
; %bb.274:
	s_or_b64 exec, exec, s[0:1]
	v_cmp_ne_u32_e32 vcc, v117, v114
	s_and_saveexec_b64 s[0:1], vcc
	s_xor_b64 s[0:1], exec, s[0:1]
	s_cbranch_execz .LBB106_280
; %bb.275:
	v_cmp_eq_u32_e32 vcc, 16, v117
	s_and_saveexec_b64 s[2:3], vcc
	s_cbranch_execz .LBB106_279
; %bb.276:
	v_cmp_ne_u32_e32 vcc, 16, v114
	s_xor_b64 s[14:15], s[6:7], -1
	s_and_b64 s[16:17], s[14:15], vcc
	s_and_saveexec_b64 s[14:15], s[16:17]
	s_cbranch_execz .LBB106_278
; %bb.277:
	v_ashrrev_i32_e32 v115, 31, v114
	v_lshlrev_b64 v[122:123], 2, v[114:115]
	v_add_co_u32_e32 v122, vcc, v4, v122
	v_addc_co_u32_e32 v123, vcc, v5, v123, vcc
	flat_load_dword v115, v[122:123]
	flat_load_dword v117, v[4:5] offset:64
	s_waitcnt vmcnt(0) lgkmcnt(0)
	flat_store_dword v[4:5], v115 offset:64
	flat_store_dword v[122:123], v117
.LBB106_278:
	s_or_b64 exec, exec, s[14:15]
	v_mov_b32_e32 v115, v114
	v_mov_b32_e32 v117, v114
.LBB106_279:
	s_or_b64 exec, exec, s[2:3]
.LBB106_280:
	s_andn2_saveexec_b64 s[0:1], s[0:1]
	s_cbranch_execz .LBB106_282
; %bb.281:
	v_mov_b32_e32 v117, 16
	ds_write2_b64 v116, v[74:75], v[72:73] offset0:17 offset1:18
	ds_write2_b64 v116, v[70:71], v[68:69] offset0:19 offset1:20
	;; [unrolled: 1-line block ×18, first 2 shown]
	ds_write_b64 v116, v[110:111] offset:424
.LBB106_282:
	s_or_b64 exec, exec, s[0:1]
	v_cmp_lt_i32_e32 vcc, 16, v117
	s_waitcnt lgkmcnt(0)
	s_barrier
	s_and_saveexec_b64 s[0:1], vcc
	s_cbranch_execz .LBB106_284
; %bb.283:
	ds_read2_b64 v[122:125], v116 offset0:17 offset1:18
	ds_read2_b64 v[126:129], v116 offset0:19 offset1:20
	;; [unrolled: 1-line block ×3, first 2 shown]
	v_mul_f64 v[76:77], v[112:113], v[76:77]
	ds_read_b64 v[112:113], v116 offset:424
	s_waitcnt lgkmcnt(0)
	v_fma_f64 v[74:75], -v[76:77], v[122:123], v[74:75]
	v_fma_f64 v[72:73], -v[76:77], v[124:125], v[72:73]
	ds_read2_b64 v[122:125], v116 offset0:23 offset1:24
	v_fma_f64 v[70:71], -v[76:77], v[126:127], v[70:71]
	v_fma_f64 v[68:69], -v[76:77], v[128:129], v[68:69]
	;; [unrolled: 1-line block ×3, first 2 shown]
	ds_read2_b64 v[126:129], v116 offset0:25 offset1:26
	v_fma_f64 v[64:65], -v[76:77], v[132:133], v[64:65]
	ds_read2_b64 v[130:133], v116 offset0:27 offset1:28
	s_waitcnt lgkmcnt(0)
	v_fma_f64 v[62:63], -v[76:77], v[122:123], v[62:63]
	v_fma_f64 v[60:61], -v[76:77], v[124:125], v[60:61]
	;; [unrolled: 1-line block ×3, first 2 shown]
	ds_read2_b64 v[122:125], v116 offset0:29 offset1:30
	v_fma_f64 v[56:57], -v[76:77], v[128:129], v[56:57]
	ds_read2_b64 v[126:129], v116 offset0:31 offset1:32
	v_fma_f64 v[54:55], -v[76:77], v[130:131], v[54:55]
	v_fma_f64 v[52:53], -v[76:77], v[132:133], v[52:53]
	ds_read2_b64 v[130:133], v116 offset0:33 offset1:34
	s_waitcnt lgkmcnt(0)
	v_fma_f64 v[50:51], -v[76:77], v[122:123], v[50:51]
	v_fma_f64 v[48:49], -v[76:77], v[124:125], v[48:49]
	ds_read2_b64 v[122:125], v116 offset0:35 offset1:36
	v_fma_f64 v[46:47], -v[76:77], v[126:127], v[46:47]
	v_fma_f64 v[44:45], -v[76:77], v[128:129], v[44:45]
	v_fma_f64 v[42:43], -v[76:77], v[130:131], v[42:43]
	ds_read2_b64 v[126:129], v116 offset0:37 offset1:38
	v_fma_f64 v[40:41], -v[76:77], v[132:133], v[40:41]
	ds_read2_b64 v[130:133], v116 offset0:39 offset1:40
	s_waitcnt lgkmcnt(0)
	v_fma_f64 v[38:39], -v[76:77], v[122:123], v[38:39]
	v_fma_f64 v[36:37], -v[76:77], v[124:125], v[36:37]
	;; [unrolled: 1-line block ×3, first 2 shown]
	ds_read2_b64 v[122:125], v116 offset0:41 offset1:42
	v_fma_f64 v[32:33], -v[76:77], v[128:129], v[32:33]
	ds_read2_b64 v[126:129], v116 offset0:43 offset1:44
	v_fma_f64 v[30:31], -v[76:77], v[130:131], v[30:31]
	v_fma_f64 v[28:29], -v[76:77], v[132:133], v[28:29]
	ds_read2_b64 v[130:133], v116 offset0:45 offset1:46
	s_waitcnt lgkmcnt(0)
	v_fma_f64 v[26:27], -v[76:77], v[122:123], v[26:27]
	v_fma_f64 v[24:25], -v[76:77], v[124:125], v[24:25]
	ds_read2_b64 v[122:125], v116 offset0:47 offset1:48
	v_fma_f64 v[22:23], -v[76:77], v[126:127], v[22:23]
	v_fma_f64 v[20:21], -v[76:77], v[128:129], v[20:21]
	;; [unrolled: 1-line block ×4, first 2 shown]
	ds_read2_b64 v[126:129], v116 offset0:49 offset1:50
	ds_read2_b64 v[130:133], v116 offset0:51 offset1:52
	s_waitcnt lgkmcnt(0)
	v_fma_f64 v[14:15], -v[76:77], v[122:123], v[14:15]
	v_fma_f64 v[12:13], -v[76:77], v[124:125], v[12:13]
	;; [unrolled: 1-line block ×7, first 2 shown]
.LBB106_284:
	s_or_b64 exec, exec, s[0:1]
	v_lshl_add_u32 v112, v117, 3, v116
	s_barrier
	ds_write_b64 v112, v[74:75]
	s_waitcnt lgkmcnt(0)
	s_barrier
	ds_read_b64 v[112:113], v116 offset:136
	s_cmp_lt_i32 s18, 19
	v_mov_b32_e32 v114, 17
	s_cbranch_scc1 .LBB106_287
; %bb.285:
	v_add_u32_e32 v121, 0x90, v116
	s_mov_b32 s0, 18
	v_mov_b32_e32 v114, 17
.LBB106_286:                            ; =>This Inner Loop Header: Depth=1
	ds_read_b64 v[122:123], v121
	v_mov_b32_e32 v124, s0
	s_add_i32 s0, s0, 1
	v_add_u32_e32 v121, 8, v121
	s_cmp_lg_u32 s18, s0
	s_waitcnt lgkmcnt(0)
	v_cmp_lt_f64_e64 vcc, |v[112:113]|, |v[122:123]|
	v_cndmask_b32_e32 v113, v113, v123, vcc
	v_cndmask_b32_e32 v112, v112, v122, vcc
	;; [unrolled: 1-line block ×3, first 2 shown]
	s_cbranch_scc1 .LBB106_286
.LBB106_287:
	s_waitcnt lgkmcnt(0)
	v_cmp_eq_f64_e32 vcc, 0, v[112:113]
	s_and_saveexec_b64 s[0:1], vcc
	s_xor_b64 s[0:1], exec, s[0:1]
; %bb.288:
	v_cmp_ne_u32_e32 vcc, 0, v120
	v_cndmask_b32_e32 v120, 18, v120, vcc
; %bb.289:
	s_andn2_saveexec_b64 s[0:1], s[0:1]
; %bb.290:
	v_div_scale_f64 v[122:123], s[2:3], v[112:113], v[112:113], 1.0
	v_rcp_f64_e32 v[124:125], v[122:123]
	v_div_scale_f64 v[126:127], vcc, 1.0, v[112:113], 1.0
	v_fma_f64 v[128:129], -v[122:123], v[124:125], 1.0
	v_fmac_f64_e32 v[124:125], v[124:125], v[128:129]
	v_fma_f64 v[128:129], -v[122:123], v[124:125], 1.0
	v_fmac_f64_e32 v[124:125], v[124:125], v[128:129]
	v_mul_f64 v[128:129], v[126:127], v[124:125]
	v_fma_f64 v[122:123], -v[122:123], v[128:129], v[126:127]
	v_div_fmas_f64 v[122:123], v[122:123], v[124:125], v[128:129]
	v_div_fixup_f64 v[112:113], v[122:123], v[112:113], 1.0
; %bb.291:
	s_or_b64 exec, exec, s[0:1]
	v_cmp_ne_u32_e32 vcc, v117, v114
	s_and_saveexec_b64 s[0:1], vcc
	s_xor_b64 s[0:1], exec, s[0:1]
	s_cbranch_execz .LBB106_297
; %bb.292:
	v_cmp_eq_u32_e32 vcc, 17, v117
	s_and_saveexec_b64 s[2:3], vcc
	s_cbranch_execz .LBB106_296
; %bb.293:
	v_cmp_ne_u32_e32 vcc, 17, v114
	s_xor_b64 s[14:15], s[6:7], -1
	s_and_b64 s[16:17], s[14:15], vcc
	s_and_saveexec_b64 s[14:15], s[16:17]
	s_cbranch_execz .LBB106_295
; %bb.294:
	v_ashrrev_i32_e32 v115, 31, v114
	v_lshlrev_b64 v[122:123], 2, v[114:115]
	v_add_co_u32_e32 v122, vcc, v4, v122
	v_addc_co_u32_e32 v123, vcc, v5, v123, vcc
	flat_load_dword v115, v[122:123]
	flat_load_dword v117, v[4:5] offset:68
	s_waitcnt vmcnt(0) lgkmcnt(0)
	flat_store_dword v[4:5], v115 offset:68
	flat_store_dword v[122:123], v117
.LBB106_295:
	s_or_b64 exec, exec, s[14:15]
	v_mov_b32_e32 v115, v114
	v_mov_b32_e32 v117, v114
.LBB106_296:
	s_or_b64 exec, exec, s[2:3]
.LBB106_297:
	s_andn2_saveexec_b64 s[0:1], s[0:1]
	s_cbranch_execz .LBB106_299
; %bb.298:
	v_mov_b32_e32 v122, v72
	v_mov_b32_e32 v123, v73
	v_mov_b32_e32 v124, v70
	v_mov_b32_e32 v125, v71
	ds_write2_b64 v116, v[122:123], v[124:125] offset0:18 offset1:19
	v_mov_b32_e32 v122, v68
	v_mov_b32_e32 v123, v69
	v_mov_b32_e32 v124, v66
	v_mov_b32_e32 v125, v67
	ds_write2_b64 v116, v[122:123], v[124:125] offset0:20 offset1:21
	;; [unrolled: 5-line block ×17, first 2 shown]
	v_mov_b32_e32 v122, v0
	v_mov_b32_e32 v123, v1
	;; [unrolled: 1-line block ×3, first 2 shown]
	ds_write2_b64 v116, v[122:123], v[110:111] offset0:52 offset1:53
.LBB106_299:
	s_or_b64 exec, exec, s[0:1]
	v_cmp_lt_i32_e32 vcc, 17, v117
	s_waitcnt lgkmcnt(0)
	s_barrier
	s_and_saveexec_b64 s[0:1], vcc
	s_cbranch_execz .LBB106_301
; %bb.300:
	ds_read2_b64 v[122:125], v116 offset0:18 offset1:19
	ds_read2_b64 v[126:129], v116 offset0:20 offset1:21
	;; [unrolled: 1-line block ×3, first 2 shown]
	v_mul_f64 v[74:75], v[112:113], v[74:75]
	s_waitcnt lgkmcnt(0)
	v_fma_f64 v[72:73], -v[74:75], v[122:123], v[72:73]
	v_fma_f64 v[70:71], -v[74:75], v[124:125], v[70:71]
	ds_read2_b64 v[122:125], v116 offset0:24 offset1:25
	v_fma_f64 v[68:69], -v[74:75], v[126:127], v[68:69]
	v_fma_f64 v[66:67], -v[74:75], v[128:129], v[66:67]
	;; [unrolled: 1-line block ×3, first 2 shown]
	ds_read2_b64 v[126:129], v116 offset0:26 offset1:27
	v_fma_f64 v[62:63], -v[74:75], v[132:133], v[62:63]
	ds_read2_b64 v[130:133], v116 offset0:28 offset1:29
	s_waitcnt lgkmcnt(0)
	v_fma_f64 v[60:61], -v[74:75], v[122:123], v[60:61]
	v_fma_f64 v[58:59], -v[74:75], v[124:125], v[58:59]
	;; [unrolled: 1-line block ×3, first 2 shown]
	ds_read2_b64 v[122:125], v116 offset0:30 offset1:31
	v_fma_f64 v[54:55], -v[74:75], v[128:129], v[54:55]
	ds_read2_b64 v[126:129], v116 offset0:32 offset1:33
	v_fma_f64 v[52:53], -v[74:75], v[130:131], v[52:53]
	v_fma_f64 v[50:51], -v[74:75], v[132:133], v[50:51]
	ds_read2_b64 v[130:133], v116 offset0:34 offset1:35
	s_waitcnt lgkmcnt(0)
	v_fma_f64 v[48:49], -v[74:75], v[122:123], v[48:49]
	v_fma_f64 v[46:47], -v[74:75], v[124:125], v[46:47]
	ds_read2_b64 v[122:125], v116 offset0:36 offset1:37
	v_fma_f64 v[44:45], -v[74:75], v[126:127], v[44:45]
	v_fma_f64 v[42:43], -v[74:75], v[128:129], v[42:43]
	;; [unrolled: 1-line block ×3, first 2 shown]
	ds_read2_b64 v[126:129], v116 offset0:38 offset1:39
	v_fma_f64 v[38:39], -v[74:75], v[132:133], v[38:39]
	ds_read2_b64 v[130:133], v116 offset0:40 offset1:41
	s_waitcnt lgkmcnt(0)
	v_fma_f64 v[36:37], -v[74:75], v[122:123], v[36:37]
	v_fma_f64 v[34:35], -v[74:75], v[124:125], v[34:35]
	;; [unrolled: 1-line block ×3, first 2 shown]
	ds_read2_b64 v[122:125], v116 offset0:42 offset1:43
	v_fma_f64 v[30:31], -v[74:75], v[128:129], v[30:31]
	ds_read2_b64 v[126:129], v116 offset0:44 offset1:45
	v_fma_f64 v[28:29], -v[74:75], v[130:131], v[28:29]
	v_fma_f64 v[26:27], -v[74:75], v[132:133], v[26:27]
	ds_read2_b64 v[130:133], v116 offset0:46 offset1:47
	s_waitcnt lgkmcnt(0)
	v_fma_f64 v[24:25], -v[74:75], v[122:123], v[24:25]
	v_fma_f64 v[22:23], -v[74:75], v[124:125], v[22:23]
	ds_read2_b64 v[122:125], v116 offset0:48 offset1:49
	v_fma_f64 v[20:21], -v[74:75], v[126:127], v[20:21]
	v_fma_f64 v[18:19], -v[74:75], v[128:129], v[18:19]
	;; [unrolled: 1-line block ×3, first 2 shown]
	ds_read2_b64 v[126:129], v116 offset0:50 offset1:51
	v_fma_f64 v[14:15], -v[74:75], v[132:133], v[14:15]
	ds_read2_b64 v[130:133], v116 offset0:52 offset1:53
	s_waitcnt lgkmcnt(0)
	v_fma_f64 v[12:13], -v[74:75], v[122:123], v[12:13]
	v_fma_f64 v[10:11], -v[74:75], v[124:125], v[10:11]
	;; [unrolled: 1-line block ×6, first 2 shown]
.LBB106_301:
	s_or_b64 exec, exec, s[0:1]
	v_lshl_add_u32 v112, v117, 3, v116
	s_barrier
	ds_write_b64 v112, v[72:73]
	s_waitcnt lgkmcnt(0)
	s_barrier
	ds_read_b64 v[112:113], v116 offset:144
	s_cmp_lt_i32 s18, 20
	v_mov_b32_e32 v114, 18
	s_cbranch_scc1 .LBB106_304
; %bb.302:
	v_add_u32_e32 v121, 0x98, v116
	s_mov_b32 s0, 19
	v_mov_b32_e32 v114, 18
.LBB106_303:                            ; =>This Inner Loop Header: Depth=1
	ds_read_b64 v[122:123], v121
	v_mov_b32_e32 v124, s0
	s_add_i32 s0, s0, 1
	v_add_u32_e32 v121, 8, v121
	s_cmp_lg_u32 s18, s0
	s_waitcnt lgkmcnt(0)
	v_cmp_lt_f64_e64 vcc, |v[112:113]|, |v[122:123]|
	v_cndmask_b32_e32 v113, v113, v123, vcc
	v_cndmask_b32_e32 v112, v112, v122, vcc
	;; [unrolled: 1-line block ×3, first 2 shown]
	s_cbranch_scc1 .LBB106_303
.LBB106_304:
	s_waitcnt lgkmcnt(0)
	v_cmp_eq_f64_e32 vcc, 0, v[112:113]
	s_and_saveexec_b64 s[0:1], vcc
	s_xor_b64 s[0:1], exec, s[0:1]
; %bb.305:
	v_cmp_ne_u32_e32 vcc, 0, v120
	v_cndmask_b32_e32 v120, 19, v120, vcc
; %bb.306:
	s_andn2_saveexec_b64 s[0:1], s[0:1]
; %bb.307:
	v_div_scale_f64 v[122:123], s[2:3], v[112:113], v[112:113], 1.0
	v_rcp_f64_e32 v[124:125], v[122:123]
	v_div_scale_f64 v[126:127], vcc, 1.0, v[112:113], 1.0
	v_fma_f64 v[128:129], -v[122:123], v[124:125], 1.0
	v_fmac_f64_e32 v[124:125], v[124:125], v[128:129]
	v_fma_f64 v[128:129], -v[122:123], v[124:125], 1.0
	v_fmac_f64_e32 v[124:125], v[124:125], v[128:129]
	v_mul_f64 v[128:129], v[126:127], v[124:125]
	v_fma_f64 v[122:123], -v[122:123], v[128:129], v[126:127]
	v_div_fmas_f64 v[122:123], v[122:123], v[124:125], v[128:129]
	v_div_fixup_f64 v[112:113], v[122:123], v[112:113], 1.0
; %bb.308:
	s_or_b64 exec, exec, s[0:1]
	v_cmp_ne_u32_e32 vcc, v117, v114
	s_and_saveexec_b64 s[0:1], vcc
	s_xor_b64 s[0:1], exec, s[0:1]
	s_cbranch_execz .LBB106_314
; %bb.309:
	v_cmp_eq_u32_e32 vcc, 18, v117
	s_and_saveexec_b64 s[2:3], vcc
	s_cbranch_execz .LBB106_313
; %bb.310:
	v_cmp_ne_u32_e32 vcc, 18, v114
	s_xor_b64 s[14:15], s[6:7], -1
	s_and_b64 s[16:17], s[14:15], vcc
	s_and_saveexec_b64 s[14:15], s[16:17]
	s_cbranch_execz .LBB106_312
; %bb.311:
	v_ashrrev_i32_e32 v115, 31, v114
	v_lshlrev_b64 v[122:123], 2, v[114:115]
	v_add_co_u32_e32 v122, vcc, v4, v122
	v_addc_co_u32_e32 v123, vcc, v5, v123, vcc
	flat_load_dword v115, v[122:123]
	flat_load_dword v117, v[4:5] offset:72
	s_waitcnt vmcnt(0) lgkmcnt(0)
	flat_store_dword v[4:5], v115 offset:72
	flat_store_dword v[122:123], v117
.LBB106_312:
	s_or_b64 exec, exec, s[14:15]
	v_mov_b32_e32 v115, v114
	v_mov_b32_e32 v117, v114
.LBB106_313:
	s_or_b64 exec, exec, s[2:3]
.LBB106_314:
	s_andn2_saveexec_b64 s[0:1], s[0:1]
	s_cbranch_execz .LBB106_316
; %bb.315:
	v_mov_b32_e32 v117, 18
	ds_write2_b64 v116, v[70:71], v[68:69] offset0:19 offset1:20
	ds_write2_b64 v116, v[66:67], v[64:65] offset0:21 offset1:22
	;; [unrolled: 1-line block ×17, first 2 shown]
	ds_write_b64 v116, v[110:111] offset:424
.LBB106_316:
	s_or_b64 exec, exec, s[0:1]
	v_cmp_lt_i32_e32 vcc, 18, v117
	s_waitcnt lgkmcnt(0)
	s_barrier
	s_and_saveexec_b64 s[0:1], vcc
	s_cbranch_execz .LBB106_318
; %bb.317:
	ds_read2_b64 v[122:125], v116 offset0:19 offset1:20
	ds_read2_b64 v[126:129], v116 offset0:21 offset1:22
	v_mul_f64 v[72:73], v[112:113], v[72:73]
	ds_read2_b64 v[130:133], v116 offset0:23 offset1:24
	ds_read_b64 v[112:113], v116 offset:424
	s_waitcnt lgkmcnt(0)
	v_fma_f64 v[70:71], -v[72:73], v[122:123], v[70:71]
	v_fma_f64 v[68:69], -v[72:73], v[124:125], v[68:69]
	ds_read2_b64 v[122:125], v116 offset0:25 offset1:26
	v_fma_f64 v[66:67], -v[72:73], v[126:127], v[66:67]
	v_fma_f64 v[64:65], -v[72:73], v[128:129], v[64:65]
	ds_read2_b64 v[126:129], v116 offset0:27 offset1:28
	;; [unrolled: 3-line block ×3, first 2 shown]
	s_waitcnt lgkmcnt(0)
	v_fma_f64 v[58:59], -v[72:73], v[122:123], v[58:59]
	v_fma_f64 v[56:57], -v[72:73], v[124:125], v[56:57]
	;; [unrolled: 1-line block ×3, first 2 shown]
	ds_read2_b64 v[122:125], v116 offset0:31 offset1:32
	v_fma_f64 v[52:53], -v[72:73], v[128:129], v[52:53]
	ds_read2_b64 v[126:129], v116 offset0:33 offset1:34
	v_fma_f64 v[50:51], -v[72:73], v[130:131], v[50:51]
	v_fma_f64 v[48:49], -v[72:73], v[132:133], v[48:49]
	s_waitcnt lgkmcnt(0)
	v_fma_f64 v[46:47], -v[72:73], v[122:123], v[46:47]
	ds_read2_b64 v[130:133], v116 offset0:35 offset1:36
	v_fma_f64 v[44:45], -v[72:73], v[124:125], v[44:45]
	ds_read2_b64 v[122:125], v116 offset0:37 offset1:38
	v_fma_f64 v[42:43], -v[72:73], v[126:127], v[42:43]
	v_fma_f64 v[40:41], -v[72:73], v[128:129], v[40:41]
	ds_read2_b64 v[126:129], v116 offset0:39 offset1:40
	s_waitcnt lgkmcnt(0)
	v_fma_f64 v[38:39], -v[72:73], v[130:131], v[38:39]
	v_fma_f64 v[36:37], -v[72:73], v[132:133], v[36:37]
	ds_read2_b64 v[130:133], v116 offset0:41 offset1:42
	v_fma_f64 v[34:35], -v[72:73], v[122:123], v[34:35]
	v_fma_f64 v[32:33], -v[72:73], v[124:125], v[32:33]
	;; [unrolled: 1-line block ×3, first 2 shown]
	ds_read2_b64 v[122:125], v116 offset0:43 offset1:44
	v_fma_f64 v[28:29], -v[72:73], v[128:129], v[28:29]
	ds_read2_b64 v[126:129], v116 offset0:45 offset1:46
	s_waitcnt lgkmcnt(0)
	v_fma_f64 v[26:27], -v[72:73], v[130:131], v[26:27]
	v_fma_f64 v[24:25], -v[72:73], v[132:133], v[24:25]
	;; [unrolled: 1-line block ×3, first 2 shown]
	ds_read2_b64 v[130:133], v116 offset0:47 offset1:48
	v_fma_f64 v[20:21], -v[72:73], v[124:125], v[20:21]
	ds_read2_b64 v[122:125], v116 offset0:49 offset1:50
	v_fma_f64 v[18:19], -v[72:73], v[126:127], v[18:19]
	v_fma_f64 v[16:17], -v[72:73], v[128:129], v[16:17]
	ds_read2_b64 v[126:129], v116 offset0:51 offset1:52
	s_waitcnt lgkmcnt(0)
	v_fma_f64 v[14:15], -v[72:73], v[130:131], v[14:15]
	v_fma_f64 v[12:13], -v[72:73], v[132:133], v[12:13]
	;; [unrolled: 1-line block ×7, first 2 shown]
.LBB106_318:
	s_or_b64 exec, exec, s[0:1]
	v_lshl_add_u32 v112, v117, 3, v116
	s_barrier
	ds_write_b64 v112, v[70:71]
	s_waitcnt lgkmcnt(0)
	s_barrier
	ds_read_b64 v[112:113], v116 offset:152
	s_cmp_lt_i32 s18, 21
	v_mov_b32_e32 v114, 19
	s_cbranch_scc1 .LBB106_321
; %bb.319:
	v_add_u32_e32 v121, 0xa0, v116
	s_mov_b32 s0, 20
	v_mov_b32_e32 v114, 19
.LBB106_320:                            ; =>This Inner Loop Header: Depth=1
	ds_read_b64 v[122:123], v121
	v_mov_b32_e32 v124, s0
	s_add_i32 s0, s0, 1
	v_add_u32_e32 v121, 8, v121
	s_cmp_lg_u32 s18, s0
	s_waitcnt lgkmcnt(0)
	v_cmp_lt_f64_e64 vcc, |v[112:113]|, |v[122:123]|
	v_cndmask_b32_e32 v113, v113, v123, vcc
	v_cndmask_b32_e32 v112, v112, v122, vcc
	;; [unrolled: 1-line block ×3, first 2 shown]
	s_cbranch_scc1 .LBB106_320
.LBB106_321:
	s_waitcnt lgkmcnt(0)
	v_cmp_eq_f64_e32 vcc, 0, v[112:113]
	s_and_saveexec_b64 s[0:1], vcc
	s_xor_b64 s[0:1], exec, s[0:1]
; %bb.322:
	v_cmp_ne_u32_e32 vcc, 0, v120
	v_cndmask_b32_e32 v120, 20, v120, vcc
; %bb.323:
	s_andn2_saveexec_b64 s[0:1], s[0:1]
; %bb.324:
	v_div_scale_f64 v[122:123], s[2:3], v[112:113], v[112:113], 1.0
	v_rcp_f64_e32 v[124:125], v[122:123]
	v_div_scale_f64 v[126:127], vcc, 1.0, v[112:113], 1.0
	v_fma_f64 v[128:129], -v[122:123], v[124:125], 1.0
	v_fmac_f64_e32 v[124:125], v[124:125], v[128:129]
	v_fma_f64 v[128:129], -v[122:123], v[124:125], 1.0
	v_fmac_f64_e32 v[124:125], v[124:125], v[128:129]
	v_mul_f64 v[128:129], v[126:127], v[124:125]
	v_fma_f64 v[122:123], -v[122:123], v[128:129], v[126:127]
	v_div_fmas_f64 v[122:123], v[122:123], v[124:125], v[128:129]
	v_div_fixup_f64 v[112:113], v[122:123], v[112:113], 1.0
; %bb.325:
	s_or_b64 exec, exec, s[0:1]
	v_cmp_ne_u32_e32 vcc, v117, v114
	s_and_saveexec_b64 s[0:1], vcc
	s_xor_b64 s[0:1], exec, s[0:1]
	s_cbranch_execz .LBB106_331
; %bb.326:
	v_cmp_eq_u32_e32 vcc, 19, v117
	s_and_saveexec_b64 s[2:3], vcc
	s_cbranch_execz .LBB106_330
; %bb.327:
	v_cmp_ne_u32_e32 vcc, 19, v114
	s_xor_b64 s[14:15], s[6:7], -1
	s_and_b64 s[16:17], s[14:15], vcc
	s_and_saveexec_b64 s[14:15], s[16:17]
	s_cbranch_execz .LBB106_329
; %bb.328:
	v_ashrrev_i32_e32 v115, 31, v114
	v_lshlrev_b64 v[122:123], 2, v[114:115]
	v_add_co_u32_e32 v122, vcc, v4, v122
	v_addc_co_u32_e32 v123, vcc, v5, v123, vcc
	flat_load_dword v115, v[122:123]
	flat_load_dword v117, v[4:5] offset:76
	s_waitcnt vmcnt(0) lgkmcnt(0)
	flat_store_dword v[4:5], v115 offset:76
	flat_store_dword v[122:123], v117
.LBB106_329:
	s_or_b64 exec, exec, s[14:15]
	v_mov_b32_e32 v115, v114
	v_mov_b32_e32 v117, v114
.LBB106_330:
	s_or_b64 exec, exec, s[2:3]
.LBB106_331:
	s_andn2_saveexec_b64 s[0:1], s[0:1]
	s_cbranch_execz .LBB106_333
; %bb.332:
	v_mov_b32_e32 v122, v68
	v_mov_b32_e32 v123, v69
	v_mov_b32_e32 v124, v66
	v_mov_b32_e32 v125, v67
	ds_write2_b64 v116, v[122:123], v[124:125] offset0:20 offset1:21
	v_mov_b32_e32 v122, v64
	v_mov_b32_e32 v123, v65
	v_mov_b32_e32 v124, v62
	v_mov_b32_e32 v125, v63
	ds_write2_b64 v116, v[122:123], v[124:125] offset0:22 offset1:23
	;; [unrolled: 5-line block ×16, first 2 shown]
	v_mov_b32_e32 v122, v0
	v_mov_b32_e32 v123, v1
	;; [unrolled: 1-line block ×3, first 2 shown]
	ds_write2_b64 v116, v[122:123], v[110:111] offset0:52 offset1:53
.LBB106_333:
	s_or_b64 exec, exec, s[0:1]
	v_cmp_lt_i32_e32 vcc, 19, v117
	s_waitcnt lgkmcnt(0)
	s_barrier
	s_and_saveexec_b64 s[0:1], vcc
	s_cbranch_execz .LBB106_335
; %bb.334:
	ds_read2_b64 v[122:125], v116 offset0:20 offset1:21
	ds_read2_b64 v[126:129], v116 offset0:22 offset1:23
	v_mul_f64 v[70:71], v[112:113], v[70:71]
	ds_read2_b64 v[130:133], v116 offset0:24 offset1:25
	s_waitcnt lgkmcnt(0)
	v_fma_f64 v[68:69], -v[70:71], v[122:123], v[68:69]
	v_fma_f64 v[66:67], -v[70:71], v[124:125], v[66:67]
	ds_read2_b64 v[122:125], v116 offset0:26 offset1:27
	v_fma_f64 v[64:65], -v[70:71], v[126:127], v[64:65]
	v_fma_f64 v[62:63], -v[70:71], v[128:129], v[62:63]
	ds_read2_b64 v[126:129], v116 offset0:28 offset1:29
	v_fma_f64 v[60:61], -v[70:71], v[130:131], v[60:61]
	v_fma_f64 v[58:59], -v[70:71], v[132:133], v[58:59]
	ds_read2_b64 v[130:133], v116 offset0:30 offset1:31
	s_waitcnt lgkmcnt(0)
	v_fma_f64 v[56:57], -v[70:71], v[122:123], v[56:57]
	v_fma_f64 v[54:55], -v[70:71], v[124:125], v[54:55]
	;; [unrolled: 1-line block ×3, first 2 shown]
	ds_read2_b64 v[122:125], v116 offset0:32 offset1:33
	v_fma_f64 v[50:51], -v[70:71], v[128:129], v[50:51]
	ds_read2_b64 v[126:129], v116 offset0:34 offset1:35
	v_fma_f64 v[48:49], -v[70:71], v[130:131], v[48:49]
	v_fma_f64 v[46:47], -v[70:71], v[132:133], v[46:47]
	s_waitcnt lgkmcnt(0)
	v_fma_f64 v[44:45], -v[70:71], v[122:123], v[44:45]
	ds_read2_b64 v[130:133], v116 offset0:36 offset1:37
	v_fma_f64 v[42:43], -v[70:71], v[124:125], v[42:43]
	ds_read2_b64 v[122:125], v116 offset0:38 offset1:39
	v_fma_f64 v[40:41], -v[70:71], v[126:127], v[40:41]
	v_fma_f64 v[38:39], -v[70:71], v[128:129], v[38:39]
	ds_read2_b64 v[126:129], v116 offset0:40 offset1:41
	s_waitcnt lgkmcnt(0)
	v_fma_f64 v[36:37], -v[70:71], v[130:131], v[36:37]
	v_fma_f64 v[34:35], -v[70:71], v[132:133], v[34:35]
	ds_read2_b64 v[130:133], v116 offset0:42 offset1:43
	v_fma_f64 v[32:33], -v[70:71], v[122:123], v[32:33]
	v_fma_f64 v[30:31], -v[70:71], v[124:125], v[30:31]
	;; [unrolled: 1-line block ×3, first 2 shown]
	ds_read2_b64 v[122:125], v116 offset0:44 offset1:45
	v_fma_f64 v[26:27], -v[70:71], v[128:129], v[26:27]
	ds_read2_b64 v[126:129], v116 offset0:46 offset1:47
	s_waitcnt lgkmcnt(0)
	v_fma_f64 v[24:25], -v[70:71], v[130:131], v[24:25]
	v_fma_f64 v[22:23], -v[70:71], v[132:133], v[22:23]
	;; [unrolled: 1-line block ×4, first 2 shown]
	ds_read2_b64 v[122:125], v116 offset0:48 offset1:49
	ds_read2_b64 v[130:133], v116 offset0:50 offset1:51
	v_fma_f64 v[16:17], -v[70:71], v[126:127], v[16:17]
	v_fma_f64 v[14:15], -v[70:71], v[128:129], v[14:15]
	ds_read2_b64 v[126:129], v116 offset0:52 offset1:53
	s_waitcnt lgkmcnt(0)
	v_fma_f64 v[12:13], -v[70:71], v[122:123], v[12:13]
	v_fma_f64 v[10:11], -v[70:71], v[124:125], v[10:11]
	;; [unrolled: 1-line block ×6, first 2 shown]
.LBB106_335:
	s_or_b64 exec, exec, s[0:1]
	v_lshl_add_u32 v112, v117, 3, v116
	s_barrier
	ds_write_b64 v112, v[68:69]
	s_waitcnt lgkmcnt(0)
	s_barrier
	ds_read_b64 v[112:113], v116 offset:160
	s_cmp_lt_i32 s18, 22
	v_mov_b32_e32 v114, 20
	s_cbranch_scc1 .LBB106_338
; %bb.336:
	v_add_u32_e32 v121, 0xa8, v116
	s_mov_b32 s0, 21
	v_mov_b32_e32 v114, 20
.LBB106_337:                            ; =>This Inner Loop Header: Depth=1
	ds_read_b64 v[122:123], v121
	v_mov_b32_e32 v124, s0
	s_add_i32 s0, s0, 1
	v_add_u32_e32 v121, 8, v121
	s_cmp_lg_u32 s18, s0
	s_waitcnt lgkmcnt(0)
	v_cmp_lt_f64_e64 vcc, |v[112:113]|, |v[122:123]|
	v_cndmask_b32_e32 v113, v113, v123, vcc
	v_cndmask_b32_e32 v112, v112, v122, vcc
	;; [unrolled: 1-line block ×3, first 2 shown]
	s_cbranch_scc1 .LBB106_337
.LBB106_338:
	s_waitcnt lgkmcnt(0)
	v_cmp_eq_f64_e32 vcc, 0, v[112:113]
	s_and_saveexec_b64 s[0:1], vcc
	s_xor_b64 s[0:1], exec, s[0:1]
; %bb.339:
	v_cmp_ne_u32_e32 vcc, 0, v120
	v_cndmask_b32_e32 v120, 21, v120, vcc
; %bb.340:
	s_andn2_saveexec_b64 s[0:1], s[0:1]
; %bb.341:
	v_div_scale_f64 v[122:123], s[2:3], v[112:113], v[112:113], 1.0
	v_rcp_f64_e32 v[124:125], v[122:123]
	v_div_scale_f64 v[126:127], vcc, 1.0, v[112:113], 1.0
	v_fma_f64 v[128:129], -v[122:123], v[124:125], 1.0
	v_fmac_f64_e32 v[124:125], v[124:125], v[128:129]
	v_fma_f64 v[128:129], -v[122:123], v[124:125], 1.0
	v_fmac_f64_e32 v[124:125], v[124:125], v[128:129]
	v_mul_f64 v[128:129], v[126:127], v[124:125]
	v_fma_f64 v[122:123], -v[122:123], v[128:129], v[126:127]
	v_div_fmas_f64 v[122:123], v[122:123], v[124:125], v[128:129]
	v_div_fixup_f64 v[112:113], v[122:123], v[112:113], 1.0
; %bb.342:
	s_or_b64 exec, exec, s[0:1]
	v_cmp_ne_u32_e32 vcc, v117, v114
	s_and_saveexec_b64 s[0:1], vcc
	s_xor_b64 s[0:1], exec, s[0:1]
	s_cbranch_execz .LBB106_348
; %bb.343:
	v_cmp_eq_u32_e32 vcc, 20, v117
	s_and_saveexec_b64 s[2:3], vcc
	s_cbranch_execz .LBB106_347
; %bb.344:
	v_cmp_ne_u32_e32 vcc, 20, v114
	s_xor_b64 s[14:15], s[6:7], -1
	s_and_b64 s[16:17], s[14:15], vcc
	s_and_saveexec_b64 s[14:15], s[16:17]
	s_cbranch_execz .LBB106_346
; %bb.345:
	v_ashrrev_i32_e32 v115, 31, v114
	v_lshlrev_b64 v[122:123], 2, v[114:115]
	v_add_co_u32_e32 v122, vcc, v4, v122
	v_addc_co_u32_e32 v123, vcc, v5, v123, vcc
	flat_load_dword v115, v[122:123]
	flat_load_dword v117, v[4:5] offset:80
	s_waitcnt vmcnt(0) lgkmcnt(0)
	flat_store_dword v[4:5], v115 offset:80
	flat_store_dword v[122:123], v117
.LBB106_346:
	s_or_b64 exec, exec, s[14:15]
	v_mov_b32_e32 v115, v114
	v_mov_b32_e32 v117, v114
.LBB106_347:
	s_or_b64 exec, exec, s[2:3]
.LBB106_348:
	s_andn2_saveexec_b64 s[0:1], s[0:1]
	s_cbranch_execz .LBB106_350
; %bb.349:
	v_mov_b32_e32 v117, 20
	ds_write2_b64 v116, v[66:67], v[64:65] offset0:21 offset1:22
	ds_write2_b64 v116, v[62:63], v[60:61] offset0:23 offset1:24
	;; [unrolled: 1-line block ×16, first 2 shown]
	ds_write_b64 v116, v[110:111] offset:424
.LBB106_350:
	s_or_b64 exec, exec, s[0:1]
	v_cmp_lt_i32_e32 vcc, 20, v117
	s_waitcnt lgkmcnt(0)
	s_barrier
	s_and_saveexec_b64 s[0:1], vcc
	s_cbranch_execz .LBB106_352
; %bb.351:
	ds_read2_b64 v[122:125], v116 offset0:21 offset1:22
	ds_read2_b64 v[126:129], v116 offset0:23 offset1:24
	v_mul_f64 v[68:69], v[112:113], v[68:69]
	ds_read2_b64 v[130:133], v116 offset0:25 offset1:26
	ds_read_b64 v[112:113], v116 offset:424
	s_waitcnt lgkmcnt(0)
	v_fma_f64 v[66:67], -v[68:69], v[122:123], v[66:67]
	v_fma_f64 v[64:65], -v[68:69], v[124:125], v[64:65]
	ds_read2_b64 v[122:125], v116 offset0:27 offset1:28
	v_fma_f64 v[62:63], -v[68:69], v[126:127], v[62:63]
	v_fma_f64 v[60:61], -v[68:69], v[128:129], v[60:61]
	v_fma_f64 v[58:59], -v[68:69], v[130:131], v[58:59]
	ds_read2_b64 v[126:129], v116 offset0:29 offset1:30
	v_fma_f64 v[56:57], -v[68:69], v[132:133], v[56:57]
	ds_read2_b64 v[130:133], v116 offset0:31 offset1:32
	s_waitcnt lgkmcnt(0)
	v_fma_f64 v[54:55], -v[68:69], v[122:123], v[54:55]
	v_fma_f64 v[52:53], -v[68:69], v[124:125], v[52:53]
	ds_read2_b64 v[122:125], v116 offset0:33 offset1:34
	v_fma_f64 v[50:51], -v[68:69], v[126:127], v[50:51]
	v_fma_f64 v[48:49], -v[68:69], v[128:129], v[48:49]
	ds_read2_b64 v[126:129], v116 offset0:35 offset1:36
	v_fma_f64 v[46:47], -v[68:69], v[130:131], v[46:47]
	v_fma_f64 v[44:45], -v[68:69], v[132:133], v[44:45]
	s_waitcnt lgkmcnt(0)
	v_fma_f64 v[42:43], -v[68:69], v[122:123], v[42:43]
	ds_read2_b64 v[130:133], v116 offset0:37 offset1:38
	v_fma_f64 v[40:41], -v[68:69], v[124:125], v[40:41]
	ds_read2_b64 v[122:125], v116 offset0:39 offset1:40
	v_fma_f64 v[38:39], -v[68:69], v[126:127], v[38:39]
	v_fma_f64 v[36:37], -v[68:69], v[128:129], v[36:37]
	s_waitcnt lgkmcnt(0)
	v_fma_f64 v[34:35], -v[68:69], v[130:131], v[34:35]
	ds_read2_b64 v[126:129], v116 offset0:41 offset1:42
	v_fma_f64 v[32:33], -v[68:69], v[132:133], v[32:33]
	ds_read2_b64 v[130:133], v116 offset0:43 offset1:44
	v_fma_f64 v[30:31], -v[68:69], v[122:123], v[30:31]
	v_fma_f64 v[28:29], -v[68:69], v[124:125], v[28:29]
	ds_read2_b64 v[122:125], v116 offset0:45 offset1:46
	s_waitcnt lgkmcnt(0)
	v_fma_f64 v[26:27], -v[68:69], v[126:127], v[26:27]
	v_fma_f64 v[24:25], -v[68:69], v[128:129], v[24:25]
	ds_read2_b64 v[126:129], v116 offset0:47 offset1:48
	v_fma_f64 v[22:23], -v[68:69], v[130:131], v[22:23]
	v_fma_f64 v[20:21], -v[68:69], v[132:133], v[20:21]
	v_fma_f64 v[18:19], -v[68:69], v[122:123], v[18:19]
	v_fma_f64 v[16:17], -v[68:69], v[124:125], v[16:17]
	ds_read2_b64 v[122:125], v116 offset0:49 offset1:50
	ds_read2_b64 v[130:133], v116 offset0:51 offset1:52
	s_waitcnt lgkmcnt(0)
	v_fma_f64 v[14:15], -v[68:69], v[126:127], v[14:15]
	v_fma_f64 v[12:13], -v[68:69], v[128:129], v[12:13]
	;; [unrolled: 1-line block ×7, first 2 shown]
.LBB106_352:
	s_or_b64 exec, exec, s[0:1]
	v_lshl_add_u32 v112, v117, 3, v116
	s_barrier
	ds_write_b64 v112, v[66:67]
	s_waitcnt lgkmcnt(0)
	s_barrier
	ds_read_b64 v[112:113], v116 offset:168
	s_cmp_lt_i32 s18, 23
	v_mov_b32_e32 v114, 21
	s_cbranch_scc1 .LBB106_355
; %bb.353:
	v_add_u32_e32 v121, 0xb0, v116
	s_mov_b32 s0, 22
	v_mov_b32_e32 v114, 21
.LBB106_354:                            ; =>This Inner Loop Header: Depth=1
	ds_read_b64 v[122:123], v121
	v_mov_b32_e32 v124, s0
	s_add_i32 s0, s0, 1
	v_add_u32_e32 v121, 8, v121
	s_cmp_lg_u32 s18, s0
	s_waitcnt lgkmcnt(0)
	v_cmp_lt_f64_e64 vcc, |v[112:113]|, |v[122:123]|
	v_cndmask_b32_e32 v113, v113, v123, vcc
	v_cndmask_b32_e32 v112, v112, v122, vcc
	;; [unrolled: 1-line block ×3, first 2 shown]
	s_cbranch_scc1 .LBB106_354
.LBB106_355:
	s_waitcnt lgkmcnt(0)
	v_cmp_eq_f64_e32 vcc, 0, v[112:113]
	s_and_saveexec_b64 s[0:1], vcc
	s_xor_b64 s[0:1], exec, s[0:1]
; %bb.356:
	v_cmp_ne_u32_e32 vcc, 0, v120
	v_cndmask_b32_e32 v120, 22, v120, vcc
; %bb.357:
	s_andn2_saveexec_b64 s[0:1], s[0:1]
; %bb.358:
	v_div_scale_f64 v[122:123], s[2:3], v[112:113], v[112:113], 1.0
	v_rcp_f64_e32 v[124:125], v[122:123]
	v_div_scale_f64 v[126:127], vcc, 1.0, v[112:113], 1.0
	v_fma_f64 v[128:129], -v[122:123], v[124:125], 1.0
	v_fmac_f64_e32 v[124:125], v[124:125], v[128:129]
	v_fma_f64 v[128:129], -v[122:123], v[124:125], 1.0
	v_fmac_f64_e32 v[124:125], v[124:125], v[128:129]
	v_mul_f64 v[128:129], v[126:127], v[124:125]
	v_fma_f64 v[122:123], -v[122:123], v[128:129], v[126:127]
	v_div_fmas_f64 v[122:123], v[122:123], v[124:125], v[128:129]
	v_div_fixup_f64 v[112:113], v[122:123], v[112:113], 1.0
; %bb.359:
	s_or_b64 exec, exec, s[0:1]
	v_cmp_ne_u32_e32 vcc, v117, v114
	s_and_saveexec_b64 s[0:1], vcc
	s_xor_b64 s[0:1], exec, s[0:1]
	s_cbranch_execz .LBB106_365
; %bb.360:
	v_cmp_eq_u32_e32 vcc, 21, v117
	s_and_saveexec_b64 s[2:3], vcc
	s_cbranch_execz .LBB106_364
; %bb.361:
	v_cmp_ne_u32_e32 vcc, 21, v114
	s_xor_b64 s[14:15], s[6:7], -1
	s_and_b64 s[16:17], s[14:15], vcc
	s_and_saveexec_b64 s[14:15], s[16:17]
	s_cbranch_execz .LBB106_363
; %bb.362:
	v_ashrrev_i32_e32 v115, 31, v114
	v_lshlrev_b64 v[122:123], 2, v[114:115]
	v_add_co_u32_e32 v122, vcc, v4, v122
	v_addc_co_u32_e32 v123, vcc, v5, v123, vcc
	flat_load_dword v115, v[122:123]
	flat_load_dword v117, v[4:5] offset:84
	s_waitcnt vmcnt(0) lgkmcnt(0)
	flat_store_dword v[4:5], v115 offset:84
	flat_store_dword v[122:123], v117
.LBB106_363:
	s_or_b64 exec, exec, s[14:15]
	v_mov_b32_e32 v115, v114
	v_mov_b32_e32 v117, v114
.LBB106_364:
	s_or_b64 exec, exec, s[2:3]
.LBB106_365:
	s_andn2_saveexec_b64 s[0:1], s[0:1]
	s_cbranch_execz .LBB106_367
; %bb.366:
	v_mov_b32_e32 v122, v64
	v_mov_b32_e32 v123, v65
	v_mov_b32_e32 v124, v62
	v_mov_b32_e32 v125, v63
	ds_write2_b64 v116, v[122:123], v[124:125] offset0:22 offset1:23
	v_mov_b32_e32 v122, v60
	v_mov_b32_e32 v123, v61
	v_mov_b32_e32 v124, v58
	v_mov_b32_e32 v125, v59
	ds_write2_b64 v116, v[122:123], v[124:125] offset0:24 offset1:25
	;; [unrolled: 5-line block ×15, first 2 shown]
	v_mov_b32_e32 v122, v0
	v_mov_b32_e32 v123, v1
	;; [unrolled: 1-line block ×3, first 2 shown]
	ds_write2_b64 v116, v[122:123], v[110:111] offset0:52 offset1:53
.LBB106_367:
	s_or_b64 exec, exec, s[0:1]
	v_cmp_lt_i32_e32 vcc, 21, v117
	s_waitcnt lgkmcnt(0)
	s_barrier
	s_and_saveexec_b64 s[0:1], vcc
	s_cbranch_execz .LBB106_369
; %bb.368:
	ds_read2_b64 v[122:125], v116 offset0:22 offset1:23
	ds_read2_b64 v[126:129], v116 offset0:24 offset1:25
	v_mul_f64 v[66:67], v[112:113], v[66:67]
	ds_read2_b64 v[130:133], v116 offset0:26 offset1:27
	s_waitcnt lgkmcnt(0)
	v_fma_f64 v[64:65], -v[66:67], v[122:123], v[64:65]
	v_fma_f64 v[62:63], -v[66:67], v[124:125], v[62:63]
	ds_read2_b64 v[122:125], v116 offset0:28 offset1:29
	v_fma_f64 v[60:61], -v[66:67], v[126:127], v[60:61]
	v_fma_f64 v[58:59], -v[66:67], v[128:129], v[58:59]
	;; [unrolled: 1-line block ×3, first 2 shown]
	ds_read2_b64 v[126:129], v116 offset0:30 offset1:31
	v_fma_f64 v[54:55], -v[66:67], v[132:133], v[54:55]
	ds_read2_b64 v[130:133], v116 offset0:32 offset1:33
	s_waitcnt lgkmcnt(0)
	v_fma_f64 v[52:53], -v[66:67], v[122:123], v[52:53]
	v_fma_f64 v[50:51], -v[66:67], v[124:125], v[50:51]
	ds_read2_b64 v[122:125], v116 offset0:34 offset1:35
	v_fma_f64 v[48:49], -v[66:67], v[126:127], v[48:49]
	v_fma_f64 v[46:47], -v[66:67], v[128:129], v[46:47]
	ds_read2_b64 v[126:129], v116 offset0:36 offset1:37
	v_fma_f64 v[44:45], -v[66:67], v[130:131], v[44:45]
	v_fma_f64 v[42:43], -v[66:67], v[132:133], v[42:43]
	s_waitcnt lgkmcnt(0)
	v_fma_f64 v[40:41], -v[66:67], v[122:123], v[40:41]
	ds_read2_b64 v[130:133], v116 offset0:38 offset1:39
	v_fma_f64 v[38:39], -v[66:67], v[124:125], v[38:39]
	ds_read2_b64 v[122:125], v116 offset0:40 offset1:41
	v_fma_f64 v[36:37], -v[66:67], v[126:127], v[36:37]
	v_fma_f64 v[34:35], -v[66:67], v[128:129], v[34:35]
	s_waitcnt lgkmcnt(0)
	v_fma_f64 v[32:33], -v[66:67], v[130:131], v[32:33]
	ds_read2_b64 v[126:129], v116 offset0:42 offset1:43
	v_fma_f64 v[30:31], -v[66:67], v[132:133], v[30:31]
	ds_read2_b64 v[130:133], v116 offset0:44 offset1:45
	v_fma_f64 v[28:29], -v[66:67], v[122:123], v[28:29]
	v_fma_f64 v[26:27], -v[66:67], v[124:125], v[26:27]
	ds_read2_b64 v[122:125], v116 offset0:46 offset1:47
	s_waitcnt lgkmcnt(0)
	v_fma_f64 v[24:25], -v[66:67], v[126:127], v[24:25]
	v_fma_f64 v[22:23], -v[66:67], v[128:129], v[22:23]
	ds_read2_b64 v[126:129], v116 offset0:48 offset1:49
	v_fma_f64 v[20:21], -v[66:67], v[130:131], v[20:21]
	v_fma_f64 v[18:19], -v[66:67], v[132:133], v[18:19]
	;; [unrolled: 1-line block ×3, first 2 shown]
	ds_read2_b64 v[130:133], v116 offset0:50 offset1:51
	v_fma_f64 v[14:15], -v[66:67], v[124:125], v[14:15]
	ds_read2_b64 v[122:125], v116 offset0:52 offset1:53
	s_waitcnt lgkmcnt(0)
	v_fma_f64 v[12:13], -v[66:67], v[126:127], v[12:13]
	v_fma_f64 v[10:11], -v[66:67], v[128:129], v[10:11]
	;; [unrolled: 1-line block ×6, first 2 shown]
.LBB106_369:
	s_or_b64 exec, exec, s[0:1]
	v_lshl_add_u32 v112, v117, 3, v116
	s_barrier
	ds_write_b64 v112, v[64:65]
	s_waitcnt lgkmcnt(0)
	s_barrier
	ds_read_b64 v[112:113], v116 offset:176
	s_cmp_lt_i32 s18, 24
	v_mov_b32_e32 v114, 22
	s_cbranch_scc1 .LBB106_372
; %bb.370:
	v_add_u32_e32 v121, 0xb8, v116
	s_mov_b32 s0, 23
	v_mov_b32_e32 v114, 22
.LBB106_371:                            ; =>This Inner Loop Header: Depth=1
	ds_read_b64 v[122:123], v121
	v_mov_b32_e32 v124, s0
	s_add_i32 s0, s0, 1
	v_add_u32_e32 v121, 8, v121
	s_cmp_lg_u32 s18, s0
	s_waitcnt lgkmcnt(0)
	v_cmp_lt_f64_e64 vcc, |v[112:113]|, |v[122:123]|
	v_cndmask_b32_e32 v113, v113, v123, vcc
	v_cndmask_b32_e32 v112, v112, v122, vcc
	;; [unrolled: 1-line block ×3, first 2 shown]
	s_cbranch_scc1 .LBB106_371
.LBB106_372:
	s_waitcnt lgkmcnt(0)
	v_cmp_eq_f64_e32 vcc, 0, v[112:113]
	s_and_saveexec_b64 s[0:1], vcc
	s_xor_b64 s[0:1], exec, s[0:1]
; %bb.373:
	v_cmp_ne_u32_e32 vcc, 0, v120
	v_cndmask_b32_e32 v120, 23, v120, vcc
; %bb.374:
	s_andn2_saveexec_b64 s[0:1], s[0:1]
; %bb.375:
	v_div_scale_f64 v[122:123], s[2:3], v[112:113], v[112:113], 1.0
	v_rcp_f64_e32 v[124:125], v[122:123]
	v_div_scale_f64 v[126:127], vcc, 1.0, v[112:113], 1.0
	v_fma_f64 v[128:129], -v[122:123], v[124:125], 1.0
	v_fmac_f64_e32 v[124:125], v[124:125], v[128:129]
	v_fma_f64 v[128:129], -v[122:123], v[124:125], 1.0
	v_fmac_f64_e32 v[124:125], v[124:125], v[128:129]
	v_mul_f64 v[128:129], v[126:127], v[124:125]
	v_fma_f64 v[122:123], -v[122:123], v[128:129], v[126:127]
	v_div_fmas_f64 v[122:123], v[122:123], v[124:125], v[128:129]
	v_div_fixup_f64 v[112:113], v[122:123], v[112:113], 1.0
; %bb.376:
	s_or_b64 exec, exec, s[0:1]
	v_cmp_ne_u32_e32 vcc, v117, v114
	s_and_saveexec_b64 s[0:1], vcc
	s_xor_b64 s[0:1], exec, s[0:1]
	s_cbranch_execz .LBB106_382
; %bb.377:
	v_cmp_eq_u32_e32 vcc, 22, v117
	s_and_saveexec_b64 s[2:3], vcc
	s_cbranch_execz .LBB106_381
; %bb.378:
	v_cmp_ne_u32_e32 vcc, 22, v114
	s_xor_b64 s[14:15], s[6:7], -1
	s_and_b64 s[16:17], s[14:15], vcc
	s_and_saveexec_b64 s[14:15], s[16:17]
	s_cbranch_execz .LBB106_380
; %bb.379:
	v_ashrrev_i32_e32 v115, 31, v114
	v_lshlrev_b64 v[122:123], 2, v[114:115]
	v_add_co_u32_e32 v122, vcc, v4, v122
	v_addc_co_u32_e32 v123, vcc, v5, v123, vcc
	flat_load_dword v115, v[122:123]
	flat_load_dword v117, v[4:5] offset:88
	s_waitcnt vmcnt(0) lgkmcnt(0)
	flat_store_dword v[4:5], v115 offset:88
	flat_store_dword v[122:123], v117
.LBB106_380:
	s_or_b64 exec, exec, s[14:15]
	v_mov_b32_e32 v115, v114
	v_mov_b32_e32 v117, v114
.LBB106_381:
	s_or_b64 exec, exec, s[2:3]
.LBB106_382:
	s_andn2_saveexec_b64 s[0:1], s[0:1]
	s_cbranch_execz .LBB106_384
; %bb.383:
	v_mov_b32_e32 v117, 22
	ds_write2_b64 v116, v[62:63], v[60:61] offset0:23 offset1:24
	ds_write2_b64 v116, v[58:59], v[56:57] offset0:25 offset1:26
	;; [unrolled: 1-line block ×15, first 2 shown]
	ds_write_b64 v116, v[110:111] offset:424
.LBB106_384:
	s_or_b64 exec, exec, s[0:1]
	v_cmp_lt_i32_e32 vcc, 22, v117
	s_waitcnt lgkmcnt(0)
	s_barrier
	s_and_saveexec_b64 s[0:1], vcc
	s_cbranch_execz .LBB106_386
; %bb.385:
	ds_read2_b64 v[122:125], v116 offset0:23 offset1:24
	ds_read2_b64 v[126:129], v116 offset0:25 offset1:26
	ds_read2_b64 v[130:133], v116 offset0:27 offset1:28
	v_mul_f64 v[64:65], v[112:113], v[64:65]
	ds_read_b64 v[112:113], v116 offset:424
	s_waitcnt lgkmcnt(0)
	v_fma_f64 v[62:63], -v[64:65], v[122:123], v[62:63]
	v_fma_f64 v[60:61], -v[64:65], v[124:125], v[60:61]
	ds_read2_b64 v[122:125], v116 offset0:29 offset1:30
	v_fma_f64 v[58:59], -v[64:65], v[126:127], v[58:59]
	v_fma_f64 v[56:57], -v[64:65], v[128:129], v[56:57]
	v_fma_f64 v[54:55], -v[64:65], v[130:131], v[54:55]
	ds_read2_b64 v[126:129], v116 offset0:31 offset1:32
	v_fma_f64 v[52:53], -v[64:65], v[132:133], v[52:53]
	ds_read2_b64 v[130:133], v116 offset0:33 offset1:34
	s_waitcnt lgkmcnt(0)
	v_fma_f64 v[50:51], -v[64:65], v[122:123], v[50:51]
	v_fma_f64 v[48:49], -v[64:65], v[124:125], v[48:49]
	;; [unrolled: 1-line block ×3, first 2 shown]
	ds_read2_b64 v[122:125], v116 offset0:35 offset1:36
	v_fma_f64 v[44:45], -v[64:65], v[128:129], v[44:45]
	ds_read2_b64 v[126:129], v116 offset0:37 offset1:38
	v_fma_f64 v[42:43], -v[64:65], v[130:131], v[42:43]
	v_fma_f64 v[40:41], -v[64:65], v[132:133], v[40:41]
	ds_read2_b64 v[130:133], v116 offset0:39 offset1:40
	s_waitcnt lgkmcnt(0)
	v_fma_f64 v[38:39], -v[64:65], v[122:123], v[38:39]
	v_fma_f64 v[36:37], -v[64:65], v[124:125], v[36:37]
	ds_read2_b64 v[122:125], v116 offset0:41 offset1:42
	v_fma_f64 v[34:35], -v[64:65], v[126:127], v[34:35]
	v_fma_f64 v[32:33], -v[64:65], v[128:129], v[32:33]
	;; [unrolled: 1-line block ×3, first 2 shown]
	ds_read2_b64 v[126:129], v116 offset0:43 offset1:44
	v_fma_f64 v[28:29], -v[64:65], v[132:133], v[28:29]
	ds_read2_b64 v[130:133], v116 offset0:45 offset1:46
	s_waitcnt lgkmcnt(0)
	v_fma_f64 v[26:27], -v[64:65], v[122:123], v[26:27]
	v_fma_f64 v[24:25], -v[64:65], v[124:125], v[24:25]
	v_fma_f64 v[22:23], -v[64:65], v[126:127], v[22:23]
	ds_read2_b64 v[122:125], v116 offset0:47 offset1:48
	v_fma_f64 v[20:21], -v[64:65], v[128:129], v[20:21]
	ds_read2_b64 v[126:129], v116 offset0:49 offset1:50
	v_fma_f64 v[18:19], -v[64:65], v[130:131], v[18:19]
	v_fma_f64 v[16:17], -v[64:65], v[132:133], v[16:17]
	ds_read2_b64 v[130:133], v116 offset0:51 offset1:52
	s_waitcnt lgkmcnt(0)
	v_fma_f64 v[14:15], -v[64:65], v[122:123], v[14:15]
	v_fma_f64 v[12:13], -v[64:65], v[124:125], v[12:13]
	v_fma_f64 v[10:11], -v[64:65], v[126:127], v[10:11]
	v_fma_f64 v[8:9], -v[64:65], v[128:129], v[8:9]
	v_fma_f64 v[6:7], -v[64:65], v[130:131], v[6:7]
	v_fma_f64 v[0:1], -v[64:65], v[132:133], v[0:1]
	v_fma_f64 v[110:111], -v[64:65], v[112:113], v[110:111]
.LBB106_386:
	s_or_b64 exec, exec, s[0:1]
	v_lshl_add_u32 v112, v117, 3, v116
	s_barrier
	ds_write_b64 v112, v[62:63]
	s_waitcnt lgkmcnt(0)
	s_barrier
	ds_read_b64 v[112:113], v116 offset:184
	s_cmp_lt_i32 s18, 25
	v_mov_b32_e32 v114, 23
	s_cbranch_scc1 .LBB106_389
; %bb.387:
	v_add_u32_e32 v121, 0xc0, v116
	s_mov_b32 s0, 24
	v_mov_b32_e32 v114, 23
.LBB106_388:                            ; =>This Inner Loop Header: Depth=1
	ds_read_b64 v[122:123], v121
	v_mov_b32_e32 v124, s0
	s_add_i32 s0, s0, 1
	v_add_u32_e32 v121, 8, v121
	s_cmp_lg_u32 s18, s0
	s_waitcnt lgkmcnt(0)
	v_cmp_lt_f64_e64 vcc, |v[112:113]|, |v[122:123]|
	v_cndmask_b32_e32 v113, v113, v123, vcc
	v_cndmask_b32_e32 v112, v112, v122, vcc
	v_cndmask_b32_e32 v114, v114, v124, vcc
	s_cbranch_scc1 .LBB106_388
.LBB106_389:
	s_waitcnt lgkmcnt(0)
	v_cmp_eq_f64_e32 vcc, 0, v[112:113]
	s_and_saveexec_b64 s[0:1], vcc
	s_xor_b64 s[0:1], exec, s[0:1]
; %bb.390:
	v_cmp_ne_u32_e32 vcc, 0, v120
	v_cndmask_b32_e32 v120, 24, v120, vcc
; %bb.391:
	s_andn2_saveexec_b64 s[0:1], s[0:1]
; %bb.392:
	v_div_scale_f64 v[122:123], s[2:3], v[112:113], v[112:113], 1.0
	v_rcp_f64_e32 v[124:125], v[122:123]
	v_div_scale_f64 v[126:127], vcc, 1.0, v[112:113], 1.0
	v_fma_f64 v[128:129], -v[122:123], v[124:125], 1.0
	v_fmac_f64_e32 v[124:125], v[124:125], v[128:129]
	v_fma_f64 v[128:129], -v[122:123], v[124:125], 1.0
	v_fmac_f64_e32 v[124:125], v[124:125], v[128:129]
	v_mul_f64 v[128:129], v[126:127], v[124:125]
	v_fma_f64 v[122:123], -v[122:123], v[128:129], v[126:127]
	v_div_fmas_f64 v[122:123], v[122:123], v[124:125], v[128:129]
	v_div_fixup_f64 v[112:113], v[122:123], v[112:113], 1.0
; %bb.393:
	s_or_b64 exec, exec, s[0:1]
	v_cmp_ne_u32_e32 vcc, v117, v114
	s_and_saveexec_b64 s[0:1], vcc
	s_xor_b64 s[0:1], exec, s[0:1]
	s_cbranch_execz .LBB106_399
; %bb.394:
	v_cmp_eq_u32_e32 vcc, 23, v117
	s_and_saveexec_b64 s[2:3], vcc
	s_cbranch_execz .LBB106_398
; %bb.395:
	v_cmp_ne_u32_e32 vcc, 23, v114
	s_xor_b64 s[14:15], s[6:7], -1
	s_and_b64 s[16:17], s[14:15], vcc
	s_and_saveexec_b64 s[14:15], s[16:17]
	s_cbranch_execz .LBB106_397
; %bb.396:
	v_ashrrev_i32_e32 v115, 31, v114
	v_lshlrev_b64 v[122:123], 2, v[114:115]
	v_add_co_u32_e32 v122, vcc, v4, v122
	v_addc_co_u32_e32 v123, vcc, v5, v123, vcc
	flat_load_dword v115, v[122:123]
	flat_load_dword v117, v[4:5] offset:92
	s_waitcnt vmcnt(0) lgkmcnt(0)
	flat_store_dword v[4:5], v115 offset:92
	flat_store_dword v[122:123], v117
.LBB106_397:
	s_or_b64 exec, exec, s[14:15]
	v_mov_b32_e32 v115, v114
	v_mov_b32_e32 v117, v114
.LBB106_398:
	s_or_b64 exec, exec, s[2:3]
.LBB106_399:
	s_andn2_saveexec_b64 s[0:1], s[0:1]
	s_cbranch_execz .LBB106_401
; %bb.400:
	v_mov_b32_e32 v122, v60
	v_mov_b32_e32 v123, v61
	v_mov_b32_e32 v124, v58
	v_mov_b32_e32 v125, v59
	ds_write2_b64 v116, v[122:123], v[124:125] offset0:24 offset1:25
	v_mov_b32_e32 v122, v56
	v_mov_b32_e32 v123, v57
	v_mov_b32_e32 v124, v54
	v_mov_b32_e32 v125, v55
	ds_write2_b64 v116, v[122:123], v[124:125] offset0:26 offset1:27
	;; [unrolled: 5-line block ×14, first 2 shown]
	v_mov_b32_e32 v122, v0
	v_mov_b32_e32 v123, v1
	;; [unrolled: 1-line block ×3, first 2 shown]
	ds_write2_b64 v116, v[122:123], v[110:111] offset0:52 offset1:53
.LBB106_401:
	s_or_b64 exec, exec, s[0:1]
	v_cmp_lt_i32_e32 vcc, 23, v117
	s_waitcnt lgkmcnt(0)
	s_barrier
	s_and_saveexec_b64 s[0:1], vcc
	s_cbranch_execz .LBB106_403
; %bb.402:
	ds_read2_b64 v[122:125], v116 offset0:24 offset1:25
	ds_read2_b64 v[126:129], v116 offset0:26 offset1:27
	ds_read2_b64 v[130:133], v116 offset0:28 offset1:29
	v_mul_f64 v[62:63], v[112:113], v[62:63]
	s_waitcnt lgkmcnt(0)
	v_fma_f64 v[60:61], -v[62:63], v[122:123], v[60:61]
	v_fma_f64 v[58:59], -v[62:63], v[124:125], v[58:59]
	ds_read2_b64 v[122:125], v116 offset0:30 offset1:31
	v_fma_f64 v[56:57], -v[62:63], v[126:127], v[56:57]
	v_fma_f64 v[54:55], -v[62:63], v[128:129], v[54:55]
	;; [unrolled: 1-line block ×3, first 2 shown]
	ds_read2_b64 v[126:129], v116 offset0:32 offset1:33
	v_fma_f64 v[50:51], -v[62:63], v[132:133], v[50:51]
	ds_read2_b64 v[130:133], v116 offset0:34 offset1:35
	s_waitcnt lgkmcnt(0)
	v_fma_f64 v[48:49], -v[62:63], v[122:123], v[48:49]
	v_fma_f64 v[46:47], -v[62:63], v[124:125], v[46:47]
	;; [unrolled: 1-line block ×3, first 2 shown]
	ds_read2_b64 v[122:125], v116 offset0:36 offset1:37
	v_fma_f64 v[42:43], -v[62:63], v[128:129], v[42:43]
	ds_read2_b64 v[126:129], v116 offset0:38 offset1:39
	v_fma_f64 v[40:41], -v[62:63], v[130:131], v[40:41]
	v_fma_f64 v[38:39], -v[62:63], v[132:133], v[38:39]
	ds_read2_b64 v[130:133], v116 offset0:40 offset1:41
	s_waitcnt lgkmcnt(0)
	v_fma_f64 v[36:37], -v[62:63], v[122:123], v[36:37]
	v_fma_f64 v[34:35], -v[62:63], v[124:125], v[34:35]
	ds_read2_b64 v[122:125], v116 offset0:42 offset1:43
	v_fma_f64 v[32:33], -v[62:63], v[126:127], v[32:33]
	v_fma_f64 v[30:31], -v[62:63], v[128:129], v[30:31]
	v_fma_f64 v[28:29], -v[62:63], v[130:131], v[28:29]
	ds_read2_b64 v[126:129], v116 offset0:44 offset1:45
	v_fma_f64 v[26:27], -v[62:63], v[132:133], v[26:27]
	ds_read2_b64 v[130:133], v116 offset0:46 offset1:47
	s_waitcnt lgkmcnt(0)
	v_fma_f64 v[24:25], -v[62:63], v[122:123], v[24:25]
	v_fma_f64 v[22:23], -v[62:63], v[124:125], v[22:23]
	;; [unrolled: 1-line block ×4, first 2 shown]
	ds_read2_b64 v[122:125], v116 offset0:48 offset1:49
	ds_read2_b64 v[126:129], v116 offset0:50 offset1:51
	v_fma_f64 v[16:17], -v[62:63], v[130:131], v[16:17]
	v_fma_f64 v[14:15], -v[62:63], v[132:133], v[14:15]
	ds_read2_b64 v[130:133], v116 offset0:52 offset1:53
	s_waitcnt lgkmcnt(0)
	v_fma_f64 v[12:13], -v[62:63], v[122:123], v[12:13]
	v_fma_f64 v[10:11], -v[62:63], v[124:125], v[10:11]
	;; [unrolled: 1-line block ×6, first 2 shown]
.LBB106_403:
	s_or_b64 exec, exec, s[0:1]
	v_lshl_add_u32 v112, v117, 3, v116
	s_barrier
	ds_write_b64 v112, v[60:61]
	s_waitcnt lgkmcnt(0)
	s_barrier
	ds_read_b64 v[112:113], v116 offset:192
	s_cmp_lt_i32 s18, 26
	v_mov_b32_e32 v114, 24
	s_cbranch_scc1 .LBB106_406
; %bb.404:
	v_add_u32_e32 v121, 0xc8, v116
	s_mov_b32 s0, 25
	v_mov_b32_e32 v114, 24
.LBB106_405:                            ; =>This Inner Loop Header: Depth=1
	ds_read_b64 v[122:123], v121
	v_mov_b32_e32 v124, s0
	s_add_i32 s0, s0, 1
	v_add_u32_e32 v121, 8, v121
	s_cmp_lg_u32 s18, s0
	s_waitcnt lgkmcnt(0)
	v_cmp_lt_f64_e64 vcc, |v[112:113]|, |v[122:123]|
	v_cndmask_b32_e32 v113, v113, v123, vcc
	v_cndmask_b32_e32 v112, v112, v122, vcc
	;; [unrolled: 1-line block ×3, first 2 shown]
	s_cbranch_scc1 .LBB106_405
.LBB106_406:
	s_waitcnt lgkmcnt(0)
	v_cmp_eq_f64_e32 vcc, 0, v[112:113]
	s_and_saveexec_b64 s[0:1], vcc
	s_xor_b64 s[0:1], exec, s[0:1]
; %bb.407:
	v_cmp_ne_u32_e32 vcc, 0, v120
	v_cndmask_b32_e32 v120, 25, v120, vcc
; %bb.408:
	s_andn2_saveexec_b64 s[0:1], s[0:1]
; %bb.409:
	v_div_scale_f64 v[122:123], s[2:3], v[112:113], v[112:113], 1.0
	v_rcp_f64_e32 v[124:125], v[122:123]
	v_div_scale_f64 v[126:127], vcc, 1.0, v[112:113], 1.0
	v_fma_f64 v[128:129], -v[122:123], v[124:125], 1.0
	v_fmac_f64_e32 v[124:125], v[124:125], v[128:129]
	v_fma_f64 v[128:129], -v[122:123], v[124:125], 1.0
	v_fmac_f64_e32 v[124:125], v[124:125], v[128:129]
	v_mul_f64 v[128:129], v[126:127], v[124:125]
	v_fma_f64 v[122:123], -v[122:123], v[128:129], v[126:127]
	v_div_fmas_f64 v[122:123], v[122:123], v[124:125], v[128:129]
	v_div_fixup_f64 v[112:113], v[122:123], v[112:113], 1.0
; %bb.410:
	s_or_b64 exec, exec, s[0:1]
	v_cmp_ne_u32_e32 vcc, v117, v114
	s_and_saveexec_b64 s[0:1], vcc
	s_xor_b64 s[0:1], exec, s[0:1]
	s_cbranch_execz .LBB106_416
; %bb.411:
	v_cmp_eq_u32_e32 vcc, 24, v117
	s_and_saveexec_b64 s[2:3], vcc
	s_cbranch_execz .LBB106_415
; %bb.412:
	v_cmp_ne_u32_e32 vcc, 24, v114
	s_xor_b64 s[14:15], s[6:7], -1
	s_and_b64 s[16:17], s[14:15], vcc
	s_and_saveexec_b64 s[14:15], s[16:17]
	s_cbranch_execz .LBB106_414
; %bb.413:
	v_ashrrev_i32_e32 v115, 31, v114
	v_lshlrev_b64 v[122:123], 2, v[114:115]
	v_add_co_u32_e32 v122, vcc, v4, v122
	v_addc_co_u32_e32 v123, vcc, v5, v123, vcc
	flat_load_dword v115, v[122:123]
	flat_load_dword v117, v[4:5] offset:96
	s_waitcnt vmcnt(0) lgkmcnt(0)
	flat_store_dword v[4:5], v115 offset:96
	flat_store_dword v[122:123], v117
.LBB106_414:
	s_or_b64 exec, exec, s[14:15]
	v_mov_b32_e32 v115, v114
	v_mov_b32_e32 v117, v114
.LBB106_415:
	s_or_b64 exec, exec, s[2:3]
.LBB106_416:
	s_andn2_saveexec_b64 s[0:1], s[0:1]
	s_cbranch_execz .LBB106_418
; %bb.417:
	v_mov_b32_e32 v117, 24
	ds_write2_b64 v116, v[58:59], v[56:57] offset0:25 offset1:26
	ds_write2_b64 v116, v[54:55], v[52:53] offset0:27 offset1:28
	;; [unrolled: 1-line block ×14, first 2 shown]
	ds_write_b64 v116, v[110:111] offset:424
.LBB106_418:
	s_or_b64 exec, exec, s[0:1]
	v_cmp_lt_i32_e32 vcc, 24, v117
	s_waitcnt lgkmcnt(0)
	s_barrier
	s_and_saveexec_b64 s[0:1], vcc
	s_cbranch_execz .LBB106_420
; %bb.419:
	ds_read2_b64 v[122:125], v116 offset0:25 offset1:26
	ds_read2_b64 v[126:129], v116 offset0:27 offset1:28
	v_mul_f64 v[60:61], v[112:113], v[60:61]
	ds_read2_b64 v[130:133], v116 offset0:29 offset1:30
	ds_read_b64 v[112:113], v116 offset:424
	s_waitcnt lgkmcnt(0)
	v_fma_f64 v[58:59], -v[60:61], v[122:123], v[58:59]
	v_fma_f64 v[56:57], -v[60:61], v[124:125], v[56:57]
	ds_read2_b64 v[122:125], v116 offset0:31 offset1:32
	v_fma_f64 v[54:55], -v[60:61], v[126:127], v[54:55]
	v_fma_f64 v[52:53], -v[60:61], v[128:129], v[52:53]
	ds_read2_b64 v[126:129], v116 offset0:33 offset1:34
	;; [unrolled: 3-line block ×3, first 2 shown]
	s_waitcnt lgkmcnt(0)
	v_fma_f64 v[46:47], -v[60:61], v[122:123], v[46:47]
	v_fma_f64 v[44:45], -v[60:61], v[124:125], v[44:45]
	;; [unrolled: 1-line block ×3, first 2 shown]
	ds_read2_b64 v[122:125], v116 offset0:37 offset1:38
	v_fma_f64 v[40:41], -v[60:61], v[128:129], v[40:41]
	ds_read2_b64 v[126:129], v116 offset0:39 offset1:40
	v_fma_f64 v[38:39], -v[60:61], v[130:131], v[38:39]
	v_fma_f64 v[36:37], -v[60:61], v[132:133], v[36:37]
	s_waitcnt lgkmcnt(0)
	v_fma_f64 v[34:35], -v[60:61], v[122:123], v[34:35]
	ds_read2_b64 v[130:133], v116 offset0:41 offset1:42
	v_fma_f64 v[32:33], -v[60:61], v[124:125], v[32:33]
	ds_read2_b64 v[122:125], v116 offset0:43 offset1:44
	v_fma_f64 v[30:31], -v[60:61], v[126:127], v[30:31]
	v_fma_f64 v[28:29], -v[60:61], v[128:129], v[28:29]
	ds_read2_b64 v[126:129], v116 offset0:45 offset1:46
	s_waitcnt lgkmcnt(0)
	v_fma_f64 v[26:27], -v[60:61], v[130:131], v[26:27]
	v_fma_f64 v[24:25], -v[60:61], v[132:133], v[24:25]
	ds_read2_b64 v[130:133], v116 offset0:47 offset1:48
	v_fma_f64 v[22:23], -v[60:61], v[122:123], v[22:23]
	v_fma_f64 v[20:21], -v[60:61], v[124:125], v[20:21]
	;; [unrolled: 1-line block ×4, first 2 shown]
	ds_read2_b64 v[122:125], v116 offset0:49 offset1:50
	ds_read2_b64 v[126:129], v116 offset0:51 offset1:52
	s_waitcnt lgkmcnt(0)
	v_fma_f64 v[14:15], -v[60:61], v[130:131], v[14:15]
	v_fma_f64 v[12:13], -v[60:61], v[132:133], v[12:13]
	;; [unrolled: 1-line block ×7, first 2 shown]
.LBB106_420:
	s_or_b64 exec, exec, s[0:1]
	v_lshl_add_u32 v112, v117, 3, v116
	s_barrier
	ds_write_b64 v112, v[58:59]
	s_waitcnt lgkmcnt(0)
	s_barrier
	ds_read_b64 v[112:113], v116 offset:200
	s_cmp_lt_i32 s18, 27
	v_mov_b32_e32 v114, 25
	s_cbranch_scc1 .LBB106_423
; %bb.421:
	v_add_u32_e32 v121, 0xd0, v116
	s_mov_b32 s0, 26
	v_mov_b32_e32 v114, 25
.LBB106_422:                            ; =>This Inner Loop Header: Depth=1
	ds_read_b64 v[122:123], v121
	v_mov_b32_e32 v124, s0
	s_add_i32 s0, s0, 1
	v_add_u32_e32 v121, 8, v121
	s_cmp_lg_u32 s18, s0
	s_waitcnt lgkmcnt(0)
	v_cmp_lt_f64_e64 vcc, |v[112:113]|, |v[122:123]|
	v_cndmask_b32_e32 v113, v113, v123, vcc
	v_cndmask_b32_e32 v112, v112, v122, vcc
	;; [unrolled: 1-line block ×3, first 2 shown]
	s_cbranch_scc1 .LBB106_422
.LBB106_423:
	s_waitcnt lgkmcnt(0)
	v_cmp_eq_f64_e32 vcc, 0, v[112:113]
	s_and_saveexec_b64 s[0:1], vcc
	s_xor_b64 s[0:1], exec, s[0:1]
; %bb.424:
	v_cmp_ne_u32_e32 vcc, 0, v120
	v_cndmask_b32_e32 v120, 26, v120, vcc
; %bb.425:
	s_andn2_saveexec_b64 s[0:1], s[0:1]
; %bb.426:
	v_div_scale_f64 v[122:123], s[2:3], v[112:113], v[112:113], 1.0
	v_rcp_f64_e32 v[124:125], v[122:123]
	v_div_scale_f64 v[126:127], vcc, 1.0, v[112:113], 1.0
	v_fma_f64 v[128:129], -v[122:123], v[124:125], 1.0
	v_fmac_f64_e32 v[124:125], v[124:125], v[128:129]
	v_fma_f64 v[128:129], -v[122:123], v[124:125], 1.0
	v_fmac_f64_e32 v[124:125], v[124:125], v[128:129]
	v_mul_f64 v[128:129], v[126:127], v[124:125]
	v_fma_f64 v[122:123], -v[122:123], v[128:129], v[126:127]
	v_div_fmas_f64 v[122:123], v[122:123], v[124:125], v[128:129]
	v_div_fixup_f64 v[112:113], v[122:123], v[112:113], 1.0
; %bb.427:
	s_or_b64 exec, exec, s[0:1]
	v_cmp_ne_u32_e32 vcc, v117, v114
	s_and_saveexec_b64 s[0:1], vcc
	s_xor_b64 s[0:1], exec, s[0:1]
	s_cbranch_execz .LBB106_433
; %bb.428:
	v_cmp_eq_u32_e32 vcc, 25, v117
	s_and_saveexec_b64 s[2:3], vcc
	s_cbranch_execz .LBB106_432
; %bb.429:
	v_cmp_ne_u32_e32 vcc, 25, v114
	s_xor_b64 s[14:15], s[6:7], -1
	s_and_b64 s[16:17], s[14:15], vcc
	s_and_saveexec_b64 s[14:15], s[16:17]
	s_cbranch_execz .LBB106_431
; %bb.430:
	v_ashrrev_i32_e32 v115, 31, v114
	v_lshlrev_b64 v[122:123], 2, v[114:115]
	v_add_co_u32_e32 v122, vcc, v4, v122
	v_addc_co_u32_e32 v123, vcc, v5, v123, vcc
	flat_load_dword v115, v[122:123]
	flat_load_dword v117, v[4:5] offset:100
	s_waitcnt vmcnt(0) lgkmcnt(0)
	flat_store_dword v[4:5], v115 offset:100
	flat_store_dword v[122:123], v117
.LBB106_431:
	s_or_b64 exec, exec, s[14:15]
	v_mov_b32_e32 v115, v114
	v_mov_b32_e32 v117, v114
.LBB106_432:
	s_or_b64 exec, exec, s[2:3]
.LBB106_433:
	s_andn2_saveexec_b64 s[0:1], s[0:1]
	s_cbranch_execz .LBB106_435
; %bb.434:
	v_mov_b32_e32 v122, v56
	v_mov_b32_e32 v123, v57
	v_mov_b32_e32 v124, v54
	v_mov_b32_e32 v125, v55
	ds_write2_b64 v116, v[122:123], v[124:125] offset0:26 offset1:27
	v_mov_b32_e32 v122, v52
	v_mov_b32_e32 v123, v53
	v_mov_b32_e32 v124, v50
	v_mov_b32_e32 v125, v51
	ds_write2_b64 v116, v[122:123], v[124:125] offset0:28 offset1:29
	;; [unrolled: 5-line block ×13, first 2 shown]
	v_mov_b32_e32 v122, v0
	v_mov_b32_e32 v123, v1
	;; [unrolled: 1-line block ×3, first 2 shown]
	ds_write2_b64 v116, v[122:123], v[110:111] offset0:52 offset1:53
.LBB106_435:
	s_or_b64 exec, exec, s[0:1]
	v_cmp_lt_i32_e32 vcc, 25, v117
	s_waitcnt lgkmcnt(0)
	s_barrier
	s_and_saveexec_b64 s[0:1], vcc
	s_cbranch_execz .LBB106_437
; %bb.436:
	ds_read2_b64 v[122:125], v116 offset0:26 offset1:27
	ds_read2_b64 v[126:129], v116 offset0:28 offset1:29
	v_mul_f64 v[58:59], v[112:113], v[58:59]
	ds_read2_b64 v[130:133], v116 offset0:30 offset1:31
	s_waitcnt lgkmcnt(0)
	v_fma_f64 v[56:57], -v[58:59], v[122:123], v[56:57]
	v_fma_f64 v[54:55], -v[58:59], v[124:125], v[54:55]
	ds_read2_b64 v[122:125], v116 offset0:32 offset1:33
	v_fma_f64 v[52:53], -v[58:59], v[126:127], v[52:53]
	v_fma_f64 v[50:51], -v[58:59], v[128:129], v[50:51]
	ds_read2_b64 v[126:129], v116 offset0:34 offset1:35
	v_fma_f64 v[48:49], -v[58:59], v[130:131], v[48:49]
	v_fma_f64 v[46:47], -v[58:59], v[132:133], v[46:47]
	ds_read2_b64 v[130:133], v116 offset0:36 offset1:37
	s_waitcnt lgkmcnt(0)
	v_fma_f64 v[44:45], -v[58:59], v[122:123], v[44:45]
	v_fma_f64 v[42:43], -v[58:59], v[124:125], v[42:43]
	;; [unrolled: 1-line block ×3, first 2 shown]
	ds_read2_b64 v[122:125], v116 offset0:38 offset1:39
	v_fma_f64 v[38:39], -v[58:59], v[128:129], v[38:39]
	ds_read2_b64 v[126:129], v116 offset0:40 offset1:41
	v_fma_f64 v[36:37], -v[58:59], v[130:131], v[36:37]
	v_fma_f64 v[34:35], -v[58:59], v[132:133], v[34:35]
	s_waitcnt lgkmcnt(0)
	v_fma_f64 v[32:33], -v[58:59], v[122:123], v[32:33]
	ds_read2_b64 v[130:133], v116 offset0:42 offset1:43
	v_fma_f64 v[30:31], -v[58:59], v[124:125], v[30:31]
	ds_read2_b64 v[122:125], v116 offset0:44 offset1:45
	v_fma_f64 v[28:29], -v[58:59], v[126:127], v[28:29]
	v_fma_f64 v[26:27], -v[58:59], v[128:129], v[26:27]
	ds_read2_b64 v[126:129], v116 offset0:46 offset1:47
	s_waitcnt lgkmcnt(0)
	v_fma_f64 v[24:25], -v[58:59], v[130:131], v[24:25]
	v_fma_f64 v[22:23], -v[58:59], v[132:133], v[22:23]
	v_fma_f64 v[20:21], -v[58:59], v[122:123], v[20:21]
	v_fma_f64 v[18:19], -v[58:59], v[124:125], v[18:19]
	ds_read2_b64 v[122:125], v116 offset0:48 offset1:49
	v_fma_f64 v[16:17], -v[58:59], v[126:127], v[16:17]
	ds_read2_b64 v[130:133], v116 offset0:50 offset1:51
	v_fma_f64 v[14:15], -v[58:59], v[128:129], v[14:15]
	ds_read2_b64 v[126:129], v116 offset0:52 offset1:53
	s_waitcnt lgkmcnt(0)
	v_fma_f64 v[12:13], -v[58:59], v[122:123], v[12:13]
	v_fma_f64 v[10:11], -v[58:59], v[124:125], v[10:11]
	;; [unrolled: 1-line block ×6, first 2 shown]
.LBB106_437:
	s_or_b64 exec, exec, s[0:1]
	v_lshl_add_u32 v112, v117, 3, v116
	s_barrier
	ds_write_b64 v112, v[56:57]
	s_waitcnt lgkmcnt(0)
	s_barrier
	ds_read_b64 v[112:113], v116 offset:208
	s_cmp_lt_i32 s18, 28
	v_mov_b32_e32 v114, 26
	s_cbranch_scc1 .LBB106_440
; %bb.438:
	v_add_u32_e32 v121, 0xd8, v116
	s_mov_b32 s0, 27
	v_mov_b32_e32 v114, 26
.LBB106_439:                            ; =>This Inner Loop Header: Depth=1
	ds_read_b64 v[122:123], v121
	v_mov_b32_e32 v124, s0
	s_add_i32 s0, s0, 1
	v_add_u32_e32 v121, 8, v121
	s_cmp_lg_u32 s18, s0
	s_waitcnt lgkmcnt(0)
	v_cmp_lt_f64_e64 vcc, |v[112:113]|, |v[122:123]|
	v_cndmask_b32_e32 v113, v113, v123, vcc
	v_cndmask_b32_e32 v112, v112, v122, vcc
	;; [unrolled: 1-line block ×3, first 2 shown]
	s_cbranch_scc1 .LBB106_439
.LBB106_440:
	s_waitcnt lgkmcnt(0)
	v_cmp_eq_f64_e32 vcc, 0, v[112:113]
	s_and_saveexec_b64 s[0:1], vcc
	s_xor_b64 s[0:1], exec, s[0:1]
; %bb.441:
	v_cmp_ne_u32_e32 vcc, 0, v120
	v_cndmask_b32_e32 v120, 27, v120, vcc
; %bb.442:
	s_andn2_saveexec_b64 s[0:1], s[0:1]
; %bb.443:
	v_div_scale_f64 v[122:123], s[2:3], v[112:113], v[112:113], 1.0
	v_rcp_f64_e32 v[124:125], v[122:123]
	v_div_scale_f64 v[126:127], vcc, 1.0, v[112:113], 1.0
	v_fma_f64 v[128:129], -v[122:123], v[124:125], 1.0
	v_fmac_f64_e32 v[124:125], v[124:125], v[128:129]
	v_fma_f64 v[128:129], -v[122:123], v[124:125], 1.0
	v_fmac_f64_e32 v[124:125], v[124:125], v[128:129]
	v_mul_f64 v[128:129], v[126:127], v[124:125]
	v_fma_f64 v[122:123], -v[122:123], v[128:129], v[126:127]
	v_div_fmas_f64 v[122:123], v[122:123], v[124:125], v[128:129]
	v_div_fixup_f64 v[112:113], v[122:123], v[112:113], 1.0
; %bb.444:
	s_or_b64 exec, exec, s[0:1]
	v_cmp_ne_u32_e32 vcc, v117, v114
	s_and_saveexec_b64 s[0:1], vcc
	s_xor_b64 s[0:1], exec, s[0:1]
	s_cbranch_execz .LBB106_450
; %bb.445:
	v_cmp_eq_u32_e32 vcc, 26, v117
	s_and_saveexec_b64 s[2:3], vcc
	s_cbranch_execz .LBB106_449
; %bb.446:
	v_cmp_ne_u32_e32 vcc, 26, v114
	s_xor_b64 s[14:15], s[6:7], -1
	s_and_b64 s[16:17], s[14:15], vcc
	s_and_saveexec_b64 s[14:15], s[16:17]
	s_cbranch_execz .LBB106_448
; %bb.447:
	v_ashrrev_i32_e32 v115, 31, v114
	v_lshlrev_b64 v[122:123], 2, v[114:115]
	v_add_co_u32_e32 v122, vcc, v4, v122
	v_addc_co_u32_e32 v123, vcc, v5, v123, vcc
	flat_load_dword v115, v[122:123]
	flat_load_dword v117, v[4:5] offset:104
	s_waitcnt vmcnt(0) lgkmcnt(0)
	flat_store_dword v[4:5], v115 offset:104
	flat_store_dword v[122:123], v117
.LBB106_448:
	s_or_b64 exec, exec, s[14:15]
	v_mov_b32_e32 v115, v114
	v_mov_b32_e32 v117, v114
.LBB106_449:
	s_or_b64 exec, exec, s[2:3]
.LBB106_450:
	s_andn2_saveexec_b64 s[0:1], s[0:1]
	s_cbranch_execz .LBB106_452
; %bb.451:
	v_mov_b32_e32 v117, 26
	ds_write2_b64 v116, v[54:55], v[52:53] offset0:27 offset1:28
	ds_write2_b64 v116, v[50:51], v[48:49] offset0:29 offset1:30
	ds_write2_b64 v116, v[46:47], v[44:45] offset0:31 offset1:32
	ds_write2_b64 v116, v[42:43], v[40:41] offset0:33 offset1:34
	ds_write2_b64 v116, v[38:39], v[36:37] offset0:35 offset1:36
	ds_write2_b64 v116, v[34:35], v[32:33] offset0:37 offset1:38
	ds_write2_b64 v116, v[30:31], v[28:29] offset0:39 offset1:40
	ds_write2_b64 v116, v[26:27], v[24:25] offset0:41 offset1:42
	ds_write2_b64 v116, v[22:23], v[20:21] offset0:43 offset1:44
	ds_write2_b64 v116, v[18:19], v[16:17] offset0:45 offset1:46
	ds_write2_b64 v116, v[14:15], v[12:13] offset0:47 offset1:48
	ds_write2_b64 v116, v[10:11], v[8:9] offset0:49 offset1:50
	ds_write2_b64 v116, v[6:7], v[0:1] offset0:51 offset1:52
	ds_write_b64 v116, v[110:111] offset:424
.LBB106_452:
	s_or_b64 exec, exec, s[0:1]
	v_cmp_lt_i32_e32 vcc, 26, v117
	s_waitcnt lgkmcnt(0)
	s_barrier
	s_and_saveexec_b64 s[0:1], vcc
	s_cbranch_execz .LBB106_454
; %bb.453:
	ds_read2_b64 v[122:125], v116 offset0:27 offset1:28
	ds_read2_b64 v[126:129], v116 offset0:29 offset1:30
	v_mul_f64 v[56:57], v[112:113], v[56:57]
	ds_read2_b64 v[130:133], v116 offset0:31 offset1:32
	ds_read_b64 v[112:113], v116 offset:424
	s_waitcnt lgkmcnt(0)
	v_fma_f64 v[54:55], -v[56:57], v[122:123], v[54:55]
	v_fma_f64 v[52:53], -v[56:57], v[124:125], v[52:53]
	ds_read2_b64 v[122:125], v116 offset0:33 offset1:34
	v_fma_f64 v[50:51], -v[56:57], v[126:127], v[50:51]
	v_fma_f64 v[48:49], -v[56:57], v[128:129], v[48:49]
	;; [unrolled: 1-line block ×3, first 2 shown]
	ds_read2_b64 v[126:129], v116 offset0:35 offset1:36
	v_fma_f64 v[44:45], -v[56:57], v[132:133], v[44:45]
	ds_read2_b64 v[130:133], v116 offset0:37 offset1:38
	s_waitcnt lgkmcnt(0)
	v_fma_f64 v[42:43], -v[56:57], v[122:123], v[42:43]
	v_fma_f64 v[40:41], -v[56:57], v[124:125], v[40:41]
	ds_read2_b64 v[122:125], v116 offset0:39 offset1:40
	v_fma_f64 v[38:39], -v[56:57], v[126:127], v[38:39]
	v_fma_f64 v[36:37], -v[56:57], v[128:129], v[36:37]
	ds_read2_b64 v[126:129], v116 offset0:41 offset1:42
	v_fma_f64 v[34:35], -v[56:57], v[130:131], v[34:35]
	v_fma_f64 v[32:33], -v[56:57], v[132:133], v[32:33]
	s_waitcnt lgkmcnt(0)
	v_fma_f64 v[30:31], -v[56:57], v[122:123], v[30:31]
	ds_read2_b64 v[130:133], v116 offset0:43 offset1:44
	v_fma_f64 v[28:29], -v[56:57], v[124:125], v[28:29]
	ds_read2_b64 v[122:125], v116 offset0:45 offset1:46
	v_fma_f64 v[26:27], -v[56:57], v[126:127], v[26:27]
	v_fma_f64 v[24:25], -v[56:57], v[128:129], v[24:25]
	s_waitcnt lgkmcnt(0)
	v_fma_f64 v[22:23], -v[56:57], v[130:131], v[22:23]
	ds_read2_b64 v[126:129], v116 offset0:47 offset1:48
	v_fma_f64 v[20:21], -v[56:57], v[132:133], v[20:21]
	v_fma_f64 v[18:19], -v[56:57], v[122:123], v[18:19]
	;; [unrolled: 1-line block ×3, first 2 shown]
	ds_read2_b64 v[122:125], v116 offset0:49 offset1:50
	ds_read2_b64 v[130:133], v116 offset0:51 offset1:52
	s_waitcnt lgkmcnt(0)
	v_fma_f64 v[14:15], -v[56:57], v[126:127], v[14:15]
	v_fma_f64 v[12:13], -v[56:57], v[128:129], v[12:13]
	;; [unrolled: 1-line block ×7, first 2 shown]
.LBB106_454:
	s_or_b64 exec, exec, s[0:1]
	v_lshl_add_u32 v112, v117, 3, v116
	s_barrier
	ds_write_b64 v112, v[54:55]
	s_waitcnt lgkmcnt(0)
	s_barrier
	ds_read_b64 v[112:113], v116 offset:216
	s_cmp_lt_i32 s18, 29
	v_mov_b32_e32 v114, 27
	s_cbranch_scc1 .LBB106_457
; %bb.455:
	v_add_u32_e32 v121, 0xe0, v116
	s_mov_b32 s0, 28
	v_mov_b32_e32 v114, 27
.LBB106_456:                            ; =>This Inner Loop Header: Depth=1
	ds_read_b64 v[122:123], v121
	v_mov_b32_e32 v124, s0
	s_add_i32 s0, s0, 1
	v_add_u32_e32 v121, 8, v121
	s_cmp_lg_u32 s18, s0
	s_waitcnt lgkmcnt(0)
	v_cmp_lt_f64_e64 vcc, |v[112:113]|, |v[122:123]|
	v_cndmask_b32_e32 v113, v113, v123, vcc
	v_cndmask_b32_e32 v112, v112, v122, vcc
	;; [unrolled: 1-line block ×3, first 2 shown]
	s_cbranch_scc1 .LBB106_456
.LBB106_457:
	s_waitcnt lgkmcnt(0)
	v_cmp_eq_f64_e32 vcc, 0, v[112:113]
	s_and_saveexec_b64 s[0:1], vcc
	s_xor_b64 s[0:1], exec, s[0:1]
; %bb.458:
	v_cmp_ne_u32_e32 vcc, 0, v120
	v_cndmask_b32_e32 v120, 28, v120, vcc
; %bb.459:
	s_andn2_saveexec_b64 s[0:1], s[0:1]
; %bb.460:
	v_div_scale_f64 v[122:123], s[2:3], v[112:113], v[112:113], 1.0
	v_rcp_f64_e32 v[124:125], v[122:123]
	v_div_scale_f64 v[126:127], vcc, 1.0, v[112:113], 1.0
	v_fma_f64 v[128:129], -v[122:123], v[124:125], 1.0
	v_fmac_f64_e32 v[124:125], v[124:125], v[128:129]
	v_fma_f64 v[128:129], -v[122:123], v[124:125], 1.0
	v_fmac_f64_e32 v[124:125], v[124:125], v[128:129]
	v_mul_f64 v[128:129], v[126:127], v[124:125]
	v_fma_f64 v[122:123], -v[122:123], v[128:129], v[126:127]
	v_div_fmas_f64 v[122:123], v[122:123], v[124:125], v[128:129]
	v_div_fixup_f64 v[112:113], v[122:123], v[112:113], 1.0
; %bb.461:
	s_or_b64 exec, exec, s[0:1]
	v_cmp_ne_u32_e32 vcc, v117, v114
	s_and_saveexec_b64 s[0:1], vcc
	s_xor_b64 s[0:1], exec, s[0:1]
	s_cbranch_execz .LBB106_467
; %bb.462:
	v_cmp_eq_u32_e32 vcc, 27, v117
	s_and_saveexec_b64 s[2:3], vcc
	s_cbranch_execz .LBB106_466
; %bb.463:
	v_cmp_ne_u32_e32 vcc, 27, v114
	s_xor_b64 s[14:15], s[6:7], -1
	s_and_b64 s[16:17], s[14:15], vcc
	s_and_saveexec_b64 s[14:15], s[16:17]
	s_cbranch_execz .LBB106_465
; %bb.464:
	v_ashrrev_i32_e32 v115, 31, v114
	v_lshlrev_b64 v[122:123], 2, v[114:115]
	v_add_co_u32_e32 v122, vcc, v4, v122
	v_addc_co_u32_e32 v123, vcc, v5, v123, vcc
	flat_load_dword v115, v[122:123]
	flat_load_dword v117, v[4:5] offset:108
	s_waitcnt vmcnt(0) lgkmcnt(0)
	flat_store_dword v[4:5], v115 offset:108
	flat_store_dword v[122:123], v117
.LBB106_465:
	s_or_b64 exec, exec, s[14:15]
	v_mov_b32_e32 v115, v114
	v_mov_b32_e32 v117, v114
.LBB106_466:
	s_or_b64 exec, exec, s[2:3]
.LBB106_467:
	s_andn2_saveexec_b64 s[0:1], s[0:1]
	s_cbranch_execz .LBB106_469
; %bb.468:
	v_mov_b32_e32 v122, v52
	v_mov_b32_e32 v123, v53
	v_mov_b32_e32 v124, v50
	v_mov_b32_e32 v125, v51
	ds_write2_b64 v116, v[122:123], v[124:125] offset0:28 offset1:29
	v_mov_b32_e32 v122, v48
	v_mov_b32_e32 v123, v49
	v_mov_b32_e32 v124, v46
	v_mov_b32_e32 v125, v47
	ds_write2_b64 v116, v[122:123], v[124:125] offset0:30 offset1:31
	;; [unrolled: 5-line block ×12, first 2 shown]
	v_mov_b32_e32 v122, v0
	v_mov_b32_e32 v123, v1
	;; [unrolled: 1-line block ×3, first 2 shown]
	ds_write2_b64 v116, v[122:123], v[110:111] offset0:52 offset1:53
.LBB106_469:
	s_or_b64 exec, exec, s[0:1]
	v_cmp_lt_i32_e32 vcc, 27, v117
	s_waitcnt lgkmcnt(0)
	s_barrier
	s_and_saveexec_b64 s[0:1], vcc
	s_cbranch_execz .LBB106_471
; %bb.470:
	ds_read2_b64 v[122:125], v116 offset0:28 offset1:29
	ds_read2_b64 v[126:129], v116 offset0:30 offset1:31
	v_mul_f64 v[54:55], v[112:113], v[54:55]
	ds_read2_b64 v[130:133], v116 offset0:32 offset1:33
	s_waitcnt lgkmcnt(0)
	v_fma_f64 v[52:53], -v[54:55], v[122:123], v[52:53]
	v_fma_f64 v[50:51], -v[54:55], v[124:125], v[50:51]
	ds_read2_b64 v[122:125], v116 offset0:34 offset1:35
	v_fma_f64 v[48:49], -v[54:55], v[126:127], v[48:49]
	v_fma_f64 v[46:47], -v[54:55], v[128:129], v[46:47]
	;; [unrolled: 1-line block ×3, first 2 shown]
	ds_read2_b64 v[126:129], v116 offset0:36 offset1:37
	v_fma_f64 v[42:43], -v[54:55], v[132:133], v[42:43]
	ds_read2_b64 v[130:133], v116 offset0:38 offset1:39
	s_waitcnt lgkmcnt(0)
	v_fma_f64 v[40:41], -v[54:55], v[122:123], v[40:41]
	v_fma_f64 v[38:39], -v[54:55], v[124:125], v[38:39]
	ds_read2_b64 v[122:125], v116 offset0:40 offset1:41
	v_fma_f64 v[36:37], -v[54:55], v[126:127], v[36:37]
	v_fma_f64 v[34:35], -v[54:55], v[128:129], v[34:35]
	ds_read2_b64 v[126:129], v116 offset0:42 offset1:43
	v_fma_f64 v[32:33], -v[54:55], v[130:131], v[32:33]
	v_fma_f64 v[30:31], -v[54:55], v[132:133], v[30:31]
	s_waitcnt lgkmcnt(0)
	v_fma_f64 v[28:29], -v[54:55], v[122:123], v[28:29]
	ds_read2_b64 v[130:133], v116 offset0:44 offset1:45
	v_fma_f64 v[26:27], -v[54:55], v[124:125], v[26:27]
	ds_read2_b64 v[122:125], v116 offset0:46 offset1:47
	v_fma_f64 v[24:25], -v[54:55], v[126:127], v[24:25]
	v_fma_f64 v[22:23], -v[54:55], v[128:129], v[22:23]
	s_waitcnt lgkmcnt(0)
	v_fma_f64 v[20:21], -v[54:55], v[130:131], v[20:21]
	v_fma_f64 v[18:19], -v[54:55], v[132:133], v[18:19]
	ds_read2_b64 v[126:129], v116 offset0:48 offset1:49
	ds_read2_b64 v[130:133], v116 offset0:50 offset1:51
	v_fma_f64 v[16:17], -v[54:55], v[122:123], v[16:17]
	v_fma_f64 v[14:15], -v[54:55], v[124:125], v[14:15]
	ds_read2_b64 v[122:125], v116 offset0:52 offset1:53
	s_waitcnt lgkmcnt(0)
	v_fma_f64 v[12:13], -v[54:55], v[126:127], v[12:13]
	v_fma_f64 v[10:11], -v[54:55], v[128:129], v[10:11]
	;; [unrolled: 1-line block ×6, first 2 shown]
.LBB106_471:
	s_or_b64 exec, exec, s[0:1]
	v_lshl_add_u32 v112, v117, 3, v116
	s_barrier
	ds_write_b64 v112, v[52:53]
	s_waitcnt lgkmcnt(0)
	s_barrier
	ds_read_b64 v[112:113], v116 offset:224
	s_cmp_lt_i32 s18, 30
	v_mov_b32_e32 v114, 28
	s_cbranch_scc1 .LBB106_474
; %bb.472:
	v_add_u32_e32 v121, 0xe8, v116
	s_mov_b32 s0, 29
	v_mov_b32_e32 v114, 28
.LBB106_473:                            ; =>This Inner Loop Header: Depth=1
	ds_read_b64 v[122:123], v121
	v_mov_b32_e32 v124, s0
	s_add_i32 s0, s0, 1
	v_add_u32_e32 v121, 8, v121
	s_cmp_lg_u32 s18, s0
	s_waitcnt lgkmcnt(0)
	v_cmp_lt_f64_e64 vcc, |v[112:113]|, |v[122:123]|
	v_cndmask_b32_e32 v113, v113, v123, vcc
	v_cndmask_b32_e32 v112, v112, v122, vcc
	;; [unrolled: 1-line block ×3, first 2 shown]
	s_cbranch_scc1 .LBB106_473
.LBB106_474:
	s_waitcnt lgkmcnt(0)
	v_cmp_eq_f64_e32 vcc, 0, v[112:113]
	s_and_saveexec_b64 s[0:1], vcc
	s_xor_b64 s[0:1], exec, s[0:1]
; %bb.475:
	v_cmp_ne_u32_e32 vcc, 0, v120
	v_cndmask_b32_e32 v120, 29, v120, vcc
; %bb.476:
	s_andn2_saveexec_b64 s[0:1], s[0:1]
; %bb.477:
	v_div_scale_f64 v[122:123], s[2:3], v[112:113], v[112:113], 1.0
	v_rcp_f64_e32 v[124:125], v[122:123]
	v_div_scale_f64 v[126:127], vcc, 1.0, v[112:113], 1.0
	v_fma_f64 v[128:129], -v[122:123], v[124:125], 1.0
	v_fmac_f64_e32 v[124:125], v[124:125], v[128:129]
	v_fma_f64 v[128:129], -v[122:123], v[124:125], 1.0
	v_fmac_f64_e32 v[124:125], v[124:125], v[128:129]
	v_mul_f64 v[128:129], v[126:127], v[124:125]
	v_fma_f64 v[122:123], -v[122:123], v[128:129], v[126:127]
	v_div_fmas_f64 v[122:123], v[122:123], v[124:125], v[128:129]
	v_div_fixup_f64 v[112:113], v[122:123], v[112:113], 1.0
; %bb.478:
	s_or_b64 exec, exec, s[0:1]
	v_cmp_ne_u32_e32 vcc, v117, v114
	s_and_saveexec_b64 s[0:1], vcc
	s_xor_b64 s[0:1], exec, s[0:1]
	s_cbranch_execz .LBB106_484
; %bb.479:
	v_cmp_eq_u32_e32 vcc, 28, v117
	s_and_saveexec_b64 s[2:3], vcc
	s_cbranch_execz .LBB106_483
; %bb.480:
	v_cmp_ne_u32_e32 vcc, 28, v114
	s_xor_b64 s[14:15], s[6:7], -1
	s_and_b64 s[16:17], s[14:15], vcc
	s_and_saveexec_b64 s[14:15], s[16:17]
	s_cbranch_execz .LBB106_482
; %bb.481:
	v_ashrrev_i32_e32 v115, 31, v114
	v_lshlrev_b64 v[122:123], 2, v[114:115]
	v_add_co_u32_e32 v122, vcc, v4, v122
	v_addc_co_u32_e32 v123, vcc, v5, v123, vcc
	flat_load_dword v115, v[122:123]
	flat_load_dword v117, v[4:5] offset:112
	s_waitcnt vmcnt(0) lgkmcnt(0)
	flat_store_dword v[4:5], v115 offset:112
	flat_store_dword v[122:123], v117
.LBB106_482:
	s_or_b64 exec, exec, s[14:15]
	v_mov_b32_e32 v115, v114
	v_mov_b32_e32 v117, v114
.LBB106_483:
	s_or_b64 exec, exec, s[2:3]
.LBB106_484:
	s_andn2_saveexec_b64 s[0:1], s[0:1]
	s_cbranch_execz .LBB106_486
; %bb.485:
	v_mov_b32_e32 v117, 28
	ds_write2_b64 v116, v[50:51], v[48:49] offset0:29 offset1:30
	ds_write2_b64 v116, v[46:47], v[44:45] offset0:31 offset1:32
	;; [unrolled: 1-line block ×12, first 2 shown]
	ds_write_b64 v116, v[110:111] offset:424
.LBB106_486:
	s_or_b64 exec, exec, s[0:1]
	v_cmp_lt_i32_e32 vcc, 28, v117
	s_waitcnt lgkmcnt(0)
	s_barrier
	s_and_saveexec_b64 s[0:1], vcc
	s_cbranch_execz .LBB106_488
; %bb.487:
	ds_read2_b64 v[122:125], v116 offset0:29 offset1:30
	ds_read2_b64 v[126:129], v116 offset0:31 offset1:32
	;; [unrolled: 1-line block ×3, first 2 shown]
	v_mul_f64 v[52:53], v[112:113], v[52:53]
	ds_read_b64 v[112:113], v116 offset:424
	s_waitcnt lgkmcnt(0)
	v_fma_f64 v[50:51], -v[52:53], v[122:123], v[50:51]
	v_fma_f64 v[48:49], -v[52:53], v[124:125], v[48:49]
	ds_read2_b64 v[122:125], v116 offset0:35 offset1:36
	v_fma_f64 v[46:47], -v[52:53], v[126:127], v[46:47]
	v_fma_f64 v[44:45], -v[52:53], v[128:129], v[44:45]
	;; [unrolled: 1-line block ×3, first 2 shown]
	ds_read2_b64 v[126:129], v116 offset0:37 offset1:38
	v_fma_f64 v[40:41], -v[52:53], v[132:133], v[40:41]
	ds_read2_b64 v[130:133], v116 offset0:39 offset1:40
	s_waitcnt lgkmcnt(0)
	v_fma_f64 v[38:39], -v[52:53], v[122:123], v[38:39]
	v_fma_f64 v[36:37], -v[52:53], v[124:125], v[36:37]
	;; [unrolled: 1-line block ×3, first 2 shown]
	ds_read2_b64 v[122:125], v116 offset0:41 offset1:42
	v_fma_f64 v[32:33], -v[52:53], v[128:129], v[32:33]
	ds_read2_b64 v[126:129], v116 offset0:43 offset1:44
	v_fma_f64 v[30:31], -v[52:53], v[130:131], v[30:31]
	v_fma_f64 v[28:29], -v[52:53], v[132:133], v[28:29]
	ds_read2_b64 v[130:133], v116 offset0:45 offset1:46
	s_waitcnt lgkmcnt(0)
	v_fma_f64 v[26:27], -v[52:53], v[122:123], v[26:27]
	v_fma_f64 v[24:25], -v[52:53], v[124:125], v[24:25]
	ds_read2_b64 v[122:125], v116 offset0:47 offset1:48
	v_fma_f64 v[22:23], -v[52:53], v[126:127], v[22:23]
	v_fma_f64 v[20:21], -v[52:53], v[128:129], v[20:21]
	;; [unrolled: 1-line block ×4, first 2 shown]
	ds_read2_b64 v[126:129], v116 offset0:49 offset1:50
	ds_read2_b64 v[130:133], v116 offset0:51 offset1:52
	s_waitcnt lgkmcnt(0)
	v_fma_f64 v[14:15], -v[52:53], v[122:123], v[14:15]
	v_fma_f64 v[12:13], -v[52:53], v[124:125], v[12:13]
	;; [unrolled: 1-line block ×7, first 2 shown]
.LBB106_488:
	s_or_b64 exec, exec, s[0:1]
	v_lshl_add_u32 v112, v117, 3, v116
	s_barrier
	ds_write_b64 v112, v[50:51]
	s_waitcnt lgkmcnt(0)
	s_barrier
	ds_read_b64 v[112:113], v116 offset:232
	s_cmp_lt_i32 s18, 31
	v_mov_b32_e32 v114, 29
	s_cbranch_scc1 .LBB106_491
; %bb.489:
	v_add_u32_e32 v121, 0xf0, v116
	s_mov_b32 s0, 30
	v_mov_b32_e32 v114, 29
.LBB106_490:                            ; =>This Inner Loop Header: Depth=1
	ds_read_b64 v[122:123], v121
	v_mov_b32_e32 v124, s0
	s_add_i32 s0, s0, 1
	v_add_u32_e32 v121, 8, v121
	s_cmp_lg_u32 s18, s0
	s_waitcnt lgkmcnt(0)
	v_cmp_lt_f64_e64 vcc, |v[112:113]|, |v[122:123]|
	v_cndmask_b32_e32 v113, v113, v123, vcc
	v_cndmask_b32_e32 v112, v112, v122, vcc
	;; [unrolled: 1-line block ×3, first 2 shown]
	s_cbranch_scc1 .LBB106_490
.LBB106_491:
	s_waitcnt lgkmcnt(0)
	v_cmp_eq_f64_e32 vcc, 0, v[112:113]
	s_and_saveexec_b64 s[0:1], vcc
	s_xor_b64 s[0:1], exec, s[0:1]
; %bb.492:
	v_cmp_ne_u32_e32 vcc, 0, v120
	v_cndmask_b32_e32 v120, 30, v120, vcc
; %bb.493:
	s_andn2_saveexec_b64 s[0:1], s[0:1]
; %bb.494:
	v_div_scale_f64 v[122:123], s[2:3], v[112:113], v[112:113], 1.0
	v_rcp_f64_e32 v[124:125], v[122:123]
	v_div_scale_f64 v[126:127], vcc, 1.0, v[112:113], 1.0
	v_fma_f64 v[128:129], -v[122:123], v[124:125], 1.0
	v_fmac_f64_e32 v[124:125], v[124:125], v[128:129]
	v_fma_f64 v[128:129], -v[122:123], v[124:125], 1.0
	v_fmac_f64_e32 v[124:125], v[124:125], v[128:129]
	v_mul_f64 v[128:129], v[126:127], v[124:125]
	v_fma_f64 v[122:123], -v[122:123], v[128:129], v[126:127]
	v_div_fmas_f64 v[122:123], v[122:123], v[124:125], v[128:129]
	v_div_fixup_f64 v[112:113], v[122:123], v[112:113], 1.0
; %bb.495:
	s_or_b64 exec, exec, s[0:1]
	v_cmp_ne_u32_e32 vcc, v117, v114
	s_and_saveexec_b64 s[0:1], vcc
	s_xor_b64 s[0:1], exec, s[0:1]
	s_cbranch_execz .LBB106_501
; %bb.496:
	v_cmp_eq_u32_e32 vcc, 29, v117
	s_and_saveexec_b64 s[2:3], vcc
	s_cbranch_execz .LBB106_500
; %bb.497:
	v_cmp_ne_u32_e32 vcc, 29, v114
	s_xor_b64 s[14:15], s[6:7], -1
	s_and_b64 s[16:17], s[14:15], vcc
	s_and_saveexec_b64 s[14:15], s[16:17]
	s_cbranch_execz .LBB106_499
; %bb.498:
	v_ashrrev_i32_e32 v115, 31, v114
	v_lshlrev_b64 v[122:123], 2, v[114:115]
	v_add_co_u32_e32 v122, vcc, v4, v122
	v_addc_co_u32_e32 v123, vcc, v5, v123, vcc
	flat_load_dword v115, v[122:123]
	flat_load_dword v117, v[4:5] offset:116
	s_waitcnt vmcnt(0) lgkmcnt(0)
	flat_store_dword v[4:5], v115 offset:116
	flat_store_dword v[122:123], v117
.LBB106_499:
	s_or_b64 exec, exec, s[14:15]
	v_mov_b32_e32 v115, v114
	v_mov_b32_e32 v117, v114
.LBB106_500:
	s_or_b64 exec, exec, s[2:3]
.LBB106_501:
	s_andn2_saveexec_b64 s[0:1], s[0:1]
	s_cbranch_execz .LBB106_503
; %bb.502:
	v_mov_b32_e32 v122, v48
	v_mov_b32_e32 v123, v49
	v_mov_b32_e32 v124, v46
	v_mov_b32_e32 v125, v47
	ds_write2_b64 v116, v[122:123], v[124:125] offset0:30 offset1:31
	v_mov_b32_e32 v122, v44
	v_mov_b32_e32 v123, v45
	v_mov_b32_e32 v124, v42
	v_mov_b32_e32 v125, v43
	ds_write2_b64 v116, v[122:123], v[124:125] offset0:32 offset1:33
	;; [unrolled: 5-line block ×11, first 2 shown]
	v_mov_b32_e32 v122, v0
	v_mov_b32_e32 v123, v1
	;; [unrolled: 1-line block ×3, first 2 shown]
	ds_write2_b64 v116, v[122:123], v[110:111] offset0:52 offset1:53
.LBB106_503:
	s_or_b64 exec, exec, s[0:1]
	v_cmp_lt_i32_e32 vcc, 29, v117
	s_waitcnt lgkmcnt(0)
	s_barrier
	s_and_saveexec_b64 s[0:1], vcc
	s_cbranch_execz .LBB106_505
; %bb.504:
	ds_read2_b64 v[122:125], v116 offset0:30 offset1:31
	ds_read2_b64 v[126:129], v116 offset0:32 offset1:33
	;; [unrolled: 1-line block ×3, first 2 shown]
	v_mul_f64 v[50:51], v[112:113], v[50:51]
	s_waitcnt lgkmcnt(0)
	v_fma_f64 v[48:49], -v[50:51], v[122:123], v[48:49]
	v_fma_f64 v[46:47], -v[50:51], v[124:125], v[46:47]
	ds_read2_b64 v[122:125], v116 offset0:36 offset1:37
	v_fma_f64 v[44:45], -v[50:51], v[126:127], v[44:45]
	v_fma_f64 v[42:43], -v[50:51], v[128:129], v[42:43]
	;; [unrolled: 1-line block ×3, first 2 shown]
	ds_read2_b64 v[126:129], v116 offset0:38 offset1:39
	v_fma_f64 v[38:39], -v[50:51], v[132:133], v[38:39]
	ds_read2_b64 v[130:133], v116 offset0:40 offset1:41
	s_waitcnt lgkmcnt(0)
	v_fma_f64 v[36:37], -v[50:51], v[122:123], v[36:37]
	v_fma_f64 v[34:35], -v[50:51], v[124:125], v[34:35]
	;; [unrolled: 1-line block ×3, first 2 shown]
	ds_read2_b64 v[122:125], v116 offset0:42 offset1:43
	v_fma_f64 v[30:31], -v[50:51], v[128:129], v[30:31]
	ds_read2_b64 v[126:129], v116 offset0:44 offset1:45
	v_fma_f64 v[28:29], -v[50:51], v[130:131], v[28:29]
	v_fma_f64 v[26:27], -v[50:51], v[132:133], v[26:27]
	ds_read2_b64 v[130:133], v116 offset0:46 offset1:47
	s_waitcnt lgkmcnt(0)
	v_fma_f64 v[24:25], -v[50:51], v[122:123], v[24:25]
	v_fma_f64 v[22:23], -v[50:51], v[124:125], v[22:23]
	ds_read2_b64 v[122:125], v116 offset0:48 offset1:49
	v_fma_f64 v[20:21], -v[50:51], v[126:127], v[20:21]
	v_fma_f64 v[18:19], -v[50:51], v[128:129], v[18:19]
	v_fma_f64 v[16:17], -v[50:51], v[130:131], v[16:17]
	ds_read2_b64 v[126:129], v116 offset0:50 offset1:51
	v_fma_f64 v[14:15], -v[50:51], v[132:133], v[14:15]
	ds_read2_b64 v[130:133], v116 offset0:52 offset1:53
	s_waitcnt lgkmcnt(0)
	v_fma_f64 v[12:13], -v[50:51], v[122:123], v[12:13]
	v_fma_f64 v[10:11], -v[50:51], v[124:125], v[10:11]
	v_fma_f64 v[8:9], -v[50:51], v[126:127], v[8:9]
	v_fma_f64 v[6:7], -v[50:51], v[128:129], v[6:7]
	v_fma_f64 v[0:1], -v[50:51], v[130:131], v[0:1]
	v_fma_f64 v[110:111], -v[50:51], v[132:133], v[110:111]
.LBB106_505:
	s_or_b64 exec, exec, s[0:1]
	v_lshl_add_u32 v112, v117, 3, v116
	s_barrier
	ds_write_b64 v112, v[48:49]
	s_waitcnt lgkmcnt(0)
	s_barrier
	ds_read_b64 v[112:113], v116 offset:240
	s_cmp_lt_i32 s18, 32
	v_mov_b32_e32 v114, 30
	s_cbranch_scc1 .LBB106_508
; %bb.506:
	v_add_u32_e32 v121, 0xf8, v116
	s_mov_b32 s0, 31
	v_mov_b32_e32 v114, 30
.LBB106_507:                            ; =>This Inner Loop Header: Depth=1
	ds_read_b64 v[122:123], v121
	v_mov_b32_e32 v124, s0
	s_add_i32 s0, s0, 1
	v_add_u32_e32 v121, 8, v121
	s_cmp_lg_u32 s18, s0
	s_waitcnt lgkmcnt(0)
	v_cmp_lt_f64_e64 vcc, |v[112:113]|, |v[122:123]|
	v_cndmask_b32_e32 v113, v113, v123, vcc
	v_cndmask_b32_e32 v112, v112, v122, vcc
	;; [unrolled: 1-line block ×3, first 2 shown]
	s_cbranch_scc1 .LBB106_507
.LBB106_508:
	s_waitcnt lgkmcnt(0)
	v_cmp_eq_f64_e32 vcc, 0, v[112:113]
	s_and_saveexec_b64 s[0:1], vcc
	s_xor_b64 s[0:1], exec, s[0:1]
; %bb.509:
	v_cmp_ne_u32_e32 vcc, 0, v120
	v_cndmask_b32_e32 v120, 31, v120, vcc
; %bb.510:
	s_andn2_saveexec_b64 s[0:1], s[0:1]
; %bb.511:
	v_div_scale_f64 v[122:123], s[2:3], v[112:113], v[112:113], 1.0
	v_rcp_f64_e32 v[124:125], v[122:123]
	v_div_scale_f64 v[126:127], vcc, 1.0, v[112:113], 1.0
	v_fma_f64 v[128:129], -v[122:123], v[124:125], 1.0
	v_fmac_f64_e32 v[124:125], v[124:125], v[128:129]
	v_fma_f64 v[128:129], -v[122:123], v[124:125], 1.0
	v_fmac_f64_e32 v[124:125], v[124:125], v[128:129]
	v_mul_f64 v[128:129], v[126:127], v[124:125]
	v_fma_f64 v[122:123], -v[122:123], v[128:129], v[126:127]
	v_div_fmas_f64 v[122:123], v[122:123], v[124:125], v[128:129]
	v_div_fixup_f64 v[112:113], v[122:123], v[112:113], 1.0
; %bb.512:
	s_or_b64 exec, exec, s[0:1]
	v_cmp_ne_u32_e32 vcc, v117, v114
	s_and_saveexec_b64 s[0:1], vcc
	s_xor_b64 s[0:1], exec, s[0:1]
	s_cbranch_execz .LBB106_518
; %bb.513:
	v_cmp_eq_u32_e32 vcc, 30, v117
	s_and_saveexec_b64 s[2:3], vcc
	s_cbranch_execz .LBB106_517
; %bb.514:
	v_cmp_ne_u32_e32 vcc, 30, v114
	s_xor_b64 s[14:15], s[6:7], -1
	s_and_b64 s[16:17], s[14:15], vcc
	s_and_saveexec_b64 s[14:15], s[16:17]
	s_cbranch_execz .LBB106_516
; %bb.515:
	v_ashrrev_i32_e32 v115, 31, v114
	v_lshlrev_b64 v[122:123], 2, v[114:115]
	v_add_co_u32_e32 v122, vcc, v4, v122
	v_addc_co_u32_e32 v123, vcc, v5, v123, vcc
	flat_load_dword v115, v[122:123]
	flat_load_dword v117, v[4:5] offset:120
	s_waitcnt vmcnt(0) lgkmcnt(0)
	flat_store_dword v[4:5], v115 offset:120
	flat_store_dword v[122:123], v117
.LBB106_516:
	s_or_b64 exec, exec, s[14:15]
	v_mov_b32_e32 v115, v114
	v_mov_b32_e32 v117, v114
.LBB106_517:
	s_or_b64 exec, exec, s[2:3]
.LBB106_518:
	s_andn2_saveexec_b64 s[0:1], s[0:1]
	s_cbranch_execz .LBB106_520
; %bb.519:
	v_mov_b32_e32 v117, 30
	ds_write2_b64 v116, v[46:47], v[44:45] offset0:31 offset1:32
	ds_write2_b64 v116, v[42:43], v[40:41] offset0:33 offset1:34
	;; [unrolled: 1-line block ×11, first 2 shown]
	ds_write_b64 v116, v[110:111] offset:424
.LBB106_520:
	s_or_b64 exec, exec, s[0:1]
	v_cmp_lt_i32_e32 vcc, 30, v117
	s_waitcnt lgkmcnt(0)
	s_barrier
	s_and_saveexec_b64 s[0:1], vcc
	s_cbranch_execz .LBB106_522
; %bb.521:
	ds_read2_b64 v[122:125], v116 offset0:31 offset1:32
	ds_read2_b64 v[126:129], v116 offset0:33 offset1:34
	v_mul_f64 v[48:49], v[112:113], v[48:49]
	ds_read2_b64 v[130:133], v116 offset0:35 offset1:36
	ds_read_b64 v[112:113], v116 offset:424
	s_waitcnt lgkmcnt(0)
	v_fma_f64 v[46:47], -v[48:49], v[122:123], v[46:47]
	v_fma_f64 v[44:45], -v[48:49], v[124:125], v[44:45]
	ds_read2_b64 v[122:125], v116 offset0:37 offset1:38
	v_fma_f64 v[42:43], -v[48:49], v[126:127], v[42:43]
	v_fma_f64 v[40:41], -v[48:49], v[128:129], v[40:41]
	ds_read2_b64 v[126:129], v116 offset0:39 offset1:40
	;; [unrolled: 3-line block ×3, first 2 shown]
	s_waitcnt lgkmcnt(0)
	v_fma_f64 v[34:35], -v[48:49], v[122:123], v[34:35]
	v_fma_f64 v[32:33], -v[48:49], v[124:125], v[32:33]
	;; [unrolled: 1-line block ×3, first 2 shown]
	ds_read2_b64 v[122:125], v116 offset0:43 offset1:44
	v_fma_f64 v[28:29], -v[48:49], v[128:129], v[28:29]
	ds_read2_b64 v[126:129], v116 offset0:45 offset1:46
	v_fma_f64 v[26:27], -v[48:49], v[130:131], v[26:27]
	v_fma_f64 v[24:25], -v[48:49], v[132:133], v[24:25]
	s_waitcnt lgkmcnt(0)
	v_fma_f64 v[22:23], -v[48:49], v[122:123], v[22:23]
	ds_read2_b64 v[130:133], v116 offset0:47 offset1:48
	v_fma_f64 v[20:21], -v[48:49], v[124:125], v[20:21]
	ds_read2_b64 v[122:125], v116 offset0:49 offset1:50
	v_fma_f64 v[18:19], -v[48:49], v[126:127], v[18:19]
	v_fma_f64 v[16:17], -v[48:49], v[128:129], v[16:17]
	ds_read2_b64 v[126:129], v116 offset0:51 offset1:52
	s_waitcnt lgkmcnt(0)
	v_fma_f64 v[14:15], -v[48:49], v[130:131], v[14:15]
	v_fma_f64 v[12:13], -v[48:49], v[132:133], v[12:13]
	v_fma_f64 v[10:11], -v[48:49], v[122:123], v[10:11]
	v_fma_f64 v[8:9], -v[48:49], v[124:125], v[8:9]
	v_fma_f64 v[6:7], -v[48:49], v[126:127], v[6:7]
	v_fma_f64 v[0:1], -v[48:49], v[128:129], v[0:1]
	v_fma_f64 v[110:111], -v[48:49], v[112:113], v[110:111]
.LBB106_522:
	s_or_b64 exec, exec, s[0:1]
	v_lshl_add_u32 v112, v117, 3, v116
	s_barrier
	ds_write_b64 v112, v[46:47]
	s_waitcnt lgkmcnt(0)
	s_barrier
	ds_read_b64 v[112:113], v116 offset:248
	s_cmp_lt_i32 s18, 33
	v_mov_b32_e32 v114, 31
	s_cbranch_scc1 .LBB106_525
; %bb.523:
	v_add_u32_e32 v121, 0x100, v116
	s_mov_b32 s0, 32
	v_mov_b32_e32 v114, 31
.LBB106_524:                            ; =>This Inner Loop Header: Depth=1
	ds_read_b64 v[122:123], v121
	v_mov_b32_e32 v124, s0
	s_add_i32 s0, s0, 1
	v_add_u32_e32 v121, 8, v121
	s_cmp_lg_u32 s18, s0
	s_waitcnt lgkmcnt(0)
	v_cmp_lt_f64_e64 vcc, |v[112:113]|, |v[122:123]|
	v_cndmask_b32_e32 v113, v113, v123, vcc
	v_cndmask_b32_e32 v112, v112, v122, vcc
	;; [unrolled: 1-line block ×3, first 2 shown]
	s_cbranch_scc1 .LBB106_524
.LBB106_525:
	s_waitcnt lgkmcnt(0)
	v_cmp_eq_f64_e32 vcc, 0, v[112:113]
	s_and_saveexec_b64 s[0:1], vcc
	s_xor_b64 s[0:1], exec, s[0:1]
; %bb.526:
	v_cmp_ne_u32_e32 vcc, 0, v120
	v_cndmask_b32_e32 v120, 32, v120, vcc
; %bb.527:
	s_andn2_saveexec_b64 s[0:1], s[0:1]
; %bb.528:
	v_div_scale_f64 v[122:123], s[2:3], v[112:113], v[112:113], 1.0
	v_rcp_f64_e32 v[124:125], v[122:123]
	v_div_scale_f64 v[126:127], vcc, 1.0, v[112:113], 1.0
	v_fma_f64 v[128:129], -v[122:123], v[124:125], 1.0
	v_fmac_f64_e32 v[124:125], v[124:125], v[128:129]
	v_fma_f64 v[128:129], -v[122:123], v[124:125], 1.0
	v_fmac_f64_e32 v[124:125], v[124:125], v[128:129]
	v_mul_f64 v[128:129], v[126:127], v[124:125]
	v_fma_f64 v[122:123], -v[122:123], v[128:129], v[126:127]
	v_div_fmas_f64 v[122:123], v[122:123], v[124:125], v[128:129]
	v_div_fixup_f64 v[112:113], v[122:123], v[112:113], 1.0
; %bb.529:
	s_or_b64 exec, exec, s[0:1]
	v_cmp_ne_u32_e32 vcc, v117, v114
	s_and_saveexec_b64 s[0:1], vcc
	s_xor_b64 s[0:1], exec, s[0:1]
	s_cbranch_execz .LBB106_535
; %bb.530:
	v_cmp_eq_u32_e32 vcc, 31, v117
	s_and_saveexec_b64 s[2:3], vcc
	s_cbranch_execz .LBB106_534
; %bb.531:
	v_cmp_ne_u32_e32 vcc, 31, v114
	s_xor_b64 s[14:15], s[6:7], -1
	s_and_b64 s[16:17], s[14:15], vcc
	s_and_saveexec_b64 s[14:15], s[16:17]
	s_cbranch_execz .LBB106_533
; %bb.532:
	v_ashrrev_i32_e32 v115, 31, v114
	v_lshlrev_b64 v[122:123], 2, v[114:115]
	v_add_co_u32_e32 v122, vcc, v4, v122
	v_addc_co_u32_e32 v123, vcc, v5, v123, vcc
	flat_load_dword v115, v[122:123]
	flat_load_dword v117, v[4:5] offset:124
	s_waitcnt vmcnt(0) lgkmcnt(0)
	flat_store_dword v[4:5], v115 offset:124
	flat_store_dword v[122:123], v117
.LBB106_533:
	s_or_b64 exec, exec, s[14:15]
	v_mov_b32_e32 v115, v114
	v_mov_b32_e32 v117, v114
.LBB106_534:
	s_or_b64 exec, exec, s[2:3]
.LBB106_535:
	s_andn2_saveexec_b64 s[0:1], s[0:1]
	s_cbranch_execz .LBB106_537
; %bb.536:
	v_mov_b32_e32 v122, v44
	v_mov_b32_e32 v123, v45
	v_mov_b32_e32 v124, v42
	v_mov_b32_e32 v125, v43
	ds_write2_b64 v116, v[122:123], v[124:125] offset0:32 offset1:33
	v_mov_b32_e32 v122, v40
	v_mov_b32_e32 v123, v41
	v_mov_b32_e32 v124, v38
	v_mov_b32_e32 v125, v39
	ds_write2_b64 v116, v[122:123], v[124:125] offset0:34 offset1:35
	;; [unrolled: 5-line block ×10, first 2 shown]
	v_mov_b32_e32 v122, v0
	v_mov_b32_e32 v123, v1
	;; [unrolled: 1-line block ×3, first 2 shown]
	ds_write2_b64 v116, v[122:123], v[110:111] offset0:52 offset1:53
.LBB106_537:
	s_or_b64 exec, exec, s[0:1]
	v_cmp_lt_i32_e32 vcc, 31, v117
	s_waitcnt lgkmcnt(0)
	s_barrier
	s_and_saveexec_b64 s[0:1], vcc
	s_cbranch_execz .LBB106_539
; %bb.538:
	ds_read2_b64 v[122:125], v116 offset0:32 offset1:33
	ds_read2_b64 v[126:129], v116 offset0:34 offset1:35
	v_mul_f64 v[46:47], v[112:113], v[46:47]
	ds_read2_b64 v[130:133], v116 offset0:36 offset1:37
	s_waitcnt lgkmcnt(0)
	v_fma_f64 v[44:45], -v[46:47], v[122:123], v[44:45]
	v_fma_f64 v[42:43], -v[46:47], v[124:125], v[42:43]
	ds_read2_b64 v[122:125], v116 offset0:38 offset1:39
	v_fma_f64 v[40:41], -v[46:47], v[126:127], v[40:41]
	v_fma_f64 v[38:39], -v[46:47], v[128:129], v[38:39]
	ds_read2_b64 v[126:129], v116 offset0:40 offset1:41
	v_fma_f64 v[36:37], -v[46:47], v[130:131], v[36:37]
	v_fma_f64 v[34:35], -v[46:47], v[132:133], v[34:35]
	ds_read2_b64 v[130:133], v116 offset0:42 offset1:43
	s_waitcnt lgkmcnt(0)
	v_fma_f64 v[32:33], -v[46:47], v[122:123], v[32:33]
	v_fma_f64 v[30:31], -v[46:47], v[124:125], v[30:31]
	;; [unrolled: 1-line block ×3, first 2 shown]
	ds_read2_b64 v[122:125], v116 offset0:44 offset1:45
	v_fma_f64 v[26:27], -v[46:47], v[128:129], v[26:27]
	ds_read2_b64 v[126:129], v116 offset0:46 offset1:47
	v_fma_f64 v[24:25], -v[46:47], v[130:131], v[24:25]
	v_fma_f64 v[22:23], -v[46:47], v[132:133], v[22:23]
	s_waitcnt lgkmcnt(0)
	v_fma_f64 v[20:21], -v[46:47], v[122:123], v[20:21]
	v_fma_f64 v[18:19], -v[46:47], v[124:125], v[18:19]
	ds_read2_b64 v[122:125], v116 offset0:48 offset1:49
	ds_read2_b64 v[130:133], v116 offset0:50 offset1:51
	v_fma_f64 v[16:17], -v[46:47], v[126:127], v[16:17]
	v_fma_f64 v[14:15], -v[46:47], v[128:129], v[14:15]
	ds_read2_b64 v[126:129], v116 offset0:52 offset1:53
	s_waitcnt lgkmcnt(0)
	v_fma_f64 v[12:13], -v[46:47], v[122:123], v[12:13]
	v_fma_f64 v[10:11], -v[46:47], v[124:125], v[10:11]
	;; [unrolled: 1-line block ×6, first 2 shown]
.LBB106_539:
	s_or_b64 exec, exec, s[0:1]
	v_lshl_add_u32 v112, v117, 3, v116
	s_barrier
	ds_write_b64 v112, v[44:45]
	s_waitcnt lgkmcnt(0)
	s_barrier
	ds_read_b64 v[112:113], v116 offset:256
	s_cmp_lt_i32 s18, 34
	v_mov_b32_e32 v114, 32
	s_cbranch_scc1 .LBB106_542
; %bb.540:
	v_add_u32_e32 v121, 0x108, v116
	s_mov_b32 s0, 33
	v_mov_b32_e32 v114, 32
.LBB106_541:                            ; =>This Inner Loop Header: Depth=1
	ds_read_b64 v[122:123], v121
	v_mov_b32_e32 v124, s0
	s_add_i32 s0, s0, 1
	v_add_u32_e32 v121, 8, v121
	s_cmp_lg_u32 s18, s0
	s_waitcnt lgkmcnt(0)
	v_cmp_lt_f64_e64 vcc, |v[112:113]|, |v[122:123]|
	v_cndmask_b32_e32 v113, v113, v123, vcc
	v_cndmask_b32_e32 v112, v112, v122, vcc
	;; [unrolled: 1-line block ×3, first 2 shown]
	s_cbranch_scc1 .LBB106_541
.LBB106_542:
	s_waitcnt lgkmcnt(0)
	v_cmp_eq_f64_e32 vcc, 0, v[112:113]
	s_and_saveexec_b64 s[0:1], vcc
	s_xor_b64 s[0:1], exec, s[0:1]
; %bb.543:
	v_cmp_ne_u32_e32 vcc, 0, v120
	v_cndmask_b32_e32 v120, 33, v120, vcc
; %bb.544:
	s_andn2_saveexec_b64 s[0:1], s[0:1]
; %bb.545:
	v_div_scale_f64 v[122:123], s[2:3], v[112:113], v[112:113], 1.0
	v_rcp_f64_e32 v[124:125], v[122:123]
	v_div_scale_f64 v[126:127], vcc, 1.0, v[112:113], 1.0
	v_fma_f64 v[128:129], -v[122:123], v[124:125], 1.0
	v_fmac_f64_e32 v[124:125], v[124:125], v[128:129]
	v_fma_f64 v[128:129], -v[122:123], v[124:125], 1.0
	v_fmac_f64_e32 v[124:125], v[124:125], v[128:129]
	v_mul_f64 v[128:129], v[126:127], v[124:125]
	v_fma_f64 v[122:123], -v[122:123], v[128:129], v[126:127]
	v_div_fmas_f64 v[122:123], v[122:123], v[124:125], v[128:129]
	v_div_fixup_f64 v[112:113], v[122:123], v[112:113], 1.0
; %bb.546:
	s_or_b64 exec, exec, s[0:1]
	v_cmp_ne_u32_e32 vcc, v117, v114
	s_and_saveexec_b64 s[0:1], vcc
	s_xor_b64 s[0:1], exec, s[0:1]
	s_cbranch_execz .LBB106_552
; %bb.547:
	v_cmp_eq_u32_e32 vcc, 32, v117
	s_and_saveexec_b64 s[2:3], vcc
	s_cbranch_execz .LBB106_551
; %bb.548:
	v_cmp_ne_u32_e32 vcc, 32, v114
	s_xor_b64 s[14:15], s[6:7], -1
	s_and_b64 s[16:17], s[14:15], vcc
	s_and_saveexec_b64 s[14:15], s[16:17]
	s_cbranch_execz .LBB106_550
; %bb.549:
	v_ashrrev_i32_e32 v115, 31, v114
	v_lshlrev_b64 v[122:123], 2, v[114:115]
	v_add_co_u32_e32 v122, vcc, v4, v122
	v_addc_co_u32_e32 v123, vcc, v5, v123, vcc
	flat_load_dword v115, v[122:123]
	flat_load_dword v117, v[4:5] offset:128
	s_waitcnt vmcnt(0) lgkmcnt(0)
	flat_store_dword v[4:5], v115 offset:128
	flat_store_dword v[122:123], v117
.LBB106_550:
	s_or_b64 exec, exec, s[14:15]
	v_mov_b32_e32 v115, v114
	v_mov_b32_e32 v117, v114
.LBB106_551:
	s_or_b64 exec, exec, s[2:3]
.LBB106_552:
	s_andn2_saveexec_b64 s[0:1], s[0:1]
	s_cbranch_execz .LBB106_554
; %bb.553:
	v_mov_b32_e32 v117, 32
	ds_write2_b64 v116, v[42:43], v[40:41] offset0:33 offset1:34
	ds_write2_b64 v116, v[38:39], v[36:37] offset0:35 offset1:36
	ds_write2_b64 v116, v[34:35], v[32:33] offset0:37 offset1:38
	ds_write2_b64 v116, v[30:31], v[28:29] offset0:39 offset1:40
	ds_write2_b64 v116, v[26:27], v[24:25] offset0:41 offset1:42
	ds_write2_b64 v116, v[22:23], v[20:21] offset0:43 offset1:44
	ds_write2_b64 v116, v[18:19], v[16:17] offset0:45 offset1:46
	ds_write2_b64 v116, v[14:15], v[12:13] offset0:47 offset1:48
	ds_write2_b64 v116, v[10:11], v[8:9] offset0:49 offset1:50
	ds_write2_b64 v116, v[6:7], v[0:1] offset0:51 offset1:52
	ds_write_b64 v116, v[110:111] offset:424
.LBB106_554:
	s_or_b64 exec, exec, s[0:1]
	v_cmp_lt_i32_e32 vcc, 32, v117
	s_waitcnt lgkmcnt(0)
	s_barrier
	s_and_saveexec_b64 s[0:1], vcc
	s_cbranch_execz .LBB106_556
; %bb.555:
	ds_read2_b64 v[122:125], v116 offset0:33 offset1:34
	ds_read2_b64 v[126:129], v116 offset0:35 offset1:36
	v_mul_f64 v[44:45], v[112:113], v[44:45]
	ds_read2_b64 v[130:133], v116 offset0:37 offset1:38
	ds_read_b64 v[112:113], v116 offset:424
	s_waitcnt lgkmcnt(0)
	v_fma_f64 v[42:43], -v[44:45], v[122:123], v[42:43]
	v_fma_f64 v[40:41], -v[44:45], v[124:125], v[40:41]
	ds_read2_b64 v[122:125], v116 offset0:39 offset1:40
	v_fma_f64 v[38:39], -v[44:45], v[126:127], v[38:39]
	v_fma_f64 v[36:37], -v[44:45], v[128:129], v[36:37]
	;; [unrolled: 1-line block ×3, first 2 shown]
	ds_read2_b64 v[126:129], v116 offset0:41 offset1:42
	v_fma_f64 v[32:33], -v[44:45], v[132:133], v[32:33]
	ds_read2_b64 v[130:133], v116 offset0:43 offset1:44
	s_waitcnt lgkmcnt(0)
	v_fma_f64 v[30:31], -v[44:45], v[122:123], v[30:31]
	v_fma_f64 v[28:29], -v[44:45], v[124:125], v[28:29]
	ds_read2_b64 v[122:125], v116 offset0:45 offset1:46
	v_fma_f64 v[26:27], -v[44:45], v[126:127], v[26:27]
	v_fma_f64 v[24:25], -v[44:45], v[128:129], v[24:25]
	ds_read2_b64 v[126:129], v116 offset0:47 offset1:48
	v_fma_f64 v[22:23], -v[44:45], v[130:131], v[22:23]
	v_fma_f64 v[20:21], -v[44:45], v[132:133], v[20:21]
	s_waitcnt lgkmcnt(0)
	v_fma_f64 v[18:19], -v[44:45], v[122:123], v[18:19]
	v_fma_f64 v[16:17], -v[44:45], v[124:125], v[16:17]
	ds_read2_b64 v[122:125], v116 offset0:49 offset1:50
	ds_read2_b64 v[130:133], v116 offset0:51 offset1:52
	v_fma_f64 v[14:15], -v[44:45], v[126:127], v[14:15]
	v_fma_f64 v[12:13], -v[44:45], v[128:129], v[12:13]
	;; [unrolled: 1-line block ×3, first 2 shown]
	s_waitcnt lgkmcnt(0)
	v_fma_f64 v[10:11], -v[44:45], v[122:123], v[10:11]
	v_fma_f64 v[8:9], -v[44:45], v[124:125], v[8:9]
	;; [unrolled: 1-line block ×4, first 2 shown]
.LBB106_556:
	s_or_b64 exec, exec, s[0:1]
	v_lshl_add_u32 v112, v117, 3, v116
	s_barrier
	ds_write_b64 v112, v[42:43]
	s_waitcnt lgkmcnt(0)
	s_barrier
	ds_read_b64 v[112:113], v116 offset:264
	s_cmp_lt_i32 s18, 35
	v_mov_b32_e32 v114, 33
	s_cbranch_scc1 .LBB106_559
; %bb.557:
	v_add_u32_e32 v121, 0x110, v116
	s_mov_b32 s0, 34
	v_mov_b32_e32 v114, 33
.LBB106_558:                            ; =>This Inner Loop Header: Depth=1
	ds_read_b64 v[122:123], v121
	v_mov_b32_e32 v124, s0
	s_add_i32 s0, s0, 1
	v_add_u32_e32 v121, 8, v121
	s_cmp_lg_u32 s18, s0
	s_waitcnt lgkmcnt(0)
	v_cmp_lt_f64_e64 vcc, |v[112:113]|, |v[122:123]|
	v_cndmask_b32_e32 v113, v113, v123, vcc
	v_cndmask_b32_e32 v112, v112, v122, vcc
	;; [unrolled: 1-line block ×3, first 2 shown]
	s_cbranch_scc1 .LBB106_558
.LBB106_559:
	s_waitcnt lgkmcnt(0)
	v_cmp_eq_f64_e32 vcc, 0, v[112:113]
	s_and_saveexec_b64 s[0:1], vcc
	s_xor_b64 s[0:1], exec, s[0:1]
; %bb.560:
	v_cmp_ne_u32_e32 vcc, 0, v120
	v_cndmask_b32_e32 v120, 34, v120, vcc
; %bb.561:
	s_andn2_saveexec_b64 s[0:1], s[0:1]
; %bb.562:
	v_div_scale_f64 v[122:123], s[2:3], v[112:113], v[112:113], 1.0
	v_rcp_f64_e32 v[124:125], v[122:123]
	v_div_scale_f64 v[126:127], vcc, 1.0, v[112:113], 1.0
	v_fma_f64 v[128:129], -v[122:123], v[124:125], 1.0
	v_fmac_f64_e32 v[124:125], v[124:125], v[128:129]
	v_fma_f64 v[128:129], -v[122:123], v[124:125], 1.0
	v_fmac_f64_e32 v[124:125], v[124:125], v[128:129]
	v_mul_f64 v[128:129], v[126:127], v[124:125]
	v_fma_f64 v[122:123], -v[122:123], v[128:129], v[126:127]
	v_div_fmas_f64 v[122:123], v[122:123], v[124:125], v[128:129]
	v_div_fixup_f64 v[112:113], v[122:123], v[112:113], 1.0
; %bb.563:
	s_or_b64 exec, exec, s[0:1]
	v_cmp_ne_u32_e32 vcc, v117, v114
	s_and_saveexec_b64 s[0:1], vcc
	s_xor_b64 s[0:1], exec, s[0:1]
	s_cbranch_execz .LBB106_569
; %bb.564:
	v_cmp_eq_u32_e32 vcc, 33, v117
	s_and_saveexec_b64 s[2:3], vcc
	s_cbranch_execz .LBB106_568
; %bb.565:
	v_cmp_ne_u32_e32 vcc, 33, v114
	s_xor_b64 s[14:15], s[6:7], -1
	s_and_b64 s[16:17], s[14:15], vcc
	s_and_saveexec_b64 s[14:15], s[16:17]
	s_cbranch_execz .LBB106_567
; %bb.566:
	v_ashrrev_i32_e32 v115, 31, v114
	v_lshlrev_b64 v[122:123], 2, v[114:115]
	v_add_co_u32_e32 v122, vcc, v4, v122
	v_addc_co_u32_e32 v123, vcc, v5, v123, vcc
	flat_load_dword v115, v[122:123]
	flat_load_dword v117, v[4:5] offset:132
	s_waitcnt vmcnt(0) lgkmcnt(0)
	flat_store_dword v[4:5], v115 offset:132
	flat_store_dword v[122:123], v117
.LBB106_567:
	s_or_b64 exec, exec, s[14:15]
	v_mov_b32_e32 v115, v114
	v_mov_b32_e32 v117, v114
.LBB106_568:
	s_or_b64 exec, exec, s[2:3]
.LBB106_569:
	s_andn2_saveexec_b64 s[0:1], s[0:1]
	s_cbranch_execz .LBB106_571
; %bb.570:
	v_mov_b32_e32 v122, v40
	v_mov_b32_e32 v123, v41
	v_mov_b32_e32 v124, v38
	v_mov_b32_e32 v125, v39
	ds_write2_b64 v116, v[122:123], v[124:125] offset0:34 offset1:35
	v_mov_b32_e32 v122, v36
	v_mov_b32_e32 v123, v37
	v_mov_b32_e32 v124, v34
	v_mov_b32_e32 v125, v35
	ds_write2_b64 v116, v[122:123], v[124:125] offset0:36 offset1:37
	;; [unrolled: 5-line block ×9, first 2 shown]
	v_mov_b32_e32 v122, v0
	v_mov_b32_e32 v123, v1
	;; [unrolled: 1-line block ×3, first 2 shown]
	ds_write2_b64 v116, v[122:123], v[110:111] offset0:52 offset1:53
.LBB106_571:
	s_or_b64 exec, exec, s[0:1]
	v_cmp_lt_i32_e32 vcc, 33, v117
	s_waitcnt lgkmcnt(0)
	s_barrier
	s_and_saveexec_b64 s[0:1], vcc
	s_cbranch_execz .LBB106_573
; %bb.572:
	ds_read2_b64 v[122:125], v116 offset0:34 offset1:35
	ds_read2_b64 v[126:129], v116 offset0:36 offset1:37
	v_mul_f64 v[42:43], v[112:113], v[42:43]
	ds_read2_b64 v[130:133], v116 offset0:38 offset1:39
	s_waitcnt lgkmcnt(0)
	v_fma_f64 v[40:41], -v[42:43], v[122:123], v[40:41]
	v_fma_f64 v[38:39], -v[42:43], v[124:125], v[38:39]
	ds_read2_b64 v[122:125], v116 offset0:40 offset1:41
	v_fma_f64 v[36:37], -v[42:43], v[126:127], v[36:37]
	v_fma_f64 v[34:35], -v[42:43], v[128:129], v[34:35]
	v_fma_f64 v[32:33], -v[42:43], v[130:131], v[32:33]
	ds_read2_b64 v[126:129], v116 offset0:42 offset1:43
	v_fma_f64 v[30:31], -v[42:43], v[132:133], v[30:31]
	ds_read2_b64 v[130:133], v116 offset0:44 offset1:45
	s_waitcnt lgkmcnt(0)
	v_fma_f64 v[28:29], -v[42:43], v[122:123], v[28:29]
	v_fma_f64 v[26:27], -v[42:43], v[124:125], v[26:27]
	ds_read2_b64 v[122:125], v116 offset0:46 offset1:47
	v_fma_f64 v[24:25], -v[42:43], v[126:127], v[24:25]
	v_fma_f64 v[22:23], -v[42:43], v[128:129], v[22:23]
	ds_read2_b64 v[126:129], v116 offset0:48 offset1:49
	v_fma_f64 v[20:21], -v[42:43], v[130:131], v[20:21]
	v_fma_f64 v[18:19], -v[42:43], v[132:133], v[18:19]
	s_waitcnt lgkmcnt(0)
	v_fma_f64 v[16:17], -v[42:43], v[122:123], v[16:17]
	ds_read2_b64 v[130:133], v116 offset0:50 offset1:51
	v_fma_f64 v[14:15], -v[42:43], v[124:125], v[14:15]
	ds_read2_b64 v[122:125], v116 offset0:52 offset1:53
	v_fma_f64 v[12:13], -v[42:43], v[126:127], v[12:13]
	v_fma_f64 v[10:11], -v[42:43], v[128:129], v[10:11]
	s_waitcnt lgkmcnt(0)
	v_fma_f64 v[8:9], -v[42:43], v[130:131], v[8:9]
	v_fma_f64 v[6:7], -v[42:43], v[132:133], v[6:7]
	;; [unrolled: 1-line block ×4, first 2 shown]
.LBB106_573:
	s_or_b64 exec, exec, s[0:1]
	v_lshl_add_u32 v112, v117, 3, v116
	s_barrier
	ds_write_b64 v112, v[40:41]
	s_waitcnt lgkmcnt(0)
	s_barrier
	ds_read_b64 v[112:113], v116 offset:272
	s_cmp_lt_i32 s18, 36
	v_mov_b32_e32 v114, 34
	s_cbranch_scc1 .LBB106_576
; %bb.574:
	v_add_u32_e32 v121, 0x118, v116
	s_mov_b32 s0, 35
	v_mov_b32_e32 v114, 34
.LBB106_575:                            ; =>This Inner Loop Header: Depth=1
	ds_read_b64 v[122:123], v121
	v_mov_b32_e32 v124, s0
	s_add_i32 s0, s0, 1
	v_add_u32_e32 v121, 8, v121
	s_cmp_lg_u32 s18, s0
	s_waitcnt lgkmcnt(0)
	v_cmp_lt_f64_e64 vcc, |v[112:113]|, |v[122:123]|
	v_cndmask_b32_e32 v113, v113, v123, vcc
	v_cndmask_b32_e32 v112, v112, v122, vcc
	;; [unrolled: 1-line block ×3, first 2 shown]
	s_cbranch_scc1 .LBB106_575
.LBB106_576:
	s_waitcnt lgkmcnt(0)
	v_cmp_eq_f64_e32 vcc, 0, v[112:113]
	s_and_saveexec_b64 s[0:1], vcc
	s_xor_b64 s[0:1], exec, s[0:1]
; %bb.577:
	v_cmp_ne_u32_e32 vcc, 0, v120
	v_cndmask_b32_e32 v120, 35, v120, vcc
; %bb.578:
	s_andn2_saveexec_b64 s[0:1], s[0:1]
; %bb.579:
	v_div_scale_f64 v[122:123], s[2:3], v[112:113], v[112:113], 1.0
	v_rcp_f64_e32 v[124:125], v[122:123]
	v_div_scale_f64 v[126:127], vcc, 1.0, v[112:113], 1.0
	v_fma_f64 v[128:129], -v[122:123], v[124:125], 1.0
	v_fmac_f64_e32 v[124:125], v[124:125], v[128:129]
	v_fma_f64 v[128:129], -v[122:123], v[124:125], 1.0
	v_fmac_f64_e32 v[124:125], v[124:125], v[128:129]
	v_mul_f64 v[128:129], v[126:127], v[124:125]
	v_fma_f64 v[122:123], -v[122:123], v[128:129], v[126:127]
	v_div_fmas_f64 v[122:123], v[122:123], v[124:125], v[128:129]
	v_div_fixup_f64 v[112:113], v[122:123], v[112:113], 1.0
; %bb.580:
	s_or_b64 exec, exec, s[0:1]
	v_cmp_ne_u32_e32 vcc, v117, v114
	s_and_saveexec_b64 s[0:1], vcc
	s_xor_b64 s[0:1], exec, s[0:1]
	s_cbranch_execz .LBB106_586
; %bb.581:
	v_cmp_eq_u32_e32 vcc, 34, v117
	s_and_saveexec_b64 s[2:3], vcc
	s_cbranch_execz .LBB106_585
; %bb.582:
	v_cmp_ne_u32_e32 vcc, 34, v114
	s_xor_b64 s[14:15], s[6:7], -1
	s_and_b64 s[16:17], s[14:15], vcc
	s_and_saveexec_b64 s[14:15], s[16:17]
	s_cbranch_execz .LBB106_584
; %bb.583:
	v_ashrrev_i32_e32 v115, 31, v114
	v_lshlrev_b64 v[122:123], 2, v[114:115]
	v_add_co_u32_e32 v122, vcc, v4, v122
	v_addc_co_u32_e32 v123, vcc, v5, v123, vcc
	flat_load_dword v115, v[122:123]
	flat_load_dword v117, v[4:5] offset:136
	s_waitcnt vmcnt(0) lgkmcnt(0)
	flat_store_dword v[4:5], v115 offset:136
	flat_store_dword v[122:123], v117
.LBB106_584:
	s_or_b64 exec, exec, s[14:15]
	v_mov_b32_e32 v115, v114
	v_mov_b32_e32 v117, v114
.LBB106_585:
	s_or_b64 exec, exec, s[2:3]
.LBB106_586:
	s_andn2_saveexec_b64 s[0:1], s[0:1]
	s_cbranch_execz .LBB106_588
; %bb.587:
	v_mov_b32_e32 v117, 34
	ds_write2_b64 v116, v[38:39], v[36:37] offset0:35 offset1:36
	ds_write2_b64 v116, v[34:35], v[32:33] offset0:37 offset1:38
	;; [unrolled: 1-line block ×9, first 2 shown]
	ds_write_b64 v116, v[110:111] offset:424
.LBB106_588:
	s_or_b64 exec, exec, s[0:1]
	v_cmp_lt_i32_e32 vcc, 34, v117
	s_waitcnt lgkmcnt(0)
	s_barrier
	s_and_saveexec_b64 s[0:1], vcc
	s_cbranch_execz .LBB106_590
; %bb.589:
	ds_read2_b64 v[122:125], v116 offset0:35 offset1:36
	ds_read2_b64 v[126:129], v116 offset0:37 offset1:38
	;; [unrolled: 1-line block ×3, first 2 shown]
	v_mul_f64 v[40:41], v[112:113], v[40:41]
	ds_read_b64 v[112:113], v116 offset:424
	s_waitcnt lgkmcnt(0)
	v_fma_f64 v[38:39], -v[40:41], v[122:123], v[38:39]
	v_fma_f64 v[36:37], -v[40:41], v[124:125], v[36:37]
	ds_read2_b64 v[122:125], v116 offset0:41 offset1:42
	v_fma_f64 v[34:35], -v[40:41], v[126:127], v[34:35]
	v_fma_f64 v[32:33], -v[40:41], v[128:129], v[32:33]
	v_fma_f64 v[30:31], -v[40:41], v[130:131], v[30:31]
	ds_read2_b64 v[126:129], v116 offset0:43 offset1:44
	v_fma_f64 v[28:29], -v[40:41], v[132:133], v[28:29]
	ds_read2_b64 v[130:133], v116 offset0:45 offset1:46
	s_waitcnt lgkmcnt(0)
	v_fma_f64 v[26:27], -v[40:41], v[122:123], v[26:27]
	v_fma_f64 v[24:25], -v[40:41], v[124:125], v[24:25]
	;; [unrolled: 1-line block ×3, first 2 shown]
	ds_read2_b64 v[122:125], v116 offset0:47 offset1:48
	v_fma_f64 v[20:21], -v[40:41], v[128:129], v[20:21]
	ds_read2_b64 v[126:129], v116 offset0:49 offset1:50
	v_fma_f64 v[18:19], -v[40:41], v[130:131], v[18:19]
	v_fma_f64 v[16:17], -v[40:41], v[132:133], v[16:17]
	ds_read2_b64 v[130:133], v116 offset0:51 offset1:52
	s_waitcnt lgkmcnt(0)
	v_fma_f64 v[14:15], -v[40:41], v[122:123], v[14:15]
	v_fma_f64 v[12:13], -v[40:41], v[124:125], v[12:13]
	;; [unrolled: 1-line block ×7, first 2 shown]
.LBB106_590:
	s_or_b64 exec, exec, s[0:1]
	v_lshl_add_u32 v112, v117, 3, v116
	s_barrier
	ds_write_b64 v112, v[38:39]
	s_waitcnt lgkmcnt(0)
	s_barrier
	ds_read_b64 v[112:113], v116 offset:280
	s_cmp_lt_i32 s18, 37
	v_mov_b32_e32 v114, 35
	s_cbranch_scc1 .LBB106_593
; %bb.591:
	v_add_u32_e32 v121, 0x120, v116
	s_mov_b32 s0, 36
	v_mov_b32_e32 v114, 35
.LBB106_592:                            ; =>This Inner Loop Header: Depth=1
	ds_read_b64 v[122:123], v121
	v_mov_b32_e32 v124, s0
	s_add_i32 s0, s0, 1
	v_add_u32_e32 v121, 8, v121
	s_cmp_lg_u32 s18, s0
	s_waitcnt lgkmcnt(0)
	v_cmp_lt_f64_e64 vcc, |v[112:113]|, |v[122:123]|
	v_cndmask_b32_e32 v113, v113, v123, vcc
	v_cndmask_b32_e32 v112, v112, v122, vcc
	;; [unrolled: 1-line block ×3, first 2 shown]
	s_cbranch_scc1 .LBB106_592
.LBB106_593:
	s_waitcnt lgkmcnt(0)
	v_cmp_eq_f64_e32 vcc, 0, v[112:113]
	s_and_saveexec_b64 s[0:1], vcc
	s_xor_b64 s[0:1], exec, s[0:1]
; %bb.594:
	v_cmp_ne_u32_e32 vcc, 0, v120
	v_cndmask_b32_e32 v120, 36, v120, vcc
; %bb.595:
	s_andn2_saveexec_b64 s[0:1], s[0:1]
; %bb.596:
	v_div_scale_f64 v[122:123], s[2:3], v[112:113], v[112:113], 1.0
	v_rcp_f64_e32 v[124:125], v[122:123]
	v_div_scale_f64 v[126:127], vcc, 1.0, v[112:113], 1.0
	v_fma_f64 v[128:129], -v[122:123], v[124:125], 1.0
	v_fmac_f64_e32 v[124:125], v[124:125], v[128:129]
	v_fma_f64 v[128:129], -v[122:123], v[124:125], 1.0
	v_fmac_f64_e32 v[124:125], v[124:125], v[128:129]
	v_mul_f64 v[128:129], v[126:127], v[124:125]
	v_fma_f64 v[122:123], -v[122:123], v[128:129], v[126:127]
	v_div_fmas_f64 v[122:123], v[122:123], v[124:125], v[128:129]
	v_div_fixup_f64 v[112:113], v[122:123], v[112:113], 1.0
; %bb.597:
	s_or_b64 exec, exec, s[0:1]
	v_cmp_ne_u32_e32 vcc, v117, v114
	s_and_saveexec_b64 s[0:1], vcc
	s_xor_b64 s[0:1], exec, s[0:1]
	s_cbranch_execz .LBB106_603
; %bb.598:
	v_cmp_eq_u32_e32 vcc, 35, v117
	s_and_saveexec_b64 s[2:3], vcc
	s_cbranch_execz .LBB106_602
; %bb.599:
	v_cmp_ne_u32_e32 vcc, 35, v114
	s_xor_b64 s[14:15], s[6:7], -1
	s_and_b64 s[16:17], s[14:15], vcc
	s_and_saveexec_b64 s[14:15], s[16:17]
	s_cbranch_execz .LBB106_601
; %bb.600:
	v_ashrrev_i32_e32 v115, 31, v114
	v_lshlrev_b64 v[122:123], 2, v[114:115]
	v_add_co_u32_e32 v122, vcc, v4, v122
	v_addc_co_u32_e32 v123, vcc, v5, v123, vcc
	flat_load_dword v115, v[122:123]
	flat_load_dword v117, v[4:5] offset:140
	s_waitcnt vmcnt(0) lgkmcnt(0)
	flat_store_dword v[4:5], v115 offset:140
	flat_store_dword v[122:123], v117
.LBB106_601:
	s_or_b64 exec, exec, s[14:15]
	v_mov_b32_e32 v115, v114
	v_mov_b32_e32 v117, v114
.LBB106_602:
	s_or_b64 exec, exec, s[2:3]
.LBB106_603:
	s_andn2_saveexec_b64 s[0:1], s[0:1]
	s_cbranch_execz .LBB106_605
; %bb.604:
	v_mov_b32_e32 v122, v36
	v_mov_b32_e32 v123, v37
	v_mov_b32_e32 v124, v34
	v_mov_b32_e32 v125, v35
	ds_write2_b64 v116, v[122:123], v[124:125] offset0:36 offset1:37
	v_mov_b32_e32 v122, v32
	v_mov_b32_e32 v123, v33
	v_mov_b32_e32 v124, v30
	v_mov_b32_e32 v125, v31
	ds_write2_b64 v116, v[122:123], v[124:125] offset0:38 offset1:39
	v_mov_b32_e32 v122, v28
	v_mov_b32_e32 v123, v29
	v_mov_b32_e32 v124, v26
	v_mov_b32_e32 v125, v27
	ds_write2_b64 v116, v[122:123], v[124:125] offset0:40 offset1:41
	v_mov_b32_e32 v122, v24
	v_mov_b32_e32 v123, v25
	v_mov_b32_e32 v124, v22
	v_mov_b32_e32 v125, v23
	ds_write2_b64 v116, v[122:123], v[124:125] offset0:42 offset1:43
	v_mov_b32_e32 v122, v20
	v_mov_b32_e32 v123, v21
	v_mov_b32_e32 v124, v18
	v_mov_b32_e32 v125, v19
	ds_write2_b64 v116, v[122:123], v[124:125] offset0:44 offset1:45
	v_mov_b32_e32 v122, v16
	v_mov_b32_e32 v123, v17
	v_mov_b32_e32 v124, v14
	v_mov_b32_e32 v125, v15
	ds_write2_b64 v116, v[122:123], v[124:125] offset0:46 offset1:47
	v_mov_b32_e32 v122, v12
	v_mov_b32_e32 v123, v13
	v_mov_b32_e32 v124, v10
	v_mov_b32_e32 v125, v11
	ds_write2_b64 v116, v[122:123], v[124:125] offset0:48 offset1:49
	v_mov_b32_e32 v122, v8
	v_mov_b32_e32 v123, v9
	v_mov_b32_e32 v124, v6
	v_mov_b32_e32 v125, v7
	ds_write2_b64 v116, v[122:123], v[124:125] offset0:50 offset1:51
	v_mov_b32_e32 v122, v0
	v_mov_b32_e32 v123, v1
	;; [unrolled: 1-line block ×3, first 2 shown]
	ds_write2_b64 v116, v[122:123], v[110:111] offset0:52 offset1:53
.LBB106_605:
	s_or_b64 exec, exec, s[0:1]
	v_cmp_lt_i32_e32 vcc, 35, v117
	s_waitcnt lgkmcnt(0)
	s_barrier
	s_and_saveexec_b64 s[0:1], vcc
	s_cbranch_execz .LBB106_607
; %bb.606:
	ds_read2_b64 v[122:125], v116 offset0:36 offset1:37
	ds_read2_b64 v[126:129], v116 offset0:38 offset1:39
	;; [unrolled: 1-line block ×3, first 2 shown]
	v_mul_f64 v[38:39], v[112:113], v[38:39]
	s_waitcnt lgkmcnt(0)
	v_fma_f64 v[36:37], -v[38:39], v[122:123], v[36:37]
	v_fma_f64 v[34:35], -v[38:39], v[124:125], v[34:35]
	ds_read2_b64 v[122:125], v116 offset0:42 offset1:43
	v_fma_f64 v[32:33], -v[38:39], v[126:127], v[32:33]
	v_fma_f64 v[30:31], -v[38:39], v[128:129], v[30:31]
	;; [unrolled: 1-line block ×3, first 2 shown]
	ds_read2_b64 v[126:129], v116 offset0:44 offset1:45
	v_fma_f64 v[26:27], -v[38:39], v[132:133], v[26:27]
	ds_read2_b64 v[130:133], v116 offset0:46 offset1:47
	s_waitcnt lgkmcnt(0)
	v_fma_f64 v[24:25], -v[38:39], v[122:123], v[24:25]
	v_fma_f64 v[22:23], -v[38:39], v[124:125], v[22:23]
	;; [unrolled: 1-line block ×4, first 2 shown]
	ds_read2_b64 v[122:125], v116 offset0:48 offset1:49
	ds_read2_b64 v[126:129], v116 offset0:50 offset1:51
	v_fma_f64 v[16:17], -v[38:39], v[130:131], v[16:17]
	v_fma_f64 v[14:15], -v[38:39], v[132:133], v[14:15]
	ds_read2_b64 v[130:133], v116 offset0:52 offset1:53
	s_waitcnt lgkmcnt(0)
	v_fma_f64 v[12:13], -v[38:39], v[122:123], v[12:13]
	v_fma_f64 v[10:11], -v[38:39], v[124:125], v[10:11]
	;; [unrolled: 1-line block ×6, first 2 shown]
.LBB106_607:
	s_or_b64 exec, exec, s[0:1]
	v_lshl_add_u32 v112, v117, 3, v116
	s_barrier
	ds_write_b64 v112, v[36:37]
	s_waitcnt lgkmcnt(0)
	s_barrier
	ds_read_b64 v[112:113], v116 offset:288
	s_cmp_lt_i32 s18, 38
	v_mov_b32_e32 v114, 36
	s_cbranch_scc1 .LBB106_610
; %bb.608:
	v_add_u32_e32 v121, 0x128, v116
	s_mov_b32 s0, 37
	v_mov_b32_e32 v114, 36
.LBB106_609:                            ; =>This Inner Loop Header: Depth=1
	ds_read_b64 v[122:123], v121
	v_mov_b32_e32 v124, s0
	s_add_i32 s0, s0, 1
	v_add_u32_e32 v121, 8, v121
	s_cmp_lg_u32 s18, s0
	s_waitcnt lgkmcnt(0)
	v_cmp_lt_f64_e64 vcc, |v[112:113]|, |v[122:123]|
	v_cndmask_b32_e32 v113, v113, v123, vcc
	v_cndmask_b32_e32 v112, v112, v122, vcc
	;; [unrolled: 1-line block ×3, first 2 shown]
	s_cbranch_scc1 .LBB106_609
.LBB106_610:
	s_waitcnt lgkmcnt(0)
	v_cmp_eq_f64_e32 vcc, 0, v[112:113]
	s_and_saveexec_b64 s[0:1], vcc
	s_xor_b64 s[0:1], exec, s[0:1]
; %bb.611:
	v_cmp_ne_u32_e32 vcc, 0, v120
	v_cndmask_b32_e32 v120, 37, v120, vcc
; %bb.612:
	s_andn2_saveexec_b64 s[0:1], s[0:1]
; %bb.613:
	v_div_scale_f64 v[122:123], s[2:3], v[112:113], v[112:113], 1.0
	v_rcp_f64_e32 v[124:125], v[122:123]
	v_div_scale_f64 v[126:127], vcc, 1.0, v[112:113], 1.0
	v_fma_f64 v[128:129], -v[122:123], v[124:125], 1.0
	v_fmac_f64_e32 v[124:125], v[124:125], v[128:129]
	v_fma_f64 v[128:129], -v[122:123], v[124:125], 1.0
	v_fmac_f64_e32 v[124:125], v[124:125], v[128:129]
	v_mul_f64 v[128:129], v[126:127], v[124:125]
	v_fma_f64 v[122:123], -v[122:123], v[128:129], v[126:127]
	v_div_fmas_f64 v[122:123], v[122:123], v[124:125], v[128:129]
	v_div_fixup_f64 v[112:113], v[122:123], v[112:113], 1.0
; %bb.614:
	s_or_b64 exec, exec, s[0:1]
	v_cmp_ne_u32_e32 vcc, v117, v114
	s_and_saveexec_b64 s[0:1], vcc
	s_xor_b64 s[0:1], exec, s[0:1]
	s_cbranch_execz .LBB106_620
; %bb.615:
	v_cmp_eq_u32_e32 vcc, 36, v117
	s_and_saveexec_b64 s[2:3], vcc
	s_cbranch_execz .LBB106_619
; %bb.616:
	v_cmp_ne_u32_e32 vcc, 36, v114
	s_xor_b64 s[14:15], s[6:7], -1
	s_and_b64 s[16:17], s[14:15], vcc
	s_and_saveexec_b64 s[14:15], s[16:17]
	s_cbranch_execz .LBB106_618
; %bb.617:
	v_ashrrev_i32_e32 v115, 31, v114
	v_lshlrev_b64 v[122:123], 2, v[114:115]
	v_add_co_u32_e32 v122, vcc, v4, v122
	v_addc_co_u32_e32 v123, vcc, v5, v123, vcc
	flat_load_dword v115, v[122:123]
	flat_load_dword v117, v[4:5] offset:144
	s_waitcnt vmcnt(0) lgkmcnt(0)
	flat_store_dword v[4:5], v115 offset:144
	flat_store_dword v[122:123], v117
.LBB106_618:
	s_or_b64 exec, exec, s[14:15]
	v_mov_b32_e32 v115, v114
	v_mov_b32_e32 v117, v114
.LBB106_619:
	s_or_b64 exec, exec, s[2:3]
.LBB106_620:
	s_andn2_saveexec_b64 s[0:1], s[0:1]
	s_cbranch_execz .LBB106_622
; %bb.621:
	v_mov_b32_e32 v117, 36
	ds_write2_b64 v116, v[34:35], v[32:33] offset0:37 offset1:38
	ds_write2_b64 v116, v[30:31], v[28:29] offset0:39 offset1:40
	;; [unrolled: 1-line block ×8, first 2 shown]
	ds_write_b64 v116, v[110:111] offset:424
.LBB106_622:
	s_or_b64 exec, exec, s[0:1]
	v_cmp_lt_i32_e32 vcc, 36, v117
	s_waitcnt lgkmcnt(0)
	s_barrier
	s_and_saveexec_b64 s[0:1], vcc
	s_cbranch_execz .LBB106_624
; %bb.623:
	ds_read2_b64 v[122:125], v116 offset0:37 offset1:38
	ds_read2_b64 v[126:129], v116 offset0:39 offset1:40
	v_mul_f64 v[36:37], v[112:113], v[36:37]
	ds_read2_b64 v[130:133], v116 offset0:41 offset1:42
	ds_read_b64 v[112:113], v116 offset:424
	s_waitcnt lgkmcnt(0)
	v_fma_f64 v[34:35], -v[36:37], v[122:123], v[34:35]
	v_fma_f64 v[32:33], -v[36:37], v[124:125], v[32:33]
	ds_read2_b64 v[122:125], v116 offset0:43 offset1:44
	v_fma_f64 v[30:31], -v[36:37], v[126:127], v[30:31]
	v_fma_f64 v[28:29], -v[36:37], v[128:129], v[28:29]
	ds_read2_b64 v[126:129], v116 offset0:45 offset1:46
	;; [unrolled: 3-line block ×3, first 2 shown]
	s_waitcnt lgkmcnt(0)
	v_fma_f64 v[22:23], -v[36:37], v[122:123], v[22:23]
	v_fma_f64 v[20:21], -v[36:37], v[124:125], v[20:21]
	;; [unrolled: 1-line block ×4, first 2 shown]
	ds_read2_b64 v[122:125], v116 offset0:49 offset1:50
	ds_read2_b64 v[126:129], v116 offset0:51 offset1:52
	v_fma_f64 v[14:15], -v[36:37], v[130:131], v[14:15]
	v_fma_f64 v[12:13], -v[36:37], v[132:133], v[12:13]
	;; [unrolled: 1-line block ×3, first 2 shown]
	s_waitcnt lgkmcnt(0)
	v_fma_f64 v[10:11], -v[36:37], v[122:123], v[10:11]
	v_fma_f64 v[8:9], -v[36:37], v[124:125], v[8:9]
	;; [unrolled: 1-line block ×4, first 2 shown]
.LBB106_624:
	s_or_b64 exec, exec, s[0:1]
	v_lshl_add_u32 v112, v117, 3, v116
	s_barrier
	ds_write_b64 v112, v[34:35]
	s_waitcnt lgkmcnt(0)
	s_barrier
	ds_read_b64 v[112:113], v116 offset:296
	s_cmp_lt_i32 s18, 39
	v_mov_b32_e32 v114, 37
	s_cbranch_scc1 .LBB106_627
; %bb.625:
	v_add_u32_e32 v121, 0x130, v116
	s_mov_b32 s0, 38
	v_mov_b32_e32 v114, 37
.LBB106_626:                            ; =>This Inner Loop Header: Depth=1
	ds_read_b64 v[122:123], v121
	v_mov_b32_e32 v124, s0
	s_add_i32 s0, s0, 1
	v_add_u32_e32 v121, 8, v121
	s_cmp_lg_u32 s18, s0
	s_waitcnt lgkmcnt(0)
	v_cmp_lt_f64_e64 vcc, |v[112:113]|, |v[122:123]|
	v_cndmask_b32_e32 v113, v113, v123, vcc
	v_cndmask_b32_e32 v112, v112, v122, vcc
	;; [unrolled: 1-line block ×3, first 2 shown]
	s_cbranch_scc1 .LBB106_626
.LBB106_627:
	s_waitcnt lgkmcnt(0)
	v_cmp_eq_f64_e32 vcc, 0, v[112:113]
	s_and_saveexec_b64 s[0:1], vcc
	s_xor_b64 s[0:1], exec, s[0:1]
; %bb.628:
	v_cmp_ne_u32_e32 vcc, 0, v120
	v_cndmask_b32_e32 v120, 38, v120, vcc
; %bb.629:
	s_andn2_saveexec_b64 s[0:1], s[0:1]
; %bb.630:
	v_div_scale_f64 v[122:123], s[2:3], v[112:113], v[112:113], 1.0
	v_rcp_f64_e32 v[124:125], v[122:123]
	v_div_scale_f64 v[126:127], vcc, 1.0, v[112:113], 1.0
	v_fma_f64 v[128:129], -v[122:123], v[124:125], 1.0
	v_fmac_f64_e32 v[124:125], v[124:125], v[128:129]
	v_fma_f64 v[128:129], -v[122:123], v[124:125], 1.0
	v_fmac_f64_e32 v[124:125], v[124:125], v[128:129]
	v_mul_f64 v[128:129], v[126:127], v[124:125]
	v_fma_f64 v[122:123], -v[122:123], v[128:129], v[126:127]
	v_div_fmas_f64 v[122:123], v[122:123], v[124:125], v[128:129]
	v_div_fixup_f64 v[112:113], v[122:123], v[112:113], 1.0
; %bb.631:
	s_or_b64 exec, exec, s[0:1]
	v_cmp_ne_u32_e32 vcc, v117, v114
	s_and_saveexec_b64 s[0:1], vcc
	s_xor_b64 s[0:1], exec, s[0:1]
	s_cbranch_execz .LBB106_637
; %bb.632:
	v_cmp_eq_u32_e32 vcc, 37, v117
	s_and_saveexec_b64 s[2:3], vcc
	s_cbranch_execz .LBB106_636
; %bb.633:
	v_cmp_ne_u32_e32 vcc, 37, v114
	s_xor_b64 s[14:15], s[6:7], -1
	s_and_b64 s[16:17], s[14:15], vcc
	s_and_saveexec_b64 s[14:15], s[16:17]
	s_cbranch_execz .LBB106_635
; %bb.634:
	v_ashrrev_i32_e32 v115, 31, v114
	v_lshlrev_b64 v[122:123], 2, v[114:115]
	v_add_co_u32_e32 v122, vcc, v4, v122
	v_addc_co_u32_e32 v123, vcc, v5, v123, vcc
	flat_load_dword v115, v[122:123]
	flat_load_dword v117, v[4:5] offset:148
	s_waitcnt vmcnt(0) lgkmcnt(0)
	flat_store_dword v[4:5], v115 offset:148
	flat_store_dword v[122:123], v117
.LBB106_635:
	s_or_b64 exec, exec, s[14:15]
	v_mov_b32_e32 v115, v114
	v_mov_b32_e32 v117, v114
.LBB106_636:
	s_or_b64 exec, exec, s[2:3]
.LBB106_637:
	s_andn2_saveexec_b64 s[0:1], s[0:1]
	s_cbranch_execz .LBB106_639
; %bb.638:
	v_mov_b32_e32 v122, v32
	v_mov_b32_e32 v123, v33
	v_mov_b32_e32 v124, v30
	v_mov_b32_e32 v125, v31
	ds_write2_b64 v116, v[122:123], v[124:125] offset0:38 offset1:39
	v_mov_b32_e32 v122, v28
	v_mov_b32_e32 v123, v29
	v_mov_b32_e32 v124, v26
	v_mov_b32_e32 v125, v27
	ds_write2_b64 v116, v[122:123], v[124:125] offset0:40 offset1:41
	;; [unrolled: 5-line block ×7, first 2 shown]
	v_mov_b32_e32 v122, v0
	v_mov_b32_e32 v123, v1
	;; [unrolled: 1-line block ×3, first 2 shown]
	ds_write2_b64 v116, v[122:123], v[110:111] offset0:52 offset1:53
.LBB106_639:
	s_or_b64 exec, exec, s[0:1]
	v_cmp_lt_i32_e32 vcc, 37, v117
	s_waitcnt lgkmcnt(0)
	s_barrier
	s_and_saveexec_b64 s[0:1], vcc
	s_cbranch_execz .LBB106_641
; %bb.640:
	ds_read2_b64 v[122:125], v116 offset0:38 offset1:39
	ds_read2_b64 v[126:129], v116 offset0:40 offset1:41
	v_mul_f64 v[34:35], v[112:113], v[34:35]
	ds_read2_b64 v[130:133], v116 offset0:42 offset1:43
	s_waitcnt lgkmcnt(0)
	v_fma_f64 v[32:33], -v[34:35], v[122:123], v[32:33]
	v_fma_f64 v[30:31], -v[34:35], v[124:125], v[30:31]
	ds_read2_b64 v[122:125], v116 offset0:44 offset1:45
	v_fma_f64 v[28:29], -v[34:35], v[126:127], v[28:29]
	v_fma_f64 v[26:27], -v[34:35], v[128:129], v[26:27]
	ds_read2_b64 v[126:129], v116 offset0:46 offset1:47
	v_fma_f64 v[24:25], -v[34:35], v[130:131], v[24:25]
	v_fma_f64 v[22:23], -v[34:35], v[132:133], v[22:23]
	s_waitcnt lgkmcnt(0)
	v_fma_f64 v[20:21], -v[34:35], v[122:123], v[20:21]
	v_fma_f64 v[18:19], -v[34:35], v[124:125], v[18:19]
	ds_read2_b64 v[122:125], v116 offset0:48 offset1:49
	v_fma_f64 v[16:17], -v[34:35], v[126:127], v[16:17]
	ds_read2_b64 v[130:133], v116 offset0:50 offset1:51
	v_fma_f64 v[14:15], -v[34:35], v[128:129], v[14:15]
	ds_read2_b64 v[126:129], v116 offset0:52 offset1:53
	s_waitcnt lgkmcnt(0)
	v_fma_f64 v[12:13], -v[34:35], v[122:123], v[12:13]
	v_fma_f64 v[10:11], -v[34:35], v[124:125], v[10:11]
	;; [unrolled: 1-line block ×6, first 2 shown]
.LBB106_641:
	s_or_b64 exec, exec, s[0:1]
	v_lshl_add_u32 v112, v117, 3, v116
	s_barrier
	ds_write_b64 v112, v[32:33]
	s_waitcnt lgkmcnt(0)
	s_barrier
	ds_read_b64 v[112:113], v116 offset:304
	s_cmp_lt_i32 s18, 40
	v_mov_b32_e32 v114, 38
	s_cbranch_scc1 .LBB106_644
; %bb.642:
	v_add_u32_e32 v121, 0x138, v116
	s_mov_b32 s0, 39
	v_mov_b32_e32 v114, 38
.LBB106_643:                            ; =>This Inner Loop Header: Depth=1
	ds_read_b64 v[122:123], v121
	v_mov_b32_e32 v124, s0
	s_add_i32 s0, s0, 1
	v_add_u32_e32 v121, 8, v121
	s_cmp_lg_u32 s18, s0
	s_waitcnt lgkmcnt(0)
	v_cmp_lt_f64_e64 vcc, |v[112:113]|, |v[122:123]|
	v_cndmask_b32_e32 v113, v113, v123, vcc
	v_cndmask_b32_e32 v112, v112, v122, vcc
	;; [unrolled: 1-line block ×3, first 2 shown]
	s_cbranch_scc1 .LBB106_643
.LBB106_644:
	s_waitcnt lgkmcnt(0)
	v_cmp_eq_f64_e32 vcc, 0, v[112:113]
	s_and_saveexec_b64 s[0:1], vcc
	s_xor_b64 s[0:1], exec, s[0:1]
; %bb.645:
	v_cmp_ne_u32_e32 vcc, 0, v120
	v_cndmask_b32_e32 v120, 39, v120, vcc
; %bb.646:
	s_andn2_saveexec_b64 s[0:1], s[0:1]
; %bb.647:
	v_div_scale_f64 v[122:123], s[2:3], v[112:113], v[112:113], 1.0
	v_rcp_f64_e32 v[124:125], v[122:123]
	v_div_scale_f64 v[126:127], vcc, 1.0, v[112:113], 1.0
	v_fma_f64 v[128:129], -v[122:123], v[124:125], 1.0
	v_fmac_f64_e32 v[124:125], v[124:125], v[128:129]
	v_fma_f64 v[128:129], -v[122:123], v[124:125], 1.0
	v_fmac_f64_e32 v[124:125], v[124:125], v[128:129]
	v_mul_f64 v[128:129], v[126:127], v[124:125]
	v_fma_f64 v[122:123], -v[122:123], v[128:129], v[126:127]
	v_div_fmas_f64 v[122:123], v[122:123], v[124:125], v[128:129]
	v_div_fixup_f64 v[112:113], v[122:123], v[112:113], 1.0
; %bb.648:
	s_or_b64 exec, exec, s[0:1]
	v_cmp_ne_u32_e32 vcc, v117, v114
	s_and_saveexec_b64 s[0:1], vcc
	s_xor_b64 s[0:1], exec, s[0:1]
	s_cbranch_execz .LBB106_654
; %bb.649:
	v_cmp_eq_u32_e32 vcc, 38, v117
	s_and_saveexec_b64 s[2:3], vcc
	s_cbranch_execz .LBB106_653
; %bb.650:
	v_cmp_ne_u32_e32 vcc, 38, v114
	s_xor_b64 s[14:15], s[6:7], -1
	s_and_b64 s[16:17], s[14:15], vcc
	s_and_saveexec_b64 s[14:15], s[16:17]
	s_cbranch_execz .LBB106_652
; %bb.651:
	v_ashrrev_i32_e32 v115, 31, v114
	v_lshlrev_b64 v[122:123], 2, v[114:115]
	v_add_co_u32_e32 v122, vcc, v4, v122
	v_addc_co_u32_e32 v123, vcc, v5, v123, vcc
	flat_load_dword v115, v[122:123]
	flat_load_dword v117, v[4:5] offset:152
	s_waitcnt vmcnt(0) lgkmcnt(0)
	flat_store_dword v[4:5], v115 offset:152
	flat_store_dword v[122:123], v117
.LBB106_652:
	s_or_b64 exec, exec, s[14:15]
	v_mov_b32_e32 v115, v114
	v_mov_b32_e32 v117, v114
.LBB106_653:
	s_or_b64 exec, exec, s[2:3]
.LBB106_654:
	s_andn2_saveexec_b64 s[0:1], s[0:1]
	s_cbranch_execz .LBB106_656
; %bb.655:
	v_mov_b32_e32 v117, 38
	ds_write2_b64 v116, v[30:31], v[28:29] offset0:39 offset1:40
	ds_write2_b64 v116, v[26:27], v[24:25] offset0:41 offset1:42
	;; [unrolled: 1-line block ×7, first 2 shown]
	ds_write_b64 v116, v[110:111] offset:424
.LBB106_656:
	s_or_b64 exec, exec, s[0:1]
	v_cmp_lt_i32_e32 vcc, 38, v117
	s_waitcnt lgkmcnt(0)
	s_barrier
	s_and_saveexec_b64 s[0:1], vcc
	s_cbranch_execz .LBB106_658
; %bb.657:
	ds_read2_b64 v[122:125], v116 offset0:39 offset1:40
	ds_read2_b64 v[126:129], v116 offset0:41 offset1:42
	v_mul_f64 v[32:33], v[112:113], v[32:33]
	ds_read2_b64 v[130:133], v116 offset0:43 offset1:44
	ds_read_b64 v[112:113], v116 offset:424
	s_waitcnt lgkmcnt(0)
	v_fma_f64 v[30:31], -v[32:33], v[122:123], v[30:31]
	v_fma_f64 v[28:29], -v[32:33], v[124:125], v[28:29]
	ds_read2_b64 v[122:125], v116 offset0:45 offset1:46
	v_fma_f64 v[26:27], -v[32:33], v[126:127], v[26:27]
	v_fma_f64 v[24:25], -v[32:33], v[128:129], v[24:25]
	;; [unrolled: 1-line block ×3, first 2 shown]
	ds_read2_b64 v[126:129], v116 offset0:47 offset1:48
	v_fma_f64 v[20:21], -v[32:33], v[132:133], v[20:21]
	s_waitcnt lgkmcnt(0)
	v_fma_f64 v[18:19], -v[32:33], v[122:123], v[18:19]
	v_fma_f64 v[16:17], -v[32:33], v[124:125], v[16:17]
	ds_read2_b64 v[122:125], v116 offset0:49 offset1:50
	ds_read2_b64 v[130:133], v116 offset0:51 offset1:52
	v_fma_f64 v[14:15], -v[32:33], v[126:127], v[14:15]
	v_fma_f64 v[12:13], -v[32:33], v[128:129], v[12:13]
	;; [unrolled: 1-line block ×3, first 2 shown]
	s_waitcnt lgkmcnt(0)
	v_fma_f64 v[10:11], -v[32:33], v[122:123], v[10:11]
	v_fma_f64 v[8:9], -v[32:33], v[124:125], v[8:9]
	;; [unrolled: 1-line block ×4, first 2 shown]
.LBB106_658:
	s_or_b64 exec, exec, s[0:1]
	v_lshl_add_u32 v112, v117, 3, v116
	s_barrier
	ds_write_b64 v112, v[30:31]
	s_waitcnt lgkmcnt(0)
	s_barrier
	ds_read_b64 v[112:113], v116 offset:312
	s_cmp_lt_i32 s18, 41
	v_mov_b32_e32 v114, 39
	s_cbranch_scc1 .LBB106_661
; %bb.659:
	v_add_u32_e32 v121, 0x140, v116
	s_mov_b32 s0, 40
	v_mov_b32_e32 v114, 39
.LBB106_660:                            ; =>This Inner Loop Header: Depth=1
	ds_read_b64 v[122:123], v121
	v_mov_b32_e32 v124, s0
	s_add_i32 s0, s0, 1
	v_add_u32_e32 v121, 8, v121
	s_cmp_lg_u32 s18, s0
	s_waitcnt lgkmcnt(0)
	v_cmp_lt_f64_e64 vcc, |v[112:113]|, |v[122:123]|
	v_cndmask_b32_e32 v113, v113, v123, vcc
	v_cndmask_b32_e32 v112, v112, v122, vcc
	;; [unrolled: 1-line block ×3, first 2 shown]
	s_cbranch_scc1 .LBB106_660
.LBB106_661:
	s_waitcnt lgkmcnt(0)
	v_cmp_eq_f64_e32 vcc, 0, v[112:113]
	s_and_saveexec_b64 s[0:1], vcc
	s_xor_b64 s[0:1], exec, s[0:1]
; %bb.662:
	v_cmp_ne_u32_e32 vcc, 0, v120
	v_cndmask_b32_e32 v120, 40, v120, vcc
; %bb.663:
	s_andn2_saveexec_b64 s[0:1], s[0:1]
; %bb.664:
	v_div_scale_f64 v[122:123], s[2:3], v[112:113], v[112:113], 1.0
	v_rcp_f64_e32 v[124:125], v[122:123]
	v_div_scale_f64 v[126:127], vcc, 1.0, v[112:113], 1.0
	v_fma_f64 v[128:129], -v[122:123], v[124:125], 1.0
	v_fmac_f64_e32 v[124:125], v[124:125], v[128:129]
	v_fma_f64 v[128:129], -v[122:123], v[124:125], 1.0
	v_fmac_f64_e32 v[124:125], v[124:125], v[128:129]
	v_mul_f64 v[128:129], v[126:127], v[124:125]
	v_fma_f64 v[122:123], -v[122:123], v[128:129], v[126:127]
	v_div_fmas_f64 v[122:123], v[122:123], v[124:125], v[128:129]
	v_div_fixup_f64 v[112:113], v[122:123], v[112:113], 1.0
; %bb.665:
	s_or_b64 exec, exec, s[0:1]
	v_cmp_ne_u32_e32 vcc, v117, v114
	s_and_saveexec_b64 s[0:1], vcc
	s_xor_b64 s[0:1], exec, s[0:1]
	s_cbranch_execz .LBB106_671
; %bb.666:
	v_cmp_eq_u32_e32 vcc, 39, v117
	s_and_saveexec_b64 s[2:3], vcc
	s_cbranch_execz .LBB106_670
; %bb.667:
	v_cmp_ne_u32_e32 vcc, 39, v114
	s_xor_b64 s[14:15], s[6:7], -1
	s_and_b64 s[16:17], s[14:15], vcc
	s_and_saveexec_b64 s[14:15], s[16:17]
	s_cbranch_execz .LBB106_669
; %bb.668:
	v_ashrrev_i32_e32 v115, 31, v114
	v_lshlrev_b64 v[122:123], 2, v[114:115]
	v_add_co_u32_e32 v122, vcc, v4, v122
	v_addc_co_u32_e32 v123, vcc, v5, v123, vcc
	flat_load_dword v115, v[122:123]
	flat_load_dword v117, v[4:5] offset:156
	s_waitcnt vmcnt(0) lgkmcnt(0)
	flat_store_dword v[4:5], v115 offset:156
	flat_store_dword v[122:123], v117
.LBB106_669:
	s_or_b64 exec, exec, s[14:15]
	v_mov_b32_e32 v115, v114
	v_mov_b32_e32 v117, v114
.LBB106_670:
	s_or_b64 exec, exec, s[2:3]
.LBB106_671:
	s_andn2_saveexec_b64 s[0:1], s[0:1]
	s_cbranch_execz .LBB106_673
; %bb.672:
	v_mov_b32_e32 v122, v28
	v_mov_b32_e32 v123, v29
	v_mov_b32_e32 v124, v26
	v_mov_b32_e32 v125, v27
	ds_write2_b64 v116, v[122:123], v[124:125] offset0:40 offset1:41
	v_mov_b32_e32 v122, v24
	v_mov_b32_e32 v123, v25
	v_mov_b32_e32 v124, v22
	v_mov_b32_e32 v125, v23
	ds_write2_b64 v116, v[122:123], v[124:125] offset0:42 offset1:43
	;; [unrolled: 5-line block ×6, first 2 shown]
	v_mov_b32_e32 v122, v0
	v_mov_b32_e32 v123, v1
	;; [unrolled: 1-line block ×3, first 2 shown]
	ds_write2_b64 v116, v[122:123], v[110:111] offset0:52 offset1:53
.LBB106_673:
	s_or_b64 exec, exec, s[0:1]
	v_cmp_lt_i32_e32 vcc, 39, v117
	s_waitcnt lgkmcnt(0)
	s_barrier
	s_and_saveexec_b64 s[0:1], vcc
	s_cbranch_execz .LBB106_675
; %bb.674:
	ds_read2_b64 v[122:125], v116 offset0:40 offset1:41
	ds_read2_b64 v[126:129], v116 offset0:42 offset1:43
	v_mul_f64 v[30:31], v[112:113], v[30:31]
	ds_read2_b64 v[130:133], v116 offset0:44 offset1:45
	s_waitcnt lgkmcnt(0)
	v_fma_f64 v[28:29], -v[30:31], v[122:123], v[28:29]
	v_fma_f64 v[26:27], -v[30:31], v[124:125], v[26:27]
	ds_read2_b64 v[122:125], v116 offset0:46 offset1:47
	v_fma_f64 v[24:25], -v[30:31], v[126:127], v[24:25]
	v_fma_f64 v[22:23], -v[30:31], v[128:129], v[22:23]
	;; [unrolled: 1-line block ×4, first 2 shown]
	ds_read2_b64 v[126:129], v116 offset0:48 offset1:49
	ds_read2_b64 v[130:133], v116 offset0:50 offset1:51
	s_waitcnt lgkmcnt(0)
	v_fma_f64 v[16:17], -v[30:31], v[122:123], v[16:17]
	v_fma_f64 v[14:15], -v[30:31], v[124:125], v[14:15]
	ds_read2_b64 v[122:125], v116 offset0:52 offset1:53
	v_fma_f64 v[12:13], -v[30:31], v[126:127], v[12:13]
	v_fma_f64 v[10:11], -v[30:31], v[128:129], v[10:11]
	;; [unrolled: 1-line block ×4, first 2 shown]
	s_waitcnt lgkmcnt(0)
	v_fma_f64 v[0:1], -v[30:31], v[122:123], v[0:1]
	v_fma_f64 v[110:111], -v[30:31], v[124:125], v[110:111]
.LBB106_675:
	s_or_b64 exec, exec, s[0:1]
	v_lshl_add_u32 v112, v117, 3, v116
	s_barrier
	ds_write_b64 v112, v[28:29]
	s_waitcnt lgkmcnt(0)
	s_barrier
	ds_read_b64 v[112:113], v116 offset:320
	s_cmp_lt_i32 s18, 42
	v_mov_b32_e32 v114, 40
	s_cbranch_scc1 .LBB106_678
; %bb.676:
	v_add_u32_e32 v121, 0x148, v116
	s_mov_b32 s0, 41
	v_mov_b32_e32 v114, 40
.LBB106_677:                            ; =>This Inner Loop Header: Depth=1
	ds_read_b64 v[122:123], v121
	v_mov_b32_e32 v124, s0
	s_add_i32 s0, s0, 1
	v_add_u32_e32 v121, 8, v121
	s_cmp_lg_u32 s18, s0
	s_waitcnt lgkmcnt(0)
	v_cmp_lt_f64_e64 vcc, |v[112:113]|, |v[122:123]|
	v_cndmask_b32_e32 v113, v113, v123, vcc
	v_cndmask_b32_e32 v112, v112, v122, vcc
	;; [unrolled: 1-line block ×3, first 2 shown]
	s_cbranch_scc1 .LBB106_677
.LBB106_678:
	s_waitcnt lgkmcnt(0)
	v_cmp_eq_f64_e32 vcc, 0, v[112:113]
	s_and_saveexec_b64 s[0:1], vcc
	s_xor_b64 s[0:1], exec, s[0:1]
; %bb.679:
	v_cmp_ne_u32_e32 vcc, 0, v120
	v_cndmask_b32_e32 v120, 41, v120, vcc
; %bb.680:
	s_andn2_saveexec_b64 s[0:1], s[0:1]
; %bb.681:
	v_div_scale_f64 v[122:123], s[2:3], v[112:113], v[112:113], 1.0
	v_rcp_f64_e32 v[124:125], v[122:123]
	v_div_scale_f64 v[126:127], vcc, 1.0, v[112:113], 1.0
	v_fma_f64 v[128:129], -v[122:123], v[124:125], 1.0
	v_fmac_f64_e32 v[124:125], v[124:125], v[128:129]
	v_fma_f64 v[128:129], -v[122:123], v[124:125], 1.0
	v_fmac_f64_e32 v[124:125], v[124:125], v[128:129]
	v_mul_f64 v[128:129], v[126:127], v[124:125]
	v_fma_f64 v[122:123], -v[122:123], v[128:129], v[126:127]
	v_div_fmas_f64 v[122:123], v[122:123], v[124:125], v[128:129]
	v_div_fixup_f64 v[112:113], v[122:123], v[112:113], 1.0
; %bb.682:
	s_or_b64 exec, exec, s[0:1]
	v_cmp_ne_u32_e32 vcc, v117, v114
	s_and_saveexec_b64 s[0:1], vcc
	s_xor_b64 s[0:1], exec, s[0:1]
	s_cbranch_execz .LBB106_688
; %bb.683:
	v_cmp_eq_u32_e32 vcc, 40, v117
	s_and_saveexec_b64 s[2:3], vcc
	s_cbranch_execz .LBB106_687
; %bb.684:
	v_cmp_ne_u32_e32 vcc, 40, v114
	s_xor_b64 s[14:15], s[6:7], -1
	s_and_b64 s[16:17], s[14:15], vcc
	s_and_saveexec_b64 s[14:15], s[16:17]
	s_cbranch_execz .LBB106_686
; %bb.685:
	v_ashrrev_i32_e32 v115, 31, v114
	v_lshlrev_b64 v[122:123], 2, v[114:115]
	v_add_co_u32_e32 v122, vcc, v4, v122
	v_addc_co_u32_e32 v123, vcc, v5, v123, vcc
	flat_load_dword v115, v[122:123]
	flat_load_dword v117, v[4:5] offset:160
	s_waitcnt vmcnt(0) lgkmcnt(0)
	flat_store_dword v[4:5], v115 offset:160
	flat_store_dword v[122:123], v117
.LBB106_686:
	s_or_b64 exec, exec, s[14:15]
	v_mov_b32_e32 v115, v114
	v_mov_b32_e32 v117, v114
.LBB106_687:
	s_or_b64 exec, exec, s[2:3]
.LBB106_688:
	s_andn2_saveexec_b64 s[0:1], s[0:1]
	s_cbranch_execz .LBB106_690
; %bb.689:
	v_mov_b32_e32 v117, 40
	ds_write2_b64 v116, v[26:27], v[24:25] offset0:41 offset1:42
	ds_write2_b64 v116, v[22:23], v[20:21] offset0:43 offset1:44
	;; [unrolled: 1-line block ×6, first 2 shown]
	ds_write_b64 v116, v[110:111] offset:424
.LBB106_690:
	s_or_b64 exec, exec, s[0:1]
	v_cmp_lt_i32_e32 vcc, 40, v117
	s_waitcnt lgkmcnt(0)
	s_barrier
	s_and_saveexec_b64 s[0:1], vcc
	s_cbranch_execz .LBB106_692
; %bb.691:
	ds_read2_b64 v[122:125], v116 offset0:41 offset1:42
	ds_read2_b64 v[126:129], v116 offset0:43 offset1:44
	;; [unrolled: 1-line block ×3, first 2 shown]
	v_mul_f64 v[28:29], v[112:113], v[28:29]
	ds_read_b64 v[112:113], v116 offset:424
	s_waitcnt lgkmcnt(0)
	v_fma_f64 v[26:27], -v[28:29], v[122:123], v[26:27]
	v_fma_f64 v[24:25], -v[28:29], v[124:125], v[24:25]
	ds_read2_b64 v[122:125], v116 offset0:47 offset1:48
	v_fma_f64 v[22:23], -v[28:29], v[126:127], v[22:23]
	v_fma_f64 v[20:21], -v[28:29], v[128:129], v[20:21]
	;; [unrolled: 1-line block ×4, first 2 shown]
	ds_read2_b64 v[126:129], v116 offset0:49 offset1:50
	ds_read2_b64 v[130:133], v116 offset0:51 offset1:52
	s_waitcnt lgkmcnt(0)
	v_fma_f64 v[14:15], -v[28:29], v[122:123], v[14:15]
	v_fma_f64 v[12:13], -v[28:29], v[124:125], v[12:13]
	;; [unrolled: 1-line block ×7, first 2 shown]
.LBB106_692:
	s_or_b64 exec, exec, s[0:1]
	v_lshl_add_u32 v112, v117, 3, v116
	s_barrier
	ds_write_b64 v112, v[26:27]
	s_waitcnt lgkmcnt(0)
	s_barrier
	ds_read_b64 v[112:113], v116 offset:328
	s_cmp_lt_i32 s18, 43
	v_mov_b32_e32 v114, 41
	s_cbranch_scc1 .LBB106_695
; %bb.693:
	v_add_u32_e32 v121, 0x150, v116
	s_mov_b32 s0, 42
	v_mov_b32_e32 v114, 41
.LBB106_694:                            ; =>This Inner Loop Header: Depth=1
	ds_read_b64 v[122:123], v121
	v_mov_b32_e32 v124, s0
	s_add_i32 s0, s0, 1
	v_add_u32_e32 v121, 8, v121
	s_cmp_lg_u32 s18, s0
	s_waitcnt lgkmcnt(0)
	v_cmp_lt_f64_e64 vcc, |v[112:113]|, |v[122:123]|
	v_cndmask_b32_e32 v113, v113, v123, vcc
	v_cndmask_b32_e32 v112, v112, v122, vcc
	;; [unrolled: 1-line block ×3, first 2 shown]
	s_cbranch_scc1 .LBB106_694
.LBB106_695:
	s_waitcnt lgkmcnt(0)
	v_cmp_eq_f64_e32 vcc, 0, v[112:113]
	s_and_saveexec_b64 s[0:1], vcc
	s_xor_b64 s[0:1], exec, s[0:1]
; %bb.696:
	v_cmp_ne_u32_e32 vcc, 0, v120
	v_cndmask_b32_e32 v120, 42, v120, vcc
; %bb.697:
	s_andn2_saveexec_b64 s[0:1], s[0:1]
; %bb.698:
	v_div_scale_f64 v[122:123], s[2:3], v[112:113], v[112:113], 1.0
	v_rcp_f64_e32 v[124:125], v[122:123]
	v_div_scale_f64 v[126:127], vcc, 1.0, v[112:113], 1.0
	v_fma_f64 v[128:129], -v[122:123], v[124:125], 1.0
	v_fmac_f64_e32 v[124:125], v[124:125], v[128:129]
	v_fma_f64 v[128:129], -v[122:123], v[124:125], 1.0
	v_fmac_f64_e32 v[124:125], v[124:125], v[128:129]
	v_mul_f64 v[128:129], v[126:127], v[124:125]
	v_fma_f64 v[122:123], -v[122:123], v[128:129], v[126:127]
	v_div_fmas_f64 v[122:123], v[122:123], v[124:125], v[128:129]
	v_div_fixup_f64 v[112:113], v[122:123], v[112:113], 1.0
; %bb.699:
	s_or_b64 exec, exec, s[0:1]
	v_cmp_ne_u32_e32 vcc, v117, v114
	s_and_saveexec_b64 s[0:1], vcc
	s_xor_b64 s[0:1], exec, s[0:1]
	s_cbranch_execz .LBB106_705
; %bb.700:
	v_cmp_eq_u32_e32 vcc, 41, v117
	s_and_saveexec_b64 s[2:3], vcc
	s_cbranch_execz .LBB106_704
; %bb.701:
	v_cmp_ne_u32_e32 vcc, 41, v114
	s_xor_b64 s[14:15], s[6:7], -1
	s_and_b64 s[16:17], s[14:15], vcc
	s_and_saveexec_b64 s[14:15], s[16:17]
	s_cbranch_execz .LBB106_703
; %bb.702:
	v_ashrrev_i32_e32 v115, 31, v114
	v_lshlrev_b64 v[122:123], 2, v[114:115]
	v_add_co_u32_e32 v122, vcc, v4, v122
	v_addc_co_u32_e32 v123, vcc, v5, v123, vcc
	flat_load_dword v115, v[122:123]
	flat_load_dword v117, v[4:5] offset:164
	s_waitcnt vmcnt(0) lgkmcnt(0)
	flat_store_dword v[4:5], v115 offset:164
	flat_store_dword v[122:123], v117
.LBB106_703:
	s_or_b64 exec, exec, s[14:15]
	v_mov_b32_e32 v115, v114
	v_mov_b32_e32 v117, v114
.LBB106_704:
	s_or_b64 exec, exec, s[2:3]
.LBB106_705:
	s_andn2_saveexec_b64 s[0:1], s[0:1]
	s_cbranch_execz .LBB106_707
; %bb.706:
	v_mov_b32_e32 v122, v24
	v_mov_b32_e32 v123, v25
	v_mov_b32_e32 v124, v22
	v_mov_b32_e32 v125, v23
	ds_write2_b64 v116, v[122:123], v[124:125] offset0:42 offset1:43
	v_mov_b32_e32 v122, v20
	v_mov_b32_e32 v123, v21
	v_mov_b32_e32 v124, v18
	v_mov_b32_e32 v125, v19
	ds_write2_b64 v116, v[122:123], v[124:125] offset0:44 offset1:45
	v_mov_b32_e32 v122, v16
	v_mov_b32_e32 v123, v17
	v_mov_b32_e32 v124, v14
	v_mov_b32_e32 v125, v15
	ds_write2_b64 v116, v[122:123], v[124:125] offset0:46 offset1:47
	v_mov_b32_e32 v122, v12
	v_mov_b32_e32 v123, v13
	v_mov_b32_e32 v124, v10
	v_mov_b32_e32 v125, v11
	ds_write2_b64 v116, v[122:123], v[124:125] offset0:48 offset1:49
	v_mov_b32_e32 v122, v8
	v_mov_b32_e32 v123, v9
	v_mov_b32_e32 v124, v6
	v_mov_b32_e32 v125, v7
	ds_write2_b64 v116, v[122:123], v[124:125] offset0:50 offset1:51
	v_mov_b32_e32 v122, v0
	v_mov_b32_e32 v123, v1
	v_mov_b32_e32 v117, 41
	ds_write2_b64 v116, v[122:123], v[110:111] offset0:52 offset1:53
.LBB106_707:
	s_or_b64 exec, exec, s[0:1]
	v_cmp_lt_i32_e32 vcc, 41, v117
	s_waitcnt lgkmcnt(0)
	s_barrier
	s_and_saveexec_b64 s[0:1], vcc
	s_cbranch_execz .LBB106_709
; %bb.708:
	ds_read2_b64 v[122:125], v116 offset0:42 offset1:43
	ds_read2_b64 v[126:129], v116 offset0:44 offset1:45
	;; [unrolled: 1-line block ×3, first 2 shown]
	v_mul_f64 v[26:27], v[112:113], v[26:27]
	s_waitcnt lgkmcnt(0)
	v_fma_f64 v[24:25], -v[26:27], v[122:123], v[24:25]
	v_fma_f64 v[22:23], -v[26:27], v[124:125], v[22:23]
	ds_read2_b64 v[122:125], v116 offset0:48 offset1:49
	v_fma_f64 v[20:21], -v[26:27], v[126:127], v[20:21]
	v_fma_f64 v[18:19], -v[26:27], v[128:129], v[18:19]
	;; [unrolled: 1-line block ×3, first 2 shown]
	ds_read2_b64 v[126:129], v116 offset0:50 offset1:51
	v_fma_f64 v[14:15], -v[26:27], v[132:133], v[14:15]
	ds_read2_b64 v[130:133], v116 offset0:52 offset1:53
	s_waitcnt lgkmcnt(0)
	v_fma_f64 v[12:13], -v[26:27], v[122:123], v[12:13]
	v_fma_f64 v[10:11], -v[26:27], v[124:125], v[10:11]
	;; [unrolled: 1-line block ×6, first 2 shown]
.LBB106_709:
	s_or_b64 exec, exec, s[0:1]
	v_lshl_add_u32 v112, v117, 3, v116
	s_barrier
	ds_write_b64 v112, v[24:25]
	s_waitcnt lgkmcnt(0)
	s_barrier
	ds_read_b64 v[112:113], v116 offset:336
	s_cmp_lt_i32 s18, 44
	v_mov_b32_e32 v114, 42
	s_cbranch_scc1 .LBB106_712
; %bb.710:
	v_add_u32_e32 v121, 0x158, v116
	s_mov_b32 s0, 43
	v_mov_b32_e32 v114, 42
.LBB106_711:                            ; =>This Inner Loop Header: Depth=1
	ds_read_b64 v[122:123], v121
	v_mov_b32_e32 v124, s0
	s_add_i32 s0, s0, 1
	v_add_u32_e32 v121, 8, v121
	s_cmp_lg_u32 s18, s0
	s_waitcnt lgkmcnt(0)
	v_cmp_lt_f64_e64 vcc, |v[112:113]|, |v[122:123]|
	v_cndmask_b32_e32 v113, v113, v123, vcc
	v_cndmask_b32_e32 v112, v112, v122, vcc
	;; [unrolled: 1-line block ×3, first 2 shown]
	s_cbranch_scc1 .LBB106_711
.LBB106_712:
	s_waitcnt lgkmcnt(0)
	v_cmp_eq_f64_e32 vcc, 0, v[112:113]
	s_and_saveexec_b64 s[0:1], vcc
	s_xor_b64 s[0:1], exec, s[0:1]
; %bb.713:
	v_cmp_ne_u32_e32 vcc, 0, v120
	v_cndmask_b32_e32 v120, 43, v120, vcc
; %bb.714:
	s_andn2_saveexec_b64 s[0:1], s[0:1]
; %bb.715:
	v_div_scale_f64 v[122:123], s[2:3], v[112:113], v[112:113], 1.0
	v_rcp_f64_e32 v[124:125], v[122:123]
	v_div_scale_f64 v[126:127], vcc, 1.0, v[112:113], 1.0
	v_fma_f64 v[128:129], -v[122:123], v[124:125], 1.0
	v_fmac_f64_e32 v[124:125], v[124:125], v[128:129]
	v_fma_f64 v[128:129], -v[122:123], v[124:125], 1.0
	v_fmac_f64_e32 v[124:125], v[124:125], v[128:129]
	v_mul_f64 v[128:129], v[126:127], v[124:125]
	v_fma_f64 v[122:123], -v[122:123], v[128:129], v[126:127]
	v_div_fmas_f64 v[122:123], v[122:123], v[124:125], v[128:129]
	v_div_fixup_f64 v[112:113], v[122:123], v[112:113], 1.0
; %bb.716:
	s_or_b64 exec, exec, s[0:1]
	v_cmp_ne_u32_e32 vcc, v117, v114
	s_and_saveexec_b64 s[0:1], vcc
	s_xor_b64 s[0:1], exec, s[0:1]
	s_cbranch_execz .LBB106_722
; %bb.717:
	v_cmp_eq_u32_e32 vcc, 42, v117
	s_and_saveexec_b64 s[2:3], vcc
	s_cbranch_execz .LBB106_721
; %bb.718:
	v_cmp_ne_u32_e32 vcc, 42, v114
	s_xor_b64 s[14:15], s[6:7], -1
	s_and_b64 s[16:17], s[14:15], vcc
	s_and_saveexec_b64 s[14:15], s[16:17]
	s_cbranch_execz .LBB106_720
; %bb.719:
	v_ashrrev_i32_e32 v115, 31, v114
	v_lshlrev_b64 v[122:123], 2, v[114:115]
	v_add_co_u32_e32 v122, vcc, v4, v122
	v_addc_co_u32_e32 v123, vcc, v5, v123, vcc
	flat_load_dword v115, v[122:123]
	flat_load_dword v117, v[4:5] offset:168
	s_waitcnt vmcnt(0) lgkmcnt(0)
	flat_store_dword v[4:5], v115 offset:168
	flat_store_dword v[122:123], v117
.LBB106_720:
	s_or_b64 exec, exec, s[14:15]
	v_mov_b32_e32 v115, v114
	v_mov_b32_e32 v117, v114
.LBB106_721:
	s_or_b64 exec, exec, s[2:3]
.LBB106_722:
	s_andn2_saveexec_b64 s[0:1], s[0:1]
	s_cbranch_execz .LBB106_724
; %bb.723:
	v_mov_b32_e32 v117, 42
	ds_write2_b64 v116, v[22:23], v[20:21] offset0:43 offset1:44
	ds_write2_b64 v116, v[18:19], v[16:17] offset0:45 offset1:46
	;; [unrolled: 1-line block ×5, first 2 shown]
	ds_write_b64 v116, v[110:111] offset:424
.LBB106_724:
	s_or_b64 exec, exec, s[0:1]
	v_cmp_lt_i32_e32 vcc, 42, v117
	s_waitcnt lgkmcnt(0)
	s_barrier
	s_and_saveexec_b64 s[0:1], vcc
	s_cbranch_execz .LBB106_726
; %bb.725:
	ds_read2_b64 v[122:125], v116 offset0:43 offset1:44
	ds_read2_b64 v[126:129], v116 offset0:45 offset1:46
	v_mul_f64 v[24:25], v[112:113], v[24:25]
	ds_read2_b64 v[130:133], v116 offset0:47 offset1:48
	ds_read_b64 v[112:113], v116 offset:424
	s_waitcnt lgkmcnt(0)
	v_fma_f64 v[22:23], -v[24:25], v[122:123], v[22:23]
	v_fma_f64 v[20:21], -v[24:25], v[124:125], v[20:21]
	ds_read2_b64 v[122:125], v116 offset0:49 offset1:50
	v_fma_f64 v[18:19], -v[24:25], v[126:127], v[18:19]
	v_fma_f64 v[16:17], -v[24:25], v[128:129], v[16:17]
	ds_read2_b64 v[126:129], v116 offset0:51 offset1:52
	v_fma_f64 v[14:15], -v[24:25], v[130:131], v[14:15]
	v_fma_f64 v[12:13], -v[24:25], v[132:133], v[12:13]
	s_waitcnt lgkmcnt(0)
	v_fma_f64 v[10:11], -v[24:25], v[122:123], v[10:11]
	v_fma_f64 v[8:9], -v[24:25], v[124:125], v[8:9]
	v_fma_f64 v[6:7], -v[24:25], v[126:127], v[6:7]
	v_fma_f64 v[0:1], -v[24:25], v[128:129], v[0:1]
	v_fma_f64 v[110:111], -v[24:25], v[112:113], v[110:111]
.LBB106_726:
	s_or_b64 exec, exec, s[0:1]
	v_lshl_add_u32 v112, v117, 3, v116
	s_barrier
	ds_write_b64 v112, v[22:23]
	s_waitcnt lgkmcnt(0)
	s_barrier
	ds_read_b64 v[112:113], v116 offset:344
	s_cmp_lt_i32 s18, 45
	v_mov_b32_e32 v114, 43
	s_cbranch_scc1 .LBB106_729
; %bb.727:
	v_add_u32_e32 v121, 0x160, v116
	s_mov_b32 s0, 44
	v_mov_b32_e32 v114, 43
.LBB106_728:                            ; =>This Inner Loop Header: Depth=1
	ds_read_b64 v[122:123], v121
	v_mov_b32_e32 v124, s0
	s_add_i32 s0, s0, 1
	v_add_u32_e32 v121, 8, v121
	s_cmp_lg_u32 s18, s0
	s_waitcnt lgkmcnt(0)
	v_cmp_lt_f64_e64 vcc, |v[112:113]|, |v[122:123]|
	v_cndmask_b32_e32 v113, v113, v123, vcc
	v_cndmask_b32_e32 v112, v112, v122, vcc
	v_cndmask_b32_e32 v114, v114, v124, vcc
	s_cbranch_scc1 .LBB106_728
.LBB106_729:
	s_waitcnt lgkmcnt(0)
	v_cmp_eq_f64_e32 vcc, 0, v[112:113]
	s_and_saveexec_b64 s[0:1], vcc
	s_xor_b64 s[0:1], exec, s[0:1]
; %bb.730:
	v_cmp_ne_u32_e32 vcc, 0, v120
	v_cndmask_b32_e32 v120, 44, v120, vcc
; %bb.731:
	s_andn2_saveexec_b64 s[0:1], s[0:1]
; %bb.732:
	v_div_scale_f64 v[122:123], s[2:3], v[112:113], v[112:113], 1.0
	v_rcp_f64_e32 v[124:125], v[122:123]
	v_div_scale_f64 v[126:127], vcc, 1.0, v[112:113], 1.0
	v_fma_f64 v[128:129], -v[122:123], v[124:125], 1.0
	v_fmac_f64_e32 v[124:125], v[124:125], v[128:129]
	v_fma_f64 v[128:129], -v[122:123], v[124:125], 1.0
	v_fmac_f64_e32 v[124:125], v[124:125], v[128:129]
	v_mul_f64 v[128:129], v[126:127], v[124:125]
	v_fma_f64 v[122:123], -v[122:123], v[128:129], v[126:127]
	v_div_fmas_f64 v[122:123], v[122:123], v[124:125], v[128:129]
	v_div_fixup_f64 v[112:113], v[122:123], v[112:113], 1.0
; %bb.733:
	s_or_b64 exec, exec, s[0:1]
	v_cmp_ne_u32_e32 vcc, v117, v114
	s_and_saveexec_b64 s[0:1], vcc
	s_xor_b64 s[0:1], exec, s[0:1]
	s_cbranch_execz .LBB106_739
; %bb.734:
	v_cmp_eq_u32_e32 vcc, 43, v117
	s_and_saveexec_b64 s[2:3], vcc
	s_cbranch_execz .LBB106_738
; %bb.735:
	v_cmp_ne_u32_e32 vcc, 43, v114
	s_xor_b64 s[14:15], s[6:7], -1
	s_and_b64 s[16:17], s[14:15], vcc
	s_and_saveexec_b64 s[14:15], s[16:17]
	s_cbranch_execz .LBB106_737
; %bb.736:
	v_ashrrev_i32_e32 v115, 31, v114
	v_lshlrev_b64 v[122:123], 2, v[114:115]
	v_add_co_u32_e32 v122, vcc, v4, v122
	v_addc_co_u32_e32 v123, vcc, v5, v123, vcc
	flat_load_dword v115, v[122:123]
	flat_load_dword v117, v[4:5] offset:172
	s_waitcnt vmcnt(0) lgkmcnt(0)
	flat_store_dword v[4:5], v115 offset:172
	flat_store_dword v[122:123], v117
.LBB106_737:
	s_or_b64 exec, exec, s[14:15]
	v_mov_b32_e32 v115, v114
	v_mov_b32_e32 v117, v114
.LBB106_738:
	s_or_b64 exec, exec, s[2:3]
.LBB106_739:
	s_andn2_saveexec_b64 s[0:1], s[0:1]
	s_cbranch_execz .LBB106_741
; %bb.740:
	v_mov_b32_e32 v122, v20
	v_mov_b32_e32 v123, v21
	v_mov_b32_e32 v124, v18
	v_mov_b32_e32 v125, v19
	ds_write2_b64 v116, v[122:123], v[124:125] offset0:44 offset1:45
	v_mov_b32_e32 v122, v16
	v_mov_b32_e32 v123, v17
	v_mov_b32_e32 v124, v14
	v_mov_b32_e32 v125, v15
	ds_write2_b64 v116, v[122:123], v[124:125] offset0:46 offset1:47
	;; [unrolled: 5-line block ×4, first 2 shown]
	v_mov_b32_e32 v122, v0
	v_mov_b32_e32 v123, v1
	;; [unrolled: 1-line block ×3, first 2 shown]
	ds_write2_b64 v116, v[122:123], v[110:111] offset0:52 offset1:53
.LBB106_741:
	s_or_b64 exec, exec, s[0:1]
	v_cmp_lt_i32_e32 vcc, 43, v117
	s_waitcnt lgkmcnt(0)
	s_barrier
	s_and_saveexec_b64 s[0:1], vcc
	s_cbranch_execz .LBB106_743
; %bb.742:
	ds_read2_b64 v[122:125], v116 offset0:44 offset1:45
	ds_read2_b64 v[126:129], v116 offset0:46 offset1:47
	v_mul_f64 v[22:23], v[112:113], v[22:23]
	ds_read2_b64 v[130:133], v116 offset0:50 offset1:51
	s_waitcnt lgkmcnt(0)
	v_fma_f64 v[20:21], -v[22:23], v[122:123], v[20:21]
	v_fma_f64 v[18:19], -v[22:23], v[124:125], v[18:19]
	ds_read2_b64 v[122:125], v116 offset0:48 offset1:49
	v_fma_f64 v[16:17], -v[22:23], v[126:127], v[16:17]
	v_fma_f64 v[14:15], -v[22:23], v[128:129], v[14:15]
	ds_read2_b64 v[126:129], v116 offset0:52 offset1:53
	v_fma_f64 v[8:9], -v[22:23], v[130:131], v[8:9]
	s_waitcnt lgkmcnt(0)
	v_fma_f64 v[12:13], -v[22:23], v[122:123], v[12:13]
	v_fma_f64 v[10:11], -v[22:23], v[124:125], v[10:11]
	;; [unrolled: 1-line block ×5, first 2 shown]
.LBB106_743:
	s_or_b64 exec, exec, s[0:1]
	v_lshl_add_u32 v112, v117, 3, v116
	s_barrier
	ds_write_b64 v112, v[20:21]
	s_waitcnt lgkmcnt(0)
	s_barrier
	ds_read_b64 v[112:113], v116 offset:352
	s_cmp_lt_i32 s18, 46
	v_mov_b32_e32 v114, 44
	s_cbranch_scc1 .LBB106_746
; %bb.744:
	v_add_u32_e32 v121, 0x168, v116
	s_mov_b32 s0, 45
	v_mov_b32_e32 v114, 44
.LBB106_745:                            ; =>This Inner Loop Header: Depth=1
	ds_read_b64 v[122:123], v121
	v_mov_b32_e32 v124, s0
	s_add_i32 s0, s0, 1
	v_add_u32_e32 v121, 8, v121
	s_cmp_lg_u32 s18, s0
	s_waitcnt lgkmcnt(0)
	v_cmp_lt_f64_e64 vcc, |v[112:113]|, |v[122:123]|
	v_cndmask_b32_e32 v113, v113, v123, vcc
	v_cndmask_b32_e32 v112, v112, v122, vcc
	;; [unrolled: 1-line block ×3, first 2 shown]
	s_cbranch_scc1 .LBB106_745
.LBB106_746:
	s_waitcnt lgkmcnt(0)
	v_cmp_eq_f64_e32 vcc, 0, v[112:113]
	s_and_saveexec_b64 s[0:1], vcc
	s_xor_b64 s[0:1], exec, s[0:1]
; %bb.747:
	v_cmp_ne_u32_e32 vcc, 0, v120
	v_cndmask_b32_e32 v120, 45, v120, vcc
; %bb.748:
	s_andn2_saveexec_b64 s[0:1], s[0:1]
; %bb.749:
	v_div_scale_f64 v[122:123], s[2:3], v[112:113], v[112:113], 1.0
	v_rcp_f64_e32 v[124:125], v[122:123]
	v_div_scale_f64 v[126:127], vcc, 1.0, v[112:113], 1.0
	v_fma_f64 v[128:129], -v[122:123], v[124:125], 1.0
	v_fmac_f64_e32 v[124:125], v[124:125], v[128:129]
	v_fma_f64 v[128:129], -v[122:123], v[124:125], 1.0
	v_fmac_f64_e32 v[124:125], v[124:125], v[128:129]
	v_mul_f64 v[128:129], v[126:127], v[124:125]
	v_fma_f64 v[122:123], -v[122:123], v[128:129], v[126:127]
	v_div_fmas_f64 v[122:123], v[122:123], v[124:125], v[128:129]
	v_div_fixup_f64 v[112:113], v[122:123], v[112:113], 1.0
; %bb.750:
	s_or_b64 exec, exec, s[0:1]
	v_cmp_ne_u32_e32 vcc, v117, v114
	s_and_saveexec_b64 s[0:1], vcc
	s_xor_b64 s[0:1], exec, s[0:1]
	s_cbranch_execz .LBB106_756
; %bb.751:
	v_cmp_eq_u32_e32 vcc, 44, v117
	s_and_saveexec_b64 s[2:3], vcc
	s_cbranch_execz .LBB106_755
; %bb.752:
	v_cmp_ne_u32_e32 vcc, 44, v114
	s_xor_b64 s[14:15], s[6:7], -1
	s_and_b64 s[16:17], s[14:15], vcc
	s_and_saveexec_b64 s[14:15], s[16:17]
	s_cbranch_execz .LBB106_754
; %bb.753:
	v_ashrrev_i32_e32 v115, 31, v114
	v_lshlrev_b64 v[122:123], 2, v[114:115]
	v_add_co_u32_e32 v122, vcc, v4, v122
	v_addc_co_u32_e32 v123, vcc, v5, v123, vcc
	flat_load_dword v115, v[122:123]
	flat_load_dword v117, v[4:5] offset:176
	s_waitcnt vmcnt(0) lgkmcnt(0)
	flat_store_dword v[4:5], v115 offset:176
	flat_store_dword v[122:123], v117
.LBB106_754:
	s_or_b64 exec, exec, s[14:15]
	v_mov_b32_e32 v115, v114
	v_mov_b32_e32 v117, v114
.LBB106_755:
	s_or_b64 exec, exec, s[2:3]
.LBB106_756:
	s_andn2_saveexec_b64 s[0:1], s[0:1]
	s_cbranch_execz .LBB106_758
; %bb.757:
	v_mov_b32_e32 v117, 44
	ds_write2_b64 v116, v[18:19], v[16:17] offset0:45 offset1:46
	ds_write2_b64 v116, v[14:15], v[12:13] offset0:47 offset1:48
	;; [unrolled: 1-line block ×4, first 2 shown]
	ds_write_b64 v116, v[110:111] offset:424
.LBB106_758:
	s_or_b64 exec, exec, s[0:1]
	v_cmp_lt_i32_e32 vcc, 44, v117
	s_waitcnt lgkmcnt(0)
	s_barrier
	s_and_saveexec_b64 s[0:1], vcc
	s_cbranch_execz .LBB106_760
; %bb.759:
	ds_read2_b64 v[122:125], v116 offset0:45 offset1:46
	ds_read2_b64 v[126:129], v116 offset0:47 offset1:48
	v_mul_f64 v[20:21], v[112:113], v[20:21]
	ds_read_b64 v[112:113], v116 offset:424
	ds_read2_b64 v[130:133], v116 offset0:51 offset1:52
	s_waitcnt lgkmcnt(0)
	v_fma_f64 v[18:19], -v[20:21], v[122:123], v[18:19]
	v_fma_f64 v[16:17], -v[20:21], v[124:125], v[16:17]
	ds_read2_b64 v[122:125], v116 offset0:49 offset1:50
	v_fma_f64 v[14:15], -v[20:21], v[126:127], v[14:15]
	v_fma_f64 v[12:13], -v[20:21], v[128:129], v[12:13]
	;; [unrolled: 1-line block ×4, first 2 shown]
	s_waitcnt lgkmcnt(0)
	v_fma_f64 v[10:11], -v[20:21], v[122:123], v[10:11]
	v_fma_f64 v[8:9], -v[20:21], v[124:125], v[8:9]
	;; [unrolled: 1-line block ×3, first 2 shown]
.LBB106_760:
	s_or_b64 exec, exec, s[0:1]
	v_lshl_add_u32 v112, v117, 3, v116
	s_barrier
	ds_write_b64 v112, v[18:19]
	s_waitcnt lgkmcnt(0)
	s_barrier
	ds_read_b64 v[112:113], v116 offset:360
	s_cmp_lt_i32 s18, 47
	v_mov_b32_e32 v114, 45
	s_cbranch_scc1 .LBB106_763
; %bb.761:
	v_add_u32_e32 v121, 0x170, v116
	s_mov_b32 s0, 46
	v_mov_b32_e32 v114, 45
.LBB106_762:                            ; =>This Inner Loop Header: Depth=1
	ds_read_b64 v[122:123], v121
	v_mov_b32_e32 v124, s0
	s_add_i32 s0, s0, 1
	v_add_u32_e32 v121, 8, v121
	s_cmp_lg_u32 s18, s0
	s_waitcnt lgkmcnt(0)
	v_cmp_lt_f64_e64 vcc, |v[112:113]|, |v[122:123]|
	v_cndmask_b32_e32 v113, v113, v123, vcc
	v_cndmask_b32_e32 v112, v112, v122, vcc
	;; [unrolled: 1-line block ×3, first 2 shown]
	s_cbranch_scc1 .LBB106_762
.LBB106_763:
	s_waitcnt lgkmcnt(0)
	v_cmp_eq_f64_e32 vcc, 0, v[112:113]
	s_and_saveexec_b64 s[0:1], vcc
	s_xor_b64 s[0:1], exec, s[0:1]
; %bb.764:
	v_cmp_ne_u32_e32 vcc, 0, v120
	v_cndmask_b32_e32 v120, 46, v120, vcc
; %bb.765:
	s_andn2_saveexec_b64 s[0:1], s[0:1]
; %bb.766:
	v_div_scale_f64 v[122:123], s[2:3], v[112:113], v[112:113], 1.0
	v_rcp_f64_e32 v[124:125], v[122:123]
	v_div_scale_f64 v[126:127], vcc, 1.0, v[112:113], 1.0
	v_fma_f64 v[128:129], -v[122:123], v[124:125], 1.0
	v_fmac_f64_e32 v[124:125], v[124:125], v[128:129]
	v_fma_f64 v[128:129], -v[122:123], v[124:125], 1.0
	v_fmac_f64_e32 v[124:125], v[124:125], v[128:129]
	v_mul_f64 v[128:129], v[126:127], v[124:125]
	v_fma_f64 v[122:123], -v[122:123], v[128:129], v[126:127]
	v_div_fmas_f64 v[122:123], v[122:123], v[124:125], v[128:129]
	v_div_fixup_f64 v[112:113], v[122:123], v[112:113], 1.0
; %bb.767:
	s_or_b64 exec, exec, s[0:1]
	v_cmp_ne_u32_e32 vcc, v117, v114
	s_and_saveexec_b64 s[0:1], vcc
	s_xor_b64 s[0:1], exec, s[0:1]
	s_cbranch_execz .LBB106_773
; %bb.768:
	v_cmp_eq_u32_e32 vcc, 45, v117
	s_and_saveexec_b64 s[2:3], vcc
	s_cbranch_execz .LBB106_772
; %bb.769:
	v_cmp_ne_u32_e32 vcc, 45, v114
	s_xor_b64 s[14:15], s[6:7], -1
	s_and_b64 s[16:17], s[14:15], vcc
	s_and_saveexec_b64 s[14:15], s[16:17]
	s_cbranch_execz .LBB106_771
; %bb.770:
	v_ashrrev_i32_e32 v115, 31, v114
	v_lshlrev_b64 v[122:123], 2, v[114:115]
	v_add_co_u32_e32 v122, vcc, v4, v122
	v_addc_co_u32_e32 v123, vcc, v5, v123, vcc
	flat_load_dword v115, v[122:123]
	flat_load_dword v117, v[4:5] offset:180
	s_waitcnt vmcnt(0) lgkmcnt(0)
	flat_store_dword v[4:5], v115 offset:180
	flat_store_dword v[122:123], v117
.LBB106_771:
	s_or_b64 exec, exec, s[14:15]
	v_mov_b32_e32 v115, v114
	v_mov_b32_e32 v117, v114
.LBB106_772:
	s_or_b64 exec, exec, s[2:3]
.LBB106_773:
	s_andn2_saveexec_b64 s[0:1], s[0:1]
	s_cbranch_execz .LBB106_775
; %bb.774:
	v_mov_b32_e32 v122, v16
	v_mov_b32_e32 v123, v17
	v_mov_b32_e32 v124, v14
	v_mov_b32_e32 v125, v15
	ds_write2_b64 v116, v[122:123], v[124:125] offset0:46 offset1:47
	v_mov_b32_e32 v122, v12
	v_mov_b32_e32 v123, v13
	v_mov_b32_e32 v124, v10
	v_mov_b32_e32 v125, v11
	ds_write2_b64 v116, v[122:123], v[124:125] offset0:48 offset1:49
	;; [unrolled: 5-line block ×3, first 2 shown]
	v_mov_b32_e32 v122, v0
	v_mov_b32_e32 v123, v1
	;; [unrolled: 1-line block ×3, first 2 shown]
	ds_write2_b64 v116, v[122:123], v[110:111] offset0:52 offset1:53
.LBB106_775:
	s_or_b64 exec, exec, s[0:1]
	v_cmp_lt_i32_e32 vcc, 45, v117
	s_waitcnt lgkmcnt(0)
	s_barrier
	s_and_saveexec_b64 s[0:1], vcc
	s_cbranch_execz .LBB106_777
; %bb.776:
	ds_read2_b64 v[122:125], v116 offset0:46 offset1:47
	ds_read2_b64 v[126:129], v116 offset0:48 offset1:49
	v_mul_f64 v[18:19], v[112:113], v[18:19]
	ds_read2_b64 v[130:133], v116 offset0:50 offset1:51
	s_waitcnt lgkmcnt(0)
	v_fma_f64 v[16:17], -v[18:19], v[122:123], v[16:17]
	v_fma_f64 v[14:15], -v[18:19], v[124:125], v[14:15]
	ds_read2_b64 v[122:125], v116 offset0:52 offset1:53
	v_fma_f64 v[12:13], -v[18:19], v[126:127], v[12:13]
	v_fma_f64 v[10:11], -v[18:19], v[128:129], v[10:11]
	;; [unrolled: 1-line block ×4, first 2 shown]
	s_waitcnt lgkmcnt(0)
	v_fma_f64 v[0:1], -v[18:19], v[122:123], v[0:1]
	v_fma_f64 v[110:111], -v[18:19], v[124:125], v[110:111]
.LBB106_777:
	s_or_b64 exec, exec, s[0:1]
	v_lshl_add_u32 v112, v117, 3, v116
	s_barrier
	ds_write_b64 v112, v[16:17]
	s_waitcnt lgkmcnt(0)
	s_barrier
	ds_read_b64 v[112:113], v116 offset:368
	s_cmp_lt_i32 s18, 48
	v_mov_b32_e32 v114, 46
	s_cbranch_scc1 .LBB106_780
; %bb.778:
	v_add_u32_e32 v121, 0x178, v116
	s_mov_b32 s0, 47
	v_mov_b32_e32 v114, 46
.LBB106_779:                            ; =>This Inner Loop Header: Depth=1
	ds_read_b64 v[122:123], v121
	v_mov_b32_e32 v124, s0
	s_add_i32 s0, s0, 1
	v_add_u32_e32 v121, 8, v121
	s_cmp_lg_u32 s18, s0
	s_waitcnt lgkmcnt(0)
	v_cmp_lt_f64_e64 vcc, |v[112:113]|, |v[122:123]|
	v_cndmask_b32_e32 v113, v113, v123, vcc
	v_cndmask_b32_e32 v112, v112, v122, vcc
	;; [unrolled: 1-line block ×3, first 2 shown]
	s_cbranch_scc1 .LBB106_779
.LBB106_780:
	s_waitcnt lgkmcnt(0)
	v_cmp_eq_f64_e32 vcc, 0, v[112:113]
	s_and_saveexec_b64 s[0:1], vcc
	s_xor_b64 s[0:1], exec, s[0:1]
; %bb.781:
	v_cmp_ne_u32_e32 vcc, 0, v120
	v_cndmask_b32_e32 v120, 47, v120, vcc
; %bb.782:
	s_andn2_saveexec_b64 s[0:1], s[0:1]
; %bb.783:
	v_div_scale_f64 v[122:123], s[2:3], v[112:113], v[112:113], 1.0
	v_rcp_f64_e32 v[124:125], v[122:123]
	v_div_scale_f64 v[126:127], vcc, 1.0, v[112:113], 1.0
	v_fma_f64 v[128:129], -v[122:123], v[124:125], 1.0
	v_fmac_f64_e32 v[124:125], v[124:125], v[128:129]
	v_fma_f64 v[128:129], -v[122:123], v[124:125], 1.0
	v_fmac_f64_e32 v[124:125], v[124:125], v[128:129]
	v_mul_f64 v[128:129], v[126:127], v[124:125]
	v_fma_f64 v[122:123], -v[122:123], v[128:129], v[126:127]
	v_div_fmas_f64 v[122:123], v[122:123], v[124:125], v[128:129]
	v_div_fixup_f64 v[112:113], v[122:123], v[112:113], 1.0
; %bb.784:
	s_or_b64 exec, exec, s[0:1]
	v_cmp_ne_u32_e32 vcc, v117, v114
	s_and_saveexec_b64 s[0:1], vcc
	s_xor_b64 s[0:1], exec, s[0:1]
	s_cbranch_execz .LBB106_790
; %bb.785:
	v_cmp_eq_u32_e32 vcc, 46, v117
	s_and_saveexec_b64 s[2:3], vcc
	s_cbranch_execz .LBB106_789
; %bb.786:
	v_cmp_ne_u32_e32 vcc, 46, v114
	s_xor_b64 s[14:15], s[6:7], -1
	s_and_b64 s[16:17], s[14:15], vcc
	s_and_saveexec_b64 s[14:15], s[16:17]
	s_cbranch_execz .LBB106_788
; %bb.787:
	v_ashrrev_i32_e32 v115, 31, v114
	v_lshlrev_b64 v[122:123], 2, v[114:115]
	v_add_co_u32_e32 v122, vcc, v4, v122
	v_addc_co_u32_e32 v123, vcc, v5, v123, vcc
	flat_load_dword v115, v[122:123]
	flat_load_dword v117, v[4:5] offset:184
	s_waitcnt vmcnt(0) lgkmcnt(0)
	flat_store_dword v[4:5], v115 offset:184
	flat_store_dword v[122:123], v117
.LBB106_788:
	s_or_b64 exec, exec, s[14:15]
	v_mov_b32_e32 v115, v114
	v_mov_b32_e32 v117, v114
.LBB106_789:
	s_or_b64 exec, exec, s[2:3]
.LBB106_790:
	s_andn2_saveexec_b64 s[0:1], s[0:1]
	s_cbranch_execz .LBB106_792
; %bb.791:
	v_mov_b32_e32 v117, 46
	ds_write2_b64 v116, v[14:15], v[12:13] offset0:47 offset1:48
	ds_write2_b64 v116, v[10:11], v[8:9] offset0:49 offset1:50
	;; [unrolled: 1-line block ×3, first 2 shown]
	ds_write_b64 v116, v[110:111] offset:424
.LBB106_792:
	s_or_b64 exec, exec, s[0:1]
	v_cmp_lt_i32_e32 vcc, 46, v117
	s_waitcnt lgkmcnt(0)
	s_barrier
	s_and_saveexec_b64 s[0:1], vcc
	s_cbranch_execz .LBB106_794
; %bb.793:
	ds_read2_b64 v[122:125], v116 offset0:47 offset1:48
	ds_read2_b64 v[126:129], v116 offset0:49 offset1:50
	v_mul_f64 v[16:17], v[112:113], v[16:17]
	ds_read2_b64 v[130:133], v116 offset0:51 offset1:52
	ds_read_b64 v[112:113], v116 offset:424
	s_waitcnt lgkmcnt(0)
	v_fma_f64 v[14:15], -v[16:17], v[122:123], v[14:15]
	v_fma_f64 v[12:13], -v[16:17], v[124:125], v[12:13]
	;; [unrolled: 1-line block ×7, first 2 shown]
.LBB106_794:
	s_or_b64 exec, exec, s[0:1]
	v_lshl_add_u32 v112, v117, 3, v116
	s_barrier
	ds_write_b64 v112, v[14:15]
	s_waitcnt lgkmcnt(0)
	s_barrier
	ds_read_b64 v[112:113], v116 offset:376
	s_cmp_lt_i32 s18, 49
	v_mov_b32_e32 v114, 47
	s_cbranch_scc1 .LBB106_797
; %bb.795:
	v_add_u32_e32 v121, 0x180, v116
	s_mov_b32 s0, 48
	v_mov_b32_e32 v114, 47
.LBB106_796:                            ; =>This Inner Loop Header: Depth=1
	ds_read_b64 v[122:123], v121
	v_mov_b32_e32 v124, s0
	s_add_i32 s0, s0, 1
	v_add_u32_e32 v121, 8, v121
	s_cmp_lg_u32 s18, s0
	s_waitcnt lgkmcnt(0)
	v_cmp_lt_f64_e64 vcc, |v[112:113]|, |v[122:123]|
	v_cndmask_b32_e32 v113, v113, v123, vcc
	v_cndmask_b32_e32 v112, v112, v122, vcc
	;; [unrolled: 1-line block ×3, first 2 shown]
	s_cbranch_scc1 .LBB106_796
.LBB106_797:
	s_waitcnt lgkmcnt(0)
	v_cmp_eq_f64_e32 vcc, 0, v[112:113]
	s_and_saveexec_b64 s[0:1], vcc
	s_xor_b64 s[0:1], exec, s[0:1]
; %bb.798:
	v_cmp_ne_u32_e32 vcc, 0, v120
	v_cndmask_b32_e32 v120, 48, v120, vcc
; %bb.799:
	s_andn2_saveexec_b64 s[0:1], s[0:1]
; %bb.800:
	v_div_scale_f64 v[122:123], s[2:3], v[112:113], v[112:113], 1.0
	v_rcp_f64_e32 v[124:125], v[122:123]
	v_div_scale_f64 v[126:127], vcc, 1.0, v[112:113], 1.0
	v_fma_f64 v[128:129], -v[122:123], v[124:125], 1.0
	v_fmac_f64_e32 v[124:125], v[124:125], v[128:129]
	v_fma_f64 v[128:129], -v[122:123], v[124:125], 1.0
	v_fmac_f64_e32 v[124:125], v[124:125], v[128:129]
	v_mul_f64 v[128:129], v[126:127], v[124:125]
	v_fma_f64 v[122:123], -v[122:123], v[128:129], v[126:127]
	v_div_fmas_f64 v[122:123], v[122:123], v[124:125], v[128:129]
	v_div_fixup_f64 v[112:113], v[122:123], v[112:113], 1.0
; %bb.801:
	s_or_b64 exec, exec, s[0:1]
	v_cmp_ne_u32_e32 vcc, v117, v114
	s_and_saveexec_b64 s[0:1], vcc
	s_xor_b64 s[0:1], exec, s[0:1]
	s_cbranch_execz .LBB106_807
; %bb.802:
	v_cmp_eq_u32_e32 vcc, 47, v117
	s_and_saveexec_b64 s[2:3], vcc
	s_cbranch_execz .LBB106_806
; %bb.803:
	v_cmp_ne_u32_e32 vcc, 47, v114
	s_xor_b64 s[14:15], s[6:7], -1
	s_and_b64 s[16:17], s[14:15], vcc
	s_and_saveexec_b64 s[14:15], s[16:17]
	s_cbranch_execz .LBB106_805
; %bb.804:
	v_ashrrev_i32_e32 v115, 31, v114
	v_lshlrev_b64 v[122:123], 2, v[114:115]
	v_add_co_u32_e32 v122, vcc, v4, v122
	v_addc_co_u32_e32 v123, vcc, v5, v123, vcc
	flat_load_dword v115, v[122:123]
	flat_load_dword v117, v[4:5] offset:188
	s_waitcnt vmcnt(0) lgkmcnt(0)
	flat_store_dword v[4:5], v115 offset:188
	flat_store_dword v[122:123], v117
.LBB106_805:
	s_or_b64 exec, exec, s[14:15]
	v_mov_b32_e32 v115, v114
	v_mov_b32_e32 v117, v114
.LBB106_806:
	s_or_b64 exec, exec, s[2:3]
.LBB106_807:
	s_andn2_saveexec_b64 s[0:1], s[0:1]
	s_cbranch_execz .LBB106_809
; %bb.808:
	v_mov_b32_e32 v122, v12
	v_mov_b32_e32 v123, v13
	;; [unrolled: 1-line block ×4, first 2 shown]
	ds_write2_b64 v116, v[122:123], v[124:125] offset0:48 offset1:49
	v_mov_b32_e32 v122, v8
	v_mov_b32_e32 v123, v9
	;; [unrolled: 1-line block ×4, first 2 shown]
	ds_write2_b64 v116, v[122:123], v[124:125] offset0:50 offset1:51
	v_mov_b32_e32 v122, v0
	v_mov_b32_e32 v123, v1
	;; [unrolled: 1-line block ×3, first 2 shown]
	ds_write2_b64 v116, v[122:123], v[110:111] offset0:52 offset1:53
.LBB106_809:
	s_or_b64 exec, exec, s[0:1]
	v_cmp_lt_i32_e32 vcc, 47, v117
	s_waitcnt lgkmcnt(0)
	s_barrier
	s_and_saveexec_b64 s[0:1], vcc
	s_cbranch_execz .LBB106_811
; %bb.810:
	ds_read2_b64 v[122:125], v116 offset0:48 offset1:49
	ds_read2_b64 v[126:129], v116 offset0:50 offset1:51
	;; [unrolled: 1-line block ×3, first 2 shown]
	v_mul_f64 v[14:15], v[112:113], v[14:15]
	s_waitcnt lgkmcnt(0)
	v_fma_f64 v[12:13], -v[14:15], v[122:123], v[12:13]
	v_fma_f64 v[10:11], -v[14:15], v[124:125], v[10:11]
	v_fma_f64 v[8:9], -v[14:15], v[126:127], v[8:9]
	v_fma_f64 v[6:7], -v[14:15], v[128:129], v[6:7]
	v_fma_f64 v[0:1], -v[14:15], v[130:131], v[0:1]
	v_fma_f64 v[110:111], -v[14:15], v[132:133], v[110:111]
.LBB106_811:
	s_or_b64 exec, exec, s[0:1]
	v_lshl_add_u32 v112, v117, 3, v116
	s_barrier
	ds_write_b64 v112, v[12:13]
	s_waitcnt lgkmcnt(0)
	s_barrier
	ds_read_b64 v[112:113], v116 offset:384
	s_cmp_lt_i32 s18, 50
	v_mov_b32_e32 v114, 48
	s_cbranch_scc1 .LBB106_814
; %bb.812:
	v_add_u32_e32 v121, 0x188, v116
	s_mov_b32 s0, 49
	v_mov_b32_e32 v114, 48
.LBB106_813:                            ; =>This Inner Loop Header: Depth=1
	ds_read_b64 v[122:123], v121
	v_mov_b32_e32 v124, s0
	s_add_i32 s0, s0, 1
	v_add_u32_e32 v121, 8, v121
	s_cmp_lg_u32 s18, s0
	s_waitcnt lgkmcnt(0)
	v_cmp_lt_f64_e64 vcc, |v[112:113]|, |v[122:123]|
	v_cndmask_b32_e32 v113, v113, v123, vcc
	v_cndmask_b32_e32 v112, v112, v122, vcc
	;; [unrolled: 1-line block ×3, first 2 shown]
	s_cbranch_scc1 .LBB106_813
.LBB106_814:
	s_waitcnt lgkmcnt(0)
	v_cmp_eq_f64_e32 vcc, 0, v[112:113]
	s_and_saveexec_b64 s[0:1], vcc
	s_xor_b64 s[0:1], exec, s[0:1]
; %bb.815:
	v_cmp_ne_u32_e32 vcc, 0, v120
	v_cndmask_b32_e32 v120, 49, v120, vcc
; %bb.816:
	s_andn2_saveexec_b64 s[0:1], s[0:1]
; %bb.817:
	v_div_scale_f64 v[122:123], s[2:3], v[112:113], v[112:113], 1.0
	v_rcp_f64_e32 v[124:125], v[122:123]
	v_div_scale_f64 v[126:127], vcc, 1.0, v[112:113], 1.0
	v_fma_f64 v[128:129], -v[122:123], v[124:125], 1.0
	v_fmac_f64_e32 v[124:125], v[124:125], v[128:129]
	v_fma_f64 v[128:129], -v[122:123], v[124:125], 1.0
	v_fmac_f64_e32 v[124:125], v[124:125], v[128:129]
	v_mul_f64 v[128:129], v[126:127], v[124:125]
	v_fma_f64 v[122:123], -v[122:123], v[128:129], v[126:127]
	v_div_fmas_f64 v[122:123], v[122:123], v[124:125], v[128:129]
	v_div_fixup_f64 v[112:113], v[122:123], v[112:113], 1.0
; %bb.818:
	s_or_b64 exec, exec, s[0:1]
	v_cmp_ne_u32_e32 vcc, v117, v114
	s_and_saveexec_b64 s[0:1], vcc
	s_xor_b64 s[0:1], exec, s[0:1]
	s_cbranch_execz .LBB106_824
; %bb.819:
	v_cmp_eq_u32_e32 vcc, 48, v117
	s_and_saveexec_b64 s[2:3], vcc
	s_cbranch_execz .LBB106_823
; %bb.820:
	v_cmp_ne_u32_e32 vcc, 48, v114
	s_xor_b64 s[14:15], s[6:7], -1
	s_and_b64 s[16:17], s[14:15], vcc
	s_and_saveexec_b64 s[14:15], s[16:17]
	s_cbranch_execz .LBB106_822
; %bb.821:
	v_ashrrev_i32_e32 v115, 31, v114
	v_lshlrev_b64 v[122:123], 2, v[114:115]
	v_add_co_u32_e32 v122, vcc, v4, v122
	v_addc_co_u32_e32 v123, vcc, v5, v123, vcc
	flat_load_dword v115, v[122:123]
	flat_load_dword v117, v[4:5] offset:192
	s_waitcnt vmcnt(0) lgkmcnt(0)
	flat_store_dword v[4:5], v115 offset:192
	flat_store_dword v[122:123], v117
.LBB106_822:
	s_or_b64 exec, exec, s[14:15]
	v_mov_b32_e32 v115, v114
	v_mov_b32_e32 v117, v114
.LBB106_823:
	s_or_b64 exec, exec, s[2:3]
.LBB106_824:
	s_andn2_saveexec_b64 s[0:1], s[0:1]
	s_cbranch_execz .LBB106_826
; %bb.825:
	v_mov_b32_e32 v117, 48
	ds_write2_b64 v116, v[10:11], v[8:9] offset0:49 offset1:50
	ds_write2_b64 v116, v[6:7], v[0:1] offset0:51 offset1:52
	ds_write_b64 v116, v[110:111] offset:424
.LBB106_826:
	s_or_b64 exec, exec, s[0:1]
	v_cmp_lt_i32_e32 vcc, 48, v117
	s_waitcnt lgkmcnt(0)
	s_barrier
	s_and_saveexec_b64 s[0:1], vcc
	s_cbranch_execz .LBB106_828
; %bb.827:
	ds_read2_b64 v[122:125], v116 offset0:49 offset1:50
	ds_read2_b64 v[126:129], v116 offset0:51 offset1:52
	v_mul_f64 v[12:13], v[112:113], v[12:13]
	ds_read_b64 v[112:113], v116 offset:424
	s_waitcnt lgkmcnt(0)
	v_fma_f64 v[10:11], -v[12:13], v[122:123], v[10:11]
	v_fma_f64 v[8:9], -v[12:13], v[124:125], v[8:9]
	;; [unrolled: 1-line block ×5, first 2 shown]
.LBB106_828:
	s_or_b64 exec, exec, s[0:1]
	v_lshl_add_u32 v112, v117, 3, v116
	s_barrier
	ds_write_b64 v112, v[10:11]
	s_waitcnt lgkmcnt(0)
	s_barrier
	ds_read_b64 v[112:113], v116 offset:392
	s_cmp_lt_i32 s18, 51
	v_mov_b32_e32 v114, 49
	s_cbranch_scc1 .LBB106_831
; %bb.829:
	v_add_u32_e32 v121, 0x190, v116
	s_mov_b32 s0, 50
	v_mov_b32_e32 v114, 49
.LBB106_830:                            ; =>This Inner Loop Header: Depth=1
	ds_read_b64 v[122:123], v121
	v_mov_b32_e32 v124, s0
	s_add_i32 s0, s0, 1
	v_add_u32_e32 v121, 8, v121
	s_cmp_lg_u32 s18, s0
	s_waitcnt lgkmcnt(0)
	v_cmp_lt_f64_e64 vcc, |v[112:113]|, |v[122:123]|
	v_cndmask_b32_e32 v113, v113, v123, vcc
	v_cndmask_b32_e32 v112, v112, v122, vcc
	;; [unrolled: 1-line block ×3, first 2 shown]
	s_cbranch_scc1 .LBB106_830
.LBB106_831:
	s_waitcnt lgkmcnt(0)
	v_cmp_eq_f64_e32 vcc, 0, v[112:113]
	s_and_saveexec_b64 s[0:1], vcc
	s_xor_b64 s[0:1], exec, s[0:1]
; %bb.832:
	v_cmp_ne_u32_e32 vcc, 0, v120
	v_cndmask_b32_e32 v120, 50, v120, vcc
; %bb.833:
	s_andn2_saveexec_b64 s[0:1], s[0:1]
; %bb.834:
	v_div_scale_f64 v[122:123], s[2:3], v[112:113], v[112:113], 1.0
	v_rcp_f64_e32 v[124:125], v[122:123]
	v_div_scale_f64 v[126:127], vcc, 1.0, v[112:113], 1.0
	v_fma_f64 v[128:129], -v[122:123], v[124:125], 1.0
	v_fmac_f64_e32 v[124:125], v[124:125], v[128:129]
	v_fma_f64 v[128:129], -v[122:123], v[124:125], 1.0
	v_fmac_f64_e32 v[124:125], v[124:125], v[128:129]
	v_mul_f64 v[128:129], v[126:127], v[124:125]
	v_fma_f64 v[122:123], -v[122:123], v[128:129], v[126:127]
	v_div_fmas_f64 v[122:123], v[122:123], v[124:125], v[128:129]
	v_div_fixup_f64 v[112:113], v[122:123], v[112:113], 1.0
; %bb.835:
	s_or_b64 exec, exec, s[0:1]
	v_cmp_ne_u32_e32 vcc, v117, v114
	s_and_saveexec_b64 s[0:1], vcc
	s_xor_b64 s[0:1], exec, s[0:1]
	s_cbranch_execz .LBB106_841
; %bb.836:
	v_cmp_eq_u32_e32 vcc, 49, v117
	s_and_saveexec_b64 s[2:3], vcc
	s_cbranch_execz .LBB106_840
; %bb.837:
	v_cmp_ne_u32_e32 vcc, 49, v114
	s_xor_b64 s[14:15], s[6:7], -1
	s_and_b64 s[16:17], s[14:15], vcc
	s_and_saveexec_b64 s[14:15], s[16:17]
	s_cbranch_execz .LBB106_839
; %bb.838:
	v_ashrrev_i32_e32 v115, 31, v114
	v_lshlrev_b64 v[122:123], 2, v[114:115]
	v_add_co_u32_e32 v122, vcc, v4, v122
	v_addc_co_u32_e32 v123, vcc, v5, v123, vcc
	flat_load_dword v115, v[122:123]
	flat_load_dword v117, v[4:5] offset:196
	s_waitcnt vmcnt(0) lgkmcnt(0)
	flat_store_dword v[4:5], v115 offset:196
	flat_store_dword v[122:123], v117
.LBB106_839:
	s_or_b64 exec, exec, s[14:15]
	v_mov_b32_e32 v115, v114
	v_mov_b32_e32 v117, v114
.LBB106_840:
	s_or_b64 exec, exec, s[2:3]
.LBB106_841:
	s_andn2_saveexec_b64 s[0:1], s[0:1]
	s_cbranch_execz .LBB106_843
; %bb.842:
	v_mov_b32_e32 v122, v8
	v_mov_b32_e32 v123, v9
	;; [unrolled: 1-line block ×4, first 2 shown]
	ds_write2_b64 v116, v[122:123], v[124:125] offset0:50 offset1:51
	v_mov_b32_e32 v122, v0
	v_mov_b32_e32 v123, v1
	;; [unrolled: 1-line block ×3, first 2 shown]
	ds_write2_b64 v116, v[122:123], v[110:111] offset0:52 offset1:53
.LBB106_843:
	s_or_b64 exec, exec, s[0:1]
	v_cmp_lt_i32_e32 vcc, 49, v117
	s_waitcnt lgkmcnt(0)
	s_barrier
	s_and_saveexec_b64 s[0:1], vcc
	s_cbranch_execz .LBB106_845
; %bb.844:
	ds_read2_b64 v[122:125], v116 offset0:50 offset1:51
	ds_read2_b64 v[126:129], v116 offset0:52 offset1:53
	v_mul_f64 v[10:11], v[112:113], v[10:11]
	s_waitcnt lgkmcnt(0)
	v_fma_f64 v[8:9], -v[10:11], v[122:123], v[8:9]
	v_fma_f64 v[6:7], -v[10:11], v[124:125], v[6:7]
	;; [unrolled: 1-line block ×4, first 2 shown]
.LBB106_845:
	s_or_b64 exec, exec, s[0:1]
	v_lshl_add_u32 v112, v117, 3, v116
	s_barrier
	ds_write_b64 v112, v[8:9]
	s_waitcnt lgkmcnt(0)
	s_barrier
	ds_read_b64 v[112:113], v116 offset:400
	s_cmp_lt_i32 s18, 52
	v_mov_b32_e32 v114, 50
	s_cbranch_scc1 .LBB106_848
; %bb.846:
	v_add_u32_e32 v121, 0x198, v116
	s_mov_b32 s0, 51
	v_mov_b32_e32 v114, 50
.LBB106_847:                            ; =>This Inner Loop Header: Depth=1
	ds_read_b64 v[122:123], v121
	v_mov_b32_e32 v124, s0
	s_add_i32 s0, s0, 1
	v_add_u32_e32 v121, 8, v121
	s_cmp_lg_u32 s18, s0
	s_waitcnt lgkmcnt(0)
	v_cmp_lt_f64_e64 vcc, |v[112:113]|, |v[122:123]|
	v_cndmask_b32_e32 v113, v113, v123, vcc
	v_cndmask_b32_e32 v112, v112, v122, vcc
	;; [unrolled: 1-line block ×3, first 2 shown]
	s_cbranch_scc1 .LBB106_847
.LBB106_848:
	s_waitcnt lgkmcnt(0)
	v_cmp_eq_f64_e32 vcc, 0, v[112:113]
	s_and_saveexec_b64 s[0:1], vcc
	s_xor_b64 s[0:1], exec, s[0:1]
; %bb.849:
	v_cmp_ne_u32_e32 vcc, 0, v120
	v_cndmask_b32_e32 v120, 51, v120, vcc
; %bb.850:
	s_andn2_saveexec_b64 s[0:1], s[0:1]
; %bb.851:
	v_div_scale_f64 v[122:123], s[2:3], v[112:113], v[112:113], 1.0
	v_rcp_f64_e32 v[124:125], v[122:123]
	v_div_scale_f64 v[126:127], vcc, 1.0, v[112:113], 1.0
	v_fma_f64 v[128:129], -v[122:123], v[124:125], 1.0
	v_fmac_f64_e32 v[124:125], v[124:125], v[128:129]
	v_fma_f64 v[128:129], -v[122:123], v[124:125], 1.0
	v_fmac_f64_e32 v[124:125], v[124:125], v[128:129]
	v_mul_f64 v[128:129], v[126:127], v[124:125]
	v_fma_f64 v[122:123], -v[122:123], v[128:129], v[126:127]
	v_div_fmas_f64 v[122:123], v[122:123], v[124:125], v[128:129]
	v_div_fixup_f64 v[112:113], v[122:123], v[112:113], 1.0
; %bb.852:
	s_or_b64 exec, exec, s[0:1]
	v_cmp_ne_u32_e32 vcc, v117, v114
	s_and_saveexec_b64 s[0:1], vcc
	s_xor_b64 s[0:1], exec, s[0:1]
	s_cbranch_execz .LBB106_858
; %bb.853:
	v_cmp_eq_u32_e32 vcc, 50, v117
	s_and_saveexec_b64 s[2:3], vcc
	s_cbranch_execz .LBB106_857
; %bb.854:
	v_cmp_ne_u32_e32 vcc, 50, v114
	s_xor_b64 s[14:15], s[6:7], -1
	s_and_b64 s[16:17], s[14:15], vcc
	s_and_saveexec_b64 s[14:15], s[16:17]
	s_cbranch_execz .LBB106_856
; %bb.855:
	v_ashrrev_i32_e32 v115, 31, v114
	v_lshlrev_b64 v[122:123], 2, v[114:115]
	v_add_co_u32_e32 v122, vcc, v4, v122
	v_addc_co_u32_e32 v123, vcc, v5, v123, vcc
	flat_load_dword v115, v[122:123]
	flat_load_dword v117, v[4:5] offset:200
	s_waitcnt vmcnt(0) lgkmcnt(0)
	flat_store_dword v[4:5], v115 offset:200
	flat_store_dword v[122:123], v117
.LBB106_856:
	s_or_b64 exec, exec, s[14:15]
	v_mov_b32_e32 v115, v114
	v_mov_b32_e32 v117, v114
.LBB106_857:
	s_or_b64 exec, exec, s[2:3]
.LBB106_858:
	s_andn2_saveexec_b64 s[0:1], s[0:1]
	s_cbranch_execz .LBB106_860
; %bb.859:
	v_mov_b32_e32 v117, 50
	ds_write2_b64 v116, v[6:7], v[0:1] offset0:51 offset1:52
	ds_write_b64 v116, v[110:111] offset:424
.LBB106_860:
	s_or_b64 exec, exec, s[0:1]
	v_cmp_lt_i32_e32 vcc, 50, v117
	s_waitcnt lgkmcnt(0)
	s_barrier
	s_and_saveexec_b64 s[0:1], vcc
	s_cbranch_execz .LBB106_862
; %bb.861:
	ds_read2_b64 v[122:125], v116 offset0:51 offset1:52
	ds_read_b64 v[126:127], v116 offset:424
	v_mul_f64 v[8:9], v[112:113], v[8:9]
	s_waitcnt lgkmcnt(0)
	v_fma_f64 v[6:7], -v[8:9], v[122:123], v[6:7]
	v_fma_f64 v[0:1], -v[8:9], v[124:125], v[0:1]
	;; [unrolled: 1-line block ×3, first 2 shown]
.LBB106_862:
	s_or_b64 exec, exec, s[0:1]
	v_lshl_add_u32 v112, v117, 3, v116
	s_barrier
	ds_write_b64 v112, v[6:7]
	s_waitcnt lgkmcnt(0)
	s_barrier
	ds_read_b64 v[112:113], v116 offset:408
	s_cmp_lt_i32 s18, 53
	v_mov_b32_e32 v114, 51
	s_cbranch_scc1 .LBB106_865
; %bb.863:
	v_add_u32_e32 v121, 0x1a0, v116
	s_mov_b32 s0, 52
	v_mov_b32_e32 v114, 51
.LBB106_864:                            ; =>This Inner Loop Header: Depth=1
	ds_read_b64 v[122:123], v121
	v_mov_b32_e32 v124, s0
	s_add_i32 s0, s0, 1
	v_add_u32_e32 v121, 8, v121
	s_cmp_lg_u32 s18, s0
	s_waitcnt lgkmcnt(0)
	v_cmp_lt_f64_e64 vcc, |v[112:113]|, |v[122:123]|
	v_cndmask_b32_e32 v113, v113, v123, vcc
	v_cndmask_b32_e32 v112, v112, v122, vcc
	;; [unrolled: 1-line block ×3, first 2 shown]
	s_cbranch_scc1 .LBB106_864
.LBB106_865:
	s_waitcnt lgkmcnt(0)
	v_cmp_eq_f64_e32 vcc, 0, v[112:113]
	s_and_saveexec_b64 s[0:1], vcc
	s_xor_b64 s[0:1], exec, s[0:1]
; %bb.866:
	v_cmp_ne_u32_e32 vcc, 0, v120
	v_cndmask_b32_e32 v120, 52, v120, vcc
; %bb.867:
	s_andn2_saveexec_b64 s[0:1], s[0:1]
; %bb.868:
	v_div_scale_f64 v[122:123], s[2:3], v[112:113], v[112:113], 1.0
	v_rcp_f64_e32 v[124:125], v[122:123]
	v_div_scale_f64 v[126:127], vcc, 1.0, v[112:113], 1.0
	v_fma_f64 v[128:129], -v[122:123], v[124:125], 1.0
	v_fmac_f64_e32 v[124:125], v[124:125], v[128:129]
	v_fma_f64 v[128:129], -v[122:123], v[124:125], 1.0
	v_fmac_f64_e32 v[124:125], v[124:125], v[128:129]
	v_mul_f64 v[128:129], v[126:127], v[124:125]
	v_fma_f64 v[122:123], -v[122:123], v[128:129], v[126:127]
	v_div_fmas_f64 v[122:123], v[122:123], v[124:125], v[128:129]
	v_div_fixup_f64 v[112:113], v[122:123], v[112:113], 1.0
; %bb.869:
	s_or_b64 exec, exec, s[0:1]
	v_cmp_ne_u32_e32 vcc, v117, v114
	s_and_saveexec_b64 s[0:1], vcc
	s_xor_b64 s[0:1], exec, s[0:1]
	s_cbranch_execz .LBB106_875
; %bb.870:
	v_cmp_eq_u32_e32 vcc, 51, v117
	s_and_saveexec_b64 s[2:3], vcc
	s_cbranch_execz .LBB106_874
; %bb.871:
	v_cmp_ne_u32_e32 vcc, 51, v114
	s_xor_b64 s[14:15], s[6:7], -1
	s_and_b64 s[16:17], s[14:15], vcc
	s_and_saveexec_b64 s[14:15], s[16:17]
	s_cbranch_execz .LBB106_873
; %bb.872:
	v_ashrrev_i32_e32 v115, 31, v114
	v_lshlrev_b64 v[122:123], 2, v[114:115]
	v_add_co_u32_e32 v122, vcc, v4, v122
	v_addc_co_u32_e32 v123, vcc, v5, v123, vcc
	flat_load_dword v115, v[122:123]
	flat_load_dword v117, v[4:5] offset:204
	s_waitcnt vmcnt(0) lgkmcnt(0)
	flat_store_dword v[4:5], v115 offset:204
	flat_store_dword v[122:123], v117
.LBB106_873:
	s_or_b64 exec, exec, s[14:15]
	v_mov_b32_e32 v115, v114
	v_mov_b32_e32 v117, v114
.LBB106_874:
	s_or_b64 exec, exec, s[2:3]
.LBB106_875:
	s_andn2_saveexec_b64 s[0:1], s[0:1]
	s_cbranch_execz .LBB106_877
; %bb.876:
	v_mov_b32_e32 v122, v0
	v_mov_b32_e32 v123, v1
	v_mov_b32_e32 v117, 51
	ds_write2_b64 v116, v[122:123], v[110:111] offset0:52 offset1:53
.LBB106_877:
	s_or_b64 exec, exec, s[0:1]
	v_cmp_lt_i32_e32 vcc, 51, v117
	s_waitcnt lgkmcnt(0)
	s_barrier
	s_and_saveexec_b64 s[0:1], vcc
	s_cbranch_execz .LBB106_879
; %bb.878:
	ds_read2_b64 v[122:125], v116 offset0:52 offset1:53
	v_mul_f64 v[6:7], v[112:113], v[6:7]
	s_waitcnt lgkmcnt(0)
	v_fma_f64 v[0:1], -v[6:7], v[122:123], v[0:1]
	v_fma_f64 v[110:111], -v[6:7], v[124:125], v[110:111]
.LBB106_879:
	s_or_b64 exec, exec, s[0:1]
	v_lshl_add_u32 v112, v117, 3, v116
	s_barrier
	ds_write_b64 v112, v[0:1]
	s_waitcnt lgkmcnt(0)
	s_barrier
	ds_read_b64 v[112:113], v116 offset:416
	s_cmp_lt_i32 s18, 54
	v_mov_b32_e32 v114, 52
	s_cbranch_scc1 .LBB106_882
; %bb.880:
	v_add_u32_e32 v121, 0x1a8, v116
	s_mov_b32 s0, 53
	v_mov_b32_e32 v114, 52
.LBB106_881:                            ; =>This Inner Loop Header: Depth=1
	ds_read_b64 v[122:123], v121
	v_mov_b32_e32 v124, s0
	s_add_i32 s0, s0, 1
	v_add_u32_e32 v121, 8, v121
	s_cmp_lg_u32 s18, s0
	s_waitcnt lgkmcnt(0)
	v_cmp_lt_f64_e64 vcc, |v[112:113]|, |v[122:123]|
	v_cndmask_b32_e32 v113, v113, v123, vcc
	v_cndmask_b32_e32 v112, v112, v122, vcc
	;; [unrolled: 1-line block ×3, first 2 shown]
	s_cbranch_scc1 .LBB106_881
.LBB106_882:
	s_waitcnt lgkmcnt(0)
	v_cmp_eq_f64_e32 vcc, 0, v[112:113]
	s_and_saveexec_b64 s[0:1], vcc
	s_xor_b64 s[0:1], exec, s[0:1]
; %bb.883:
	v_cmp_ne_u32_e32 vcc, 0, v120
	v_cndmask_b32_e32 v120, 53, v120, vcc
; %bb.884:
	s_andn2_saveexec_b64 s[0:1], s[0:1]
; %bb.885:
	v_div_scale_f64 v[122:123], s[2:3], v[112:113], v[112:113], 1.0
	v_rcp_f64_e32 v[124:125], v[122:123]
	v_div_scale_f64 v[126:127], vcc, 1.0, v[112:113], 1.0
	v_fma_f64 v[128:129], -v[122:123], v[124:125], 1.0
	v_fmac_f64_e32 v[124:125], v[124:125], v[128:129]
	v_fma_f64 v[128:129], -v[122:123], v[124:125], 1.0
	v_fmac_f64_e32 v[124:125], v[124:125], v[128:129]
	v_mul_f64 v[128:129], v[126:127], v[124:125]
	v_fma_f64 v[122:123], -v[122:123], v[128:129], v[126:127]
	v_div_fmas_f64 v[122:123], v[122:123], v[124:125], v[128:129]
	v_div_fixup_f64 v[112:113], v[122:123], v[112:113], 1.0
; %bb.886:
	s_or_b64 exec, exec, s[0:1]
	v_cmp_ne_u32_e32 vcc, v117, v114
	s_and_saveexec_b64 s[0:1], vcc
	s_xor_b64 s[0:1], exec, s[0:1]
	s_cbranch_execz .LBB106_892
; %bb.887:
	v_cmp_eq_u32_e32 vcc, 52, v117
	s_and_saveexec_b64 s[2:3], vcc
	s_cbranch_execz .LBB106_891
; %bb.888:
	v_cmp_ne_u32_e32 vcc, 52, v114
	s_xor_b64 s[14:15], s[6:7], -1
	s_and_b64 s[16:17], s[14:15], vcc
	s_and_saveexec_b64 s[14:15], s[16:17]
	s_cbranch_execz .LBB106_890
; %bb.889:
	v_ashrrev_i32_e32 v115, 31, v114
	v_lshlrev_b64 v[122:123], 2, v[114:115]
	v_add_co_u32_e32 v122, vcc, v4, v122
	v_addc_co_u32_e32 v123, vcc, v5, v123, vcc
	flat_load_dword v115, v[122:123]
	flat_load_dword v117, v[4:5] offset:208
	s_waitcnt vmcnt(0) lgkmcnt(0)
	flat_store_dword v[4:5], v115 offset:208
	flat_store_dword v[122:123], v117
.LBB106_890:
	s_or_b64 exec, exec, s[14:15]
	v_mov_b32_e32 v115, v114
	v_mov_b32_e32 v117, v114
.LBB106_891:
	s_or_b64 exec, exec, s[2:3]
.LBB106_892:
	s_andn2_saveexec_b64 s[0:1], s[0:1]
	s_cbranch_execz .LBB106_894
; %bb.893:
	v_mov_b32_e32 v117, 52
	ds_write_b64 v116, v[110:111] offset:424
.LBB106_894:
	s_or_b64 exec, exec, s[0:1]
	v_cmp_lt_i32_e32 vcc, 52, v117
	s_waitcnt lgkmcnt(0)
	s_barrier
	s_and_saveexec_b64 s[0:1], vcc
	s_cbranch_execz .LBB106_896
; %bb.895:
	ds_read_b64 v[122:123], v116 offset:424
	v_mul_f64 v[0:1], v[112:113], v[0:1]
	s_waitcnt lgkmcnt(0)
	v_fma_f64 v[110:111], -v[0:1], v[122:123], v[110:111]
.LBB106_896:
	s_or_b64 exec, exec, s[0:1]
	v_lshl_add_u32 v112, v117, 3, v116
	s_barrier
	ds_write_b64 v112, v[110:111]
	s_waitcnt lgkmcnt(0)
	s_barrier
	ds_read_b64 v[112:113], v116 offset:424
	s_cmp_lt_i32 s18, 55
	v_mov_b32_e32 v114, 53
	s_cbranch_scc1 .LBB106_899
; %bb.897:
	v_add_u32_e32 v116, 0x1b0, v116
	s_mov_b32 s0, 54
	v_mov_b32_e32 v114, 53
.LBB106_898:                            ; =>This Inner Loop Header: Depth=1
	ds_read_b64 v[122:123], v116
	v_mov_b32_e32 v121, s0
	s_add_i32 s0, s0, 1
	v_add_u32_e32 v116, 8, v116
	s_cmp_lg_u32 s18, s0
	s_waitcnt lgkmcnt(0)
	v_cmp_lt_f64_e64 vcc, |v[112:113]|, |v[122:123]|
	v_cndmask_b32_e32 v113, v113, v123, vcc
	v_cndmask_b32_e32 v112, v112, v122, vcc
	;; [unrolled: 1-line block ×3, first 2 shown]
	s_cbranch_scc1 .LBB106_898
.LBB106_899:
	s_waitcnt lgkmcnt(0)
	v_cmp_eq_f64_e32 vcc, 0, v[112:113]
	s_and_saveexec_b64 s[0:1], vcc
	s_xor_b64 s[0:1], exec, s[0:1]
; %bb.900:
	v_cmp_ne_u32_e32 vcc, 0, v120
	v_cndmask_b32_e32 v120, 54, v120, vcc
; %bb.901:
	s_andn2_saveexec_b64 s[0:1], s[0:1]
; %bb.902:
	v_div_scale_f64 v[122:123], s[2:3], v[112:113], v[112:113], 1.0
	v_rcp_f64_e32 v[124:125], v[122:123]
	v_div_scale_f64 v[126:127], vcc, 1.0, v[112:113], 1.0
	v_fma_f64 v[128:129], -v[122:123], v[124:125], 1.0
	v_fmac_f64_e32 v[124:125], v[124:125], v[128:129]
	v_fma_f64 v[128:129], -v[122:123], v[124:125], 1.0
	v_fmac_f64_e32 v[124:125], v[124:125], v[128:129]
	v_mul_f64 v[128:129], v[126:127], v[124:125]
	v_fma_f64 v[122:123], -v[122:123], v[128:129], v[126:127]
	v_div_fmas_f64 v[122:123], v[122:123], v[124:125], v[128:129]
	v_div_fixup_f64 v[112:113], v[122:123], v[112:113], 1.0
; %bb.903:
	s_or_b64 exec, exec, s[0:1]
	v_cmp_ne_u32_e32 vcc, v117, v114
	v_mov_b32_e32 v116, 53
	s_and_saveexec_b64 s[0:1], vcc
	s_cbranch_execz .LBB106_909
; %bb.904:
	v_cmp_eq_u32_e32 vcc, 53, v117
	s_and_saveexec_b64 s[2:3], vcc
	s_cbranch_execz .LBB106_908
; %bb.905:
	v_cmp_ne_u32_e32 vcc, 53, v114
	s_xor_b64 s[6:7], s[6:7], -1
	s_and_b64 s[14:15], s[6:7], vcc
	s_and_saveexec_b64 s[6:7], s[14:15]
	s_cbranch_execz .LBB106_907
; %bb.906:
	v_ashrrev_i32_e32 v115, 31, v114
	v_lshlrev_b64 v[116:117], 2, v[114:115]
	v_add_co_u32_e32 v116, vcc, v4, v116
	v_addc_co_u32_e32 v117, vcc, v5, v117, vcc
	flat_load_dword v115, v[116:117]
	flat_load_dword v121, v[4:5] offset:212
	s_waitcnt vmcnt(0) lgkmcnt(0)
	flat_store_dword v[4:5], v115 offset:212
	flat_store_dword v[116:117], v121
.LBB106_907:
	s_or_b64 exec, exec, s[6:7]
	v_mov_b32_e32 v115, v114
	v_mov_b32_e32 v117, v114
.LBB106_908:
	s_or_b64 exec, exec, s[2:3]
	v_mov_b32_e32 v116, v117
.LBB106_909:
	s_or_b64 exec, exec, s[0:1]
	s_load_dwordx8 s[0:7], s[4:5], 0x28
	v_cmp_gt_i32_e32 vcc, 54, v116
	v_ashrrev_i32_e32 v117, 31, v116
	s_waitcnt lgkmcnt(0)
	s_barrier
	s_barrier
	s_and_saveexec_b64 s[14:15], vcc
	s_cbranch_execz .LBB106_911
; %bb.910:
	v_mul_lo_u32 v114, v3, s4
	v_mul_lo_u32 v121, v2, s5
	v_mad_u64_u32 v[4:5], s[4:5], v2, s4, 0
	s_lshl_b64 s[2:3], s[2:3], 2
	v_add3_u32 v5, v5, v121, v114
	s_add_u32 s0, s2, s0
	v_lshlrev_b64 v[4:5], 2, v[4:5]
	s_addc_u32 s1, s3, s1
	v_mov_b32_e32 v114, s1
	v_add_co_u32_e32 v121, vcc, s0, v4
	v_addc_co_u32_e32 v114, vcc, v114, v5, vcc
	v_lshlrev_b64 v[4:5], 2, v[116:117]
	v_add_co_u32_e32 v4, vcc, v121, v4
	v_addc_co_u32_e32 v5, vcc, v114, v5, vcc
	v_add3_u32 v114, v115, s13, 1
	global_store_dword v[4:5], v114, off
.LBB106_911:
	s_or_b64 exec, exec, s[14:15]
	v_cmp_eq_u32_e32 vcc, 0, v116
	s_and_saveexec_b64 s[2:3], vcc
	s_cbranch_execz .LBB106_914
; %bb.912:
	v_lshlrev_b64 v[2:3], 2, v[2:3]
	v_mov_b32_e32 v4, s7
	v_add_co_u32_e32 v2, vcc, s6, v2
	v_addc_co_u32_e32 v3, vcc, v4, v3, vcc
	global_load_dword v4, v[2:3], off
	v_cmp_lt_i32_e64 s[0:1], 0, v120
	s_waitcnt vmcnt(0)
	v_cmp_eq_u32_e32 vcc, 0, v4
	s_and_b64 s[0:1], vcc, s[0:1]
	s_and_b64 exec, exec, s[0:1]
	s_cbranch_execz .LBB106_914
; %bb.913:
	v_add_u32_e32 v4, s13, v120
	global_store_dword v[2:3], v4, off
.LBB106_914:
	s_or_b64 exec, exec, s[2:3]
	v_mul_f64 v[2:3], v[112:113], v[110:111]
	v_cmp_lt_i32_e32 vcc, 53, v116
	v_lshlrev_b64 v[4:5], 3, v[116:117]
	v_cndmask_b32_e32 v3, v111, v3, vcc
	v_cndmask_b32_e32 v2, v110, v2, vcc
	v_add_co_u32_e32 v4, vcc, v118, v4
	v_addc_co_u32_e32 v5, vcc, v119, v5, vcc
	global_store_dwordx2 v[4:5], v[108:109], off
	v_mov_b32_e32 v108, s11
	v_add_co_u32_e32 v4, vcc, s10, v4
	v_addc_co_u32_e32 v5, vcc, v5, v108, vcc
	global_store_dwordx2 v[4:5], v[106:107], off
	v_add_u32_e32 v4, s12, v116
	v_ashrrev_i32_e32 v5, 31, v4
	v_lshlrev_b64 v[106:107], 3, v[4:5]
	v_add_co_u32_e32 v106, vcc, v118, v106
	v_add_u32_e32 v4, s8, v4
	v_addc_co_u32_e32 v107, vcc, v119, v107, vcc
	v_ashrrev_i32_e32 v5, 31, v4
	global_store_dwordx2 v[106:107], v[104:105], off
	v_lshlrev_b64 v[104:105], 3, v[4:5]
	v_add_co_u32_e32 v104, vcc, v118, v104
	v_add_u32_e32 v4, s8, v4
	v_addc_co_u32_e32 v105, vcc, v119, v105, vcc
	v_ashrrev_i32_e32 v5, 31, v4
	global_store_dwordx2 v[104:105], v[102:103], off
	;; [unrolled: 6-line block ×50, first 2 shown]
	v_lshlrev_b64 v[6:7], 3, v[4:5]
	v_add_co_u32_e32 v6, vcc, v118, v6
	v_addc_co_u32_e32 v7, vcc, v119, v7, vcc
	global_store_dwordx2 v[6:7], v[0:1], off
	v_add_u32_e32 v0, s8, v4
	v_ashrrev_i32_e32 v1, 31, v0
	v_lshlrev_b64 v[0:1], 3, v[0:1]
	v_add_co_u32_e32 v0, vcc, v118, v0
	v_addc_co_u32_e32 v1, vcc, v119, v1, vcc
	global_store_dwordx2 v[0:1], v[2:3], off
.LBB106_915:
	s_endpgm
	.section	.rodata,"a",@progbits
	.p2align	6, 0x0
	.amdhsa_kernel _ZN9rocsolver6v33100L18getf2_small_kernelILi54EdiiPKPdEEvT1_T3_lS5_lPS5_llPT2_S5_S5_S7_l
		.amdhsa_group_segment_fixed_size 0
		.amdhsa_private_segment_fixed_size 0
		.amdhsa_kernarg_size 352
		.amdhsa_user_sgpr_count 6
		.amdhsa_user_sgpr_private_segment_buffer 1
		.amdhsa_user_sgpr_dispatch_ptr 0
		.amdhsa_user_sgpr_queue_ptr 0
		.amdhsa_user_sgpr_kernarg_segment_ptr 1
		.amdhsa_user_sgpr_dispatch_id 0
		.amdhsa_user_sgpr_flat_scratch_init 0
		.amdhsa_user_sgpr_kernarg_preload_length 0
		.amdhsa_user_sgpr_kernarg_preload_offset 0
		.amdhsa_user_sgpr_private_segment_size 0
		.amdhsa_uses_dynamic_stack 0
		.amdhsa_system_sgpr_private_segment_wavefront_offset 0
		.amdhsa_system_sgpr_workgroup_id_x 1
		.amdhsa_system_sgpr_workgroup_id_y 1
		.amdhsa_system_sgpr_workgroup_id_z 0
		.amdhsa_system_sgpr_workgroup_info 0
		.amdhsa_system_vgpr_workitem_id 1
		.amdhsa_next_free_vgpr 174
		.amdhsa_next_free_sgpr 22
		.amdhsa_accum_offset 176
		.amdhsa_reserve_vcc 1
		.amdhsa_reserve_flat_scratch 0
		.amdhsa_float_round_mode_32 0
		.amdhsa_float_round_mode_16_64 0
		.amdhsa_float_denorm_mode_32 3
		.amdhsa_float_denorm_mode_16_64 3
		.amdhsa_dx10_clamp 1
		.amdhsa_ieee_mode 1
		.amdhsa_fp16_overflow 0
		.amdhsa_tg_split 0
		.amdhsa_exception_fp_ieee_invalid_op 0
		.amdhsa_exception_fp_denorm_src 0
		.amdhsa_exception_fp_ieee_div_zero 0
		.amdhsa_exception_fp_ieee_overflow 0
		.amdhsa_exception_fp_ieee_underflow 0
		.amdhsa_exception_fp_ieee_inexact 0
		.amdhsa_exception_int_div_zero 0
	.end_amdhsa_kernel
	.section	.text._ZN9rocsolver6v33100L18getf2_small_kernelILi54EdiiPKPdEEvT1_T3_lS5_lPS5_llPT2_S5_S5_S7_l,"axG",@progbits,_ZN9rocsolver6v33100L18getf2_small_kernelILi54EdiiPKPdEEvT1_T3_lS5_lPS5_llPT2_S5_S5_S7_l,comdat
.Lfunc_end106:
	.size	_ZN9rocsolver6v33100L18getf2_small_kernelILi54EdiiPKPdEEvT1_T3_lS5_lPS5_llPT2_S5_S5_S7_l, .Lfunc_end106-_ZN9rocsolver6v33100L18getf2_small_kernelILi54EdiiPKPdEEvT1_T3_lS5_lPS5_llPT2_S5_S5_S7_l
                                        ; -- End function
	.section	.AMDGPU.csdata,"",@progbits
; Kernel info:
; codeLenInByte = 54672
; NumSgprs: 26
; NumVgprs: 174
; NumAgprs: 0
; TotalNumVgprs: 174
; ScratchSize: 0
; MemoryBound: 0
; FloatMode: 240
; IeeeMode: 1
; LDSByteSize: 0 bytes/workgroup (compile time only)
; SGPRBlocks: 3
; VGPRBlocks: 21
; NumSGPRsForWavesPerEU: 26
; NumVGPRsForWavesPerEU: 174
; AccumOffset: 176
; Occupancy: 2
; WaveLimiterHint : 1
; COMPUTE_PGM_RSRC2:SCRATCH_EN: 0
; COMPUTE_PGM_RSRC2:USER_SGPR: 6
; COMPUTE_PGM_RSRC2:TRAP_HANDLER: 0
; COMPUTE_PGM_RSRC2:TGID_X_EN: 1
; COMPUTE_PGM_RSRC2:TGID_Y_EN: 1
; COMPUTE_PGM_RSRC2:TGID_Z_EN: 0
; COMPUTE_PGM_RSRC2:TIDIG_COMP_CNT: 1
; COMPUTE_PGM_RSRC3_GFX90A:ACCUM_OFFSET: 43
; COMPUTE_PGM_RSRC3_GFX90A:TG_SPLIT: 0
	.section	.text._ZN9rocsolver6v33100L23getf2_npvt_small_kernelILi54EdiiPKPdEEvT1_T3_lS5_lPT2_S5_S5_,"axG",@progbits,_ZN9rocsolver6v33100L23getf2_npvt_small_kernelILi54EdiiPKPdEEvT1_T3_lS5_lPT2_S5_S5_,comdat
	.globl	_ZN9rocsolver6v33100L23getf2_npvt_small_kernelILi54EdiiPKPdEEvT1_T3_lS5_lPT2_S5_S5_ ; -- Begin function _ZN9rocsolver6v33100L23getf2_npvt_small_kernelILi54EdiiPKPdEEvT1_T3_lS5_lPT2_S5_S5_
	.p2align	8
	.type	_ZN9rocsolver6v33100L23getf2_npvt_small_kernelILi54EdiiPKPdEEvT1_T3_lS5_lPT2_S5_S5_,@function
_ZN9rocsolver6v33100L23getf2_npvt_small_kernelILi54EdiiPKPdEEvT1_T3_lS5_lPT2_S5_S5_: ; @_ZN9rocsolver6v33100L23getf2_npvt_small_kernelILi54EdiiPKPdEEvT1_T3_lS5_lPT2_S5_S5_
; %bb.0:
	s_mov_b64 s[18:19], s[2:3]
	s_mov_b64 s[16:17], s[0:1]
	s_add_u32 s16, s16, s8
	s_load_dword s0, s[4:5], 0x44
	s_load_dwordx2 s[8:9], s[4:5], 0x30
	s_addc_u32 s17, s17, 0
	v_bfe_u32 v1, v0, 10, 10
	s_waitcnt lgkmcnt(0)
	s_lshr_b32 s6, s0, 16
	s_mul_i32 s7, s7, s6
	v_add_u32_e32 v34, s7, v1
	v_cmp_gt_i32_e32 vcc, s8, v34
	s_and_saveexec_b64 s[0:1], vcc
	s_cbranch_execz .LBB107_273
; %bb.1:
	s_load_dwordx4 s[12:15], s[4:5], 0x8
	s_load_dword s0, s[4:5], 0x18
	v_ashrrev_i32_e32 v35, 31, v34
	v_lshlrev_b64 v[2:3], 3, v[34:35]
	v_and_b32_e32 v26, 0x3ff, v0
	s_waitcnt lgkmcnt(0)
	v_mov_b32_e32 v4, s13
	v_add_co_u32_e32 v2, vcc, s12, v2
	v_addc_co_u32_e32 v3, vcc, v4, v3, vcc
	global_load_dwordx2 v[2:3], v[2:3], off
	s_add_i32 s1, s0, s0
	s_lshl_b64 s[2:3], s[14:15], 3
	v_add_u32_e32 v4, s1, v26
	v_mov_b32_e32 v0, s3
	v_ashrrev_i32_e32 v5, 31, v4
	v_add_u32_e32 v6, s0, v4
	v_lshlrev_b64 v[4:5], 3, v[4:5]
	v_ashrrev_i32_e32 v7, 31, v6
	v_add_u32_e32 v8, s0, v6
	v_lshlrev_b64 v[6:7], 3, v[6:7]
	;; [unrolled: 3-line block ×10, first 2 shown]
	v_ashrrev_i32_e32 v25, 31, v24
	s_ashr_i32 s1, s0, 31
	s_mulk_i32 s6, 0x1b0
	s_waitcnt vmcnt(0)
	v_add_co_u32_e32 v27, vcc, s2, v2
	v_addc_co_u32_e32 v0, vcc, v3, v0, vcc
	v_add_co_u32_e32 v36, vcc, v27, v4
	v_addc_co_u32_e32 v37, vcc, v0, v5, vcc
	;; [unrolled: 2-line block ×11, first 2 shown]
	v_lshlrev_b64 v[2:3], 3, v[24:25]
	v_add_co_u32_e32 v56, vcc, v27, v2
	v_add_u32_e32 v2, s0, v24
	v_addc_co_u32_e32 v57, vcc, v0, v3, vcc
	v_ashrrev_i32_e32 v3, 31, v2
	v_lshlrev_b64 v[4:5], 3, v[2:3]
	v_add_u32_e32 v2, s0, v2
	v_add_co_u32_e32 v58, vcc, v27, v4
	v_ashrrev_i32_e32 v3, 31, v2
	v_addc_co_u32_e32 v59, vcc, v0, v5, vcc
	v_lshlrev_b64 v[4:5], 3, v[2:3]
	v_add_u32_e32 v2, s0, v2
	v_add_co_u32_e32 v60, vcc, v27, v4
	v_ashrrev_i32_e32 v3, 31, v2
	v_addc_co_u32_e32 v61, vcc, v0, v5, vcc
	v_lshlrev_b64 v[4:5], 3, v[2:3]
	v_add_u32_e32 v2, s0, v2
	v_add_co_u32_e32 v62, vcc, v27, v4
	v_ashrrev_i32_e32 v3, 31, v2
	v_addc_co_u32_e32 v63, vcc, v0, v5, vcc
	v_lshlrev_b64 v[4:5], 3, v[2:3]
	v_add_u32_e32 v2, s0, v2
	v_add_co_u32_e32 v64, vcc, v27, v4
	v_ashrrev_i32_e32 v3, 31, v2
	v_addc_co_u32_e32 v65, vcc, v0, v5, vcc
	v_lshlrev_b64 v[4:5], 3, v[2:3]
	v_add_u32_e32 v2, s0, v2
	v_add_co_u32_e32 v66, vcc, v27, v4
	v_ashrrev_i32_e32 v3, 31, v2
	v_addc_co_u32_e32 v67, vcc, v0, v5, vcc
	v_lshlrev_b64 v[4:5], 3, v[2:3]
	v_add_u32_e32 v2, s0, v2
	v_add_co_u32_e32 v68, vcc, v27, v4
	v_ashrrev_i32_e32 v3, 31, v2
	v_addc_co_u32_e32 v69, vcc, v0, v5, vcc
	v_lshlrev_b64 v[4:5], 3, v[2:3]
	v_add_u32_e32 v2, s0, v2
	v_add_co_u32_e32 v70, vcc, v27, v4
	v_ashrrev_i32_e32 v3, 31, v2
	v_addc_co_u32_e32 v71, vcc, v0, v5, vcc
	v_lshlrev_b64 v[4:5], 3, v[2:3]
	v_add_u32_e32 v2, s0, v2
	v_add_co_u32_e32 v72, vcc, v27, v4
	v_ashrrev_i32_e32 v3, 31, v2
	v_addc_co_u32_e32 v73, vcc, v0, v5, vcc
	v_lshlrev_b64 v[4:5], 3, v[2:3]
	v_add_u32_e32 v2, s0, v2
	v_add_co_u32_e32 v74, vcc, v27, v4
	v_ashrrev_i32_e32 v3, 31, v2
	v_addc_co_u32_e32 v75, vcc, v0, v5, vcc
	v_lshlrev_b64 v[4:5], 3, v[2:3]
	v_add_u32_e32 v2, s0, v2
	v_add_co_u32_e32 v76, vcc, v27, v4
	v_ashrrev_i32_e32 v3, 31, v2
	v_addc_co_u32_e32 v77, vcc, v0, v5, vcc
	v_lshlrev_b64 v[4:5], 3, v[2:3]
	v_add_u32_e32 v2, s0, v2
	v_add_co_u32_e32 v78, vcc, v27, v4
	v_ashrrev_i32_e32 v3, 31, v2
	v_addc_co_u32_e32 v79, vcc, v0, v5, vcc
	v_lshlrev_b64 v[4:5], 3, v[2:3]
	v_add_u32_e32 v2, s0, v2
	v_add_co_u32_e32 v80, vcc, v27, v4
	v_ashrrev_i32_e32 v3, 31, v2
	v_addc_co_u32_e32 v81, vcc, v0, v5, vcc
	v_lshlrev_b64 v[4:5], 3, v[2:3]
	v_add_u32_e32 v2, s0, v2
	v_add_co_u32_e32 v82, vcc, v27, v4
	v_ashrrev_i32_e32 v3, 31, v2
	v_addc_co_u32_e32 v83, vcc, v0, v5, vcc
	v_lshlrev_b64 v[4:5], 3, v[2:3]
	v_add_u32_e32 v2, s0, v2
	v_add_co_u32_e32 v84, vcc, v27, v4
	v_ashrrev_i32_e32 v3, 31, v2
	v_addc_co_u32_e32 v85, vcc, v0, v5, vcc
	v_lshlrev_b64 v[4:5], 3, v[2:3]
	v_add_u32_e32 v2, s0, v2
	v_add_co_u32_e32 v86, vcc, v27, v4
	v_ashrrev_i32_e32 v3, 31, v2
	v_addc_co_u32_e32 v87, vcc, v0, v5, vcc
	v_lshlrev_b64 v[4:5], 3, v[2:3]
	v_add_u32_e32 v2, s0, v2
	v_add_co_u32_e32 v88, vcc, v27, v4
	v_ashrrev_i32_e32 v3, 31, v2
	v_addc_co_u32_e32 v89, vcc, v0, v5, vcc
	v_lshlrev_b64 v[4:5], 3, v[2:3]
	v_add_u32_e32 v2, s0, v2
	v_add_co_u32_e32 v90, vcc, v27, v4
	v_ashrrev_i32_e32 v3, 31, v2
	v_addc_co_u32_e32 v91, vcc, v0, v5, vcc
	v_lshlrev_b64 v[4:5], 3, v[2:3]
	v_add_u32_e32 v2, s0, v2
	v_add_co_u32_e32 v92, vcc, v27, v4
	v_ashrrev_i32_e32 v3, 31, v2
	v_addc_co_u32_e32 v93, vcc, v0, v5, vcc
	v_lshlrev_b64 v[4:5], 3, v[2:3]
	v_add_u32_e32 v2, s0, v2
	v_add_co_u32_e32 v94, vcc, v27, v4
	v_ashrrev_i32_e32 v3, 31, v2
	v_addc_co_u32_e32 v95, vcc, v0, v5, vcc
	v_lshlrev_b64 v[4:5], 3, v[2:3]
	v_add_u32_e32 v2, s0, v2
	v_add_co_u32_e32 v96, vcc, v27, v4
	v_ashrrev_i32_e32 v3, 31, v2
	v_addc_co_u32_e32 v97, vcc, v0, v5, vcc
	v_lshlrev_b64 v[4:5], 3, v[2:3]
	v_add_u32_e32 v2, s0, v2
	v_add_co_u32_e32 v98, vcc, v27, v4
	v_ashrrev_i32_e32 v3, 31, v2
	v_addc_co_u32_e32 v99, vcc, v0, v5, vcc
	v_lshlrev_b64 v[4:5], 3, v[2:3]
	v_add_u32_e32 v2, s0, v2
	v_add_co_u32_e32 v100, vcc, v27, v4
	v_ashrrev_i32_e32 v3, 31, v2
	v_addc_co_u32_e32 v101, vcc, v0, v5, vcc
	v_lshlrev_b64 v[4:5], 3, v[2:3]
	v_add_u32_e32 v2, s0, v2
	v_add_co_u32_e32 v102, vcc, v27, v4
	v_ashrrev_i32_e32 v3, 31, v2
	v_addc_co_u32_e32 v103, vcc, v0, v5, vcc
	v_lshlrev_b64 v[4:5], 3, v[2:3]
	v_add_u32_e32 v2, s0, v2
	v_add_co_u32_e32 v104, vcc, v27, v4
	v_ashrrev_i32_e32 v3, 31, v2
	v_addc_co_u32_e32 v105, vcc, v0, v5, vcc
	v_lshlrev_b64 v[4:5], 3, v[2:3]
	v_add_u32_e32 v2, s0, v2
	v_add_co_u32_e32 v108, vcc, v27, v4
	v_ashrrev_i32_e32 v3, 31, v2
	v_addc_co_u32_e32 v109, vcc, v0, v5, vcc
	v_lshlrev_b64 v[4:5], 3, v[2:3]
	v_add_u32_e32 v2, s0, v2
	v_add_co_u32_e32 v32, vcc, v27, v4
	v_ashrrev_i32_e32 v3, 31, v2
	v_addc_co_u32_e32 v33, vcc, v0, v5, vcc
	v_lshlrev_b64 v[4:5], 3, v[2:3]
	v_add_u32_e32 v2, s0, v2
	v_add_co_u32_e32 v226, vcc, v27, v4
	v_ashrrev_i32_e32 v3, 31, v2
	v_addc_co_u32_e32 v227, vcc, v0, v5, vcc
	v_lshlrev_b64 v[4:5], 3, v[2:3]
	v_add_u32_e32 v2, s0, v2
	v_add_co_u32_e32 v228, vcc, v27, v4
	v_ashrrev_i32_e32 v3, 31, v2
	v_addc_co_u32_e32 v229, vcc, v0, v5, vcc
	v_lshlrev_b64 v[4:5], 3, v[2:3]
	v_add_u32_e32 v2, s0, v2
	v_add_co_u32_e32 v230, vcc, v27, v4
	v_ashrrev_i32_e32 v3, 31, v2
	v_addc_co_u32_e32 v231, vcc, v0, v5, vcc
	v_lshlrev_b64 v[4:5], 3, v[2:3]
	v_add_u32_e32 v2, s0, v2
	v_add_co_u32_e32 v232, vcc, v27, v4
	v_ashrrev_i32_e32 v3, 31, v2
	v_addc_co_u32_e32 v233, vcc, v0, v5, vcc
	v_lshlrev_b64 v[4:5], 3, v[2:3]
	v_add_u32_e32 v2, s0, v2
	v_add_co_u32_e32 v234, vcc, v27, v4
	v_ashrrev_i32_e32 v3, 31, v2
	v_addc_co_u32_e32 v235, vcc, v0, v5, vcc
	v_lshlrev_b64 v[4:5], 3, v[2:3]
	v_add_u32_e32 v2, s0, v2
	v_add_co_u32_e32 v106, vcc, v27, v4
	v_ashrrev_i32_e32 v3, 31, v2
	v_addc_co_u32_e32 v107, vcc, v0, v5, vcc
	v_lshlrev_b64 v[4:5], 3, v[2:3]
	v_add_u32_e32 v2, s0, v2
	v_add_co_u32_e32 v236, vcc, v27, v4
	v_ashrrev_i32_e32 v3, 31, v2
	v_addc_co_u32_e32 v237, vcc, v0, v5, vcc
	v_lshlrev_b64 v[4:5], 3, v[2:3]
	v_add_u32_e32 v2, s0, v2
	v_add_co_u32_e32 v238, vcc, v27, v4
	v_ashrrev_i32_e32 v3, 31, v2
	v_addc_co_u32_e32 v239, vcc, v0, v5, vcc
	v_lshlrev_b64 v[4:5], 3, v[2:3]
	v_add_u32_e32 v2, s0, v2
	v_add_co_u32_e32 v240, vcc, v27, v4
	v_ashrrev_i32_e32 v3, 31, v2
	v_addc_co_u32_e32 v241, vcc, v0, v5, vcc
	v_lshlrev_b64 v[4:5], 3, v[2:3]
	v_add_u32_e32 v2, s0, v2
	v_add_co_u32_e32 v242, vcc, v27, v4
	v_ashrrev_i32_e32 v3, 31, v2
	v_addc_co_u32_e32 v243, vcc, v0, v5, vcc
	v_lshlrev_b64 v[4:5], 3, v[2:3]
	v_add_u32_e32 v2, s0, v2
	v_add_co_u32_e32 v244, vcc, v27, v4
	v_ashrrev_i32_e32 v3, 31, v2
	v_addc_co_u32_e32 v245, vcc, v0, v5, vcc
	v_lshlrev_b64 v[4:5], 3, v[2:3]
	v_add_u32_e32 v2, s0, v2
	v_add_co_u32_e32 v246, vcc, v27, v4
	v_ashrrev_i32_e32 v3, 31, v2
	v_addc_co_u32_e32 v247, vcc, v0, v5, vcc
	v_lshlrev_b64 v[4:5], 3, v[2:3]
	v_add_u32_e32 v2, s0, v2
	v_add_co_u32_e32 v248, vcc, v27, v4
	v_ashrrev_i32_e32 v3, 31, v2
	v_addc_co_u32_e32 v249, vcc, v0, v5, vcc
	v_lshlrev_b64 v[4:5], 3, v[2:3]
	v_add_u32_e32 v2, s0, v2
	v_add_co_u32_e32 v250, vcc, v27, v4
	v_ashrrev_i32_e32 v3, 31, v2
	v_addc_co_u32_e32 v251, vcc, v0, v5, vcc
	v_lshlrev_b64 v[2:3], 3, v[2:3]
	v_add_co_u32_e32 v4, vcc, v27, v2
	v_addc_co_u32_e32 v5, vcc, v0, v3, vcc
	v_lshlrev_b32_e32 v2, 3, v26
	v_add_co_u32_e32 v2, vcc, v27, v2
	v_addc_co_u32_e32 v3, vcc, 0, v0, vcc
	s_lshl_b64 s[0:1], s[0:1], 3
	v_mov_b32_e32 v0, s1
	v_add_co_u32_e32 v6, vcc, s0, v2
	v_addc_co_u32_e32 v7, vcc, v3, v0, vcc
	buffer_store_dword v2, off, s[16:19], 0 offset:8 ; 4-byte Folded Spill
	s_nop 0
	buffer_store_dword v3, off, s[16:19], 0 offset:12 ; 4-byte Folded Spill
	s_movk_i32 s0, 0x1b0
	s_add_i32 s1, s6, 0
	v_mad_u32_u24 v25, v1, s0, 0
	v_lshl_add_u32 v24, v1, 3, s1
	v_cmp_ne_u32_e64 s[2:3], 0, v26
	v_cmp_eq_u32_e64 s[0:1], 0, v26
	global_load_dwordx2 v[110:111], v[2:3], off
	s_nop 0
	buffer_store_dword v6, off, s[16:19], 0 offset:16 ; 4-byte Folded Spill
	s_nop 0
	buffer_store_dword v7, off, s[16:19], 0 offset:20 ; 4-byte Folded Spill
	global_load_dwordx2 v[162:163], v[6:7], off
	global_load_dwordx2 v[214:215], v[36:37], off
	global_load_dwordx2 v[160:161], v[38:39], off
	global_load_dwordx2 v[212:213], v[40:41], off
	global_load_dwordx2 v[158:159], v[42:43], off
	global_load_dwordx2 v[210:211], v[44:45], off
	global_load_dwordx2 v[156:157], v[46:47], off
	global_load_dwordx2 v[208:209], v[48:49], off
	global_load_dwordx2 v[154:155], v[50:51], off
	global_load_dwordx2 v[206:207], v[52:53], off
	global_load_dwordx2 v[152:153], v[54:55], off
	global_load_dwordx2 v[204:205], v[56:57], off
	global_load_dwordx2 v[150:151], v[58:59], off
	global_load_dwordx2 v[202:203], v[60:61], off
	global_load_dwordx2 v[148:149], v[62:63], off
	global_load_dwordx2 v[200:201], v[64:65], off
	global_load_dwordx2 v[146:147], v[66:67], off
	global_load_dwordx2 v[198:199], v[68:69], off
	global_load_dwordx2 v[144:145], v[70:71], off
	global_load_dwordx2 v[196:197], v[72:73], off
	global_load_dwordx2 v[142:143], v[74:75], off
	global_load_dwordx2 v[194:195], v[76:77], off
	global_load_dwordx2 v[140:141], v[78:79], off
	global_load_dwordx2 v[192:193], v[80:81], off
	global_load_dwordx2 v[138:139], v[82:83], off
	global_load_dwordx2 v[190:191], v[84:85], off
	global_load_dwordx2 v[136:137], v[86:87], off
	global_load_dwordx2 v[188:189], v[88:89], off
	global_load_dwordx2 v[134:135], v[90:91], off
	global_load_dwordx2 v[186:187], v[92:93], off
	global_load_dwordx2 v[132:133], v[94:95], off
	global_load_dwordx2 v[184:185], v[96:97], off
	global_load_dwordx2 v[130:131], v[98:99], off
	global_load_dwordx2 v[182:183], v[100:101], off
	global_load_dwordx2 v[128:129], v[102:103], off
	global_load_dwordx2 v[180:181], v[104:105], off
	global_load_dwordx2 v[126:127], v[108:109], off
	global_load_dwordx2 v[178:179], v[32:33], off
	global_load_dwordx2 v[124:125], v[226:227], off
	global_load_dwordx2 v[176:177], v[228:229], off
	global_load_dwordx2 v[122:123], v[230:231], off
	global_load_dwordx2 v[174:175], v[232:233], off
	global_load_dwordx2 v[120:121], v[234:235], off
	global_load_dwordx2 v[172:173], v[106:107], off
	global_load_dwordx2 v[118:119], v[236:237], off
	global_load_dwordx2 v[170:171], v[238:239], off
	global_load_dwordx2 v[116:117], v[240:241], off
	global_load_dwordx2 v[168:169], v[242:243], off
	global_load_dwordx2 v[114:115], v[244:245], off
	global_load_dwordx2 v[166:167], v[246:247], off
	global_load_dwordx2 v[112:113], v[248:249], off
	global_load_dwordx2 v[164:165], v[250:251], off
	s_nop 0
	buffer_store_dword v4, off, s[16:19], 0 ; 4-byte Folded Spill
	s_nop 0
	buffer_store_dword v5, off, s[16:19], 0 offset:4 ; 4-byte Folded Spill
	global_load_dwordx2 v[216:217], v[4:5], off
	s_and_saveexec_b64 s[6:7], s[0:1]
	s_cbranch_execz .LBB107_4
; %bb.2:
	s_waitcnt vmcnt(57)
	ds_write_b64 v24, v[110:111]
	s_waitcnt vmcnt(53)
	ds_write2_b64 v25, v[162:163], v[214:215] offset0:1 offset1:2
	s_waitcnt vmcnt(51)
	ds_write2_b64 v25, v[160:161], v[212:213] offset0:3 offset1:4
	;; [unrolled: 2-line block ×26, first 2 shown]
	s_waitcnt vmcnt(0)
	ds_write_b64 v25, v[216:217] offset:424
	ds_read_b64 v[0:1], v24
	s_waitcnt lgkmcnt(0)
	v_cmp_neq_f64_e32 vcc, 0, v[0:1]
	s_and_b64 exec, exec, vcc
	s_cbranch_execz .LBB107_4
; %bb.3:
	v_div_scale_f64 v[2:3], s[10:11], v[0:1], v[0:1], 1.0
	v_rcp_f64_e32 v[4:5], v[2:3]
	v_div_scale_f64 v[6:7], vcc, 1.0, v[0:1], 1.0
	v_fma_f64 v[8:9], -v[2:3], v[4:5], 1.0
	v_fmac_f64_e32 v[4:5], v[4:5], v[8:9]
	v_fma_f64 v[8:9], -v[2:3], v[4:5], 1.0
	v_fmac_f64_e32 v[4:5], v[4:5], v[8:9]
	v_mul_f64 v[8:9], v[6:7], v[4:5]
	v_fma_f64 v[2:3], -v[2:3], v[8:9], v[6:7]
	v_div_fmas_f64 v[2:3], v[2:3], v[4:5], v[8:9]
	v_div_fixup_f64 v[0:1], v[2:3], v[0:1], 1.0
	ds_write_b64 v24, v[0:1]
.LBB107_4:
	s_or_b64 exec, exec, s[6:7]
	s_waitcnt lgkmcnt(0)
	s_barrier
	ds_read_b64 v[224:225], v24
	s_and_saveexec_b64 s[6:7], s[2:3]
	s_cbranch_execz .LBB107_6
; %bb.5:
	ds_read2_b64 v[0:3], v25 offset0:1 offset1:2
	ds_read2_b64 v[4:7], v25 offset0:3 offset1:4
	;; [unrolled: 1-line block ×3, first 2 shown]
	s_waitcnt vmcnt(57) lgkmcnt(3)
	v_mul_f64 v[110:111], v[224:225], v[110:111]
	s_waitcnt vmcnt(54) lgkmcnt(2)
	v_fma_f64 v[162:163], -v[110:111], v[0:1], v[162:163]
	s_waitcnt vmcnt(53)
	v_fma_f64 v[214:215], -v[110:111], v[2:3], v[214:215]
	ds_read2_b64 v[0:3], v25 offset0:7 offset1:8
	s_waitcnt vmcnt(52) lgkmcnt(2)
	v_fma_f64 v[160:161], -v[110:111], v[4:5], v[160:161]
	s_waitcnt vmcnt(51)
	v_fma_f64 v[212:213], -v[110:111], v[6:7], v[212:213]
	s_waitcnt vmcnt(50) lgkmcnt(1)
	v_fma_f64 v[158:159], -v[110:111], v[8:9], v[158:159]
	ds_read2_b64 v[4:7], v25 offset0:9 offset1:10
	s_waitcnt vmcnt(49)
	v_fma_f64 v[210:211], -v[110:111], v[10:11], v[210:211]
	ds_read2_b64 v[8:11], v25 offset0:11 offset1:12
	s_waitcnt vmcnt(48) lgkmcnt(2)
	v_fma_f64 v[156:157], -v[110:111], v[0:1], v[156:157]
	s_waitcnt vmcnt(47)
	v_fma_f64 v[208:209], -v[110:111], v[2:3], v[208:209]
	s_waitcnt vmcnt(46) lgkmcnt(1)
	v_fma_f64 v[154:155], -v[110:111], v[4:5], v[154:155]
	ds_read2_b64 v[0:3], v25 offset0:13 offset1:14
	s_waitcnt vmcnt(45)
	v_fma_f64 v[206:207], -v[110:111], v[6:7], v[206:207]
	ds_read2_b64 v[4:7], v25 offset0:15 offset1:16
	s_waitcnt vmcnt(44) lgkmcnt(2)
	v_fma_f64 v[152:153], -v[110:111], v[8:9], v[152:153]
	s_waitcnt vmcnt(43)
	v_fma_f64 v[204:205], -v[110:111], v[10:11], v[204:205]
	ds_read2_b64 v[8:11], v25 offset0:17 offset1:18
	s_waitcnt vmcnt(42) lgkmcnt(2)
	v_fma_f64 v[150:151], -v[110:111], v[0:1], v[150:151]
	s_waitcnt vmcnt(41)
	v_fma_f64 v[202:203], -v[110:111], v[2:3], v[202:203]
	ds_read2_b64 v[0:3], v25 offset0:19 offset1:20
	s_waitcnt vmcnt(40) lgkmcnt(2)
	v_fma_f64 v[148:149], -v[110:111], v[4:5], v[148:149]
	s_waitcnt vmcnt(39)
	v_fma_f64 v[200:201], -v[110:111], v[6:7], v[200:201]
	s_waitcnt vmcnt(38) lgkmcnt(1)
	v_fma_f64 v[146:147], -v[110:111], v[8:9], v[146:147]
	ds_read2_b64 v[4:7], v25 offset0:21 offset1:22
	s_waitcnt vmcnt(37)
	v_fma_f64 v[198:199], -v[110:111], v[10:11], v[198:199]
	ds_read2_b64 v[8:11], v25 offset0:23 offset1:24
	s_waitcnt vmcnt(36) lgkmcnt(2)
	v_fma_f64 v[144:145], -v[110:111], v[0:1], v[144:145]
	s_waitcnt vmcnt(35)
	v_fma_f64 v[196:197], -v[110:111], v[2:3], v[196:197]
	s_waitcnt vmcnt(34) lgkmcnt(1)
	v_fma_f64 v[142:143], -v[110:111], v[4:5], v[142:143]
	ds_read2_b64 v[0:3], v25 offset0:25 offset1:26
	s_waitcnt vmcnt(33)
	v_fma_f64 v[194:195], -v[110:111], v[6:7], v[194:195]
	ds_read2_b64 v[4:7], v25 offset0:27 offset1:28
	s_waitcnt vmcnt(32) lgkmcnt(2)
	v_fma_f64 v[140:141], -v[110:111], v[8:9], v[140:141]
	s_waitcnt vmcnt(31)
	v_fma_f64 v[192:193], -v[110:111], v[10:11], v[192:193]
	ds_read2_b64 v[8:11], v25 offset0:29 offset1:30
	;; [unrolled: 30-line block ×3, first 2 shown]
	s_waitcnt vmcnt(18) lgkmcnt(2)
	v_fma_f64 v[126:127], -v[110:111], v[0:1], v[126:127]
	s_waitcnt vmcnt(17)
	v_fma_f64 v[178:179], -v[110:111], v[2:3], v[178:179]
	ds_read2_b64 v[0:3], v25 offset0:43 offset1:44
	s_waitcnt vmcnt(16) lgkmcnt(2)
	v_fma_f64 v[124:125], -v[110:111], v[4:5], v[124:125]
	s_waitcnt vmcnt(15)
	v_fma_f64 v[176:177], -v[110:111], v[6:7], v[176:177]
	s_waitcnt vmcnt(14) lgkmcnt(1)
	v_fma_f64 v[122:123], -v[110:111], v[8:9], v[122:123]
	ds_read2_b64 v[4:7], v25 offset0:45 offset1:46
	s_waitcnt vmcnt(13)
	v_fma_f64 v[174:175], -v[110:111], v[10:11], v[174:175]
	ds_read2_b64 v[8:11], v25 offset0:47 offset1:48
	s_waitcnt vmcnt(12) lgkmcnt(2)
	v_fma_f64 v[120:121], -v[110:111], v[0:1], v[120:121]
	s_waitcnt vmcnt(11)
	v_fma_f64 v[172:173], -v[110:111], v[2:3], v[172:173]
	s_waitcnt vmcnt(10) lgkmcnt(1)
	v_fma_f64 v[118:119], -v[110:111], v[4:5], v[118:119]
	s_waitcnt vmcnt(9)
	v_fma_f64 v[170:171], -v[110:111], v[6:7], v[170:171]
	ds_read2_b64 v[0:3], v25 offset0:49 offset1:50
	ds_read2_b64 v[4:7], v25 offset0:51 offset1:52
	s_waitcnt vmcnt(8) lgkmcnt(2)
	v_fma_f64 v[116:117], -v[110:111], v[8:9], v[116:117]
	ds_read_b64 v[8:9], v25 offset:424
	s_waitcnt vmcnt(7)
	v_fma_f64 v[168:169], -v[110:111], v[10:11], v[168:169]
	s_waitcnt vmcnt(6) lgkmcnt(2)
	v_fma_f64 v[114:115], -v[110:111], v[0:1], v[114:115]
	s_waitcnt vmcnt(5)
	v_fma_f64 v[166:167], -v[110:111], v[2:3], v[166:167]
	s_waitcnt vmcnt(4) lgkmcnt(1)
	v_fma_f64 v[112:113], -v[110:111], v[4:5], v[112:113]
	;; [unrolled: 4-line block ×3, first 2 shown]
.LBB107_6:
	s_or_b64 exec, exec, s[6:7]
	v_cmp_eq_u32_e32 vcc, 1, v26
	s_waitcnt lgkmcnt(0)
	s_barrier
	s_and_saveexec_b64 s[2:3], vcc
	s_cbranch_execz .LBB107_9
; %bb.7:
	s_waitcnt vmcnt(53)
	v_mov_b32_e32 v0, v214
	v_mov_b32_e32 v1, v215
	s_waitcnt vmcnt(52)
	v_mov_b32_e32 v2, v160
	v_mov_b32_e32 v3, v161
	ds_write_b64 v24, v[162:163]
	ds_write2_b64 v25, v[0:1], v[2:3] offset0:2 offset1:3
	s_waitcnt vmcnt(51)
	v_mov_b32_e32 v0, v212
	v_mov_b32_e32 v1, v213
	s_waitcnt vmcnt(50)
	v_mov_b32_e32 v2, v158
	v_mov_b32_e32 v3, v159
	ds_write2_b64 v25, v[0:1], v[2:3] offset0:4 offset1:5
	s_waitcnt vmcnt(49)
	v_mov_b32_e32 v0, v210
	v_mov_b32_e32 v1, v211
	s_waitcnt vmcnt(48)
	v_mov_b32_e32 v2, v156
	v_mov_b32_e32 v3, v157
	;; [unrolled: 7-line block ×24, first 2 shown]
	ds_write2_b64 v25, v[0:1], v[2:3] offset0:50 offset1:51
	s_waitcnt vmcnt(3)
	v_mov_b32_e32 v0, v164
	v_mov_b32_e32 v1, v165
	s_waitcnt vmcnt(0)
	ds_write2_b64 v25, v[0:1], v[216:217] offset0:52 offset1:53
	ds_read_b64 v[0:1], v24
	s_waitcnt lgkmcnt(0)
	v_cmp_neq_f64_e32 vcc, 0, v[0:1]
	s_and_b64 exec, exec, vcc
	s_cbranch_execz .LBB107_9
; %bb.8:
	v_div_scale_f64 v[2:3], s[6:7], v[0:1], v[0:1], 1.0
	v_rcp_f64_e32 v[4:5], v[2:3]
	v_div_scale_f64 v[6:7], vcc, 1.0, v[0:1], 1.0
	v_fma_f64 v[8:9], -v[2:3], v[4:5], 1.0
	v_fmac_f64_e32 v[4:5], v[4:5], v[8:9]
	v_fma_f64 v[8:9], -v[2:3], v[4:5], 1.0
	v_fmac_f64_e32 v[4:5], v[4:5], v[8:9]
	v_mul_f64 v[8:9], v[6:7], v[4:5]
	v_fma_f64 v[2:3], -v[2:3], v[8:9], v[6:7]
	v_div_fmas_f64 v[2:3], v[2:3], v[4:5], v[8:9]
	v_div_fixup_f64 v[0:1], v[2:3], v[0:1], 1.0
	ds_write_b64 v24, v[0:1]
.LBB107_9:
	s_or_b64 exec, exec, s[2:3]
	s_waitcnt lgkmcnt(0)
	s_barrier
	ds_read_b64 v[252:253], v24
	v_cmp_lt_u32_e32 vcc, 1, v26
	s_and_saveexec_b64 s[2:3], vcc
	s_cbranch_execz .LBB107_11
; %bb.10:
	ds_read2_b64 v[0:3], v25 offset0:2 offset1:3
	ds_read2_b64 v[4:7], v25 offset0:4 offset1:5
	s_waitcnt vmcnt(54) lgkmcnt(2)
	v_mul_f64 v[162:163], v[252:253], v[162:163]
	ds_read2_b64 v[8:11], v25 offset0:6 offset1:7
	s_waitcnt vmcnt(53) lgkmcnt(2)
	v_fma_f64 v[214:215], -v[162:163], v[0:1], v[214:215]
	s_waitcnt vmcnt(52)
	v_fma_f64 v[160:161], -v[162:163], v[2:3], v[160:161]
	ds_read2_b64 v[0:3], v25 offset0:8 offset1:9
	s_waitcnt vmcnt(51) lgkmcnt(2)
	v_fma_f64 v[212:213], -v[162:163], v[4:5], v[212:213]
	s_waitcnt vmcnt(50)
	v_fma_f64 v[158:159], -v[162:163], v[6:7], v[158:159]
	;; [unrolled: 5-line block ×4, first 2 shown]
	s_waitcnt vmcnt(45) lgkmcnt(1)
	v_fma_f64 v[206:207], -v[162:163], v[4:5], v[206:207]
	ds_read2_b64 v[0:3], v25 offset0:14 offset1:15
	s_waitcnt vmcnt(44)
	v_fma_f64 v[152:153], -v[162:163], v[6:7], v[152:153]
	ds_read2_b64 v[4:7], v25 offset0:16 offset1:17
	s_waitcnt vmcnt(43) lgkmcnt(2)
	v_fma_f64 v[204:205], -v[162:163], v[8:9], v[204:205]
	s_waitcnt vmcnt(42)
	v_fma_f64 v[150:151], -v[162:163], v[10:11], v[150:151]
	s_waitcnt vmcnt(41) lgkmcnt(1)
	v_fma_f64 v[202:203], -v[162:163], v[0:1], v[202:203]
	ds_read2_b64 v[8:11], v25 offset0:18 offset1:19
	s_waitcnt vmcnt(40)
	v_fma_f64 v[148:149], -v[162:163], v[2:3], v[148:149]
	ds_read2_b64 v[0:3], v25 offset0:20 offset1:21
	s_waitcnt vmcnt(39) lgkmcnt(2)
	v_fma_f64 v[200:201], -v[162:163], v[4:5], v[200:201]
	s_waitcnt vmcnt(38)
	v_fma_f64 v[146:147], -v[162:163], v[6:7], v[146:147]
	ds_read2_b64 v[4:7], v25 offset0:22 offset1:23
	s_waitcnt vmcnt(37) lgkmcnt(2)
	v_fma_f64 v[198:199], -v[162:163], v[8:9], v[198:199]
	;; [unrolled: 5-line block ×3, first 2 shown]
	s_waitcnt vmcnt(34)
	v_fma_f64 v[142:143], -v[162:163], v[2:3], v[142:143]
	s_waitcnt vmcnt(33) lgkmcnt(1)
	v_fma_f64 v[194:195], -v[162:163], v[4:5], v[194:195]
	ds_read2_b64 v[0:3], v25 offset0:26 offset1:27
	s_waitcnt vmcnt(32)
	v_fma_f64 v[140:141], -v[162:163], v[6:7], v[140:141]
	ds_read2_b64 v[4:7], v25 offset0:28 offset1:29
	s_waitcnt vmcnt(31) lgkmcnt(2)
	v_fma_f64 v[192:193], -v[162:163], v[8:9], v[192:193]
	s_waitcnt vmcnt(30)
	v_fma_f64 v[138:139], -v[162:163], v[10:11], v[138:139]
	s_waitcnt vmcnt(29) lgkmcnt(1)
	v_fma_f64 v[190:191], -v[162:163], v[0:1], v[190:191]
	ds_read2_b64 v[8:11], v25 offset0:30 offset1:31
	s_waitcnt vmcnt(28)
	v_fma_f64 v[136:137], -v[162:163], v[2:3], v[136:137]
	ds_read2_b64 v[0:3], v25 offset0:32 offset1:33
	s_waitcnt vmcnt(27) lgkmcnt(2)
	v_fma_f64 v[188:189], -v[162:163], v[4:5], v[188:189]
	s_waitcnt vmcnt(26)
	v_fma_f64 v[134:135], -v[162:163], v[6:7], v[134:135]
	ds_read2_b64 v[4:7], v25 offset0:34 offset1:35
	s_waitcnt vmcnt(25) lgkmcnt(2)
	v_fma_f64 v[186:187], -v[162:163], v[8:9], v[186:187]
	s_waitcnt vmcnt(24)
	v_fma_f64 v[132:133], -v[162:163], v[10:11], v[132:133]
	ds_read2_b64 v[8:11], v25 offset0:36 offset1:37
	s_waitcnt vmcnt(23) lgkmcnt(2)
	v_fma_f64 v[184:185], -v[162:163], v[0:1], v[184:185]
	s_waitcnt vmcnt(22)
	v_fma_f64 v[130:131], -v[162:163], v[2:3], v[130:131]
	s_waitcnt vmcnt(21) lgkmcnt(1)
	v_fma_f64 v[182:183], -v[162:163], v[4:5], v[182:183]
	ds_read2_b64 v[0:3], v25 offset0:38 offset1:39
	s_waitcnt vmcnt(20)
	v_fma_f64 v[128:129], -v[162:163], v[6:7], v[128:129]
	ds_read2_b64 v[4:7], v25 offset0:40 offset1:41
	s_waitcnt vmcnt(19) lgkmcnt(2)
	v_fma_f64 v[180:181], -v[162:163], v[8:9], v[180:181]
	s_waitcnt vmcnt(18)
	v_fma_f64 v[126:127], -v[162:163], v[10:11], v[126:127]
	s_waitcnt vmcnt(17) lgkmcnt(1)
	v_fma_f64 v[178:179], -v[162:163], v[0:1], v[178:179]
	ds_read2_b64 v[8:11], v25 offset0:42 offset1:43
	s_waitcnt vmcnt(16)
	v_fma_f64 v[124:125], -v[162:163], v[2:3], v[124:125]
	ds_read2_b64 v[0:3], v25 offset0:44 offset1:45
	s_waitcnt vmcnt(15) lgkmcnt(2)
	v_fma_f64 v[176:177], -v[162:163], v[4:5], v[176:177]
	s_waitcnt vmcnt(14)
	v_fma_f64 v[122:123], -v[162:163], v[6:7], v[122:123]
	ds_read2_b64 v[4:7], v25 offset0:46 offset1:47
	s_waitcnt vmcnt(13) lgkmcnt(2)
	v_fma_f64 v[174:175], -v[162:163], v[8:9], v[174:175]
	s_waitcnt vmcnt(12)
	v_fma_f64 v[120:121], -v[162:163], v[10:11], v[120:121]
	s_waitcnt vmcnt(11) lgkmcnt(1)
	v_fma_f64 v[172:173], -v[162:163], v[0:1], v[172:173]
	s_waitcnt vmcnt(10)
	v_fma_f64 v[118:119], -v[162:163], v[2:3], v[118:119]
	ds_read2_b64 v[0:3], v25 offset0:48 offset1:49
	s_waitcnt vmcnt(9) lgkmcnt(1)
	v_fma_f64 v[170:171], -v[162:163], v[4:5], v[170:171]
	ds_read2_b64 v[8:11], v25 offset0:50 offset1:51
	s_waitcnt vmcnt(8)
	v_fma_f64 v[116:117], -v[162:163], v[6:7], v[116:117]
	ds_read2_b64 v[4:7], v25 offset0:52 offset1:53
	s_waitcnt vmcnt(7) lgkmcnt(2)
	v_fma_f64 v[168:169], -v[162:163], v[0:1], v[168:169]
	s_waitcnt vmcnt(6)
	v_fma_f64 v[114:115], -v[162:163], v[2:3], v[114:115]
	s_waitcnt vmcnt(5) lgkmcnt(1)
	v_fma_f64 v[166:167], -v[162:163], v[8:9], v[166:167]
	s_waitcnt vmcnt(4)
	v_fma_f64 v[112:113], -v[162:163], v[10:11], v[112:113]
	s_waitcnt vmcnt(3) lgkmcnt(0)
	v_fma_f64 v[164:165], -v[162:163], v[4:5], v[164:165]
	s_waitcnt vmcnt(0)
	v_fma_f64 v[216:217], -v[162:163], v[6:7], v[216:217]
.LBB107_11:
	s_or_b64 exec, exec, s[2:3]
	v_cmp_eq_u32_e32 vcc, 2, v26
	s_waitcnt lgkmcnt(0)
	s_barrier
	s_and_saveexec_b64 s[2:3], vcc
	s_cbranch_execz .LBB107_14
; %bb.12:
	s_waitcnt vmcnt(53)
	ds_write_b64 v24, v[214:215]
	s_waitcnt vmcnt(51)
	ds_write2_b64 v25, v[160:161], v[212:213] offset0:3 offset1:4
	s_waitcnt vmcnt(49)
	ds_write2_b64 v25, v[158:159], v[210:211] offset0:5 offset1:6
	;; [unrolled: 2-line block ×25, first 2 shown]
	s_waitcnt vmcnt(0)
	ds_write_b64 v25, v[216:217] offset:424
	ds_read_b64 v[0:1], v24
	s_waitcnt lgkmcnt(0)
	v_cmp_neq_f64_e32 vcc, 0, v[0:1]
	s_and_b64 exec, exec, vcc
	s_cbranch_execz .LBB107_14
; %bb.13:
	v_div_scale_f64 v[2:3], s[6:7], v[0:1], v[0:1], 1.0
	v_rcp_f64_e32 v[4:5], v[2:3]
	v_div_scale_f64 v[6:7], vcc, 1.0, v[0:1], 1.0
	v_fma_f64 v[8:9], -v[2:3], v[4:5], 1.0
	v_fmac_f64_e32 v[4:5], v[4:5], v[8:9]
	v_fma_f64 v[8:9], -v[2:3], v[4:5], 1.0
	v_fmac_f64_e32 v[4:5], v[4:5], v[8:9]
	v_mul_f64 v[8:9], v[6:7], v[4:5]
	v_fma_f64 v[2:3], -v[2:3], v[8:9], v[6:7]
	v_div_fmas_f64 v[2:3], v[2:3], v[4:5], v[8:9]
	v_div_fixup_f64 v[0:1], v[2:3], v[0:1], 1.0
	ds_write_b64 v24, v[0:1]
.LBB107_14:
	s_or_b64 exec, exec, s[2:3]
	s_waitcnt lgkmcnt(0)
	s_barrier
	ds_read_b64 v[254:255], v24
	v_cmp_lt_u32_e32 vcc, 2, v26
	s_and_saveexec_b64 s[2:3], vcc
	s_cbranch_execz .LBB107_16
; %bb.15:
	ds_read2_b64 v[0:3], v25 offset0:3 offset1:4
	ds_read2_b64 v[4:7], v25 offset0:5 offset1:6
	s_waitcnt vmcnt(53) lgkmcnt(2)
	v_mul_f64 v[214:215], v[254:255], v[214:215]
	ds_read2_b64 v[8:11], v25 offset0:7 offset1:8
	s_waitcnt vmcnt(52) lgkmcnt(2)
	v_fma_f64 v[160:161], -v[214:215], v[0:1], v[160:161]
	s_waitcnt vmcnt(51)
	v_fma_f64 v[212:213], -v[214:215], v[2:3], v[212:213]
	ds_read2_b64 v[0:3], v25 offset0:9 offset1:10
	s_waitcnt vmcnt(50) lgkmcnt(2)
	v_fma_f64 v[158:159], -v[214:215], v[4:5], v[158:159]
	s_waitcnt vmcnt(49)
	v_fma_f64 v[210:211], -v[214:215], v[6:7], v[210:211]
	;; [unrolled: 5-line block ×4, first 2 shown]
	s_waitcnt vmcnt(44) lgkmcnt(1)
	v_fma_f64 v[152:153], -v[214:215], v[4:5], v[152:153]
	ds_read2_b64 v[0:3], v25 offset0:15 offset1:16
	s_waitcnt vmcnt(43)
	v_fma_f64 v[204:205], -v[214:215], v[6:7], v[204:205]
	ds_read2_b64 v[4:7], v25 offset0:17 offset1:18
	s_waitcnt vmcnt(42) lgkmcnt(2)
	v_fma_f64 v[150:151], -v[214:215], v[8:9], v[150:151]
	s_waitcnt vmcnt(41)
	v_fma_f64 v[202:203], -v[214:215], v[10:11], v[202:203]
	s_waitcnt vmcnt(40) lgkmcnt(1)
	v_fma_f64 v[148:149], -v[214:215], v[0:1], v[148:149]
	ds_read2_b64 v[8:11], v25 offset0:19 offset1:20
	s_waitcnt vmcnt(39)
	v_fma_f64 v[200:201], -v[214:215], v[2:3], v[200:201]
	ds_read2_b64 v[0:3], v25 offset0:21 offset1:22
	s_waitcnt vmcnt(38) lgkmcnt(2)
	v_fma_f64 v[146:147], -v[214:215], v[4:5], v[146:147]
	s_waitcnt vmcnt(37)
	v_fma_f64 v[198:199], -v[214:215], v[6:7], v[198:199]
	ds_read2_b64 v[4:7], v25 offset0:23 offset1:24
	s_waitcnt vmcnt(36) lgkmcnt(2)
	v_fma_f64 v[144:145], -v[214:215], v[8:9], v[144:145]
	;; [unrolled: 5-line block ×3, first 2 shown]
	s_waitcnt vmcnt(33)
	v_fma_f64 v[194:195], -v[214:215], v[2:3], v[194:195]
	s_waitcnt vmcnt(32) lgkmcnt(1)
	v_fma_f64 v[140:141], -v[214:215], v[4:5], v[140:141]
	ds_read2_b64 v[0:3], v25 offset0:27 offset1:28
	s_waitcnt vmcnt(31)
	v_fma_f64 v[192:193], -v[214:215], v[6:7], v[192:193]
	ds_read2_b64 v[4:7], v25 offset0:29 offset1:30
	s_waitcnt vmcnt(30) lgkmcnt(2)
	v_fma_f64 v[138:139], -v[214:215], v[8:9], v[138:139]
	s_waitcnt vmcnt(29)
	v_fma_f64 v[190:191], -v[214:215], v[10:11], v[190:191]
	s_waitcnt vmcnt(28) lgkmcnt(1)
	v_fma_f64 v[136:137], -v[214:215], v[0:1], v[136:137]
	ds_read2_b64 v[8:11], v25 offset0:31 offset1:32
	s_waitcnt vmcnt(27)
	v_fma_f64 v[188:189], -v[214:215], v[2:3], v[188:189]
	ds_read2_b64 v[0:3], v25 offset0:33 offset1:34
	s_waitcnt vmcnt(26) lgkmcnt(2)
	v_fma_f64 v[134:135], -v[214:215], v[4:5], v[134:135]
	s_waitcnt vmcnt(25)
	v_fma_f64 v[186:187], -v[214:215], v[6:7], v[186:187]
	ds_read2_b64 v[4:7], v25 offset0:35 offset1:36
	s_waitcnt vmcnt(24) lgkmcnt(2)
	v_fma_f64 v[132:133], -v[214:215], v[8:9], v[132:133]
	;; [unrolled: 5-line block ×3, first 2 shown]
	s_waitcnt vmcnt(21)
	v_fma_f64 v[182:183], -v[214:215], v[2:3], v[182:183]
	s_waitcnt vmcnt(20) lgkmcnt(1)
	v_fma_f64 v[128:129], -v[214:215], v[4:5], v[128:129]
	ds_read2_b64 v[0:3], v25 offset0:39 offset1:40
	s_waitcnt vmcnt(19)
	v_fma_f64 v[180:181], -v[214:215], v[6:7], v[180:181]
	ds_read2_b64 v[4:7], v25 offset0:41 offset1:42
	s_waitcnt vmcnt(18) lgkmcnt(2)
	v_fma_f64 v[126:127], -v[214:215], v[8:9], v[126:127]
	s_waitcnt vmcnt(17)
	v_fma_f64 v[178:179], -v[214:215], v[10:11], v[178:179]
	s_waitcnt vmcnt(16) lgkmcnt(1)
	v_fma_f64 v[124:125], -v[214:215], v[0:1], v[124:125]
	ds_read2_b64 v[8:11], v25 offset0:43 offset1:44
	s_waitcnt vmcnt(15)
	v_fma_f64 v[176:177], -v[214:215], v[2:3], v[176:177]
	ds_read2_b64 v[0:3], v25 offset0:45 offset1:46
	s_waitcnt vmcnt(14) lgkmcnt(2)
	v_fma_f64 v[122:123], -v[214:215], v[4:5], v[122:123]
	s_waitcnt vmcnt(13)
	v_fma_f64 v[174:175], -v[214:215], v[6:7], v[174:175]
	ds_read2_b64 v[4:7], v25 offset0:47 offset1:48
	s_waitcnt vmcnt(12) lgkmcnt(2)
	v_fma_f64 v[120:121], -v[214:215], v[8:9], v[120:121]
	s_waitcnt vmcnt(11)
	v_fma_f64 v[172:173], -v[214:215], v[10:11], v[172:173]
	s_waitcnt vmcnt(10) lgkmcnt(1)
	v_fma_f64 v[118:119], -v[214:215], v[0:1], v[118:119]
	s_waitcnt vmcnt(9)
	v_fma_f64 v[170:171], -v[214:215], v[2:3], v[170:171]
	ds_read2_b64 v[0:3], v25 offset0:49 offset1:50
	s_waitcnt vmcnt(8) lgkmcnt(1)
	v_fma_f64 v[116:117], -v[214:215], v[4:5], v[116:117]
	ds_read2_b64 v[8:11], v25 offset0:51 offset1:52
	ds_read_b64 v[4:5], v25 offset:424
	s_waitcnt vmcnt(7)
	v_fma_f64 v[168:169], -v[214:215], v[6:7], v[168:169]
	s_waitcnt vmcnt(6) lgkmcnt(2)
	v_fma_f64 v[114:115], -v[214:215], v[0:1], v[114:115]
	s_waitcnt vmcnt(5)
	v_fma_f64 v[166:167], -v[214:215], v[2:3], v[166:167]
	s_waitcnt vmcnt(4) lgkmcnt(1)
	v_fma_f64 v[112:113], -v[214:215], v[8:9], v[112:113]
	;; [unrolled: 4-line block ×3, first 2 shown]
.LBB107_16:
	s_or_b64 exec, exec, s[2:3]
	v_cmp_eq_u32_e32 vcc, 3, v26
	s_waitcnt lgkmcnt(0)
	s_barrier
	s_and_saveexec_b64 s[2:3], vcc
	s_cbranch_execz .LBB107_19
; %bb.17:
	s_waitcnt vmcnt(51)
	v_mov_b32_e32 v0, v212
	v_mov_b32_e32 v1, v213
	s_waitcnt vmcnt(50)
	v_mov_b32_e32 v2, v158
	v_mov_b32_e32 v3, v159
	ds_write_b64 v24, v[160:161]
	ds_write2_b64 v25, v[0:1], v[2:3] offset0:4 offset1:5
	s_waitcnt vmcnt(49)
	v_mov_b32_e32 v0, v210
	v_mov_b32_e32 v1, v211
	s_waitcnt vmcnt(48)
	v_mov_b32_e32 v2, v156
	v_mov_b32_e32 v3, v157
	ds_write2_b64 v25, v[0:1], v[2:3] offset0:6 offset1:7
	s_waitcnt vmcnt(47)
	v_mov_b32_e32 v0, v208
	v_mov_b32_e32 v1, v209
	s_waitcnt vmcnt(46)
	v_mov_b32_e32 v2, v154
	v_mov_b32_e32 v3, v155
	;; [unrolled: 7-line block ×23, first 2 shown]
	ds_write2_b64 v25, v[0:1], v[2:3] offset0:50 offset1:51
	s_waitcnt vmcnt(3)
	v_mov_b32_e32 v0, v164
	v_mov_b32_e32 v1, v165
	s_waitcnt vmcnt(0)
	ds_write2_b64 v25, v[0:1], v[216:217] offset0:52 offset1:53
	ds_read_b64 v[0:1], v24
	s_waitcnt lgkmcnt(0)
	v_cmp_neq_f64_e32 vcc, 0, v[0:1]
	s_and_b64 exec, exec, vcc
	s_cbranch_execz .LBB107_19
; %bb.18:
	v_div_scale_f64 v[2:3], s[6:7], v[0:1], v[0:1], 1.0
	v_rcp_f64_e32 v[4:5], v[2:3]
	v_div_scale_f64 v[6:7], vcc, 1.0, v[0:1], 1.0
	v_fma_f64 v[8:9], -v[2:3], v[4:5], 1.0
	v_fmac_f64_e32 v[4:5], v[4:5], v[8:9]
	v_fma_f64 v[8:9], -v[2:3], v[4:5], 1.0
	v_fmac_f64_e32 v[4:5], v[4:5], v[8:9]
	v_mul_f64 v[8:9], v[6:7], v[4:5]
	v_fma_f64 v[2:3], -v[2:3], v[8:9], v[6:7]
	v_div_fmas_f64 v[2:3], v[2:3], v[4:5], v[8:9]
	v_div_fixup_f64 v[0:1], v[2:3], v[0:1], 1.0
	ds_write_b64 v24, v[0:1]
.LBB107_19:
	s_or_b64 exec, exec, s[2:3]
	s_waitcnt lgkmcnt(0)
	s_barrier
	ds_read_b64 v[218:219], v24
	v_cmp_lt_u32_e32 vcc, 3, v26
	s_and_saveexec_b64 s[2:3], vcc
	s_cbranch_execz .LBB107_21
; %bb.20:
	ds_read2_b64 v[0:3], v25 offset0:4 offset1:5
	ds_read2_b64 v[4:7], v25 offset0:6 offset1:7
	s_waitcnt vmcnt(52) lgkmcnt(2)
	v_mul_f64 v[160:161], v[218:219], v[160:161]
	ds_read2_b64 v[8:11], v25 offset0:8 offset1:9
	s_waitcnt vmcnt(51) lgkmcnt(2)
	v_fma_f64 v[212:213], -v[160:161], v[0:1], v[212:213]
	s_waitcnt vmcnt(50)
	v_fma_f64 v[158:159], -v[160:161], v[2:3], v[158:159]
	ds_read2_b64 v[0:3], v25 offset0:10 offset1:11
	s_waitcnt vmcnt(49) lgkmcnt(2)
	v_fma_f64 v[210:211], -v[160:161], v[4:5], v[210:211]
	s_waitcnt vmcnt(48)
	v_fma_f64 v[156:157], -v[160:161], v[6:7], v[156:157]
	s_waitcnt vmcnt(47) lgkmcnt(1)
	v_fma_f64 v[208:209], -v[160:161], v[8:9], v[208:209]
	ds_read2_b64 v[4:7], v25 offset0:12 offset1:13
	s_waitcnt vmcnt(46)
	v_fma_f64 v[154:155], -v[160:161], v[10:11], v[154:155]
	ds_read2_b64 v[8:11], v25 offset0:14 offset1:15
	s_waitcnt vmcnt(45) lgkmcnt(2)
	v_fma_f64 v[206:207], -v[160:161], v[0:1], v[206:207]
	s_waitcnt vmcnt(44)
	v_fma_f64 v[152:153], -v[160:161], v[2:3], v[152:153]
	ds_read2_b64 v[0:3], v25 offset0:16 offset1:17
	s_waitcnt vmcnt(43) lgkmcnt(2)
	v_fma_f64 v[204:205], -v[160:161], v[4:5], v[204:205]
	s_waitcnt vmcnt(42)
	v_fma_f64 v[150:151], -v[160:161], v[6:7], v[150:151]
	ds_read2_b64 v[4:7], v25 offset0:18 offset1:19
	s_waitcnt vmcnt(41) lgkmcnt(2)
	v_fma_f64 v[202:203], -v[160:161], v[8:9], v[202:203]
	s_waitcnt vmcnt(40)
	v_fma_f64 v[148:149], -v[160:161], v[10:11], v[148:149]
	s_waitcnt vmcnt(39) lgkmcnt(1)
	v_fma_f64 v[200:201], -v[160:161], v[0:1], v[200:201]
	ds_read2_b64 v[8:11], v25 offset0:20 offset1:21
	s_waitcnt vmcnt(38)
	v_fma_f64 v[146:147], -v[160:161], v[2:3], v[146:147]
	ds_read2_b64 v[0:3], v25 offset0:22 offset1:23
	s_waitcnt vmcnt(37) lgkmcnt(2)
	v_fma_f64 v[198:199], -v[160:161], v[4:5], v[198:199]
	s_waitcnt vmcnt(36)
	v_fma_f64 v[144:145], -v[160:161], v[6:7], v[144:145]
	s_waitcnt vmcnt(35) lgkmcnt(1)
	v_fma_f64 v[196:197], -v[160:161], v[8:9], v[196:197]
	ds_read2_b64 v[4:7], v25 offset0:24 offset1:25
	s_waitcnt vmcnt(34)
	v_fma_f64 v[142:143], -v[160:161], v[10:11], v[142:143]
	ds_read2_b64 v[8:11], v25 offset0:26 offset1:27
	s_waitcnt vmcnt(33) lgkmcnt(2)
	v_fma_f64 v[194:195], -v[160:161], v[0:1], v[194:195]
	s_waitcnt vmcnt(32)
	v_fma_f64 v[140:141], -v[160:161], v[2:3], v[140:141]
	ds_read2_b64 v[0:3], v25 offset0:28 offset1:29
	s_waitcnt vmcnt(31) lgkmcnt(2)
	v_fma_f64 v[192:193], -v[160:161], v[4:5], v[192:193]
	s_waitcnt vmcnt(30)
	v_fma_f64 v[138:139], -v[160:161], v[6:7], v[138:139]
	ds_read2_b64 v[4:7], v25 offset0:30 offset1:31
	s_waitcnt vmcnt(29) lgkmcnt(2)
	v_fma_f64 v[190:191], -v[160:161], v[8:9], v[190:191]
	s_waitcnt vmcnt(28)
	v_fma_f64 v[136:137], -v[160:161], v[10:11], v[136:137]
	s_waitcnt vmcnt(27) lgkmcnt(1)
	v_fma_f64 v[188:189], -v[160:161], v[0:1], v[188:189]
	ds_read2_b64 v[8:11], v25 offset0:32 offset1:33
	s_waitcnt vmcnt(26)
	v_fma_f64 v[134:135], -v[160:161], v[2:3], v[134:135]
	ds_read2_b64 v[0:3], v25 offset0:34 offset1:35
	s_waitcnt vmcnt(25) lgkmcnt(2)
	v_fma_f64 v[186:187], -v[160:161], v[4:5], v[186:187]
	s_waitcnt vmcnt(24)
	v_fma_f64 v[132:133], -v[160:161], v[6:7], v[132:133]
	s_waitcnt vmcnt(23) lgkmcnt(1)
	v_fma_f64 v[184:185], -v[160:161], v[8:9], v[184:185]
	ds_read2_b64 v[4:7], v25 offset0:36 offset1:37
	s_waitcnt vmcnt(22)
	v_fma_f64 v[130:131], -v[160:161], v[10:11], v[130:131]
	ds_read2_b64 v[8:11], v25 offset0:38 offset1:39
	s_waitcnt vmcnt(21) lgkmcnt(2)
	v_fma_f64 v[182:183], -v[160:161], v[0:1], v[182:183]
	s_waitcnt vmcnt(20)
	v_fma_f64 v[128:129], -v[160:161], v[2:3], v[128:129]
	ds_read2_b64 v[0:3], v25 offset0:40 offset1:41
	s_waitcnt vmcnt(19) lgkmcnt(2)
	v_fma_f64 v[180:181], -v[160:161], v[4:5], v[180:181]
	s_waitcnt vmcnt(18)
	v_fma_f64 v[126:127], -v[160:161], v[6:7], v[126:127]
	ds_read2_b64 v[4:7], v25 offset0:42 offset1:43
	s_waitcnt vmcnt(17) lgkmcnt(2)
	v_fma_f64 v[178:179], -v[160:161], v[8:9], v[178:179]
	s_waitcnt vmcnt(16)
	v_fma_f64 v[124:125], -v[160:161], v[10:11], v[124:125]
	s_waitcnt vmcnt(15) lgkmcnt(1)
	v_fma_f64 v[176:177], -v[160:161], v[0:1], v[176:177]
	ds_read2_b64 v[8:11], v25 offset0:44 offset1:45
	s_waitcnt vmcnt(14)
	v_fma_f64 v[122:123], -v[160:161], v[2:3], v[122:123]
	ds_read2_b64 v[0:3], v25 offset0:46 offset1:47
	s_waitcnt vmcnt(13) lgkmcnt(2)
	v_fma_f64 v[174:175], -v[160:161], v[4:5], v[174:175]
	s_waitcnt vmcnt(12)
	v_fma_f64 v[120:121], -v[160:161], v[6:7], v[120:121]
	s_waitcnt vmcnt(11) lgkmcnt(1)
	v_fma_f64 v[172:173], -v[160:161], v[8:9], v[172:173]
	s_waitcnt vmcnt(10)
	v_fma_f64 v[118:119], -v[160:161], v[10:11], v[118:119]
	ds_read2_b64 v[4:7], v25 offset0:48 offset1:49
	ds_read2_b64 v[8:11], v25 offset0:50 offset1:51
	s_waitcnt vmcnt(9) lgkmcnt(2)
	v_fma_f64 v[170:171], -v[160:161], v[0:1], v[170:171]
	s_waitcnt vmcnt(8)
	v_fma_f64 v[116:117], -v[160:161], v[2:3], v[116:117]
	ds_read2_b64 v[0:3], v25 offset0:52 offset1:53
	s_waitcnt vmcnt(7) lgkmcnt(2)
	v_fma_f64 v[168:169], -v[160:161], v[4:5], v[168:169]
	s_waitcnt vmcnt(6)
	v_fma_f64 v[114:115], -v[160:161], v[6:7], v[114:115]
	s_waitcnt vmcnt(5) lgkmcnt(1)
	v_fma_f64 v[166:167], -v[160:161], v[8:9], v[166:167]
	s_waitcnt vmcnt(4)
	v_fma_f64 v[112:113], -v[160:161], v[10:11], v[112:113]
	s_waitcnt vmcnt(3) lgkmcnt(0)
	v_fma_f64 v[164:165], -v[160:161], v[0:1], v[164:165]
	s_waitcnt vmcnt(0)
	v_fma_f64 v[216:217], -v[160:161], v[2:3], v[216:217]
.LBB107_21:
	s_or_b64 exec, exec, s[2:3]
	v_cmp_eq_u32_e32 vcc, 4, v26
	s_waitcnt lgkmcnt(0)
	s_barrier
	s_and_saveexec_b64 s[2:3], vcc
	s_cbranch_execz .LBB107_24
; %bb.22:
	s_waitcnt vmcnt(51)
	ds_write_b64 v24, v[212:213]
	s_waitcnt vmcnt(49)
	ds_write2_b64 v25, v[158:159], v[210:211] offset0:5 offset1:6
	s_waitcnt vmcnt(47)
	ds_write2_b64 v25, v[156:157], v[208:209] offset0:7 offset1:8
	;; [unrolled: 2-line block ×24, first 2 shown]
	s_waitcnt vmcnt(0)
	ds_write_b64 v25, v[216:217] offset:424
	ds_read_b64 v[0:1], v24
	s_waitcnt lgkmcnt(0)
	v_cmp_neq_f64_e32 vcc, 0, v[0:1]
	s_and_b64 exec, exec, vcc
	s_cbranch_execz .LBB107_24
; %bb.23:
	v_div_scale_f64 v[2:3], s[6:7], v[0:1], v[0:1], 1.0
	v_rcp_f64_e32 v[4:5], v[2:3]
	v_div_scale_f64 v[6:7], vcc, 1.0, v[0:1], 1.0
	v_fma_f64 v[8:9], -v[2:3], v[4:5], 1.0
	v_fmac_f64_e32 v[4:5], v[4:5], v[8:9]
	v_fma_f64 v[8:9], -v[2:3], v[4:5], 1.0
	v_fmac_f64_e32 v[4:5], v[4:5], v[8:9]
	v_mul_f64 v[8:9], v[6:7], v[4:5]
	v_fma_f64 v[2:3], -v[2:3], v[8:9], v[6:7]
	v_div_fmas_f64 v[2:3], v[2:3], v[4:5], v[8:9]
	v_div_fixup_f64 v[0:1], v[2:3], v[0:1], 1.0
	ds_write_b64 v24, v[0:1]
.LBB107_24:
	s_or_b64 exec, exec, s[2:3]
	s_waitcnt lgkmcnt(0)
	s_barrier
	ds_read_b64 v[220:221], v24
	v_cmp_lt_u32_e32 vcc, 4, v26
	s_and_saveexec_b64 s[2:3], vcc
	s_cbranch_execz .LBB107_26
; %bb.25:
	ds_read2_b64 v[0:3], v25 offset0:5 offset1:6
	ds_read2_b64 v[4:7], v25 offset0:7 offset1:8
	s_waitcnt vmcnt(51) lgkmcnt(2)
	v_mul_f64 v[212:213], v[220:221], v[212:213]
	ds_read2_b64 v[8:11], v25 offset0:9 offset1:10
	s_waitcnt vmcnt(50) lgkmcnt(2)
	v_fma_f64 v[158:159], -v[212:213], v[0:1], v[158:159]
	s_waitcnt vmcnt(49)
	v_fma_f64 v[210:211], -v[212:213], v[2:3], v[210:211]
	ds_read2_b64 v[0:3], v25 offset0:11 offset1:12
	s_waitcnt vmcnt(48) lgkmcnt(2)
	v_fma_f64 v[156:157], -v[212:213], v[4:5], v[156:157]
	s_waitcnt vmcnt(47)
	v_fma_f64 v[208:209], -v[212:213], v[6:7], v[208:209]
	s_waitcnt vmcnt(46) lgkmcnt(1)
	v_fma_f64 v[154:155], -v[212:213], v[8:9], v[154:155]
	ds_read2_b64 v[4:7], v25 offset0:13 offset1:14
	s_waitcnt vmcnt(45)
	v_fma_f64 v[206:207], -v[212:213], v[10:11], v[206:207]
	ds_read2_b64 v[8:11], v25 offset0:15 offset1:16
	s_waitcnt vmcnt(44) lgkmcnt(2)
	v_fma_f64 v[152:153], -v[212:213], v[0:1], v[152:153]
	s_waitcnt vmcnt(43)
	v_fma_f64 v[204:205], -v[212:213], v[2:3], v[204:205]
	ds_read2_b64 v[0:3], v25 offset0:17 offset1:18
	s_waitcnt vmcnt(42) lgkmcnt(2)
	v_fma_f64 v[150:151], -v[212:213], v[4:5], v[150:151]
	s_waitcnt vmcnt(41)
	v_fma_f64 v[202:203], -v[212:213], v[6:7], v[202:203]
	ds_read2_b64 v[4:7], v25 offset0:19 offset1:20
	s_waitcnt vmcnt(40) lgkmcnt(2)
	v_fma_f64 v[148:149], -v[212:213], v[8:9], v[148:149]
	s_waitcnt vmcnt(39)
	v_fma_f64 v[200:201], -v[212:213], v[10:11], v[200:201]
	s_waitcnt vmcnt(38) lgkmcnt(1)
	v_fma_f64 v[146:147], -v[212:213], v[0:1], v[146:147]
	ds_read2_b64 v[8:11], v25 offset0:21 offset1:22
	s_waitcnt vmcnt(37)
	v_fma_f64 v[198:199], -v[212:213], v[2:3], v[198:199]
	ds_read2_b64 v[0:3], v25 offset0:23 offset1:24
	s_waitcnt vmcnt(36) lgkmcnt(2)
	v_fma_f64 v[144:145], -v[212:213], v[4:5], v[144:145]
	s_waitcnt vmcnt(35)
	v_fma_f64 v[196:197], -v[212:213], v[6:7], v[196:197]
	s_waitcnt vmcnt(34) lgkmcnt(1)
	v_fma_f64 v[142:143], -v[212:213], v[8:9], v[142:143]
	ds_read2_b64 v[4:7], v25 offset0:25 offset1:26
	s_waitcnt vmcnt(33)
	v_fma_f64 v[194:195], -v[212:213], v[10:11], v[194:195]
	ds_read2_b64 v[8:11], v25 offset0:27 offset1:28
	s_waitcnt vmcnt(32) lgkmcnt(2)
	v_fma_f64 v[140:141], -v[212:213], v[0:1], v[140:141]
	s_waitcnt vmcnt(31)
	v_fma_f64 v[192:193], -v[212:213], v[2:3], v[192:193]
	ds_read2_b64 v[0:3], v25 offset0:29 offset1:30
	s_waitcnt vmcnt(30) lgkmcnt(2)
	v_fma_f64 v[138:139], -v[212:213], v[4:5], v[138:139]
	s_waitcnt vmcnt(29)
	v_fma_f64 v[190:191], -v[212:213], v[6:7], v[190:191]
	ds_read2_b64 v[4:7], v25 offset0:31 offset1:32
	s_waitcnt vmcnt(28) lgkmcnt(2)
	v_fma_f64 v[136:137], -v[212:213], v[8:9], v[136:137]
	s_waitcnt vmcnt(27)
	v_fma_f64 v[188:189], -v[212:213], v[10:11], v[188:189]
	s_waitcnt vmcnt(26) lgkmcnt(1)
	v_fma_f64 v[134:135], -v[212:213], v[0:1], v[134:135]
	ds_read2_b64 v[8:11], v25 offset0:33 offset1:34
	;; [unrolled: 30-line block ×3, first 2 shown]
	s_waitcnt vmcnt(13)
	v_fma_f64 v[174:175], -v[212:213], v[2:3], v[174:175]
	ds_read2_b64 v[0:3], v25 offset0:47 offset1:48
	s_waitcnt vmcnt(12) lgkmcnt(2)
	v_fma_f64 v[120:121], -v[212:213], v[4:5], v[120:121]
	s_waitcnt vmcnt(11)
	v_fma_f64 v[172:173], -v[212:213], v[6:7], v[172:173]
	s_waitcnt vmcnt(10) lgkmcnt(1)
	v_fma_f64 v[118:119], -v[212:213], v[8:9], v[118:119]
	s_waitcnt vmcnt(9)
	v_fma_f64 v[170:171], -v[212:213], v[10:11], v[170:171]
	ds_read2_b64 v[4:7], v25 offset0:49 offset1:50
	ds_read2_b64 v[8:11], v25 offset0:51 offset1:52
	s_waitcnt vmcnt(8) lgkmcnt(2)
	v_fma_f64 v[116:117], -v[212:213], v[0:1], v[116:117]
	ds_read_b64 v[0:1], v25 offset:424
	s_waitcnt vmcnt(7)
	v_fma_f64 v[168:169], -v[212:213], v[2:3], v[168:169]
	s_waitcnt vmcnt(6) lgkmcnt(2)
	v_fma_f64 v[114:115], -v[212:213], v[4:5], v[114:115]
	s_waitcnt vmcnt(5)
	v_fma_f64 v[166:167], -v[212:213], v[6:7], v[166:167]
	s_waitcnt vmcnt(4) lgkmcnt(1)
	v_fma_f64 v[112:113], -v[212:213], v[8:9], v[112:113]
	;; [unrolled: 4-line block ×3, first 2 shown]
.LBB107_26:
	s_or_b64 exec, exec, s[2:3]
	v_cmp_eq_u32_e32 vcc, 5, v26
	s_waitcnt lgkmcnt(0)
	s_barrier
	s_and_saveexec_b64 s[2:3], vcc
	s_cbranch_execz .LBB107_29
; %bb.27:
	s_waitcnt vmcnt(49)
	v_mov_b32_e32 v0, v210
	v_mov_b32_e32 v1, v211
	s_waitcnt vmcnt(48)
	v_mov_b32_e32 v2, v156
	v_mov_b32_e32 v3, v157
	ds_write_b64 v24, v[158:159]
	ds_write2_b64 v25, v[0:1], v[2:3] offset0:6 offset1:7
	s_waitcnt vmcnt(47)
	v_mov_b32_e32 v0, v208
	v_mov_b32_e32 v1, v209
	s_waitcnt vmcnt(46)
	v_mov_b32_e32 v2, v154
	v_mov_b32_e32 v3, v155
	ds_write2_b64 v25, v[0:1], v[2:3] offset0:8 offset1:9
	s_waitcnt vmcnt(45)
	v_mov_b32_e32 v0, v206
	v_mov_b32_e32 v1, v207
	s_waitcnt vmcnt(44)
	v_mov_b32_e32 v2, v152
	v_mov_b32_e32 v3, v153
	;; [unrolled: 7-line block ×22, first 2 shown]
	ds_write2_b64 v25, v[0:1], v[2:3] offset0:50 offset1:51
	s_waitcnt vmcnt(3)
	v_mov_b32_e32 v0, v164
	v_mov_b32_e32 v1, v165
	s_waitcnt vmcnt(0)
	ds_write2_b64 v25, v[0:1], v[216:217] offset0:52 offset1:53
	ds_read_b64 v[0:1], v24
	s_waitcnt lgkmcnt(0)
	v_cmp_neq_f64_e32 vcc, 0, v[0:1]
	s_and_b64 exec, exec, vcc
	s_cbranch_execz .LBB107_29
; %bb.28:
	v_div_scale_f64 v[2:3], s[6:7], v[0:1], v[0:1], 1.0
	v_rcp_f64_e32 v[4:5], v[2:3]
	v_div_scale_f64 v[6:7], vcc, 1.0, v[0:1], 1.0
	v_fma_f64 v[8:9], -v[2:3], v[4:5], 1.0
	v_fmac_f64_e32 v[4:5], v[4:5], v[8:9]
	v_fma_f64 v[8:9], -v[2:3], v[4:5], 1.0
	v_fmac_f64_e32 v[4:5], v[4:5], v[8:9]
	v_mul_f64 v[8:9], v[6:7], v[4:5]
	v_fma_f64 v[2:3], -v[2:3], v[8:9], v[6:7]
	v_div_fmas_f64 v[2:3], v[2:3], v[4:5], v[8:9]
	v_div_fixup_f64 v[0:1], v[2:3], v[0:1], 1.0
	ds_write_b64 v24, v[0:1]
.LBB107_29:
	s_or_b64 exec, exec, s[2:3]
	s_waitcnt lgkmcnt(0)
	s_barrier
	ds_read_b64 v[222:223], v24
	v_cmp_lt_u32_e32 vcc, 5, v26
	s_and_saveexec_b64 s[2:3], vcc
	s_cbranch_execz .LBB107_31
; %bb.30:
	ds_read2_b64 v[0:3], v25 offset0:6 offset1:7
	ds_read2_b64 v[4:7], v25 offset0:8 offset1:9
	ds_read2_b64 v[8:11], v25 offset0:10 offset1:11
	s_waitcnt vmcnt(50) lgkmcnt(3)
	v_mul_f64 v[158:159], v[222:223], v[158:159]
	s_waitcnt vmcnt(49) lgkmcnt(2)
	v_fma_f64 v[210:211], -v[158:159], v[0:1], v[210:211]
	s_waitcnt vmcnt(48)
	v_fma_f64 v[156:157], -v[158:159], v[2:3], v[156:157]
	ds_read2_b64 v[0:3], v25 offset0:12 offset1:13
	s_waitcnt vmcnt(47) lgkmcnt(2)
	v_fma_f64 v[208:209], -v[158:159], v[4:5], v[208:209]
	s_waitcnt vmcnt(46)
	v_fma_f64 v[154:155], -v[158:159], v[6:7], v[154:155]
	s_waitcnt vmcnt(45) lgkmcnt(1)
	v_fma_f64 v[206:207], -v[158:159], v[8:9], v[206:207]
	ds_read2_b64 v[4:7], v25 offset0:14 offset1:15
	s_waitcnt vmcnt(44)
	v_fma_f64 v[152:153], -v[158:159], v[10:11], v[152:153]
	ds_read2_b64 v[8:11], v25 offset0:16 offset1:17
	s_waitcnt vmcnt(43) lgkmcnt(2)
	v_fma_f64 v[204:205], -v[158:159], v[0:1], v[204:205]
	s_waitcnt vmcnt(42)
	v_fma_f64 v[150:151], -v[158:159], v[2:3], v[150:151]
	s_waitcnt vmcnt(41) lgkmcnt(1)
	v_fma_f64 v[202:203], -v[158:159], v[4:5], v[202:203]
	ds_read2_b64 v[0:3], v25 offset0:18 offset1:19
	s_waitcnt vmcnt(40)
	v_fma_f64 v[148:149], -v[158:159], v[6:7], v[148:149]
	ds_read2_b64 v[4:7], v25 offset0:20 offset1:21
	s_waitcnt vmcnt(39) lgkmcnt(2)
	v_fma_f64 v[200:201], -v[158:159], v[8:9], v[200:201]
	s_waitcnt vmcnt(38)
	v_fma_f64 v[146:147], -v[158:159], v[10:11], v[146:147]
	ds_read2_b64 v[8:11], v25 offset0:22 offset1:23
	s_waitcnt vmcnt(37) lgkmcnt(2)
	v_fma_f64 v[198:199], -v[158:159], v[0:1], v[198:199]
	s_waitcnt vmcnt(36)
	v_fma_f64 v[144:145], -v[158:159], v[2:3], v[144:145]
	ds_read2_b64 v[0:3], v25 offset0:24 offset1:25
	s_waitcnt vmcnt(35) lgkmcnt(2)
	v_fma_f64 v[196:197], -v[158:159], v[4:5], v[196:197]
	s_waitcnt vmcnt(34)
	v_fma_f64 v[142:143], -v[158:159], v[6:7], v[142:143]
	s_waitcnt vmcnt(33) lgkmcnt(1)
	v_fma_f64 v[194:195], -v[158:159], v[8:9], v[194:195]
	ds_read2_b64 v[4:7], v25 offset0:26 offset1:27
	s_waitcnt vmcnt(32)
	v_fma_f64 v[140:141], -v[158:159], v[10:11], v[140:141]
	ds_read2_b64 v[8:11], v25 offset0:28 offset1:29
	s_waitcnt vmcnt(31) lgkmcnt(2)
	v_fma_f64 v[192:193], -v[158:159], v[0:1], v[192:193]
	s_waitcnt vmcnt(30)
	v_fma_f64 v[138:139], -v[158:159], v[2:3], v[138:139]
	s_waitcnt vmcnt(29) lgkmcnt(1)
	v_fma_f64 v[190:191], -v[158:159], v[4:5], v[190:191]
	ds_read2_b64 v[0:3], v25 offset0:30 offset1:31
	s_waitcnt vmcnt(28)
	v_fma_f64 v[136:137], -v[158:159], v[6:7], v[136:137]
	ds_read2_b64 v[4:7], v25 offset0:32 offset1:33
	s_waitcnt vmcnt(27) lgkmcnt(2)
	v_fma_f64 v[188:189], -v[158:159], v[8:9], v[188:189]
	s_waitcnt vmcnt(26)
	v_fma_f64 v[134:135], -v[158:159], v[10:11], v[134:135]
	ds_read2_b64 v[8:11], v25 offset0:34 offset1:35
	;; [unrolled: 30-line block ×3, first 2 shown]
	s_waitcnt vmcnt(13) lgkmcnt(2)
	v_fma_f64 v[174:175], -v[158:159], v[0:1], v[174:175]
	s_waitcnt vmcnt(12)
	v_fma_f64 v[120:121], -v[158:159], v[2:3], v[120:121]
	ds_read2_b64 v[0:3], v25 offset0:48 offset1:49
	s_waitcnt vmcnt(11) lgkmcnt(2)
	v_fma_f64 v[172:173], -v[158:159], v[4:5], v[172:173]
	s_waitcnt vmcnt(10)
	v_fma_f64 v[118:119], -v[158:159], v[6:7], v[118:119]
	s_waitcnt vmcnt(9) lgkmcnt(1)
	v_fma_f64 v[170:171], -v[158:159], v[8:9], v[170:171]
	ds_read2_b64 v[4:7], v25 offset0:50 offset1:51
	s_waitcnt vmcnt(8)
	v_fma_f64 v[116:117], -v[158:159], v[10:11], v[116:117]
	ds_read2_b64 v[8:11], v25 offset0:52 offset1:53
	s_waitcnt vmcnt(7) lgkmcnt(2)
	v_fma_f64 v[168:169], -v[158:159], v[0:1], v[168:169]
	s_waitcnt vmcnt(6)
	v_fma_f64 v[114:115], -v[158:159], v[2:3], v[114:115]
	s_waitcnt vmcnt(5) lgkmcnt(1)
	v_fma_f64 v[166:167], -v[158:159], v[4:5], v[166:167]
	s_waitcnt vmcnt(4)
	v_fma_f64 v[112:113], -v[158:159], v[6:7], v[112:113]
	;; [unrolled: 4-line block ×3, first 2 shown]
.LBB107_31:
	s_or_b64 exec, exec, s[2:3]
	v_cmp_eq_u32_e32 vcc, 6, v26
	s_waitcnt lgkmcnt(0)
	s_barrier
	s_and_saveexec_b64 s[2:3], vcc
	s_cbranch_execz .LBB107_34
; %bb.32:
	s_waitcnt vmcnt(49)
	ds_write_b64 v24, v[210:211]
	s_waitcnt vmcnt(47)
	ds_write2_b64 v25, v[156:157], v[208:209] offset0:7 offset1:8
	s_waitcnt vmcnt(45)
	ds_write2_b64 v25, v[154:155], v[206:207] offset0:9 offset1:10
	;; [unrolled: 2-line block ×23, first 2 shown]
	s_waitcnt vmcnt(0)
	ds_write_b64 v25, v[216:217] offset:424
	ds_read_b64 v[0:1], v24
	s_waitcnt lgkmcnt(0)
	v_cmp_neq_f64_e32 vcc, 0, v[0:1]
	s_and_b64 exec, exec, vcc
	s_cbranch_execz .LBB107_34
; %bb.33:
	v_div_scale_f64 v[2:3], s[6:7], v[0:1], v[0:1], 1.0
	v_rcp_f64_e32 v[4:5], v[2:3]
	v_div_scale_f64 v[6:7], vcc, 1.0, v[0:1], 1.0
	v_fma_f64 v[8:9], -v[2:3], v[4:5], 1.0
	v_fmac_f64_e32 v[4:5], v[4:5], v[8:9]
	v_fma_f64 v[8:9], -v[2:3], v[4:5], 1.0
	v_fmac_f64_e32 v[4:5], v[4:5], v[8:9]
	v_mul_f64 v[8:9], v[6:7], v[4:5]
	v_fma_f64 v[2:3], -v[2:3], v[8:9], v[6:7]
	v_div_fmas_f64 v[2:3], v[2:3], v[4:5], v[8:9]
	v_div_fixup_f64 v[0:1], v[2:3], v[0:1], 1.0
	ds_write_b64 v24, v[0:1]
.LBB107_34:
	s_or_b64 exec, exec, s[2:3]
	s_waitcnt lgkmcnt(0)
	s_barrier
	ds_read_b64 v[0:1], v24
	v_cmp_lt_u32_e32 vcc, 6, v26
	s_waitcnt lgkmcnt(0)
	buffer_store_dword v0, off, s[16:19], 0 offset:24 ; 4-byte Folded Spill
	s_nop 0
	buffer_store_dword v1, off, s[16:19], 0 offset:28 ; 4-byte Folded Spill
	s_and_saveexec_b64 s[2:3], vcc
	s_cbranch_execz .LBB107_36
; %bb.35:
	ds_read2_b64 v[0:3], v25 offset0:7 offset1:8
	ds_read2_b64 v[4:7], v25 offset0:9 offset1:10
	buffer_load_dword v8, off, s[16:19], 0 offset:24 ; 4-byte Folded Reload
	buffer_load_dword v9, off, s[16:19], 0 offset:28 ; 4-byte Folded Reload
	s_waitcnt vmcnt(0)
	v_mul_f64 v[210:211], v[8:9], v[210:211]
	ds_read2_b64 v[8:11], v25 offset0:11 offset1:12
	s_waitcnt lgkmcnt(2)
	v_fma_f64 v[156:157], -v[210:211], v[0:1], v[156:157]
	v_fma_f64 v[208:209], -v[210:211], v[2:3], v[208:209]
	ds_read2_b64 v[0:3], v25 offset0:13 offset1:14
	s_waitcnt lgkmcnt(2)
	v_fma_f64 v[154:155], -v[210:211], v[4:5], v[154:155]
	v_fma_f64 v[206:207], -v[210:211], v[6:7], v[206:207]
	s_waitcnt lgkmcnt(1)
	v_fma_f64 v[152:153], -v[210:211], v[8:9], v[152:153]
	ds_read2_b64 v[4:7], v25 offset0:15 offset1:16
	v_fma_f64 v[204:205], -v[210:211], v[10:11], v[204:205]
	ds_read2_b64 v[8:11], v25 offset0:17 offset1:18
	s_waitcnt lgkmcnt(2)
	v_fma_f64 v[150:151], -v[210:211], v[0:1], v[150:151]
	v_fma_f64 v[202:203], -v[210:211], v[2:3], v[202:203]
	s_waitcnt lgkmcnt(1)
	v_fma_f64 v[148:149], -v[210:211], v[4:5], v[148:149]
	ds_read2_b64 v[0:3], v25 offset0:19 offset1:20
	v_fma_f64 v[200:201], -v[210:211], v[6:7], v[200:201]
	ds_read2_b64 v[4:7], v25 offset0:21 offset1:22
	s_waitcnt lgkmcnt(2)
	v_fma_f64 v[146:147], -v[210:211], v[8:9], v[146:147]
	v_fma_f64 v[198:199], -v[210:211], v[10:11], v[198:199]
	ds_read2_b64 v[8:11], v25 offset0:23 offset1:24
	s_waitcnt lgkmcnt(2)
	v_fma_f64 v[144:145], -v[210:211], v[0:1], v[144:145]
	v_fma_f64 v[196:197], -v[210:211], v[2:3], v[196:197]
	ds_read2_b64 v[0:3], v25 offset0:25 offset1:26
	s_waitcnt lgkmcnt(2)
	v_fma_f64 v[142:143], -v[210:211], v[4:5], v[142:143]
	v_fma_f64 v[194:195], -v[210:211], v[6:7], v[194:195]
	s_waitcnt lgkmcnt(1)
	v_fma_f64 v[140:141], -v[210:211], v[8:9], v[140:141]
	ds_read2_b64 v[4:7], v25 offset0:27 offset1:28
	v_fma_f64 v[192:193], -v[210:211], v[10:11], v[192:193]
	ds_read2_b64 v[8:11], v25 offset0:29 offset1:30
	s_waitcnt lgkmcnt(2)
	v_fma_f64 v[138:139], -v[210:211], v[0:1], v[138:139]
	v_fma_f64 v[190:191], -v[210:211], v[2:3], v[190:191]
	s_waitcnt lgkmcnt(1)
	v_fma_f64 v[136:137], -v[210:211], v[4:5], v[136:137]
	ds_read2_b64 v[0:3], v25 offset0:31 offset1:32
	v_fma_f64 v[188:189], -v[210:211], v[6:7], v[188:189]
	ds_read2_b64 v[4:7], v25 offset0:33 offset1:34
	s_waitcnt lgkmcnt(2)
	v_fma_f64 v[134:135], -v[210:211], v[8:9], v[134:135]
	v_fma_f64 v[186:187], -v[210:211], v[10:11], v[186:187]
	;; [unrolled: 24-line block ×3, first 2 shown]
	ds_read2_b64 v[8:11], v25 offset0:47 offset1:48
	s_waitcnt lgkmcnt(2)
	v_fma_f64 v[120:121], -v[210:211], v[0:1], v[120:121]
	v_fma_f64 v[172:173], -v[210:211], v[2:3], v[172:173]
	ds_read2_b64 v[0:3], v25 offset0:49 offset1:50
	s_waitcnt lgkmcnt(2)
	v_fma_f64 v[118:119], -v[210:211], v[4:5], v[118:119]
	v_fma_f64 v[170:171], -v[210:211], v[6:7], v[170:171]
	s_waitcnt lgkmcnt(1)
	v_fma_f64 v[116:117], -v[210:211], v[8:9], v[116:117]
	ds_read2_b64 v[4:7], v25 offset0:51 offset1:52
	ds_read_b64 v[8:9], v25 offset:424
	v_fma_f64 v[168:169], -v[210:211], v[10:11], v[168:169]
	s_waitcnt lgkmcnt(2)
	v_fma_f64 v[114:115], -v[210:211], v[0:1], v[114:115]
	v_fma_f64 v[166:167], -v[210:211], v[2:3], v[166:167]
	s_waitcnt lgkmcnt(1)
	v_fma_f64 v[112:113], -v[210:211], v[4:5], v[112:113]
	;; [unrolled: 3-line block ×3, first 2 shown]
.LBB107_36:
	s_or_b64 exec, exec, s[2:3]
	v_cmp_eq_u32_e32 vcc, 7, v26
	s_barrier
	s_and_saveexec_b64 s[2:3], vcc
	s_cbranch_execz .LBB107_39
; %bb.37:
	s_waitcnt vmcnt(49)
	v_mov_b32_e32 v0, v208
	v_mov_b32_e32 v1, v209
	s_waitcnt vmcnt(48)
	v_mov_b32_e32 v2, v154
	v_mov_b32_e32 v3, v155
	ds_write_b64 v24, v[156:157]
	ds_write2_b64 v25, v[0:1], v[2:3] offset0:8 offset1:9
	s_waitcnt vmcnt(47)
	v_mov_b32_e32 v0, v206
	v_mov_b32_e32 v1, v207
	s_waitcnt vmcnt(46)
	v_mov_b32_e32 v2, v152
	v_mov_b32_e32 v3, v153
	ds_write2_b64 v25, v[0:1], v[2:3] offset0:10 offset1:11
	s_waitcnt vmcnt(45)
	v_mov_b32_e32 v0, v204
	v_mov_b32_e32 v1, v205
	s_waitcnt vmcnt(44)
	v_mov_b32_e32 v2, v150
	v_mov_b32_e32 v3, v151
	;; [unrolled: 7-line block ×21, first 2 shown]
	ds_write2_b64 v25, v[0:1], v[2:3] offset0:50 offset1:51
	s_waitcnt vmcnt(5)
	v_mov_b32_e32 v0, v164
	v_mov_b32_e32 v1, v165
	s_waitcnt vmcnt(2)
	ds_write2_b64 v25, v[0:1], v[216:217] offset0:52 offset1:53
	ds_read_b64 v[0:1], v24
	s_waitcnt lgkmcnt(0)
	v_cmp_neq_f64_e32 vcc, 0, v[0:1]
	s_and_b64 exec, exec, vcc
	s_cbranch_execz .LBB107_39
; %bb.38:
	v_div_scale_f64 v[2:3], s[6:7], v[0:1], v[0:1], 1.0
	v_rcp_f64_e32 v[4:5], v[2:3]
	v_div_scale_f64 v[6:7], vcc, 1.0, v[0:1], 1.0
	v_fma_f64 v[8:9], -v[2:3], v[4:5], 1.0
	v_fmac_f64_e32 v[4:5], v[4:5], v[8:9]
	v_fma_f64 v[8:9], -v[2:3], v[4:5], 1.0
	v_fmac_f64_e32 v[4:5], v[4:5], v[8:9]
	v_mul_f64 v[8:9], v[6:7], v[4:5]
	v_fma_f64 v[2:3], -v[2:3], v[8:9], v[6:7]
	v_div_fmas_f64 v[2:3], v[2:3], v[4:5], v[8:9]
	v_div_fixup_f64 v[0:1], v[2:3], v[0:1], 1.0
	ds_write_b64 v24, v[0:1]
.LBB107_39:
	s_or_b64 exec, exec, s[2:3]
	s_waitcnt lgkmcnt(0)
	s_barrier
	ds_read_b64 v[0:1], v24
	v_cmp_lt_u32_e32 vcc, 7, v26
	s_waitcnt lgkmcnt(0)
	buffer_store_dword v0, off, s[16:19], 0 offset:32 ; 4-byte Folded Spill
	s_nop 0
	buffer_store_dword v1, off, s[16:19], 0 offset:36 ; 4-byte Folded Spill
	s_and_saveexec_b64 s[2:3], vcc
	s_cbranch_execz .LBB107_41
; %bb.40:
	ds_read2_b64 v[0:3], v25 offset0:8 offset1:9
	ds_read2_b64 v[4:7], v25 offset0:10 offset1:11
	buffer_load_dword v8, off, s[16:19], 0 offset:32 ; 4-byte Folded Reload
	buffer_load_dword v9, off, s[16:19], 0 offset:36 ; 4-byte Folded Reload
	s_waitcnt vmcnt(0)
	v_mul_f64 v[156:157], v[8:9], v[156:157]
	s_waitcnt lgkmcnt(1)
	v_fma_f64 v[208:209], -v[156:157], v[0:1], v[208:209]
	ds_read2_b64 v[8:11], v25 offset0:12 offset1:13
	v_fma_f64 v[154:155], -v[156:157], v[2:3], v[154:155]
	ds_read2_b64 v[0:3], v25 offset0:14 offset1:15
	s_waitcnt lgkmcnt(2)
	v_fma_f64 v[206:207], -v[156:157], v[4:5], v[206:207]
	v_fma_f64 v[152:153], -v[156:157], v[6:7], v[152:153]
	ds_read2_b64 v[4:7], v25 offset0:16 offset1:17
	s_waitcnt lgkmcnt(2)
	v_fma_f64 v[204:205], -v[156:157], v[8:9], v[204:205]
	v_fma_f64 v[150:151], -v[156:157], v[10:11], v[150:151]
	ds_read2_b64 v[8:11], v25 offset0:18 offset1:19
	s_waitcnt lgkmcnt(2)
	v_fma_f64 v[202:203], -v[156:157], v[0:1], v[202:203]
	v_fma_f64 v[148:149], -v[156:157], v[2:3], v[148:149]
	s_waitcnt lgkmcnt(1)
	v_fma_f64 v[200:201], -v[156:157], v[4:5], v[200:201]
	ds_read2_b64 v[0:3], v25 offset0:20 offset1:21
	v_fma_f64 v[146:147], -v[156:157], v[6:7], v[146:147]
	ds_read2_b64 v[4:7], v25 offset0:22 offset1:23
	s_waitcnt lgkmcnt(2)
	v_fma_f64 v[198:199], -v[156:157], v[8:9], v[198:199]
	v_fma_f64 v[144:145], -v[156:157], v[10:11], v[144:145]
	s_waitcnt lgkmcnt(1)
	v_fma_f64 v[196:197], -v[156:157], v[0:1], v[196:197]
	ds_read2_b64 v[8:11], v25 offset0:24 offset1:25
	v_fma_f64 v[142:143], -v[156:157], v[2:3], v[142:143]
	ds_read2_b64 v[0:3], v25 offset0:26 offset1:27
	s_waitcnt lgkmcnt(2)
	v_fma_f64 v[194:195], -v[156:157], v[4:5], v[194:195]
	v_fma_f64 v[140:141], -v[156:157], v[6:7], v[140:141]
	ds_read2_b64 v[4:7], v25 offset0:28 offset1:29
	s_waitcnt lgkmcnt(2)
	v_fma_f64 v[192:193], -v[156:157], v[8:9], v[192:193]
	v_fma_f64 v[138:139], -v[156:157], v[10:11], v[138:139]
	ds_read2_b64 v[8:11], v25 offset0:30 offset1:31
	s_waitcnt lgkmcnt(2)
	v_fma_f64 v[190:191], -v[156:157], v[0:1], v[190:191]
	v_fma_f64 v[136:137], -v[156:157], v[2:3], v[136:137]
	s_waitcnt lgkmcnt(1)
	v_fma_f64 v[188:189], -v[156:157], v[4:5], v[188:189]
	ds_read2_b64 v[0:3], v25 offset0:32 offset1:33
	v_fma_f64 v[134:135], -v[156:157], v[6:7], v[134:135]
	ds_read2_b64 v[4:7], v25 offset0:34 offset1:35
	s_waitcnt lgkmcnt(2)
	v_fma_f64 v[186:187], -v[156:157], v[8:9], v[186:187]
	v_fma_f64 v[132:133], -v[156:157], v[10:11], v[132:133]
	;; [unrolled: 24-line block ×3, first 2 shown]
	s_waitcnt lgkmcnt(1)
	v_fma_f64 v[172:173], -v[156:157], v[0:1], v[172:173]
	v_fma_f64 v[118:119], -v[156:157], v[2:3], v[118:119]
	ds_read2_b64 v[0:3], v25 offset0:48 offset1:49
	ds_read2_b64 v[8:11], v25 offset0:50 offset1:51
	s_waitcnt lgkmcnt(2)
	v_fma_f64 v[170:171], -v[156:157], v[4:5], v[170:171]
	v_fma_f64 v[116:117], -v[156:157], v[6:7], v[116:117]
	ds_read2_b64 v[4:7], v25 offset0:52 offset1:53
	s_waitcnt lgkmcnt(2)
	v_fma_f64 v[168:169], -v[156:157], v[0:1], v[168:169]
	v_fma_f64 v[114:115], -v[156:157], v[2:3], v[114:115]
	s_waitcnt lgkmcnt(1)
	v_fma_f64 v[166:167], -v[156:157], v[8:9], v[166:167]
	v_fma_f64 v[112:113], -v[156:157], v[10:11], v[112:113]
	;; [unrolled: 3-line block ×3, first 2 shown]
.LBB107_41:
	s_or_b64 exec, exec, s[2:3]
	v_cmp_eq_u32_e32 vcc, 8, v26
	s_waitcnt vmcnt(63) expcnt(7) lgkmcnt(15)
	s_barrier
	s_and_saveexec_b64 s[2:3], vcc
	s_cbranch_execz .LBB107_44
; %bb.42:
	s_waitcnt vmcnt(51)
	ds_write_b64 v24, v[208:209]
	s_waitcnt vmcnt(49)
	ds_write2_b64 v25, v[154:155], v[206:207] offset0:9 offset1:10
	s_waitcnt vmcnt(47)
	ds_write2_b64 v25, v[152:153], v[204:205] offset0:11 offset1:12
	;; [unrolled: 2-line block ×22, first 2 shown]
	s_waitcnt vmcnt(4)
	ds_write_b64 v25, v[216:217] offset:424
	ds_read_b64 v[0:1], v24
	s_waitcnt lgkmcnt(0)
	v_cmp_neq_f64_e32 vcc, 0, v[0:1]
	s_and_b64 exec, exec, vcc
	s_cbranch_execz .LBB107_44
; %bb.43:
	v_div_scale_f64 v[2:3], s[6:7], v[0:1], v[0:1], 1.0
	v_rcp_f64_e32 v[4:5], v[2:3]
	v_div_scale_f64 v[6:7], vcc, 1.0, v[0:1], 1.0
	v_fma_f64 v[8:9], -v[2:3], v[4:5], 1.0
	v_fmac_f64_e32 v[4:5], v[4:5], v[8:9]
	v_fma_f64 v[8:9], -v[2:3], v[4:5], 1.0
	v_fmac_f64_e32 v[4:5], v[4:5], v[8:9]
	v_mul_f64 v[8:9], v[6:7], v[4:5]
	v_fma_f64 v[2:3], -v[2:3], v[8:9], v[6:7]
	v_div_fmas_f64 v[2:3], v[2:3], v[4:5], v[8:9]
	v_div_fixup_f64 v[0:1], v[2:3], v[0:1], 1.0
	ds_write_b64 v24, v[0:1]
.LBB107_44:
	s_or_b64 exec, exec, s[2:3]
	s_waitcnt lgkmcnt(0)
	s_barrier
	ds_read_b64 v[0:1], v24
	v_cmp_lt_u32_e32 vcc, 8, v26
	s_waitcnt lgkmcnt(0)
	buffer_store_dword v0, off, s[16:19], 0 offset:40 ; 4-byte Folded Spill
	s_nop 0
	buffer_store_dword v1, off, s[16:19], 0 offset:44 ; 4-byte Folded Spill
	s_and_saveexec_b64 s[2:3], vcc
	s_cbranch_execz .LBB107_46
; %bb.45:
	ds_read2_b64 v[0:3], v25 offset0:9 offset1:10
	ds_read2_b64 v[4:7], v25 offset0:11 offset1:12
	buffer_load_dword v8, off, s[16:19], 0 offset:40 ; 4-byte Folded Reload
	buffer_load_dword v9, off, s[16:19], 0 offset:44 ; 4-byte Folded Reload
	s_waitcnt vmcnt(0)
	v_mul_f64 v[208:209], v[8:9], v[208:209]
	s_waitcnt lgkmcnt(1)
	v_fma_f64 v[154:155], -v[208:209], v[0:1], v[154:155]
	ds_read2_b64 v[8:11], v25 offset0:13 offset1:14
	v_fma_f64 v[206:207], -v[208:209], v[2:3], v[206:207]
	ds_read2_b64 v[0:3], v25 offset0:15 offset1:16
	s_waitcnt lgkmcnt(2)
	v_fma_f64 v[152:153], -v[208:209], v[4:5], v[152:153]
	v_fma_f64 v[204:205], -v[208:209], v[6:7], v[204:205]
	ds_read2_b64 v[4:7], v25 offset0:17 offset1:18
	s_waitcnt lgkmcnt(2)
	v_fma_f64 v[150:151], -v[208:209], v[8:9], v[150:151]
	v_fma_f64 v[202:203], -v[208:209], v[10:11], v[202:203]
	ds_read2_b64 v[8:11], v25 offset0:19 offset1:20
	s_waitcnt lgkmcnt(2)
	v_fma_f64 v[148:149], -v[208:209], v[0:1], v[148:149]
	v_fma_f64 v[200:201], -v[208:209], v[2:3], v[200:201]
	s_waitcnt lgkmcnt(1)
	v_fma_f64 v[146:147], -v[208:209], v[4:5], v[146:147]
	ds_read2_b64 v[0:3], v25 offset0:21 offset1:22
	v_fma_f64 v[198:199], -v[208:209], v[6:7], v[198:199]
	ds_read2_b64 v[4:7], v25 offset0:23 offset1:24
	s_waitcnt lgkmcnt(2)
	v_fma_f64 v[144:145], -v[208:209], v[8:9], v[144:145]
	v_fma_f64 v[196:197], -v[208:209], v[10:11], v[196:197]
	s_waitcnt lgkmcnt(1)
	v_fma_f64 v[142:143], -v[208:209], v[0:1], v[142:143]
	ds_read2_b64 v[8:11], v25 offset0:25 offset1:26
	v_fma_f64 v[194:195], -v[208:209], v[2:3], v[194:195]
	ds_read2_b64 v[0:3], v25 offset0:27 offset1:28
	s_waitcnt lgkmcnt(2)
	v_fma_f64 v[140:141], -v[208:209], v[4:5], v[140:141]
	v_fma_f64 v[192:193], -v[208:209], v[6:7], v[192:193]
	ds_read2_b64 v[4:7], v25 offset0:29 offset1:30
	s_waitcnt lgkmcnt(2)
	v_fma_f64 v[138:139], -v[208:209], v[8:9], v[138:139]
	v_fma_f64 v[190:191], -v[208:209], v[10:11], v[190:191]
	ds_read2_b64 v[8:11], v25 offset0:31 offset1:32
	s_waitcnt lgkmcnt(2)
	v_fma_f64 v[136:137], -v[208:209], v[0:1], v[136:137]
	v_fma_f64 v[188:189], -v[208:209], v[2:3], v[188:189]
	s_waitcnt lgkmcnt(1)
	v_fma_f64 v[134:135], -v[208:209], v[4:5], v[134:135]
	ds_read2_b64 v[0:3], v25 offset0:33 offset1:34
	v_fma_f64 v[186:187], -v[208:209], v[6:7], v[186:187]
	ds_read2_b64 v[4:7], v25 offset0:35 offset1:36
	s_waitcnt lgkmcnt(2)
	v_fma_f64 v[132:133], -v[208:209], v[8:9], v[132:133]
	v_fma_f64 v[184:185], -v[208:209], v[10:11], v[184:185]
	;; [unrolled: 24-line block ×3, first 2 shown]
	s_waitcnt lgkmcnt(1)
	v_fma_f64 v[118:119], -v[208:209], v[0:1], v[118:119]
	v_fma_f64 v[170:171], -v[208:209], v[2:3], v[170:171]
	ds_read2_b64 v[0:3], v25 offset0:49 offset1:50
	ds_read2_b64 v[8:11], v25 offset0:51 offset1:52
	s_waitcnt lgkmcnt(2)
	v_fma_f64 v[116:117], -v[208:209], v[4:5], v[116:117]
	ds_read_b64 v[4:5], v25 offset:424
	v_fma_f64 v[168:169], -v[208:209], v[6:7], v[168:169]
	s_waitcnt lgkmcnt(2)
	v_fma_f64 v[114:115], -v[208:209], v[0:1], v[114:115]
	v_fma_f64 v[166:167], -v[208:209], v[2:3], v[166:167]
	s_waitcnt lgkmcnt(1)
	v_fma_f64 v[112:113], -v[208:209], v[8:9], v[112:113]
	v_fma_f64 v[164:165], -v[208:209], v[10:11], v[164:165]
	s_waitcnt lgkmcnt(0)
	v_fma_f64 v[216:217], -v[208:209], v[4:5], v[216:217]
.LBB107_46:
	s_or_b64 exec, exec, s[2:3]
	v_cmp_eq_u32_e32 vcc, 9, v26
	s_waitcnt vmcnt(63) expcnt(7) lgkmcnt(15)
	s_barrier
	s_and_saveexec_b64 s[2:3], vcc
	s_cbranch_execz .LBB107_49
; %bb.47:
	s_waitcnt vmcnt(51)
	v_mov_b32_e32 v0, v206
	v_mov_b32_e32 v1, v207
	s_waitcnt vmcnt(50)
	v_mov_b32_e32 v2, v152
	v_mov_b32_e32 v3, v153
	ds_write_b64 v24, v[154:155]
	ds_write2_b64 v25, v[0:1], v[2:3] offset0:10 offset1:11
	s_waitcnt vmcnt(49)
	v_mov_b32_e32 v0, v204
	v_mov_b32_e32 v1, v205
	s_waitcnt vmcnt(48)
	v_mov_b32_e32 v2, v150
	v_mov_b32_e32 v3, v151
	ds_write2_b64 v25, v[0:1], v[2:3] offset0:12 offset1:13
	s_waitcnt vmcnt(47)
	v_mov_b32_e32 v0, v202
	v_mov_b32_e32 v1, v203
	s_waitcnt vmcnt(46)
	v_mov_b32_e32 v2, v148
	v_mov_b32_e32 v3, v149
	;; [unrolled: 7-line block ×20, first 2 shown]
	ds_write2_b64 v25, v[0:1], v[2:3] offset0:50 offset1:51
	s_waitcnt vmcnt(9)
	v_mov_b32_e32 v0, v164
	v_mov_b32_e32 v1, v165
	s_waitcnt vmcnt(6)
	ds_write2_b64 v25, v[0:1], v[216:217] offset0:52 offset1:53
	ds_read_b64 v[0:1], v24
	s_waitcnt lgkmcnt(0)
	v_cmp_neq_f64_e32 vcc, 0, v[0:1]
	s_and_b64 exec, exec, vcc
	s_cbranch_execz .LBB107_49
; %bb.48:
	v_div_scale_f64 v[2:3], s[6:7], v[0:1], v[0:1], 1.0
	v_rcp_f64_e32 v[4:5], v[2:3]
	v_div_scale_f64 v[6:7], vcc, 1.0, v[0:1], 1.0
	v_fma_f64 v[8:9], -v[2:3], v[4:5], 1.0
	v_fmac_f64_e32 v[4:5], v[4:5], v[8:9]
	v_fma_f64 v[8:9], -v[2:3], v[4:5], 1.0
	v_fmac_f64_e32 v[4:5], v[4:5], v[8:9]
	v_mul_f64 v[8:9], v[6:7], v[4:5]
	v_fma_f64 v[2:3], -v[2:3], v[8:9], v[6:7]
	v_div_fmas_f64 v[2:3], v[2:3], v[4:5], v[8:9]
	v_div_fixup_f64 v[0:1], v[2:3], v[0:1], 1.0
	ds_write_b64 v24, v[0:1]
.LBB107_49:
	s_or_b64 exec, exec, s[2:3]
	s_waitcnt lgkmcnt(0)
	s_barrier
	ds_read_b64 v[0:1], v24
	v_cmp_lt_u32_e32 vcc, 9, v26
	s_waitcnt lgkmcnt(0)
	buffer_store_dword v0, off, s[16:19], 0 offset:48 ; 4-byte Folded Spill
	s_nop 0
	buffer_store_dword v1, off, s[16:19], 0 offset:52 ; 4-byte Folded Spill
	s_and_saveexec_b64 s[2:3], vcc
	s_cbranch_execz .LBB107_51
; %bb.50:
	ds_read2_b64 v[0:3], v25 offset0:10 offset1:11
	ds_read2_b64 v[4:7], v25 offset0:12 offset1:13
	buffer_load_dword v8, off, s[16:19], 0 offset:48 ; 4-byte Folded Reload
	buffer_load_dword v9, off, s[16:19], 0 offset:52 ; 4-byte Folded Reload
	s_waitcnt vmcnt(0)
	v_mul_f64 v[154:155], v[8:9], v[154:155]
	s_waitcnt lgkmcnt(1)
	v_fma_f64 v[206:207], -v[154:155], v[0:1], v[206:207]
	ds_read2_b64 v[8:11], v25 offset0:14 offset1:15
	v_fma_f64 v[152:153], -v[154:155], v[2:3], v[152:153]
	ds_read2_b64 v[0:3], v25 offset0:16 offset1:17
	s_waitcnt lgkmcnt(2)
	v_fma_f64 v[204:205], -v[154:155], v[4:5], v[204:205]
	v_fma_f64 v[150:151], -v[154:155], v[6:7], v[150:151]
	s_waitcnt lgkmcnt(1)
	v_fma_f64 v[202:203], -v[154:155], v[8:9], v[202:203]
	ds_read2_b64 v[4:7], v25 offset0:18 offset1:19
	v_fma_f64 v[148:149], -v[154:155], v[10:11], v[148:149]
	ds_read2_b64 v[8:11], v25 offset0:20 offset1:21
	s_waitcnt lgkmcnt(2)
	v_fma_f64 v[200:201], -v[154:155], v[0:1], v[200:201]
	v_fma_f64 v[146:147], -v[154:155], v[2:3], v[146:147]
	ds_read2_b64 v[0:3], v25 offset0:22 offset1:23
	s_waitcnt lgkmcnt(2)
	v_fma_f64 v[198:199], -v[154:155], v[4:5], v[198:199]
	v_fma_f64 v[144:145], -v[154:155], v[6:7], v[144:145]
	ds_read2_b64 v[4:7], v25 offset0:24 offset1:25
	s_waitcnt lgkmcnt(2)
	v_fma_f64 v[196:197], -v[154:155], v[8:9], v[196:197]
	v_fma_f64 v[142:143], -v[154:155], v[10:11], v[142:143]
	s_waitcnt lgkmcnt(1)
	v_fma_f64 v[194:195], -v[154:155], v[0:1], v[194:195]
	ds_read2_b64 v[8:11], v25 offset0:26 offset1:27
	v_fma_f64 v[140:141], -v[154:155], v[2:3], v[140:141]
	ds_read2_b64 v[0:3], v25 offset0:28 offset1:29
	s_waitcnt lgkmcnt(2)
	v_fma_f64 v[192:193], -v[154:155], v[4:5], v[192:193]
	v_fma_f64 v[138:139], -v[154:155], v[6:7], v[138:139]
	s_waitcnt lgkmcnt(1)
	v_fma_f64 v[190:191], -v[154:155], v[8:9], v[190:191]
	ds_read2_b64 v[4:7], v25 offset0:30 offset1:31
	v_fma_f64 v[136:137], -v[154:155], v[10:11], v[136:137]
	ds_read2_b64 v[8:11], v25 offset0:32 offset1:33
	s_waitcnt lgkmcnt(2)
	v_fma_f64 v[188:189], -v[154:155], v[0:1], v[188:189]
	v_fma_f64 v[134:135], -v[154:155], v[2:3], v[134:135]
	ds_read2_b64 v[0:3], v25 offset0:34 offset1:35
	s_waitcnt lgkmcnt(2)
	v_fma_f64 v[186:187], -v[154:155], v[4:5], v[186:187]
	v_fma_f64 v[132:133], -v[154:155], v[6:7], v[132:133]
	ds_read2_b64 v[4:7], v25 offset0:36 offset1:37
	s_waitcnt lgkmcnt(2)
	v_fma_f64 v[184:185], -v[154:155], v[8:9], v[184:185]
	v_fma_f64 v[130:131], -v[154:155], v[10:11], v[130:131]
	;; [unrolled: 24-line block ×3, first 2 shown]
	s_waitcnt lgkmcnt(1)
	v_fma_f64 v[170:171], -v[154:155], v[0:1], v[170:171]
	ds_read2_b64 v[8:11], v25 offset0:50 offset1:51
	v_fma_f64 v[116:117], -v[154:155], v[2:3], v[116:117]
	ds_read2_b64 v[0:3], v25 offset0:52 offset1:53
	s_waitcnt lgkmcnt(2)
	v_fma_f64 v[168:169], -v[154:155], v[4:5], v[168:169]
	v_fma_f64 v[114:115], -v[154:155], v[6:7], v[114:115]
	s_waitcnt lgkmcnt(1)
	v_fma_f64 v[166:167], -v[154:155], v[8:9], v[166:167]
	v_fma_f64 v[112:113], -v[154:155], v[10:11], v[112:113]
	;; [unrolled: 3-line block ×3, first 2 shown]
.LBB107_51:
	s_or_b64 exec, exec, s[2:3]
	v_cmp_eq_u32_e32 vcc, 10, v26
	s_waitcnt vmcnt(63) expcnt(7) lgkmcnt(15)
	s_barrier
	s_and_saveexec_b64 s[2:3], vcc
	s_cbranch_execz .LBB107_54
; %bb.52:
	s_waitcnt vmcnt(53)
	ds_write_b64 v24, v[206:207]
	s_waitcnt vmcnt(51)
	ds_write2_b64 v25, v[152:153], v[204:205] offset0:11 offset1:12
	s_waitcnt vmcnt(49)
	ds_write2_b64 v25, v[150:151], v[202:203] offset0:13 offset1:14
	;; [unrolled: 2-line block ×21, first 2 shown]
	s_waitcnt vmcnt(8)
	ds_write_b64 v25, v[216:217] offset:424
	ds_read_b64 v[0:1], v24
	s_waitcnt lgkmcnt(0)
	v_cmp_neq_f64_e32 vcc, 0, v[0:1]
	s_and_b64 exec, exec, vcc
	s_cbranch_execz .LBB107_54
; %bb.53:
	v_div_scale_f64 v[2:3], s[6:7], v[0:1], v[0:1], 1.0
	v_rcp_f64_e32 v[4:5], v[2:3]
	v_div_scale_f64 v[6:7], vcc, 1.0, v[0:1], 1.0
	v_fma_f64 v[8:9], -v[2:3], v[4:5], 1.0
	v_fmac_f64_e32 v[4:5], v[4:5], v[8:9]
	v_fma_f64 v[8:9], -v[2:3], v[4:5], 1.0
	v_fmac_f64_e32 v[4:5], v[4:5], v[8:9]
	v_mul_f64 v[8:9], v[6:7], v[4:5]
	v_fma_f64 v[2:3], -v[2:3], v[8:9], v[6:7]
	v_div_fmas_f64 v[2:3], v[2:3], v[4:5], v[8:9]
	v_div_fixup_f64 v[0:1], v[2:3], v[0:1], 1.0
	ds_write_b64 v24, v[0:1]
.LBB107_54:
	s_or_b64 exec, exec, s[2:3]
	s_waitcnt lgkmcnt(0)
	s_barrier
	ds_read_b64 v[0:1], v24
	v_cmp_lt_u32_e32 vcc, 10, v26
	s_waitcnt lgkmcnt(0)
	buffer_store_dword v0, off, s[16:19], 0 offset:56 ; 4-byte Folded Spill
	s_nop 0
	buffer_store_dword v1, off, s[16:19], 0 offset:60 ; 4-byte Folded Spill
	s_and_saveexec_b64 s[2:3], vcc
	s_cbranch_execz .LBB107_56
; %bb.55:
	ds_read2_b64 v[0:3], v25 offset0:11 offset1:12
	ds_read2_b64 v[4:7], v25 offset0:13 offset1:14
	buffer_load_dword v8, off, s[16:19], 0 offset:56 ; 4-byte Folded Reload
	buffer_load_dword v9, off, s[16:19], 0 offset:60 ; 4-byte Folded Reload
	s_waitcnt vmcnt(0)
	v_mul_f64 v[206:207], v[8:9], v[206:207]
	s_waitcnt lgkmcnt(1)
	v_fma_f64 v[152:153], -v[206:207], v[0:1], v[152:153]
	ds_read2_b64 v[8:11], v25 offset0:15 offset1:16
	v_fma_f64 v[204:205], -v[206:207], v[2:3], v[204:205]
	ds_read2_b64 v[0:3], v25 offset0:17 offset1:18
	s_waitcnt lgkmcnt(2)
	v_fma_f64 v[150:151], -v[206:207], v[4:5], v[150:151]
	v_fma_f64 v[202:203], -v[206:207], v[6:7], v[202:203]
	s_waitcnt lgkmcnt(1)
	v_fma_f64 v[148:149], -v[206:207], v[8:9], v[148:149]
	ds_read2_b64 v[4:7], v25 offset0:19 offset1:20
	v_fma_f64 v[200:201], -v[206:207], v[10:11], v[200:201]
	ds_read2_b64 v[8:11], v25 offset0:21 offset1:22
	s_waitcnt lgkmcnt(2)
	v_fma_f64 v[146:147], -v[206:207], v[0:1], v[146:147]
	v_fma_f64 v[198:199], -v[206:207], v[2:3], v[198:199]
	ds_read2_b64 v[0:3], v25 offset0:23 offset1:24
	s_waitcnt lgkmcnt(2)
	v_fma_f64 v[144:145], -v[206:207], v[4:5], v[144:145]
	v_fma_f64 v[196:197], -v[206:207], v[6:7], v[196:197]
	ds_read2_b64 v[4:7], v25 offset0:25 offset1:26
	s_waitcnt lgkmcnt(2)
	v_fma_f64 v[142:143], -v[206:207], v[8:9], v[142:143]
	v_fma_f64 v[194:195], -v[206:207], v[10:11], v[194:195]
	s_waitcnt lgkmcnt(1)
	v_fma_f64 v[140:141], -v[206:207], v[0:1], v[140:141]
	ds_read2_b64 v[8:11], v25 offset0:27 offset1:28
	v_fma_f64 v[192:193], -v[206:207], v[2:3], v[192:193]
	ds_read2_b64 v[0:3], v25 offset0:29 offset1:30
	s_waitcnt lgkmcnt(2)
	v_fma_f64 v[138:139], -v[206:207], v[4:5], v[138:139]
	v_fma_f64 v[190:191], -v[206:207], v[6:7], v[190:191]
	s_waitcnt lgkmcnt(1)
	v_fma_f64 v[136:137], -v[206:207], v[8:9], v[136:137]
	ds_read2_b64 v[4:7], v25 offset0:31 offset1:32
	v_fma_f64 v[188:189], -v[206:207], v[10:11], v[188:189]
	ds_read2_b64 v[8:11], v25 offset0:33 offset1:34
	s_waitcnt lgkmcnt(2)
	v_fma_f64 v[134:135], -v[206:207], v[0:1], v[134:135]
	v_fma_f64 v[186:187], -v[206:207], v[2:3], v[186:187]
	ds_read2_b64 v[0:3], v25 offset0:35 offset1:36
	s_waitcnt lgkmcnt(2)
	v_fma_f64 v[132:133], -v[206:207], v[4:5], v[132:133]
	v_fma_f64 v[184:185], -v[206:207], v[6:7], v[184:185]
	ds_read2_b64 v[4:7], v25 offset0:37 offset1:38
	s_waitcnt lgkmcnt(2)
	v_fma_f64 v[130:131], -v[206:207], v[8:9], v[130:131]
	v_fma_f64 v[182:183], -v[206:207], v[10:11], v[182:183]
	;; [unrolled: 24-line block ×3, first 2 shown]
	s_waitcnt lgkmcnt(1)
	v_fma_f64 v[116:117], -v[206:207], v[0:1], v[116:117]
	ds_read2_b64 v[8:11], v25 offset0:51 offset1:52
	ds_read_b64 v[0:1], v25 offset:424
	v_fma_f64 v[168:169], -v[206:207], v[2:3], v[168:169]
	s_waitcnt lgkmcnt(2)
	v_fma_f64 v[114:115], -v[206:207], v[4:5], v[114:115]
	v_fma_f64 v[166:167], -v[206:207], v[6:7], v[166:167]
	s_waitcnt lgkmcnt(1)
	v_fma_f64 v[112:113], -v[206:207], v[8:9], v[112:113]
	;; [unrolled: 3-line block ×3, first 2 shown]
.LBB107_56:
	s_or_b64 exec, exec, s[2:3]
	v_cmp_eq_u32_e32 vcc, 11, v26
	s_waitcnt vmcnt(63) expcnt(7) lgkmcnt(15)
	s_barrier
	s_and_saveexec_b64 s[2:3], vcc
	s_cbranch_execz .LBB107_59
; %bb.57:
	s_waitcnt vmcnt(53)
	v_mov_b32_e32 v0, v204
	v_mov_b32_e32 v1, v205
	s_waitcnt vmcnt(52)
	v_mov_b32_e32 v2, v150
	v_mov_b32_e32 v3, v151
	ds_write_b64 v24, v[152:153]
	ds_write2_b64 v25, v[0:1], v[2:3] offset0:12 offset1:13
	s_waitcnt vmcnt(51)
	v_mov_b32_e32 v0, v202
	v_mov_b32_e32 v1, v203
	s_waitcnt vmcnt(50)
	v_mov_b32_e32 v2, v148
	v_mov_b32_e32 v3, v149
	ds_write2_b64 v25, v[0:1], v[2:3] offset0:14 offset1:15
	s_waitcnt vmcnt(49)
	v_mov_b32_e32 v0, v200
	v_mov_b32_e32 v1, v201
	s_waitcnt vmcnt(48)
	v_mov_b32_e32 v2, v146
	v_mov_b32_e32 v3, v147
	;; [unrolled: 7-line block ×19, first 2 shown]
	ds_write2_b64 v25, v[0:1], v[2:3] offset0:50 offset1:51
	s_waitcnt vmcnt(13)
	v_mov_b32_e32 v0, v164
	v_mov_b32_e32 v1, v165
	s_waitcnt vmcnt(10)
	ds_write2_b64 v25, v[0:1], v[216:217] offset0:52 offset1:53
	ds_read_b64 v[0:1], v24
	s_waitcnt lgkmcnt(0)
	v_cmp_neq_f64_e32 vcc, 0, v[0:1]
	s_and_b64 exec, exec, vcc
	s_cbranch_execz .LBB107_59
; %bb.58:
	v_div_scale_f64 v[2:3], s[6:7], v[0:1], v[0:1], 1.0
	v_rcp_f64_e32 v[4:5], v[2:3]
	v_div_scale_f64 v[6:7], vcc, 1.0, v[0:1], 1.0
	v_fma_f64 v[8:9], -v[2:3], v[4:5], 1.0
	v_fmac_f64_e32 v[4:5], v[4:5], v[8:9]
	v_fma_f64 v[8:9], -v[2:3], v[4:5], 1.0
	v_fmac_f64_e32 v[4:5], v[4:5], v[8:9]
	v_mul_f64 v[8:9], v[6:7], v[4:5]
	v_fma_f64 v[2:3], -v[2:3], v[8:9], v[6:7]
	v_div_fmas_f64 v[2:3], v[2:3], v[4:5], v[8:9]
	v_div_fixup_f64 v[0:1], v[2:3], v[0:1], 1.0
	ds_write_b64 v24, v[0:1]
.LBB107_59:
	s_or_b64 exec, exec, s[2:3]
	s_waitcnt lgkmcnt(0)
	s_barrier
	ds_read_b64 v[0:1], v24
	v_cmp_lt_u32_e32 vcc, 11, v26
	s_waitcnt lgkmcnt(0)
	buffer_store_dword v0, off, s[16:19], 0 offset:64 ; 4-byte Folded Spill
	s_nop 0
	buffer_store_dword v1, off, s[16:19], 0 offset:68 ; 4-byte Folded Spill
	s_and_saveexec_b64 s[2:3], vcc
	s_cbranch_execz .LBB107_61
; %bb.60:
	buffer_load_dword v0, off, s[16:19], 0 offset:64 ; 4-byte Folded Reload
	buffer_load_dword v1, off, s[16:19], 0 offset:68 ; 4-byte Folded Reload
	s_waitcnt vmcnt(0)
	v_mul_f64 v[152:153], v[0:1], v[152:153]
	ds_read2_b64 v[0:3], v25 offset0:12 offset1:13
	s_waitcnt lgkmcnt(0)
	v_fma_f64 v[204:205], -v[152:153], v[0:1], v[204:205]
	v_fma_f64 v[150:151], -v[152:153], v[2:3], v[150:151]
	ds_read2_b64 v[0:3], v25 offset0:14 offset1:15
	s_waitcnt lgkmcnt(0)
	v_fma_f64 v[202:203], -v[152:153], v[0:1], v[202:203]
	v_fma_f64 v[148:149], -v[152:153], v[2:3], v[148:149]
	ds_read2_b64 v[0:3], v25 offset0:16 offset1:17
	s_waitcnt lgkmcnt(0)
	v_fma_f64 v[200:201], -v[152:153], v[0:1], v[200:201]
	v_fma_f64 v[146:147], -v[152:153], v[2:3], v[146:147]
	ds_read2_b64 v[0:3], v25 offset0:18 offset1:19
	s_waitcnt lgkmcnt(0)
	v_fma_f64 v[198:199], -v[152:153], v[0:1], v[198:199]
	v_fma_f64 v[144:145], -v[152:153], v[2:3], v[144:145]
	ds_read2_b64 v[0:3], v25 offset0:20 offset1:21
	s_waitcnt lgkmcnt(0)
	v_fma_f64 v[196:197], -v[152:153], v[0:1], v[196:197]
	v_fma_f64 v[142:143], -v[152:153], v[2:3], v[142:143]
	ds_read2_b64 v[0:3], v25 offset0:22 offset1:23
	s_waitcnt lgkmcnt(0)
	v_fma_f64 v[194:195], -v[152:153], v[0:1], v[194:195]
	v_fma_f64 v[140:141], -v[152:153], v[2:3], v[140:141]
	ds_read2_b64 v[0:3], v25 offset0:24 offset1:25
	s_waitcnt lgkmcnt(0)
	v_fma_f64 v[192:193], -v[152:153], v[0:1], v[192:193]
	v_fma_f64 v[138:139], -v[152:153], v[2:3], v[138:139]
	ds_read2_b64 v[0:3], v25 offset0:26 offset1:27
	s_waitcnt lgkmcnt(0)
	v_fma_f64 v[190:191], -v[152:153], v[0:1], v[190:191]
	v_fma_f64 v[136:137], -v[152:153], v[2:3], v[136:137]
	ds_read2_b64 v[0:3], v25 offset0:28 offset1:29
	s_waitcnt lgkmcnt(0)
	v_fma_f64 v[188:189], -v[152:153], v[0:1], v[188:189]
	v_fma_f64 v[134:135], -v[152:153], v[2:3], v[134:135]
	ds_read2_b64 v[0:3], v25 offset0:30 offset1:31
	s_waitcnt lgkmcnt(0)
	v_fma_f64 v[186:187], -v[152:153], v[0:1], v[186:187]
	v_fma_f64 v[132:133], -v[152:153], v[2:3], v[132:133]
	ds_read2_b64 v[0:3], v25 offset0:32 offset1:33
	s_waitcnt lgkmcnt(0)
	v_fma_f64 v[184:185], -v[152:153], v[0:1], v[184:185]
	v_fma_f64 v[130:131], -v[152:153], v[2:3], v[130:131]
	ds_read2_b64 v[0:3], v25 offset0:34 offset1:35
	s_waitcnt lgkmcnt(0)
	v_fma_f64 v[182:183], -v[152:153], v[0:1], v[182:183]
	v_fma_f64 v[128:129], -v[152:153], v[2:3], v[128:129]
	ds_read2_b64 v[0:3], v25 offset0:36 offset1:37
	s_waitcnt lgkmcnt(0)
	v_fma_f64 v[180:181], -v[152:153], v[0:1], v[180:181]
	v_fma_f64 v[126:127], -v[152:153], v[2:3], v[126:127]
	ds_read2_b64 v[0:3], v25 offset0:38 offset1:39
	s_waitcnt lgkmcnt(0)
	v_fma_f64 v[178:179], -v[152:153], v[0:1], v[178:179]
	v_fma_f64 v[124:125], -v[152:153], v[2:3], v[124:125]
	ds_read2_b64 v[0:3], v25 offset0:40 offset1:41
	s_waitcnt lgkmcnt(0)
	v_fma_f64 v[176:177], -v[152:153], v[0:1], v[176:177]
	v_fma_f64 v[122:123], -v[152:153], v[2:3], v[122:123]
	ds_read2_b64 v[0:3], v25 offset0:42 offset1:43
	s_waitcnt lgkmcnt(0)
	v_fma_f64 v[174:175], -v[152:153], v[0:1], v[174:175]
	v_fma_f64 v[120:121], -v[152:153], v[2:3], v[120:121]
	ds_read2_b64 v[0:3], v25 offset0:44 offset1:45
	s_waitcnt lgkmcnt(0)
	v_fma_f64 v[172:173], -v[152:153], v[0:1], v[172:173]
	v_fma_f64 v[118:119], -v[152:153], v[2:3], v[118:119]
	ds_read2_b64 v[0:3], v25 offset0:46 offset1:47
	s_waitcnt lgkmcnt(0)
	v_fma_f64 v[170:171], -v[152:153], v[0:1], v[170:171]
	v_fma_f64 v[116:117], -v[152:153], v[2:3], v[116:117]
	ds_read2_b64 v[0:3], v25 offset0:48 offset1:49
	s_waitcnt lgkmcnt(0)
	v_fma_f64 v[168:169], -v[152:153], v[0:1], v[168:169]
	v_fma_f64 v[114:115], -v[152:153], v[2:3], v[114:115]
	ds_read2_b64 v[0:3], v25 offset0:50 offset1:51
	s_waitcnt lgkmcnt(0)
	v_fma_f64 v[166:167], -v[152:153], v[0:1], v[166:167]
	v_fma_f64 v[112:113], -v[152:153], v[2:3], v[112:113]
	ds_read2_b64 v[0:3], v25 offset0:52 offset1:53
	s_waitcnt lgkmcnt(0)
	v_fma_f64 v[164:165], -v[152:153], v[0:1], v[164:165]
	v_fma_f64 v[216:217], -v[152:153], v[2:3], v[216:217]
.LBB107_61:
	s_or_b64 exec, exec, s[2:3]
	v_cmp_eq_u32_e32 vcc, 12, v26
	s_waitcnt vmcnt(63) expcnt(7) lgkmcnt(15)
	s_barrier
	s_and_saveexec_b64 s[2:3], vcc
	s_cbranch_execz .LBB107_64
; %bb.62:
	s_waitcnt vmcnt(55)
	ds_write_b64 v24, v[204:205]
	s_waitcnt vmcnt(53)
	ds_write2_b64 v25, v[150:151], v[202:203] offset0:13 offset1:14
	s_waitcnt vmcnt(51)
	ds_write2_b64 v25, v[148:149], v[200:201] offset0:15 offset1:16
	;; [unrolled: 2-line block ×20, first 2 shown]
	s_waitcnt vmcnt(12)
	ds_write_b64 v25, v[216:217] offset:424
	ds_read_b64 v[0:1], v24
	s_waitcnt lgkmcnt(0)
	v_cmp_neq_f64_e32 vcc, 0, v[0:1]
	s_and_b64 exec, exec, vcc
	s_cbranch_execz .LBB107_64
; %bb.63:
	v_div_scale_f64 v[2:3], s[6:7], v[0:1], v[0:1], 1.0
	v_rcp_f64_e32 v[4:5], v[2:3]
	v_div_scale_f64 v[6:7], vcc, 1.0, v[0:1], 1.0
	v_fma_f64 v[8:9], -v[2:3], v[4:5], 1.0
	v_fmac_f64_e32 v[4:5], v[4:5], v[8:9]
	v_fma_f64 v[8:9], -v[2:3], v[4:5], 1.0
	v_fmac_f64_e32 v[4:5], v[4:5], v[8:9]
	v_mul_f64 v[8:9], v[6:7], v[4:5]
	v_fma_f64 v[2:3], -v[2:3], v[8:9], v[6:7]
	v_div_fmas_f64 v[2:3], v[2:3], v[4:5], v[8:9]
	v_div_fixup_f64 v[0:1], v[2:3], v[0:1], 1.0
	ds_write_b64 v24, v[0:1]
.LBB107_64:
	s_or_b64 exec, exec, s[2:3]
	s_waitcnt lgkmcnt(0)
	s_barrier
	ds_read_b64 v[0:1], v24
	v_cmp_lt_u32_e32 vcc, 12, v26
	s_waitcnt lgkmcnt(0)
	buffer_store_dword v0, off, s[16:19], 0 offset:72 ; 4-byte Folded Spill
	s_nop 0
	buffer_store_dword v1, off, s[16:19], 0 offset:76 ; 4-byte Folded Spill
	s_and_saveexec_b64 s[2:3], vcc
	s_cbranch_execz .LBB107_66
; %bb.65:
	buffer_load_dword v0, off, s[16:19], 0 offset:72 ; 4-byte Folded Reload
	buffer_load_dword v1, off, s[16:19], 0 offset:76 ; 4-byte Folded Reload
	s_waitcnt vmcnt(0)
	v_mul_f64 v[204:205], v[0:1], v[204:205]
	ds_read2_b64 v[0:3], v25 offset0:13 offset1:14
	s_waitcnt lgkmcnt(0)
	v_fma_f64 v[150:151], -v[204:205], v[0:1], v[150:151]
	v_fma_f64 v[202:203], -v[204:205], v[2:3], v[202:203]
	ds_read2_b64 v[0:3], v25 offset0:15 offset1:16
	s_waitcnt lgkmcnt(0)
	v_fma_f64 v[148:149], -v[204:205], v[0:1], v[148:149]
	v_fma_f64 v[200:201], -v[204:205], v[2:3], v[200:201]
	;; [unrolled: 4-line block ×19, first 2 shown]
	ds_read2_b64 v[0:3], v25 offset0:51 offset1:52
	s_waitcnt lgkmcnt(0)
	v_fma_f64 v[112:113], -v[204:205], v[0:1], v[112:113]
	ds_read_b64 v[0:1], v25 offset:424
	v_fma_f64 v[164:165], -v[204:205], v[2:3], v[164:165]
	s_waitcnt lgkmcnt(0)
	v_fma_f64 v[216:217], -v[204:205], v[0:1], v[216:217]
.LBB107_66:
	s_or_b64 exec, exec, s[2:3]
	v_cmp_eq_u32_e32 vcc, 13, v26
	s_waitcnt vmcnt(63) expcnt(7) lgkmcnt(15)
	s_barrier
	s_and_saveexec_b64 s[2:3], vcc
	s_cbranch_execz .LBB107_69
; %bb.67:
	s_waitcnt vmcnt(55)
	v_mov_b32_e32 v0, v202
	v_mov_b32_e32 v1, v203
	s_waitcnt vmcnt(54)
	v_mov_b32_e32 v2, v148
	v_mov_b32_e32 v3, v149
	ds_write_b64 v24, v[150:151]
	ds_write2_b64 v25, v[0:1], v[2:3] offset0:14 offset1:15
	s_waitcnt vmcnt(53)
	v_mov_b32_e32 v0, v200
	v_mov_b32_e32 v1, v201
	s_waitcnt vmcnt(52)
	v_mov_b32_e32 v2, v146
	v_mov_b32_e32 v3, v147
	ds_write2_b64 v25, v[0:1], v[2:3] offset0:16 offset1:17
	s_waitcnt vmcnt(51)
	v_mov_b32_e32 v0, v198
	v_mov_b32_e32 v1, v199
	s_waitcnt vmcnt(50)
	v_mov_b32_e32 v2, v144
	v_mov_b32_e32 v3, v145
	;; [unrolled: 7-line block ×18, first 2 shown]
	ds_write2_b64 v25, v[0:1], v[2:3] offset0:50 offset1:51
	s_waitcnt vmcnt(17)
	v_mov_b32_e32 v0, v164
	v_mov_b32_e32 v1, v165
	s_waitcnt vmcnt(14)
	ds_write2_b64 v25, v[0:1], v[216:217] offset0:52 offset1:53
	ds_read_b64 v[0:1], v24
	s_waitcnt lgkmcnt(0)
	v_cmp_neq_f64_e32 vcc, 0, v[0:1]
	s_and_b64 exec, exec, vcc
	s_cbranch_execz .LBB107_69
; %bb.68:
	v_div_scale_f64 v[2:3], s[6:7], v[0:1], v[0:1], 1.0
	v_rcp_f64_e32 v[4:5], v[2:3]
	v_div_scale_f64 v[6:7], vcc, 1.0, v[0:1], 1.0
	v_fma_f64 v[8:9], -v[2:3], v[4:5], 1.0
	v_fmac_f64_e32 v[4:5], v[4:5], v[8:9]
	v_fma_f64 v[8:9], -v[2:3], v[4:5], 1.0
	v_fmac_f64_e32 v[4:5], v[4:5], v[8:9]
	v_mul_f64 v[8:9], v[6:7], v[4:5]
	v_fma_f64 v[2:3], -v[2:3], v[8:9], v[6:7]
	v_div_fmas_f64 v[2:3], v[2:3], v[4:5], v[8:9]
	v_div_fixup_f64 v[0:1], v[2:3], v[0:1], 1.0
	ds_write_b64 v24, v[0:1]
.LBB107_69:
	s_or_b64 exec, exec, s[2:3]
	s_waitcnt lgkmcnt(0)
	s_barrier
	ds_read_b64 v[0:1], v24
	v_cmp_lt_u32_e32 vcc, 13, v26
	s_waitcnt lgkmcnt(0)
	buffer_store_dword v0, off, s[16:19], 0 offset:80 ; 4-byte Folded Spill
	s_nop 0
	buffer_store_dword v1, off, s[16:19], 0 offset:84 ; 4-byte Folded Spill
	s_and_saveexec_b64 s[2:3], vcc
	s_cbranch_execz .LBB107_71
; %bb.70:
	buffer_load_dword v0, off, s[16:19], 0 offset:80 ; 4-byte Folded Reload
	buffer_load_dword v1, off, s[16:19], 0 offset:84 ; 4-byte Folded Reload
	s_waitcnt vmcnt(0)
	v_mul_f64 v[150:151], v[0:1], v[150:151]
	ds_read2_b64 v[0:3], v25 offset0:14 offset1:15
	s_waitcnt lgkmcnt(0)
	v_fma_f64 v[202:203], -v[150:151], v[0:1], v[202:203]
	v_fma_f64 v[148:149], -v[150:151], v[2:3], v[148:149]
	ds_read2_b64 v[0:3], v25 offset0:16 offset1:17
	s_waitcnt lgkmcnt(0)
	v_fma_f64 v[200:201], -v[150:151], v[0:1], v[200:201]
	v_fma_f64 v[146:147], -v[150:151], v[2:3], v[146:147]
	;; [unrolled: 4-line block ×20, first 2 shown]
.LBB107_71:
	s_or_b64 exec, exec, s[2:3]
	v_cmp_eq_u32_e32 vcc, 14, v26
	s_waitcnt vmcnt(63) expcnt(7) lgkmcnt(15)
	s_barrier
	s_and_saveexec_b64 s[2:3], vcc
	s_cbranch_execz .LBB107_74
; %bb.72:
	s_waitcnt vmcnt(57)
	ds_write_b64 v24, v[202:203]
	s_waitcnt vmcnt(55)
	ds_write2_b64 v25, v[148:149], v[200:201] offset0:15 offset1:16
	s_waitcnt vmcnt(53)
	ds_write2_b64 v25, v[146:147], v[198:199] offset0:17 offset1:18
	s_waitcnt vmcnt(51)
	ds_write2_b64 v25, v[144:145], v[196:197] offset0:19 offset1:20
	s_waitcnt vmcnt(49)
	ds_write2_b64 v25, v[142:143], v[194:195] offset0:21 offset1:22
	s_waitcnt vmcnt(47)
	ds_write2_b64 v25, v[140:141], v[192:193] offset0:23 offset1:24
	s_waitcnt vmcnt(45)
	ds_write2_b64 v25, v[138:139], v[190:191] offset0:25 offset1:26
	s_waitcnt vmcnt(43)
	ds_write2_b64 v25, v[136:137], v[188:189] offset0:27 offset1:28
	s_waitcnt vmcnt(41)
	ds_write2_b64 v25, v[134:135], v[186:187] offset0:29 offset1:30
	s_waitcnt vmcnt(39)
	ds_write2_b64 v25, v[132:133], v[184:185] offset0:31 offset1:32
	s_waitcnt vmcnt(37)
	ds_write2_b64 v25, v[130:131], v[182:183] offset0:33 offset1:34
	s_waitcnt vmcnt(35)
	ds_write2_b64 v25, v[128:129], v[180:181] offset0:35 offset1:36
	s_waitcnt vmcnt(33)
	ds_write2_b64 v25, v[126:127], v[178:179] offset0:37 offset1:38
	s_waitcnt vmcnt(31)
	ds_write2_b64 v25, v[124:125], v[176:177] offset0:39 offset1:40
	s_waitcnt vmcnt(29)
	ds_write2_b64 v25, v[122:123], v[174:175] offset0:41 offset1:42
	s_waitcnt vmcnt(27)
	ds_write2_b64 v25, v[120:121], v[172:173] offset0:43 offset1:44
	s_waitcnt vmcnt(25)
	ds_write2_b64 v25, v[118:119], v[170:171] offset0:45 offset1:46
	s_waitcnt vmcnt(23)
	ds_write2_b64 v25, v[116:117], v[168:169] offset0:47 offset1:48
	s_waitcnt vmcnt(21)
	ds_write2_b64 v25, v[114:115], v[166:167] offset0:49 offset1:50
	s_waitcnt vmcnt(19)
	ds_write2_b64 v25, v[112:113], v[164:165] offset0:51 offset1:52
	s_waitcnt vmcnt(16)
	ds_write_b64 v25, v[216:217] offset:424
	ds_read_b64 v[0:1], v24
	s_waitcnt lgkmcnt(0)
	v_cmp_neq_f64_e32 vcc, 0, v[0:1]
	s_and_b64 exec, exec, vcc
	s_cbranch_execz .LBB107_74
; %bb.73:
	v_div_scale_f64 v[2:3], s[6:7], v[0:1], v[0:1], 1.0
	v_rcp_f64_e32 v[4:5], v[2:3]
	v_div_scale_f64 v[6:7], vcc, 1.0, v[0:1], 1.0
	v_fma_f64 v[8:9], -v[2:3], v[4:5], 1.0
	v_fmac_f64_e32 v[4:5], v[4:5], v[8:9]
	v_fma_f64 v[8:9], -v[2:3], v[4:5], 1.0
	v_fmac_f64_e32 v[4:5], v[4:5], v[8:9]
	v_mul_f64 v[8:9], v[6:7], v[4:5]
	v_fma_f64 v[2:3], -v[2:3], v[8:9], v[6:7]
	v_div_fmas_f64 v[2:3], v[2:3], v[4:5], v[8:9]
	v_div_fixup_f64 v[0:1], v[2:3], v[0:1], 1.0
	ds_write_b64 v24, v[0:1]
.LBB107_74:
	s_or_b64 exec, exec, s[2:3]
	s_waitcnt lgkmcnt(0)
	s_barrier
	ds_read_b64 v[0:1], v24
	v_cmp_lt_u32_e32 vcc, 14, v26
	s_waitcnt lgkmcnt(0)
	buffer_store_dword v0, off, s[16:19], 0 offset:88 ; 4-byte Folded Spill
	s_nop 0
	buffer_store_dword v1, off, s[16:19], 0 offset:92 ; 4-byte Folded Spill
	s_and_saveexec_b64 s[2:3], vcc
	s_cbranch_execz .LBB107_76
; %bb.75:
	buffer_load_dword v0, off, s[16:19], 0 offset:88 ; 4-byte Folded Reload
	buffer_load_dword v1, off, s[16:19], 0 offset:92 ; 4-byte Folded Reload
	s_waitcnt vmcnt(0)
	v_mul_f64 v[202:203], v[0:1], v[202:203]
	ds_read2_b64 v[0:3], v25 offset0:15 offset1:16
	s_waitcnt lgkmcnt(0)
	v_fma_f64 v[148:149], -v[202:203], v[0:1], v[148:149]
	v_fma_f64 v[200:201], -v[202:203], v[2:3], v[200:201]
	ds_read2_b64 v[0:3], v25 offset0:17 offset1:18
	s_waitcnt lgkmcnt(0)
	v_fma_f64 v[146:147], -v[202:203], v[0:1], v[146:147]
	v_fma_f64 v[198:199], -v[202:203], v[2:3], v[198:199]
	;; [unrolled: 4-line block ×18, first 2 shown]
	ds_read2_b64 v[0:3], v25 offset0:51 offset1:52
	s_waitcnt lgkmcnt(0)
	v_fma_f64 v[112:113], -v[202:203], v[0:1], v[112:113]
	ds_read_b64 v[0:1], v25 offset:424
	v_fma_f64 v[164:165], -v[202:203], v[2:3], v[164:165]
	s_waitcnt lgkmcnt(0)
	v_fma_f64 v[216:217], -v[202:203], v[0:1], v[216:217]
.LBB107_76:
	s_or_b64 exec, exec, s[2:3]
	v_cmp_eq_u32_e32 vcc, 15, v26
	s_waitcnt vmcnt(63) expcnt(7) lgkmcnt(15)
	s_barrier
	s_and_saveexec_b64 s[2:3], vcc
	s_cbranch_execz .LBB107_79
; %bb.77:
	s_waitcnt vmcnt(57)
	v_mov_b32_e32 v0, v200
	v_mov_b32_e32 v1, v201
	s_waitcnt vmcnt(56)
	v_mov_b32_e32 v2, v146
	v_mov_b32_e32 v3, v147
	ds_write_b64 v24, v[148:149]
	ds_write2_b64 v25, v[0:1], v[2:3] offset0:16 offset1:17
	s_waitcnt vmcnt(55)
	v_mov_b32_e32 v0, v198
	v_mov_b32_e32 v1, v199
	s_waitcnt vmcnt(54)
	v_mov_b32_e32 v2, v144
	v_mov_b32_e32 v3, v145
	ds_write2_b64 v25, v[0:1], v[2:3] offset0:18 offset1:19
	s_waitcnt vmcnt(53)
	v_mov_b32_e32 v0, v196
	v_mov_b32_e32 v1, v197
	s_waitcnt vmcnt(52)
	v_mov_b32_e32 v2, v142
	v_mov_b32_e32 v3, v143
	;; [unrolled: 7-line block ×17, first 2 shown]
	ds_write2_b64 v25, v[0:1], v[2:3] offset0:50 offset1:51
	s_waitcnt vmcnt(21)
	v_mov_b32_e32 v0, v164
	v_mov_b32_e32 v1, v165
	s_waitcnt vmcnt(18)
	ds_write2_b64 v25, v[0:1], v[216:217] offset0:52 offset1:53
	ds_read_b64 v[0:1], v24
	s_waitcnt lgkmcnt(0)
	v_cmp_neq_f64_e32 vcc, 0, v[0:1]
	s_and_b64 exec, exec, vcc
	s_cbranch_execz .LBB107_79
; %bb.78:
	v_div_scale_f64 v[2:3], s[6:7], v[0:1], v[0:1], 1.0
	v_rcp_f64_e32 v[4:5], v[2:3]
	v_div_scale_f64 v[6:7], vcc, 1.0, v[0:1], 1.0
	v_fma_f64 v[8:9], -v[2:3], v[4:5], 1.0
	v_fmac_f64_e32 v[4:5], v[4:5], v[8:9]
	v_fma_f64 v[8:9], -v[2:3], v[4:5], 1.0
	v_fmac_f64_e32 v[4:5], v[4:5], v[8:9]
	v_mul_f64 v[8:9], v[6:7], v[4:5]
	v_fma_f64 v[2:3], -v[2:3], v[8:9], v[6:7]
	v_div_fmas_f64 v[2:3], v[2:3], v[4:5], v[8:9]
	v_div_fixup_f64 v[0:1], v[2:3], v[0:1], 1.0
	ds_write_b64 v24, v[0:1]
.LBB107_79:
	s_or_b64 exec, exec, s[2:3]
	s_waitcnt lgkmcnt(0)
	s_barrier
	ds_read_b64 v[0:1], v24
	v_cmp_lt_u32_e32 vcc, 15, v26
	s_waitcnt lgkmcnt(0)
	buffer_store_dword v0, off, s[16:19], 0 offset:96 ; 4-byte Folded Spill
	s_nop 0
	buffer_store_dword v1, off, s[16:19], 0 offset:100 ; 4-byte Folded Spill
	s_and_saveexec_b64 s[2:3], vcc
	s_cbranch_execz .LBB107_81
; %bb.80:
	buffer_load_dword v0, off, s[16:19], 0 offset:96 ; 4-byte Folded Reload
	buffer_load_dword v1, off, s[16:19], 0 offset:100 ; 4-byte Folded Reload
	s_waitcnt vmcnt(0)
	v_mul_f64 v[148:149], v[0:1], v[148:149]
	ds_read2_b64 v[0:3], v25 offset0:16 offset1:17
	s_waitcnt lgkmcnt(0)
	v_fma_f64 v[200:201], -v[148:149], v[0:1], v[200:201]
	v_fma_f64 v[146:147], -v[148:149], v[2:3], v[146:147]
	ds_read2_b64 v[0:3], v25 offset0:18 offset1:19
	s_waitcnt lgkmcnt(0)
	v_fma_f64 v[198:199], -v[148:149], v[0:1], v[198:199]
	v_fma_f64 v[144:145], -v[148:149], v[2:3], v[144:145]
	;; [unrolled: 4-line block ×19, first 2 shown]
.LBB107_81:
	s_or_b64 exec, exec, s[2:3]
	v_cmp_eq_u32_e32 vcc, 16, v26
	s_waitcnt vmcnt(63) expcnt(7) lgkmcnt(15)
	s_barrier
	s_and_saveexec_b64 s[2:3], vcc
	s_cbranch_execz .LBB107_84
; %bb.82:
	s_waitcnt vmcnt(59)
	ds_write_b64 v24, v[200:201]
	s_waitcnt vmcnt(57)
	ds_write2_b64 v25, v[146:147], v[198:199] offset0:17 offset1:18
	s_waitcnt vmcnt(55)
	ds_write2_b64 v25, v[144:145], v[196:197] offset0:19 offset1:20
	;; [unrolled: 2-line block ×18, first 2 shown]
	s_waitcnt vmcnt(20)
	ds_write_b64 v25, v[216:217] offset:424
	ds_read_b64 v[0:1], v24
	s_waitcnt lgkmcnt(0)
	v_cmp_neq_f64_e32 vcc, 0, v[0:1]
	s_and_b64 exec, exec, vcc
	s_cbranch_execz .LBB107_84
; %bb.83:
	v_div_scale_f64 v[2:3], s[6:7], v[0:1], v[0:1], 1.0
	v_rcp_f64_e32 v[4:5], v[2:3]
	v_div_scale_f64 v[6:7], vcc, 1.0, v[0:1], 1.0
	v_fma_f64 v[8:9], -v[2:3], v[4:5], 1.0
	v_fmac_f64_e32 v[4:5], v[4:5], v[8:9]
	v_fma_f64 v[8:9], -v[2:3], v[4:5], 1.0
	v_fmac_f64_e32 v[4:5], v[4:5], v[8:9]
	v_mul_f64 v[8:9], v[6:7], v[4:5]
	v_fma_f64 v[2:3], -v[2:3], v[8:9], v[6:7]
	v_div_fmas_f64 v[2:3], v[2:3], v[4:5], v[8:9]
	v_div_fixup_f64 v[0:1], v[2:3], v[0:1], 1.0
	ds_write_b64 v24, v[0:1]
.LBB107_84:
	s_or_b64 exec, exec, s[2:3]
	s_waitcnt lgkmcnt(0)
	s_barrier
	ds_read_b64 v[0:1], v24
	v_cmp_lt_u32_e32 vcc, 16, v26
	s_waitcnt lgkmcnt(0)
	buffer_store_dword v0, off, s[16:19], 0 offset:104 ; 4-byte Folded Spill
	s_nop 0
	buffer_store_dword v1, off, s[16:19], 0 offset:108 ; 4-byte Folded Spill
	s_and_saveexec_b64 s[2:3], vcc
	s_cbranch_execz .LBB107_86
; %bb.85:
	buffer_load_dword v0, off, s[16:19], 0 offset:104 ; 4-byte Folded Reload
	buffer_load_dword v1, off, s[16:19], 0 offset:108 ; 4-byte Folded Reload
	s_waitcnt vmcnt(0)
	v_mul_f64 v[200:201], v[0:1], v[200:201]
	ds_read2_b64 v[0:3], v25 offset0:17 offset1:18
	s_waitcnt lgkmcnt(0)
	v_fma_f64 v[146:147], -v[200:201], v[0:1], v[146:147]
	v_fma_f64 v[198:199], -v[200:201], v[2:3], v[198:199]
	ds_read2_b64 v[0:3], v25 offset0:19 offset1:20
	s_waitcnt lgkmcnt(0)
	v_fma_f64 v[144:145], -v[200:201], v[0:1], v[144:145]
	v_fma_f64 v[196:197], -v[200:201], v[2:3], v[196:197]
	;; [unrolled: 4-line block ×17, first 2 shown]
	ds_read2_b64 v[0:3], v25 offset0:51 offset1:52
	s_waitcnt lgkmcnt(0)
	v_fma_f64 v[112:113], -v[200:201], v[0:1], v[112:113]
	ds_read_b64 v[0:1], v25 offset:424
	v_fma_f64 v[164:165], -v[200:201], v[2:3], v[164:165]
	s_waitcnt lgkmcnt(0)
	v_fma_f64 v[216:217], -v[200:201], v[0:1], v[216:217]
.LBB107_86:
	s_or_b64 exec, exec, s[2:3]
	v_cmp_eq_u32_e32 vcc, 17, v26
	s_waitcnt vmcnt(63) expcnt(7) lgkmcnt(15)
	s_barrier
	s_and_saveexec_b64 s[2:3], vcc
	s_cbranch_execz .LBB107_89
; %bb.87:
	s_waitcnt vmcnt(59)
	v_mov_b32_e32 v0, v198
	v_mov_b32_e32 v1, v199
	s_waitcnt vmcnt(58)
	v_mov_b32_e32 v2, v144
	v_mov_b32_e32 v3, v145
	ds_write_b64 v24, v[146:147]
	ds_write2_b64 v25, v[0:1], v[2:3] offset0:18 offset1:19
	s_waitcnt vmcnt(57)
	v_mov_b32_e32 v0, v196
	v_mov_b32_e32 v1, v197
	s_waitcnt vmcnt(56)
	v_mov_b32_e32 v2, v142
	v_mov_b32_e32 v3, v143
	ds_write2_b64 v25, v[0:1], v[2:3] offset0:20 offset1:21
	s_waitcnt vmcnt(55)
	v_mov_b32_e32 v0, v194
	v_mov_b32_e32 v1, v195
	s_waitcnt vmcnt(54)
	v_mov_b32_e32 v2, v140
	v_mov_b32_e32 v3, v141
	;; [unrolled: 7-line block ×16, first 2 shown]
	ds_write2_b64 v25, v[0:1], v[2:3] offset0:50 offset1:51
	s_waitcnt vmcnt(25)
	v_mov_b32_e32 v0, v164
	v_mov_b32_e32 v1, v165
	s_waitcnt vmcnt(22)
	ds_write2_b64 v25, v[0:1], v[216:217] offset0:52 offset1:53
	ds_read_b64 v[0:1], v24
	s_waitcnt lgkmcnt(0)
	v_cmp_neq_f64_e32 vcc, 0, v[0:1]
	s_and_b64 exec, exec, vcc
	s_cbranch_execz .LBB107_89
; %bb.88:
	v_div_scale_f64 v[2:3], s[6:7], v[0:1], v[0:1], 1.0
	v_rcp_f64_e32 v[4:5], v[2:3]
	v_div_scale_f64 v[6:7], vcc, 1.0, v[0:1], 1.0
	v_fma_f64 v[8:9], -v[2:3], v[4:5], 1.0
	v_fmac_f64_e32 v[4:5], v[4:5], v[8:9]
	v_fma_f64 v[8:9], -v[2:3], v[4:5], 1.0
	v_fmac_f64_e32 v[4:5], v[4:5], v[8:9]
	v_mul_f64 v[8:9], v[6:7], v[4:5]
	v_fma_f64 v[2:3], -v[2:3], v[8:9], v[6:7]
	v_div_fmas_f64 v[2:3], v[2:3], v[4:5], v[8:9]
	v_div_fixup_f64 v[0:1], v[2:3], v[0:1], 1.0
	ds_write_b64 v24, v[0:1]
.LBB107_89:
	s_or_b64 exec, exec, s[2:3]
	s_waitcnt lgkmcnt(0)
	s_barrier
	ds_read_b64 v[0:1], v24
	v_cmp_lt_u32_e32 vcc, 17, v26
	s_waitcnt lgkmcnt(0)
	buffer_store_dword v0, off, s[16:19], 0 offset:112 ; 4-byte Folded Spill
	s_nop 0
	buffer_store_dword v1, off, s[16:19], 0 offset:116 ; 4-byte Folded Spill
	s_and_saveexec_b64 s[2:3], vcc
	s_cbranch_execz .LBB107_91
; %bb.90:
	buffer_load_dword v0, off, s[16:19], 0 offset:112 ; 4-byte Folded Reload
	buffer_load_dword v1, off, s[16:19], 0 offset:116 ; 4-byte Folded Reload
	s_waitcnt vmcnt(0)
	v_mul_f64 v[146:147], v[0:1], v[146:147]
	ds_read2_b64 v[0:3], v25 offset0:18 offset1:19
	s_waitcnt lgkmcnt(0)
	v_fma_f64 v[198:199], -v[146:147], v[0:1], v[198:199]
	v_fma_f64 v[144:145], -v[146:147], v[2:3], v[144:145]
	ds_read2_b64 v[0:3], v25 offset0:20 offset1:21
	s_waitcnt lgkmcnt(0)
	v_fma_f64 v[196:197], -v[146:147], v[0:1], v[196:197]
	v_fma_f64 v[142:143], -v[146:147], v[2:3], v[142:143]
	;; [unrolled: 4-line block ×18, first 2 shown]
.LBB107_91:
	s_or_b64 exec, exec, s[2:3]
	v_cmp_eq_u32_e32 vcc, 18, v26
	s_waitcnt vmcnt(63) expcnt(7) lgkmcnt(15)
	s_barrier
	s_and_saveexec_b64 s[2:3], vcc
	s_cbranch_execz .LBB107_94
; %bb.92:
	s_waitcnt vmcnt(61)
	ds_write_b64 v24, v[198:199]
	s_waitcnt vmcnt(59)
	ds_write2_b64 v25, v[144:145], v[196:197] offset0:19 offset1:20
	s_waitcnt vmcnt(57)
	ds_write2_b64 v25, v[142:143], v[194:195] offset0:21 offset1:22
	;; [unrolled: 2-line block ×17, first 2 shown]
	s_waitcnt vmcnt(24)
	ds_write_b64 v25, v[216:217] offset:424
	ds_read_b64 v[0:1], v24
	s_waitcnt lgkmcnt(0)
	v_cmp_neq_f64_e32 vcc, 0, v[0:1]
	s_and_b64 exec, exec, vcc
	s_cbranch_execz .LBB107_94
; %bb.93:
	v_div_scale_f64 v[2:3], s[6:7], v[0:1], v[0:1], 1.0
	v_rcp_f64_e32 v[4:5], v[2:3]
	v_div_scale_f64 v[6:7], vcc, 1.0, v[0:1], 1.0
	v_fma_f64 v[8:9], -v[2:3], v[4:5], 1.0
	v_fmac_f64_e32 v[4:5], v[4:5], v[8:9]
	v_fma_f64 v[8:9], -v[2:3], v[4:5], 1.0
	v_fmac_f64_e32 v[4:5], v[4:5], v[8:9]
	v_mul_f64 v[8:9], v[6:7], v[4:5]
	v_fma_f64 v[2:3], -v[2:3], v[8:9], v[6:7]
	v_div_fmas_f64 v[2:3], v[2:3], v[4:5], v[8:9]
	v_div_fixup_f64 v[0:1], v[2:3], v[0:1], 1.0
	ds_write_b64 v24, v[0:1]
.LBB107_94:
	s_or_b64 exec, exec, s[2:3]
	s_waitcnt lgkmcnt(0)
	s_barrier
	ds_read_b64 v[0:1], v24
	v_cmp_lt_u32_e32 vcc, 18, v26
	s_waitcnt lgkmcnt(0)
	buffer_store_dword v0, off, s[16:19], 0 offset:120 ; 4-byte Folded Spill
	s_nop 0
	buffer_store_dword v1, off, s[16:19], 0 offset:124 ; 4-byte Folded Spill
	s_and_saveexec_b64 s[2:3], vcc
	s_cbranch_execz .LBB107_96
; %bb.95:
	buffer_load_dword v0, off, s[16:19], 0 offset:120 ; 4-byte Folded Reload
	buffer_load_dword v1, off, s[16:19], 0 offset:124 ; 4-byte Folded Reload
	s_waitcnt vmcnt(0)
	v_mul_f64 v[198:199], v[0:1], v[198:199]
	ds_read2_b64 v[0:3], v25 offset0:19 offset1:20
	s_waitcnt lgkmcnt(0)
	v_fma_f64 v[144:145], -v[198:199], v[0:1], v[144:145]
	v_fma_f64 v[196:197], -v[198:199], v[2:3], v[196:197]
	ds_read2_b64 v[0:3], v25 offset0:21 offset1:22
	s_waitcnt lgkmcnt(0)
	v_fma_f64 v[142:143], -v[198:199], v[0:1], v[142:143]
	v_fma_f64 v[194:195], -v[198:199], v[2:3], v[194:195]
	;; [unrolled: 4-line block ×16, first 2 shown]
	ds_read2_b64 v[0:3], v25 offset0:51 offset1:52
	s_waitcnt lgkmcnt(0)
	v_fma_f64 v[112:113], -v[198:199], v[0:1], v[112:113]
	ds_read_b64 v[0:1], v25 offset:424
	v_fma_f64 v[164:165], -v[198:199], v[2:3], v[164:165]
	s_waitcnt lgkmcnt(0)
	v_fma_f64 v[216:217], -v[198:199], v[0:1], v[216:217]
.LBB107_96:
	s_or_b64 exec, exec, s[2:3]
	v_cmp_eq_u32_e32 vcc, 19, v26
	s_waitcnt vmcnt(63) expcnt(7) lgkmcnt(15)
	s_barrier
	s_and_saveexec_b64 s[2:3], vcc
	s_cbranch_execz .LBB107_99
; %bb.97:
	s_waitcnt vmcnt(61)
	v_mov_b32_e32 v0, v196
	v_mov_b32_e32 v1, v197
	s_waitcnt vmcnt(60)
	v_mov_b32_e32 v2, v142
	v_mov_b32_e32 v3, v143
	ds_write_b64 v24, v[144:145]
	ds_write2_b64 v25, v[0:1], v[2:3] offset0:20 offset1:21
	s_waitcnt vmcnt(59)
	v_mov_b32_e32 v0, v194
	v_mov_b32_e32 v1, v195
	s_waitcnt vmcnt(58)
	v_mov_b32_e32 v2, v140
	v_mov_b32_e32 v3, v141
	ds_write2_b64 v25, v[0:1], v[2:3] offset0:22 offset1:23
	s_waitcnt vmcnt(57)
	v_mov_b32_e32 v0, v192
	v_mov_b32_e32 v1, v193
	s_waitcnt vmcnt(56)
	v_mov_b32_e32 v2, v138
	v_mov_b32_e32 v3, v139
	;; [unrolled: 7-line block ×15, first 2 shown]
	ds_write2_b64 v25, v[0:1], v[2:3] offset0:50 offset1:51
	s_waitcnt vmcnt(29)
	v_mov_b32_e32 v0, v164
	v_mov_b32_e32 v1, v165
	s_waitcnt vmcnt(26)
	ds_write2_b64 v25, v[0:1], v[216:217] offset0:52 offset1:53
	ds_read_b64 v[0:1], v24
	s_waitcnt lgkmcnt(0)
	v_cmp_neq_f64_e32 vcc, 0, v[0:1]
	s_and_b64 exec, exec, vcc
	s_cbranch_execz .LBB107_99
; %bb.98:
	v_div_scale_f64 v[2:3], s[6:7], v[0:1], v[0:1], 1.0
	v_rcp_f64_e32 v[4:5], v[2:3]
	v_div_scale_f64 v[6:7], vcc, 1.0, v[0:1], 1.0
	v_fma_f64 v[8:9], -v[2:3], v[4:5], 1.0
	v_fmac_f64_e32 v[4:5], v[4:5], v[8:9]
	v_fma_f64 v[8:9], -v[2:3], v[4:5], 1.0
	v_fmac_f64_e32 v[4:5], v[4:5], v[8:9]
	v_mul_f64 v[8:9], v[6:7], v[4:5]
	v_fma_f64 v[2:3], -v[2:3], v[8:9], v[6:7]
	v_div_fmas_f64 v[2:3], v[2:3], v[4:5], v[8:9]
	v_div_fixup_f64 v[0:1], v[2:3], v[0:1], 1.0
	ds_write_b64 v24, v[0:1]
.LBB107_99:
	s_or_b64 exec, exec, s[2:3]
	s_waitcnt lgkmcnt(0)
	s_barrier
	ds_read_b64 v[0:1], v24
	v_cmp_lt_u32_e32 vcc, 19, v26
	s_waitcnt lgkmcnt(0)
	buffer_store_dword v0, off, s[16:19], 0 offset:128 ; 4-byte Folded Spill
	s_nop 0
	buffer_store_dword v1, off, s[16:19], 0 offset:132 ; 4-byte Folded Spill
	s_and_saveexec_b64 s[2:3], vcc
	s_cbranch_execz .LBB107_101
; %bb.100:
	buffer_load_dword v0, off, s[16:19], 0 offset:128 ; 4-byte Folded Reload
	buffer_load_dword v1, off, s[16:19], 0 offset:132 ; 4-byte Folded Reload
	s_waitcnt vmcnt(0)
	v_mul_f64 v[144:145], v[0:1], v[144:145]
	ds_read2_b64 v[0:3], v25 offset0:20 offset1:21
	s_waitcnt lgkmcnt(0)
	v_fma_f64 v[196:197], -v[144:145], v[0:1], v[196:197]
	v_fma_f64 v[142:143], -v[144:145], v[2:3], v[142:143]
	ds_read2_b64 v[0:3], v25 offset0:22 offset1:23
	s_waitcnt lgkmcnt(0)
	v_fma_f64 v[194:195], -v[144:145], v[0:1], v[194:195]
	v_fma_f64 v[140:141], -v[144:145], v[2:3], v[140:141]
	;; [unrolled: 4-line block ×17, first 2 shown]
.LBB107_101:
	s_or_b64 exec, exec, s[2:3]
	v_cmp_eq_u32_e32 vcc, 20, v26
	s_waitcnt vmcnt(63) expcnt(7) lgkmcnt(15)
	s_barrier
	s_and_saveexec_b64 s[2:3], vcc
	s_cbranch_execz .LBB107_104
; %bb.102:
	ds_write_b64 v24, v[196:197]
	s_waitcnt vmcnt(61)
	ds_write2_b64 v25, v[142:143], v[194:195] offset0:21 offset1:22
	s_waitcnt vmcnt(59)
	ds_write2_b64 v25, v[140:141], v[192:193] offset0:23 offset1:24
	;; [unrolled: 2-line block ×16, first 2 shown]
	s_waitcnt vmcnt(28)
	ds_write_b64 v25, v[216:217] offset:424
	ds_read_b64 v[0:1], v24
	s_waitcnt lgkmcnt(0)
	v_cmp_neq_f64_e32 vcc, 0, v[0:1]
	s_and_b64 exec, exec, vcc
	s_cbranch_execz .LBB107_104
; %bb.103:
	v_div_scale_f64 v[2:3], s[6:7], v[0:1], v[0:1], 1.0
	v_rcp_f64_e32 v[4:5], v[2:3]
	v_div_scale_f64 v[6:7], vcc, 1.0, v[0:1], 1.0
	v_fma_f64 v[8:9], -v[2:3], v[4:5], 1.0
	v_fmac_f64_e32 v[4:5], v[4:5], v[8:9]
	v_fma_f64 v[8:9], -v[2:3], v[4:5], 1.0
	v_fmac_f64_e32 v[4:5], v[4:5], v[8:9]
	v_mul_f64 v[8:9], v[6:7], v[4:5]
	v_fma_f64 v[2:3], -v[2:3], v[8:9], v[6:7]
	v_div_fmas_f64 v[2:3], v[2:3], v[4:5], v[8:9]
	v_div_fixup_f64 v[0:1], v[2:3], v[0:1], 1.0
	ds_write_b64 v24, v[0:1]
.LBB107_104:
	s_or_b64 exec, exec, s[2:3]
	s_waitcnt lgkmcnt(0)
	s_barrier
	ds_read_b64 v[0:1], v24
	v_cmp_lt_u32_e32 vcc, 20, v26
	s_waitcnt lgkmcnt(0)
	buffer_store_dword v0, off, s[16:19], 0 offset:136 ; 4-byte Folded Spill
	s_nop 0
	buffer_store_dword v1, off, s[16:19], 0 offset:140 ; 4-byte Folded Spill
	s_and_saveexec_b64 s[2:3], vcc
	s_cbranch_execz .LBB107_106
; %bb.105:
	buffer_load_dword v0, off, s[16:19], 0 offset:136 ; 4-byte Folded Reload
	buffer_load_dword v1, off, s[16:19], 0 offset:140 ; 4-byte Folded Reload
	s_waitcnt vmcnt(0)
	v_mul_f64 v[196:197], v[0:1], v[196:197]
	ds_read2_b64 v[0:3], v25 offset0:21 offset1:22
	s_waitcnt lgkmcnt(0)
	v_fma_f64 v[142:143], -v[196:197], v[0:1], v[142:143]
	v_fma_f64 v[194:195], -v[196:197], v[2:3], v[194:195]
	ds_read2_b64 v[0:3], v25 offset0:23 offset1:24
	s_waitcnt lgkmcnt(0)
	v_fma_f64 v[140:141], -v[196:197], v[0:1], v[140:141]
	v_fma_f64 v[192:193], -v[196:197], v[2:3], v[192:193]
	;; [unrolled: 4-line block ×15, first 2 shown]
	ds_read2_b64 v[0:3], v25 offset0:51 offset1:52
	s_waitcnt lgkmcnt(0)
	v_fma_f64 v[112:113], -v[196:197], v[0:1], v[112:113]
	ds_read_b64 v[0:1], v25 offset:424
	v_fma_f64 v[164:165], -v[196:197], v[2:3], v[164:165]
	s_waitcnt lgkmcnt(0)
	v_fma_f64 v[216:217], -v[196:197], v[0:1], v[216:217]
.LBB107_106:
	s_or_b64 exec, exec, s[2:3]
	v_cmp_eq_u32_e32 vcc, 21, v26
	s_waitcnt vmcnt(63) expcnt(7) lgkmcnt(15)
	s_barrier
	s_and_saveexec_b64 s[2:3], vcc
	s_cbranch_execz .LBB107_109
; %bb.107:
	v_mov_b32_e32 v0, v194
	v_mov_b32_e32 v1, v195
	s_waitcnt vmcnt(62)
	v_mov_b32_e32 v2, v140
	v_mov_b32_e32 v3, v141
	ds_write_b64 v24, v[142:143]
	ds_write2_b64 v25, v[0:1], v[2:3] offset0:22 offset1:23
	s_waitcnt vmcnt(61)
	v_mov_b32_e32 v0, v192
	v_mov_b32_e32 v1, v193
	s_waitcnt vmcnt(60)
	v_mov_b32_e32 v2, v138
	v_mov_b32_e32 v3, v139
	ds_write2_b64 v25, v[0:1], v[2:3] offset0:24 offset1:25
	s_waitcnt vmcnt(59)
	v_mov_b32_e32 v0, v190
	v_mov_b32_e32 v1, v191
	s_waitcnt vmcnt(58)
	v_mov_b32_e32 v2, v136
	v_mov_b32_e32 v3, v137
	;; [unrolled: 7-line block ×14, first 2 shown]
	ds_write2_b64 v25, v[0:1], v[2:3] offset0:50 offset1:51
	s_waitcnt vmcnt(33)
	v_mov_b32_e32 v0, v164
	v_mov_b32_e32 v1, v165
	s_waitcnt vmcnt(30)
	ds_write2_b64 v25, v[0:1], v[216:217] offset0:52 offset1:53
	ds_read_b64 v[0:1], v24
	s_waitcnt lgkmcnt(0)
	v_cmp_neq_f64_e32 vcc, 0, v[0:1]
	s_and_b64 exec, exec, vcc
	s_cbranch_execz .LBB107_109
; %bb.108:
	v_div_scale_f64 v[2:3], s[6:7], v[0:1], v[0:1], 1.0
	v_rcp_f64_e32 v[4:5], v[2:3]
	v_div_scale_f64 v[6:7], vcc, 1.0, v[0:1], 1.0
	v_fma_f64 v[8:9], -v[2:3], v[4:5], 1.0
	v_fmac_f64_e32 v[4:5], v[4:5], v[8:9]
	v_fma_f64 v[8:9], -v[2:3], v[4:5], 1.0
	v_fmac_f64_e32 v[4:5], v[4:5], v[8:9]
	v_mul_f64 v[8:9], v[6:7], v[4:5]
	v_fma_f64 v[2:3], -v[2:3], v[8:9], v[6:7]
	v_div_fmas_f64 v[2:3], v[2:3], v[4:5], v[8:9]
	v_div_fixup_f64 v[0:1], v[2:3], v[0:1], 1.0
	ds_write_b64 v24, v[0:1]
.LBB107_109:
	s_or_b64 exec, exec, s[2:3]
	s_waitcnt lgkmcnt(0)
	s_barrier
	ds_read_b64 v[0:1], v24
	v_cmp_lt_u32_e32 vcc, 21, v26
	s_waitcnt lgkmcnt(0)
	buffer_store_dword v0, off, s[16:19], 0 offset:144 ; 4-byte Folded Spill
	s_nop 0
	buffer_store_dword v1, off, s[16:19], 0 offset:148 ; 4-byte Folded Spill
	s_and_saveexec_b64 s[2:3], vcc
	s_cbranch_execz .LBB107_111
; %bb.110:
	buffer_load_dword v0, off, s[16:19], 0 offset:144 ; 4-byte Folded Reload
	buffer_load_dword v1, off, s[16:19], 0 offset:148 ; 4-byte Folded Reload
	s_waitcnt vmcnt(0)
	v_mul_f64 v[142:143], v[0:1], v[142:143]
	ds_read2_b64 v[0:3], v25 offset0:22 offset1:23
	s_waitcnt lgkmcnt(0)
	v_fma_f64 v[194:195], -v[142:143], v[0:1], v[194:195]
	v_fma_f64 v[140:141], -v[142:143], v[2:3], v[140:141]
	ds_read2_b64 v[0:3], v25 offset0:24 offset1:25
	s_waitcnt lgkmcnt(0)
	v_fma_f64 v[192:193], -v[142:143], v[0:1], v[192:193]
	v_fma_f64 v[138:139], -v[142:143], v[2:3], v[138:139]
	;; [unrolled: 4-line block ×16, first 2 shown]
.LBB107_111:
	s_or_b64 exec, exec, s[2:3]
	v_cmp_eq_u32_e32 vcc, 22, v26
	s_waitcnt vmcnt(63) expcnt(7) lgkmcnt(15)
	s_barrier
	s_and_saveexec_b64 s[2:3], vcc
	s_cbranch_execz .LBB107_114
; %bb.112:
	ds_write_b64 v24, v[194:195]
	ds_write2_b64 v25, v[140:141], v[192:193] offset0:23 offset1:24
	s_waitcnt vmcnt(61)
	ds_write2_b64 v25, v[138:139], v[190:191] offset0:25 offset1:26
	s_waitcnt vmcnt(59)
	;; [unrolled: 2-line block ×15, first 2 shown]
	ds_write_b64 v25, v[216:217] offset:424
	ds_read_b64 v[0:1], v24
	s_waitcnt lgkmcnt(0)
	v_cmp_neq_f64_e32 vcc, 0, v[0:1]
	s_and_b64 exec, exec, vcc
	s_cbranch_execz .LBB107_114
; %bb.113:
	v_div_scale_f64 v[2:3], s[6:7], v[0:1], v[0:1], 1.0
	v_rcp_f64_e32 v[4:5], v[2:3]
	v_div_scale_f64 v[6:7], vcc, 1.0, v[0:1], 1.0
	v_fma_f64 v[8:9], -v[2:3], v[4:5], 1.0
	v_fmac_f64_e32 v[4:5], v[4:5], v[8:9]
	v_fma_f64 v[8:9], -v[2:3], v[4:5], 1.0
	v_fmac_f64_e32 v[4:5], v[4:5], v[8:9]
	v_mul_f64 v[8:9], v[6:7], v[4:5]
	v_fma_f64 v[2:3], -v[2:3], v[8:9], v[6:7]
	v_div_fmas_f64 v[2:3], v[2:3], v[4:5], v[8:9]
	v_div_fixup_f64 v[0:1], v[2:3], v[0:1], 1.0
	ds_write_b64 v24, v[0:1]
.LBB107_114:
	s_or_b64 exec, exec, s[2:3]
	s_waitcnt lgkmcnt(0)
	s_barrier
	ds_read_b64 v[0:1], v24
	v_cmp_lt_u32_e32 vcc, 22, v26
	s_waitcnt lgkmcnt(0)
	buffer_store_dword v0, off, s[16:19], 0 offset:152 ; 4-byte Folded Spill
	s_nop 0
	buffer_store_dword v1, off, s[16:19], 0 offset:156 ; 4-byte Folded Spill
	s_and_saveexec_b64 s[2:3], vcc
	s_cbranch_execz .LBB107_116
; %bb.115:
	buffer_load_dword v0, off, s[16:19], 0 offset:152 ; 4-byte Folded Reload
	buffer_load_dword v1, off, s[16:19], 0 offset:156 ; 4-byte Folded Reload
	s_waitcnt vmcnt(0)
	v_mul_f64 v[194:195], v[0:1], v[194:195]
	ds_read2_b64 v[0:3], v25 offset0:23 offset1:24
	s_waitcnt lgkmcnt(0)
	v_fma_f64 v[140:141], -v[194:195], v[0:1], v[140:141]
	v_fma_f64 v[192:193], -v[194:195], v[2:3], v[192:193]
	ds_read2_b64 v[0:3], v25 offset0:25 offset1:26
	s_waitcnt lgkmcnt(0)
	v_fma_f64 v[138:139], -v[194:195], v[0:1], v[138:139]
	v_fma_f64 v[190:191], -v[194:195], v[2:3], v[190:191]
	;; [unrolled: 4-line block ×14, first 2 shown]
	ds_read2_b64 v[0:3], v25 offset0:51 offset1:52
	s_waitcnt lgkmcnt(0)
	v_fma_f64 v[112:113], -v[194:195], v[0:1], v[112:113]
	ds_read_b64 v[0:1], v25 offset:424
	v_fma_f64 v[164:165], -v[194:195], v[2:3], v[164:165]
	s_waitcnt lgkmcnt(0)
	v_fma_f64 v[216:217], -v[194:195], v[0:1], v[216:217]
.LBB107_116:
	s_or_b64 exec, exec, s[2:3]
	v_cmp_eq_u32_e32 vcc, 23, v26
	s_waitcnt vmcnt(63) expcnt(7) lgkmcnt(15)
	s_barrier
	s_and_saveexec_b64 s[2:3], vcc
	s_cbranch_execz .LBB107_119
; %bb.117:
	v_mov_b32_e32 v0, v192
	v_mov_b32_e32 v1, v193
	;; [unrolled: 1-line block ×4, first 2 shown]
	ds_write_b64 v24, v[140:141]
	ds_write2_b64 v25, v[0:1], v[2:3] offset0:24 offset1:25
	v_mov_b32_e32 v0, v190
	v_mov_b32_e32 v1, v191
	s_waitcnt vmcnt(62)
	v_mov_b32_e32 v2, v136
	v_mov_b32_e32 v3, v137
	ds_write2_b64 v25, v[0:1], v[2:3] offset0:26 offset1:27
	s_waitcnt vmcnt(61)
	v_mov_b32_e32 v0, v188
	v_mov_b32_e32 v1, v189
	s_waitcnt vmcnt(60)
	v_mov_b32_e32 v2, v134
	v_mov_b32_e32 v3, v135
	ds_write2_b64 v25, v[0:1], v[2:3] offset0:28 offset1:29
	s_waitcnt vmcnt(59)
	;; [unrolled: 7-line block ×13, first 2 shown]
	v_mov_b32_e32 v0, v164
	v_mov_b32_e32 v1, v165
	s_waitcnt vmcnt(34)
	ds_write2_b64 v25, v[0:1], v[216:217] offset0:52 offset1:53
	ds_read_b64 v[0:1], v24
	s_waitcnt lgkmcnt(0)
	v_cmp_neq_f64_e32 vcc, 0, v[0:1]
	s_and_b64 exec, exec, vcc
	s_cbranch_execz .LBB107_119
; %bb.118:
	v_div_scale_f64 v[2:3], s[6:7], v[0:1], v[0:1], 1.0
	v_rcp_f64_e32 v[4:5], v[2:3]
	v_div_scale_f64 v[6:7], vcc, 1.0, v[0:1], 1.0
	v_fma_f64 v[8:9], -v[2:3], v[4:5], 1.0
	v_fmac_f64_e32 v[4:5], v[4:5], v[8:9]
	v_fma_f64 v[8:9], -v[2:3], v[4:5], 1.0
	v_fmac_f64_e32 v[4:5], v[4:5], v[8:9]
	v_mul_f64 v[8:9], v[6:7], v[4:5]
	v_fma_f64 v[2:3], -v[2:3], v[8:9], v[6:7]
	v_div_fmas_f64 v[2:3], v[2:3], v[4:5], v[8:9]
	v_div_fixup_f64 v[0:1], v[2:3], v[0:1], 1.0
	ds_write_b64 v24, v[0:1]
.LBB107_119:
	s_or_b64 exec, exec, s[2:3]
	s_waitcnt lgkmcnt(0)
	s_barrier
	ds_read_b64 v[0:1], v24
	v_cmp_lt_u32_e32 vcc, 23, v26
	s_waitcnt lgkmcnt(0)
	buffer_store_dword v0, off, s[16:19], 0 offset:160 ; 4-byte Folded Spill
	s_nop 0
	buffer_store_dword v1, off, s[16:19], 0 offset:164 ; 4-byte Folded Spill
	s_and_saveexec_b64 s[2:3], vcc
	s_cbranch_execz .LBB107_121
; %bb.120:
	buffer_load_dword v0, off, s[16:19], 0 offset:160 ; 4-byte Folded Reload
	buffer_load_dword v1, off, s[16:19], 0 offset:164 ; 4-byte Folded Reload
	s_waitcnt vmcnt(0)
	v_mul_f64 v[140:141], v[0:1], v[140:141]
	ds_read2_b64 v[0:3], v25 offset0:24 offset1:25
	s_waitcnt lgkmcnt(0)
	v_fma_f64 v[192:193], -v[140:141], v[0:1], v[192:193]
	v_fma_f64 v[138:139], -v[140:141], v[2:3], v[138:139]
	ds_read2_b64 v[0:3], v25 offset0:26 offset1:27
	s_waitcnt lgkmcnt(0)
	v_fma_f64 v[190:191], -v[140:141], v[0:1], v[190:191]
	v_fma_f64 v[136:137], -v[140:141], v[2:3], v[136:137]
	;; [unrolled: 4-line block ×15, first 2 shown]
.LBB107_121:
	s_or_b64 exec, exec, s[2:3]
	v_cmp_eq_u32_e32 vcc, 24, v26
	s_waitcnt vmcnt(63) expcnt(7) lgkmcnt(15)
	s_barrier
	s_and_saveexec_b64 s[2:3], vcc
	s_cbranch_execz .LBB107_124
; %bb.122:
	ds_write_b64 v24, v[192:193]
	ds_write2_b64 v25, v[138:139], v[190:191] offset0:25 offset1:26
	ds_write2_b64 v25, v[136:137], v[188:189] offset0:27 offset1:28
	s_waitcnt vmcnt(61)
	ds_write2_b64 v25, v[134:135], v[186:187] offset0:29 offset1:30
	s_waitcnt vmcnt(59)
	;; [unrolled: 2-line block ×13, first 2 shown]
	ds_write_b64 v25, v[216:217] offset:424
	ds_read_b64 v[0:1], v24
	s_waitcnt lgkmcnt(0)
	v_cmp_neq_f64_e32 vcc, 0, v[0:1]
	s_and_b64 exec, exec, vcc
	s_cbranch_execz .LBB107_124
; %bb.123:
	v_div_scale_f64 v[2:3], s[6:7], v[0:1], v[0:1], 1.0
	v_rcp_f64_e32 v[4:5], v[2:3]
	v_div_scale_f64 v[6:7], vcc, 1.0, v[0:1], 1.0
	v_fma_f64 v[8:9], -v[2:3], v[4:5], 1.0
	v_fmac_f64_e32 v[4:5], v[4:5], v[8:9]
	v_fma_f64 v[8:9], -v[2:3], v[4:5], 1.0
	v_fmac_f64_e32 v[4:5], v[4:5], v[8:9]
	v_mul_f64 v[8:9], v[6:7], v[4:5]
	v_fma_f64 v[2:3], -v[2:3], v[8:9], v[6:7]
	v_div_fmas_f64 v[2:3], v[2:3], v[4:5], v[8:9]
	v_div_fixup_f64 v[0:1], v[2:3], v[0:1], 1.0
	ds_write_b64 v24, v[0:1]
.LBB107_124:
	s_or_b64 exec, exec, s[2:3]
	s_waitcnt lgkmcnt(0)
	s_barrier
	ds_read_b64 v[0:1], v24
	v_cmp_lt_u32_e32 vcc, 24, v26
	s_waitcnt lgkmcnt(0)
	buffer_store_dword v0, off, s[16:19], 0 offset:168 ; 4-byte Folded Spill
	s_nop 0
	buffer_store_dword v1, off, s[16:19], 0 offset:172 ; 4-byte Folded Spill
	s_and_saveexec_b64 s[2:3], vcc
	s_cbranch_execz .LBB107_126
; %bb.125:
	buffer_load_dword v0, off, s[16:19], 0 offset:168 ; 4-byte Folded Reload
	buffer_load_dword v1, off, s[16:19], 0 offset:172 ; 4-byte Folded Reload
	s_waitcnt vmcnt(0)
	v_mul_f64 v[192:193], v[0:1], v[192:193]
	ds_read2_b64 v[0:3], v25 offset0:25 offset1:26
	s_waitcnt lgkmcnt(0)
	v_fma_f64 v[138:139], -v[192:193], v[0:1], v[138:139]
	v_fma_f64 v[190:191], -v[192:193], v[2:3], v[190:191]
	ds_read2_b64 v[0:3], v25 offset0:27 offset1:28
	s_waitcnt lgkmcnt(0)
	v_fma_f64 v[136:137], -v[192:193], v[0:1], v[136:137]
	v_fma_f64 v[188:189], -v[192:193], v[2:3], v[188:189]
	ds_read2_b64 v[0:3], v25 offset0:29 offset1:30
	s_waitcnt lgkmcnt(0)
	v_fma_f64 v[134:135], -v[192:193], v[0:1], v[134:135]
	v_fma_f64 v[186:187], -v[192:193], v[2:3], v[186:187]
	ds_read2_b64 v[0:3], v25 offset0:31 offset1:32
	s_waitcnt lgkmcnt(0)
	v_fma_f64 v[132:133], -v[192:193], v[0:1], v[132:133]
	v_fma_f64 v[184:185], -v[192:193], v[2:3], v[184:185]
	ds_read2_b64 v[0:3], v25 offset0:33 offset1:34
	s_waitcnt lgkmcnt(0)
	v_fma_f64 v[130:131], -v[192:193], v[0:1], v[130:131]
	v_fma_f64 v[182:183], -v[192:193], v[2:3], v[182:183]
	ds_read2_b64 v[0:3], v25 offset0:35 offset1:36
	s_waitcnt lgkmcnt(0)
	v_fma_f64 v[128:129], -v[192:193], v[0:1], v[128:129]
	v_fma_f64 v[180:181], -v[192:193], v[2:3], v[180:181]
	ds_read2_b64 v[0:3], v25 offset0:37 offset1:38
	s_waitcnt lgkmcnt(0)
	v_fma_f64 v[126:127], -v[192:193], v[0:1], v[126:127]
	v_fma_f64 v[178:179], -v[192:193], v[2:3], v[178:179]
	ds_read2_b64 v[0:3], v25 offset0:39 offset1:40
	s_waitcnt lgkmcnt(0)
	v_fma_f64 v[124:125], -v[192:193], v[0:1], v[124:125]
	v_fma_f64 v[176:177], -v[192:193], v[2:3], v[176:177]
	ds_read2_b64 v[0:3], v25 offset0:41 offset1:42
	s_waitcnt lgkmcnt(0)
	v_fma_f64 v[122:123], -v[192:193], v[0:1], v[122:123]
	v_fma_f64 v[174:175], -v[192:193], v[2:3], v[174:175]
	ds_read2_b64 v[0:3], v25 offset0:43 offset1:44
	s_waitcnt lgkmcnt(0)
	v_fma_f64 v[120:121], -v[192:193], v[0:1], v[120:121]
	v_fma_f64 v[172:173], -v[192:193], v[2:3], v[172:173]
	ds_read2_b64 v[0:3], v25 offset0:45 offset1:46
	s_waitcnt lgkmcnt(0)
	v_fma_f64 v[118:119], -v[192:193], v[0:1], v[118:119]
	v_fma_f64 v[170:171], -v[192:193], v[2:3], v[170:171]
	ds_read2_b64 v[0:3], v25 offset0:47 offset1:48
	s_waitcnt lgkmcnt(0)
	v_fma_f64 v[116:117], -v[192:193], v[0:1], v[116:117]
	v_fma_f64 v[168:169], -v[192:193], v[2:3], v[168:169]
	ds_read2_b64 v[0:3], v25 offset0:49 offset1:50
	s_waitcnt lgkmcnt(0)
	v_fma_f64 v[114:115], -v[192:193], v[0:1], v[114:115]
	v_fma_f64 v[166:167], -v[192:193], v[2:3], v[166:167]
	ds_read2_b64 v[0:3], v25 offset0:51 offset1:52
	s_waitcnt lgkmcnt(0)
	v_fma_f64 v[112:113], -v[192:193], v[0:1], v[112:113]
	ds_read_b64 v[0:1], v25 offset:424
	v_fma_f64 v[164:165], -v[192:193], v[2:3], v[164:165]
	s_waitcnt lgkmcnt(0)
	v_fma_f64 v[216:217], -v[192:193], v[0:1], v[216:217]
.LBB107_126:
	s_or_b64 exec, exec, s[2:3]
	v_cmp_eq_u32_e32 vcc, 25, v26
	s_waitcnt vmcnt(63) expcnt(7) lgkmcnt(15)
	s_barrier
	s_and_saveexec_b64 s[2:3], vcc
	s_cbranch_execz .LBB107_129
; %bb.127:
	v_mov_b32_e32 v0, v190
	v_mov_b32_e32 v1, v191
	;; [unrolled: 1-line block ×4, first 2 shown]
	ds_write_b64 v24, v[138:139]
	ds_write2_b64 v25, v[0:1], v[2:3] offset0:26 offset1:27
	v_mov_b32_e32 v0, v188
	v_mov_b32_e32 v1, v189
	;; [unrolled: 1-line block ×4, first 2 shown]
	ds_write2_b64 v25, v[0:1], v[2:3] offset0:28 offset1:29
	v_mov_b32_e32 v0, v186
	v_mov_b32_e32 v1, v187
	s_waitcnt vmcnt(62)
	v_mov_b32_e32 v2, v132
	v_mov_b32_e32 v3, v133
	ds_write2_b64 v25, v[0:1], v[2:3] offset0:30 offset1:31
	s_waitcnt vmcnt(61)
	v_mov_b32_e32 v0, v184
	v_mov_b32_e32 v1, v185
	s_waitcnt vmcnt(60)
	v_mov_b32_e32 v2, v130
	v_mov_b32_e32 v3, v131
	ds_write2_b64 v25, v[0:1], v[2:3] offset0:32 offset1:33
	s_waitcnt vmcnt(59)
	;; [unrolled: 7-line block ×11, first 2 shown]
	v_mov_b32_e32 v0, v164
	v_mov_b32_e32 v1, v165
	s_waitcnt vmcnt(38)
	ds_write2_b64 v25, v[0:1], v[216:217] offset0:52 offset1:53
	ds_read_b64 v[0:1], v24
	s_waitcnt lgkmcnt(0)
	v_cmp_neq_f64_e32 vcc, 0, v[0:1]
	s_and_b64 exec, exec, vcc
	s_cbranch_execz .LBB107_129
; %bb.128:
	v_div_scale_f64 v[2:3], s[6:7], v[0:1], v[0:1], 1.0
	v_rcp_f64_e32 v[4:5], v[2:3]
	v_div_scale_f64 v[6:7], vcc, 1.0, v[0:1], 1.0
	v_fma_f64 v[8:9], -v[2:3], v[4:5], 1.0
	v_fmac_f64_e32 v[4:5], v[4:5], v[8:9]
	v_fma_f64 v[8:9], -v[2:3], v[4:5], 1.0
	v_fmac_f64_e32 v[4:5], v[4:5], v[8:9]
	v_mul_f64 v[8:9], v[6:7], v[4:5]
	v_fma_f64 v[2:3], -v[2:3], v[8:9], v[6:7]
	v_div_fmas_f64 v[2:3], v[2:3], v[4:5], v[8:9]
	v_div_fixup_f64 v[0:1], v[2:3], v[0:1], 1.0
	ds_write_b64 v24, v[0:1]
.LBB107_129:
	s_or_b64 exec, exec, s[2:3]
	s_waitcnt lgkmcnt(0)
	s_barrier
	ds_read_b64 v[0:1], v24
	v_cmp_lt_u32_e32 vcc, 25, v26
	s_waitcnt lgkmcnt(0)
	buffer_store_dword v0, off, s[16:19], 0 offset:176 ; 4-byte Folded Spill
	s_nop 0
	buffer_store_dword v1, off, s[16:19], 0 offset:180 ; 4-byte Folded Spill
	s_and_saveexec_b64 s[2:3], vcc
	s_cbranch_execz .LBB107_131
; %bb.130:
	buffer_load_dword v0, off, s[16:19], 0 offset:176 ; 4-byte Folded Reload
	buffer_load_dword v1, off, s[16:19], 0 offset:180 ; 4-byte Folded Reload
	s_waitcnt vmcnt(0)
	v_mul_f64 v[138:139], v[0:1], v[138:139]
	ds_read2_b64 v[0:3], v25 offset0:26 offset1:27
	s_waitcnt lgkmcnt(0)
	v_fma_f64 v[190:191], -v[138:139], v[0:1], v[190:191]
	v_fma_f64 v[136:137], -v[138:139], v[2:3], v[136:137]
	ds_read2_b64 v[0:3], v25 offset0:28 offset1:29
	s_waitcnt lgkmcnt(0)
	v_fma_f64 v[188:189], -v[138:139], v[0:1], v[188:189]
	v_fma_f64 v[134:135], -v[138:139], v[2:3], v[134:135]
	;; [unrolled: 4-line block ×14, first 2 shown]
.LBB107_131:
	s_or_b64 exec, exec, s[2:3]
	v_cmp_eq_u32_e32 vcc, 26, v26
	s_waitcnt vmcnt(63) expcnt(7) lgkmcnt(15)
	s_barrier
	s_and_saveexec_b64 s[2:3], vcc
	s_cbranch_execz .LBB107_134
; %bb.132:
	ds_write_b64 v24, v[190:191]
	ds_write2_b64 v25, v[136:137], v[188:189] offset0:27 offset1:28
	ds_write2_b64 v25, v[134:135], v[186:187] offset0:29 offset1:30
	;; [unrolled: 1-line block ×3, first 2 shown]
	s_waitcnt vmcnt(61)
	ds_write2_b64 v25, v[130:131], v[182:183] offset0:33 offset1:34
	s_waitcnt vmcnt(59)
	ds_write2_b64 v25, v[128:129], v[180:181] offset0:35 offset1:36
	;; [unrolled: 2-line block ×10, first 2 shown]
	s_waitcnt vmcnt(40)
	ds_write_b64 v25, v[216:217] offset:424
	ds_read_b64 v[0:1], v24
	s_waitcnt lgkmcnt(0)
	v_cmp_neq_f64_e32 vcc, 0, v[0:1]
	s_and_b64 exec, exec, vcc
	s_cbranch_execz .LBB107_134
; %bb.133:
	v_div_scale_f64 v[2:3], s[6:7], v[0:1], v[0:1], 1.0
	v_rcp_f64_e32 v[4:5], v[2:3]
	v_div_scale_f64 v[6:7], vcc, 1.0, v[0:1], 1.0
	v_fma_f64 v[8:9], -v[2:3], v[4:5], 1.0
	v_fmac_f64_e32 v[4:5], v[4:5], v[8:9]
	v_fma_f64 v[8:9], -v[2:3], v[4:5], 1.0
	v_fmac_f64_e32 v[4:5], v[4:5], v[8:9]
	v_mul_f64 v[8:9], v[6:7], v[4:5]
	v_fma_f64 v[2:3], -v[2:3], v[8:9], v[6:7]
	v_div_fmas_f64 v[2:3], v[2:3], v[4:5], v[8:9]
	v_div_fixup_f64 v[0:1], v[2:3], v[0:1], 1.0
	ds_write_b64 v24, v[0:1]
.LBB107_134:
	s_or_b64 exec, exec, s[2:3]
	s_waitcnt lgkmcnt(0)
	s_barrier
	ds_read_b64 v[0:1], v24
	v_cmp_lt_u32_e32 vcc, 26, v26
	s_waitcnt lgkmcnt(0)
	buffer_store_dword v0, off, s[16:19], 0 offset:184 ; 4-byte Folded Spill
	s_nop 0
	buffer_store_dword v1, off, s[16:19], 0 offset:188 ; 4-byte Folded Spill
	s_and_saveexec_b64 s[2:3], vcc
	s_cbranch_execz .LBB107_136
; %bb.135:
	buffer_load_dword v0, off, s[16:19], 0 offset:184 ; 4-byte Folded Reload
	buffer_load_dword v1, off, s[16:19], 0 offset:188 ; 4-byte Folded Reload
	s_waitcnt vmcnt(0)
	v_mul_f64 v[190:191], v[0:1], v[190:191]
	ds_read2_b64 v[0:3], v25 offset0:27 offset1:28
	s_waitcnt lgkmcnt(0)
	v_fma_f64 v[136:137], -v[190:191], v[0:1], v[136:137]
	v_fma_f64 v[188:189], -v[190:191], v[2:3], v[188:189]
	ds_read2_b64 v[0:3], v25 offset0:29 offset1:30
	s_waitcnt lgkmcnt(0)
	v_fma_f64 v[134:135], -v[190:191], v[0:1], v[134:135]
	v_fma_f64 v[186:187], -v[190:191], v[2:3], v[186:187]
	;; [unrolled: 4-line block ×12, first 2 shown]
	ds_read2_b64 v[0:3], v25 offset0:51 offset1:52
	s_waitcnt lgkmcnt(0)
	v_fma_f64 v[112:113], -v[190:191], v[0:1], v[112:113]
	ds_read_b64 v[0:1], v25 offset:424
	v_fma_f64 v[164:165], -v[190:191], v[2:3], v[164:165]
	s_waitcnt lgkmcnt(0)
	v_fma_f64 v[216:217], -v[190:191], v[0:1], v[216:217]
.LBB107_136:
	s_or_b64 exec, exec, s[2:3]
	v_cmp_eq_u32_e32 vcc, 27, v26
	s_waitcnt vmcnt(63) expcnt(7) lgkmcnt(15)
	s_barrier
	s_and_saveexec_b64 s[2:3], vcc
	s_cbranch_execz .LBB107_139
; %bb.137:
	v_mov_b32_e32 v0, v188
	v_mov_b32_e32 v1, v189
	;; [unrolled: 1-line block ×4, first 2 shown]
	ds_write_b64 v24, v[136:137]
	ds_write2_b64 v25, v[0:1], v[2:3] offset0:28 offset1:29
	v_mov_b32_e32 v0, v186
	v_mov_b32_e32 v1, v187
	;; [unrolled: 1-line block ×4, first 2 shown]
	ds_write2_b64 v25, v[0:1], v[2:3] offset0:30 offset1:31
	v_mov_b32_e32 v0, v184
	v_mov_b32_e32 v1, v185
	;; [unrolled: 1-line block ×4, first 2 shown]
	ds_write2_b64 v25, v[0:1], v[2:3] offset0:32 offset1:33
	v_mov_b32_e32 v0, v182
	v_mov_b32_e32 v1, v183
	s_waitcnt vmcnt(62)
	v_mov_b32_e32 v2, v128
	v_mov_b32_e32 v3, v129
	ds_write2_b64 v25, v[0:1], v[2:3] offset0:34 offset1:35
	s_waitcnt vmcnt(61)
	v_mov_b32_e32 v0, v180
	v_mov_b32_e32 v1, v181
	s_waitcnt vmcnt(60)
	v_mov_b32_e32 v2, v126
	v_mov_b32_e32 v3, v127
	ds_write2_b64 v25, v[0:1], v[2:3] offset0:36 offset1:37
	s_waitcnt vmcnt(59)
	;; [unrolled: 7-line block ×9, first 2 shown]
	v_mov_b32_e32 v0, v164
	v_mov_b32_e32 v1, v165
	s_waitcnt vmcnt(42)
	ds_write2_b64 v25, v[0:1], v[216:217] offset0:52 offset1:53
	ds_read_b64 v[0:1], v24
	s_waitcnt lgkmcnt(0)
	v_cmp_neq_f64_e32 vcc, 0, v[0:1]
	s_and_b64 exec, exec, vcc
	s_cbranch_execz .LBB107_139
; %bb.138:
	v_div_scale_f64 v[2:3], s[6:7], v[0:1], v[0:1], 1.0
	v_rcp_f64_e32 v[4:5], v[2:3]
	v_div_scale_f64 v[6:7], vcc, 1.0, v[0:1], 1.0
	v_fma_f64 v[8:9], -v[2:3], v[4:5], 1.0
	v_fmac_f64_e32 v[4:5], v[4:5], v[8:9]
	v_fma_f64 v[8:9], -v[2:3], v[4:5], 1.0
	v_fmac_f64_e32 v[4:5], v[4:5], v[8:9]
	v_mul_f64 v[8:9], v[6:7], v[4:5]
	v_fma_f64 v[2:3], -v[2:3], v[8:9], v[6:7]
	v_div_fmas_f64 v[2:3], v[2:3], v[4:5], v[8:9]
	v_div_fixup_f64 v[0:1], v[2:3], v[0:1], 1.0
	ds_write_b64 v24, v[0:1]
.LBB107_139:
	s_or_b64 exec, exec, s[2:3]
	s_waitcnt lgkmcnt(0)
	s_barrier
	ds_read_b64 v[0:1], v24
	v_cmp_lt_u32_e32 vcc, 27, v26
	s_waitcnt lgkmcnt(0)
	buffer_store_dword v0, off, s[16:19], 0 offset:192 ; 4-byte Folded Spill
	s_nop 0
	buffer_store_dword v1, off, s[16:19], 0 offset:196 ; 4-byte Folded Spill
	s_and_saveexec_b64 s[2:3], vcc
	s_cbranch_execz .LBB107_141
; %bb.140:
	buffer_load_dword v0, off, s[16:19], 0 offset:192 ; 4-byte Folded Reload
	buffer_load_dword v1, off, s[16:19], 0 offset:196 ; 4-byte Folded Reload
	s_waitcnt vmcnt(0)
	v_mul_f64 v[136:137], v[0:1], v[136:137]
	ds_read2_b64 v[0:3], v25 offset0:28 offset1:29
	s_waitcnt lgkmcnt(0)
	v_fma_f64 v[188:189], -v[136:137], v[0:1], v[188:189]
	v_fma_f64 v[134:135], -v[136:137], v[2:3], v[134:135]
	ds_read2_b64 v[0:3], v25 offset0:30 offset1:31
	s_waitcnt lgkmcnt(0)
	v_fma_f64 v[186:187], -v[136:137], v[0:1], v[186:187]
	v_fma_f64 v[132:133], -v[136:137], v[2:3], v[132:133]
	;; [unrolled: 4-line block ×13, first 2 shown]
.LBB107_141:
	s_or_b64 exec, exec, s[2:3]
	v_cmp_eq_u32_e32 vcc, 28, v26
	s_waitcnt vmcnt(63) expcnt(7) lgkmcnt(15)
	s_barrier
	s_and_saveexec_b64 s[2:3], vcc
	s_cbranch_execz .LBB107_144
; %bb.142:
	ds_write_b64 v24, v[188:189]
	ds_write2_b64 v25, v[134:135], v[186:187] offset0:29 offset1:30
	ds_write2_b64 v25, v[132:133], v[184:185] offset0:31 offset1:32
	;; [unrolled: 1-line block ×4, first 2 shown]
	s_waitcnt vmcnt(61)
	ds_write2_b64 v25, v[126:127], v[178:179] offset0:37 offset1:38
	s_waitcnt vmcnt(59)
	ds_write2_b64 v25, v[124:125], v[176:177] offset0:39 offset1:40
	;; [unrolled: 2-line block ×8, first 2 shown]
	s_waitcnt vmcnt(44)
	ds_write_b64 v25, v[216:217] offset:424
	ds_read_b64 v[0:1], v24
	s_waitcnt lgkmcnt(0)
	v_cmp_neq_f64_e32 vcc, 0, v[0:1]
	s_and_b64 exec, exec, vcc
	s_cbranch_execz .LBB107_144
; %bb.143:
	v_div_scale_f64 v[2:3], s[6:7], v[0:1], v[0:1], 1.0
	v_rcp_f64_e32 v[4:5], v[2:3]
	v_div_scale_f64 v[6:7], vcc, 1.0, v[0:1], 1.0
	v_fma_f64 v[8:9], -v[2:3], v[4:5], 1.0
	v_fmac_f64_e32 v[4:5], v[4:5], v[8:9]
	v_fma_f64 v[8:9], -v[2:3], v[4:5], 1.0
	v_fmac_f64_e32 v[4:5], v[4:5], v[8:9]
	v_mul_f64 v[8:9], v[6:7], v[4:5]
	v_fma_f64 v[2:3], -v[2:3], v[8:9], v[6:7]
	v_div_fmas_f64 v[2:3], v[2:3], v[4:5], v[8:9]
	v_div_fixup_f64 v[0:1], v[2:3], v[0:1], 1.0
	ds_write_b64 v24, v[0:1]
.LBB107_144:
	s_or_b64 exec, exec, s[2:3]
	s_waitcnt lgkmcnt(0)
	s_barrier
	ds_read_b64 v[0:1], v24
	v_cmp_lt_u32_e32 vcc, 28, v26
	s_waitcnt lgkmcnt(0)
	buffer_store_dword v0, off, s[16:19], 0 offset:200 ; 4-byte Folded Spill
	s_nop 0
	buffer_store_dword v1, off, s[16:19], 0 offset:204 ; 4-byte Folded Spill
	s_and_saveexec_b64 s[2:3], vcc
	s_cbranch_execz .LBB107_146
; %bb.145:
	buffer_load_dword v0, off, s[16:19], 0 offset:200 ; 4-byte Folded Reload
	buffer_load_dword v1, off, s[16:19], 0 offset:204 ; 4-byte Folded Reload
	s_waitcnt vmcnt(0)
	v_mul_f64 v[188:189], v[0:1], v[188:189]
	ds_read2_b64 v[0:3], v25 offset0:29 offset1:30
	s_waitcnt lgkmcnt(0)
	v_fma_f64 v[134:135], -v[188:189], v[0:1], v[134:135]
	v_fma_f64 v[186:187], -v[188:189], v[2:3], v[186:187]
	ds_read2_b64 v[0:3], v25 offset0:31 offset1:32
	s_waitcnt lgkmcnt(0)
	v_fma_f64 v[132:133], -v[188:189], v[0:1], v[132:133]
	v_fma_f64 v[184:185], -v[188:189], v[2:3], v[184:185]
	;; [unrolled: 4-line block ×11, first 2 shown]
	ds_read2_b64 v[0:3], v25 offset0:51 offset1:52
	s_waitcnt lgkmcnt(0)
	v_fma_f64 v[112:113], -v[188:189], v[0:1], v[112:113]
	ds_read_b64 v[0:1], v25 offset:424
	v_fma_f64 v[164:165], -v[188:189], v[2:3], v[164:165]
	s_waitcnt lgkmcnt(0)
	v_fma_f64 v[216:217], -v[188:189], v[0:1], v[216:217]
.LBB107_146:
	s_or_b64 exec, exec, s[2:3]
	v_cmp_eq_u32_e32 vcc, 29, v26
	s_waitcnt vmcnt(63) expcnt(7) lgkmcnt(15)
	s_barrier
	s_and_saveexec_b64 s[2:3], vcc
	s_cbranch_execz .LBB107_149
; %bb.147:
	v_mov_b32_e32 v0, v186
	v_mov_b32_e32 v1, v187
	;; [unrolled: 1-line block ×4, first 2 shown]
	ds_write_b64 v24, v[134:135]
	ds_write2_b64 v25, v[0:1], v[2:3] offset0:30 offset1:31
	v_mov_b32_e32 v0, v184
	v_mov_b32_e32 v1, v185
	v_mov_b32_e32 v2, v130
	v_mov_b32_e32 v3, v131
	ds_write2_b64 v25, v[0:1], v[2:3] offset0:32 offset1:33
	v_mov_b32_e32 v0, v182
	v_mov_b32_e32 v1, v183
	v_mov_b32_e32 v2, v128
	v_mov_b32_e32 v3, v129
	;; [unrolled: 5-line block ×3, first 2 shown]
	ds_write2_b64 v25, v[0:1], v[2:3] offset0:36 offset1:37
	v_mov_b32_e32 v0, v178
	v_mov_b32_e32 v1, v179
	s_waitcnt vmcnt(62)
	v_mov_b32_e32 v2, v124
	v_mov_b32_e32 v3, v125
	ds_write2_b64 v25, v[0:1], v[2:3] offset0:38 offset1:39
	s_waitcnt vmcnt(61)
	v_mov_b32_e32 v0, v176
	v_mov_b32_e32 v1, v177
	s_waitcnt vmcnt(60)
	v_mov_b32_e32 v2, v122
	v_mov_b32_e32 v3, v123
	ds_write2_b64 v25, v[0:1], v[2:3] offset0:40 offset1:41
	s_waitcnt vmcnt(59)
	;; [unrolled: 7-line block ×7, first 2 shown]
	v_mov_b32_e32 v0, v164
	v_mov_b32_e32 v1, v165
	s_waitcnt vmcnt(46)
	ds_write2_b64 v25, v[0:1], v[216:217] offset0:52 offset1:53
	ds_read_b64 v[0:1], v24
	s_waitcnt lgkmcnt(0)
	v_cmp_neq_f64_e32 vcc, 0, v[0:1]
	s_and_b64 exec, exec, vcc
	s_cbranch_execz .LBB107_149
; %bb.148:
	v_div_scale_f64 v[2:3], s[6:7], v[0:1], v[0:1], 1.0
	v_rcp_f64_e32 v[4:5], v[2:3]
	v_div_scale_f64 v[6:7], vcc, 1.0, v[0:1], 1.0
	v_fma_f64 v[8:9], -v[2:3], v[4:5], 1.0
	v_fmac_f64_e32 v[4:5], v[4:5], v[8:9]
	v_fma_f64 v[8:9], -v[2:3], v[4:5], 1.0
	v_fmac_f64_e32 v[4:5], v[4:5], v[8:9]
	v_mul_f64 v[8:9], v[6:7], v[4:5]
	v_fma_f64 v[2:3], -v[2:3], v[8:9], v[6:7]
	v_div_fmas_f64 v[2:3], v[2:3], v[4:5], v[8:9]
	v_div_fixup_f64 v[0:1], v[2:3], v[0:1], 1.0
	ds_write_b64 v24, v[0:1]
.LBB107_149:
	s_or_b64 exec, exec, s[2:3]
	s_waitcnt lgkmcnt(0)
	s_barrier
	ds_read_b64 v[0:1], v24
	v_cmp_lt_u32_e32 vcc, 29, v26
	s_waitcnt lgkmcnt(0)
	buffer_store_dword v0, off, s[16:19], 0 offset:208 ; 4-byte Folded Spill
	s_nop 0
	buffer_store_dword v1, off, s[16:19], 0 offset:212 ; 4-byte Folded Spill
	s_and_saveexec_b64 s[2:3], vcc
	s_cbranch_execz .LBB107_151
; %bb.150:
	buffer_load_dword v0, off, s[16:19], 0 offset:208 ; 4-byte Folded Reload
	buffer_load_dword v1, off, s[16:19], 0 offset:212 ; 4-byte Folded Reload
	s_waitcnt vmcnt(0)
	v_mul_f64 v[134:135], v[0:1], v[134:135]
	ds_read2_b64 v[0:3], v25 offset0:30 offset1:31
	s_waitcnt lgkmcnt(0)
	v_fma_f64 v[186:187], -v[134:135], v[0:1], v[186:187]
	v_fma_f64 v[132:133], -v[134:135], v[2:3], v[132:133]
	ds_read2_b64 v[0:3], v25 offset0:32 offset1:33
	s_waitcnt lgkmcnt(0)
	v_fma_f64 v[184:185], -v[134:135], v[0:1], v[184:185]
	v_fma_f64 v[130:131], -v[134:135], v[2:3], v[130:131]
	;; [unrolled: 4-line block ×12, first 2 shown]
.LBB107_151:
	s_or_b64 exec, exec, s[2:3]
	v_cmp_eq_u32_e32 vcc, 30, v26
	s_waitcnt vmcnt(63) expcnt(7) lgkmcnt(15)
	s_barrier
	s_and_saveexec_b64 s[2:3], vcc
	s_cbranch_execz .LBB107_154
; %bb.152:
	ds_write_b64 v24, v[186:187]
	ds_write2_b64 v25, v[132:133], v[184:185] offset0:31 offset1:32
	ds_write2_b64 v25, v[130:131], v[182:183] offset0:33 offset1:34
	;; [unrolled: 1-line block ×5, first 2 shown]
	s_waitcnt vmcnt(61)
	ds_write2_b64 v25, v[122:123], v[174:175] offset0:41 offset1:42
	s_waitcnt vmcnt(59)
	ds_write2_b64 v25, v[120:121], v[172:173] offset0:43 offset1:44
	;; [unrolled: 2-line block ×6, first 2 shown]
	s_waitcnt vmcnt(48)
	ds_write_b64 v25, v[216:217] offset:424
	ds_read_b64 v[0:1], v24
	s_waitcnt lgkmcnt(0)
	v_cmp_neq_f64_e32 vcc, 0, v[0:1]
	s_and_b64 exec, exec, vcc
	s_cbranch_execz .LBB107_154
; %bb.153:
	v_div_scale_f64 v[2:3], s[6:7], v[0:1], v[0:1], 1.0
	v_rcp_f64_e32 v[4:5], v[2:3]
	v_div_scale_f64 v[6:7], vcc, 1.0, v[0:1], 1.0
	v_fma_f64 v[8:9], -v[2:3], v[4:5], 1.0
	v_fmac_f64_e32 v[4:5], v[4:5], v[8:9]
	v_fma_f64 v[8:9], -v[2:3], v[4:5], 1.0
	v_fmac_f64_e32 v[4:5], v[4:5], v[8:9]
	v_mul_f64 v[8:9], v[6:7], v[4:5]
	v_fma_f64 v[2:3], -v[2:3], v[8:9], v[6:7]
	v_div_fmas_f64 v[2:3], v[2:3], v[4:5], v[8:9]
	v_div_fixup_f64 v[0:1], v[2:3], v[0:1], 1.0
	ds_write_b64 v24, v[0:1]
.LBB107_154:
	s_or_b64 exec, exec, s[2:3]
	s_waitcnt lgkmcnt(0)
	s_barrier
	ds_read_b64 v[0:1], v24
	v_cmp_lt_u32_e32 vcc, 30, v26
	s_waitcnt lgkmcnt(0)
	buffer_store_dword v0, off, s[16:19], 0 offset:216 ; 4-byte Folded Spill
	s_nop 0
	buffer_store_dword v1, off, s[16:19], 0 offset:220 ; 4-byte Folded Spill
	s_and_saveexec_b64 s[2:3], vcc
	s_cbranch_execz .LBB107_156
; %bb.155:
	buffer_load_dword v0, off, s[16:19], 0 offset:216 ; 4-byte Folded Reload
	buffer_load_dword v1, off, s[16:19], 0 offset:220 ; 4-byte Folded Reload
	s_waitcnt vmcnt(0)
	v_mul_f64 v[186:187], v[0:1], v[186:187]
	ds_read2_b64 v[0:3], v25 offset0:31 offset1:32
	s_waitcnt lgkmcnt(0)
	v_fma_f64 v[132:133], -v[186:187], v[0:1], v[132:133]
	v_fma_f64 v[184:185], -v[186:187], v[2:3], v[184:185]
	ds_read2_b64 v[0:3], v25 offset0:33 offset1:34
	s_waitcnt lgkmcnt(0)
	v_fma_f64 v[130:131], -v[186:187], v[0:1], v[130:131]
	v_fma_f64 v[182:183], -v[186:187], v[2:3], v[182:183]
	;; [unrolled: 4-line block ×10, first 2 shown]
	ds_read2_b64 v[0:3], v25 offset0:51 offset1:52
	s_waitcnt lgkmcnt(0)
	v_fma_f64 v[112:113], -v[186:187], v[0:1], v[112:113]
	ds_read_b64 v[0:1], v25 offset:424
	v_fma_f64 v[164:165], -v[186:187], v[2:3], v[164:165]
	s_waitcnt lgkmcnt(0)
	v_fma_f64 v[216:217], -v[186:187], v[0:1], v[216:217]
.LBB107_156:
	s_or_b64 exec, exec, s[2:3]
	v_cmp_eq_u32_e32 vcc, 31, v26
	s_waitcnt vmcnt(63) expcnt(7) lgkmcnt(15)
	s_barrier
	s_and_saveexec_b64 s[2:3], vcc
	s_cbranch_execz .LBB107_159
; %bb.157:
	v_mov_b32_e32 v0, v184
	v_mov_b32_e32 v1, v185
	;; [unrolled: 1-line block ×4, first 2 shown]
	ds_write_b64 v24, v[132:133]
	ds_write2_b64 v25, v[0:1], v[2:3] offset0:32 offset1:33
	v_mov_b32_e32 v0, v182
	v_mov_b32_e32 v1, v183
	v_mov_b32_e32 v2, v128
	v_mov_b32_e32 v3, v129
	ds_write2_b64 v25, v[0:1], v[2:3] offset0:34 offset1:35
	v_mov_b32_e32 v0, v180
	v_mov_b32_e32 v1, v181
	v_mov_b32_e32 v2, v126
	v_mov_b32_e32 v3, v127
	ds_write2_b64 v25, v[0:1], v[2:3] offset0:36 offset1:37
	v_mov_b32_e32 v0, v178
	v_mov_b32_e32 v1, v179
	v_mov_b32_e32 v2, v124
	v_mov_b32_e32 v3, v125
	ds_write2_b64 v25, v[0:1], v[2:3] offset0:38 offset1:39
	v_mov_b32_e32 v0, v176
	v_mov_b32_e32 v1, v177
	v_mov_b32_e32 v2, v122
	v_mov_b32_e32 v3, v123
	ds_write2_b64 v25, v[0:1], v[2:3] offset0:40 offset1:41
	v_mov_b32_e32 v0, v174
	v_mov_b32_e32 v1, v175
	s_waitcnt vmcnt(62)
	v_mov_b32_e32 v2, v120
	v_mov_b32_e32 v3, v121
	ds_write2_b64 v25, v[0:1], v[2:3] offset0:42 offset1:43
	s_waitcnt vmcnt(61)
	v_mov_b32_e32 v0, v172
	v_mov_b32_e32 v1, v173
	s_waitcnt vmcnt(60)
	v_mov_b32_e32 v2, v118
	v_mov_b32_e32 v3, v119
	ds_write2_b64 v25, v[0:1], v[2:3] offset0:44 offset1:45
	s_waitcnt vmcnt(59)
	;; [unrolled: 7-line block ×5, first 2 shown]
	v_mov_b32_e32 v0, v164
	v_mov_b32_e32 v1, v165
	s_waitcnt vmcnt(50)
	ds_write2_b64 v25, v[0:1], v[216:217] offset0:52 offset1:53
	ds_read_b64 v[0:1], v24
	s_waitcnt lgkmcnt(0)
	v_cmp_neq_f64_e32 vcc, 0, v[0:1]
	s_and_b64 exec, exec, vcc
	s_cbranch_execz .LBB107_159
; %bb.158:
	v_div_scale_f64 v[2:3], s[6:7], v[0:1], v[0:1], 1.0
	v_rcp_f64_e32 v[4:5], v[2:3]
	v_div_scale_f64 v[6:7], vcc, 1.0, v[0:1], 1.0
	v_fma_f64 v[8:9], -v[2:3], v[4:5], 1.0
	v_fmac_f64_e32 v[4:5], v[4:5], v[8:9]
	v_fma_f64 v[8:9], -v[2:3], v[4:5], 1.0
	v_fmac_f64_e32 v[4:5], v[4:5], v[8:9]
	v_mul_f64 v[8:9], v[6:7], v[4:5]
	v_fma_f64 v[2:3], -v[2:3], v[8:9], v[6:7]
	v_div_fmas_f64 v[2:3], v[2:3], v[4:5], v[8:9]
	v_div_fixup_f64 v[0:1], v[2:3], v[0:1], 1.0
	ds_write_b64 v24, v[0:1]
.LBB107_159:
	s_or_b64 exec, exec, s[2:3]
	s_waitcnt lgkmcnt(0)
	s_barrier
	ds_read_b64 v[0:1], v24
	v_cmp_lt_u32_e32 vcc, 31, v26
	s_waitcnt lgkmcnt(0)
	buffer_store_dword v0, off, s[16:19], 0 offset:224 ; 4-byte Folded Spill
	s_nop 0
	buffer_store_dword v1, off, s[16:19], 0 offset:228 ; 4-byte Folded Spill
	s_and_saveexec_b64 s[2:3], vcc
	s_cbranch_execz .LBB107_161
; %bb.160:
	buffer_load_dword v0, off, s[16:19], 0 offset:224 ; 4-byte Folded Reload
	buffer_load_dword v1, off, s[16:19], 0 offset:228 ; 4-byte Folded Reload
	s_waitcnt vmcnt(0)
	v_mul_f64 v[132:133], v[0:1], v[132:133]
	ds_read2_b64 v[0:3], v25 offset0:32 offset1:33
	s_waitcnt lgkmcnt(0)
	v_fma_f64 v[184:185], -v[132:133], v[0:1], v[184:185]
	v_fma_f64 v[130:131], -v[132:133], v[2:3], v[130:131]
	ds_read2_b64 v[0:3], v25 offset0:34 offset1:35
	s_waitcnt lgkmcnt(0)
	v_fma_f64 v[182:183], -v[132:133], v[0:1], v[182:183]
	v_fma_f64 v[128:129], -v[132:133], v[2:3], v[128:129]
	;; [unrolled: 4-line block ×11, first 2 shown]
.LBB107_161:
	s_or_b64 exec, exec, s[2:3]
	v_cmp_eq_u32_e32 vcc, 32, v26
	s_waitcnt vmcnt(63) expcnt(7) lgkmcnt(15)
	s_barrier
	s_and_saveexec_b64 s[2:3], vcc
	s_cbranch_execz .LBB107_164
; %bb.162:
	ds_write_b64 v24, v[184:185]
	ds_write2_b64 v25, v[130:131], v[182:183] offset0:33 offset1:34
	ds_write2_b64 v25, v[128:129], v[180:181] offset0:35 offset1:36
	;; [unrolled: 1-line block ×6, first 2 shown]
	s_waitcnt vmcnt(61)
	ds_write2_b64 v25, v[118:119], v[170:171] offset0:45 offset1:46
	s_waitcnt vmcnt(59)
	ds_write2_b64 v25, v[116:117], v[168:169] offset0:47 offset1:48
	;; [unrolled: 2-line block ×4, first 2 shown]
	s_waitcnt vmcnt(52)
	ds_write_b64 v25, v[216:217] offset:424
	ds_read_b64 v[0:1], v24
	s_waitcnt lgkmcnt(0)
	v_cmp_neq_f64_e32 vcc, 0, v[0:1]
	s_and_b64 exec, exec, vcc
	s_cbranch_execz .LBB107_164
; %bb.163:
	v_div_scale_f64 v[2:3], s[6:7], v[0:1], v[0:1], 1.0
	v_rcp_f64_e32 v[4:5], v[2:3]
	v_div_scale_f64 v[6:7], vcc, 1.0, v[0:1], 1.0
	v_fma_f64 v[8:9], -v[2:3], v[4:5], 1.0
	v_fmac_f64_e32 v[4:5], v[4:5], v[8:9]
	v_fma_f64 v[8:9], -v[2:3], v[4:5], 1.0
	v_fmac_f64_e32 v[4:5], v[4:5], v[8:9]
	v_mul_f64 v[8:9], v[6:7], v[4:5]
	v_fma_f64 v[2:3], -v[2:3], v[8:9], v[6:7]
	v_div_fmas_f64 v[2:3], v[2:3], v[4:5], v[8:9]
	v_div_fixup_f64 v[0:1], v[2:3], v[0:1], 1.0
	ds_write_b64 v24, v[0:1]
.LBB107_164:
	s_or_b64 exec, exec, s[2:3]
	s_waitcnt lgkmcnt(0)
	s_barrier
	ds_read_b64 v[0:1], v24
	v_cmp_lt_u32_e32 vcc, 32, v26
	s_waitcnt lgkmcnt(0)
	buffer_store_dword v0, off, s[16:19], 0 offset:232 ; 4-byte Folded Spill
	s_nop 0
	buffer_store_dword v1, off, s[16:19], 0 offset:236 ; 4-byte Folded Spill
	s_and_saveexec_b64 s[2:3], vcc
	s_cbranch_execz .LBB107_166
; %bb.165:
	buffer_load_dword v0, off, s[16:19], 0 offset:232 ; 4-byte Folded Reload
	buffer_load_dword v1, off, s[16:19], 0 offset:236 ; 4-byte Folded Reload
	s_waitcnt vmcnt(0)
	v_mul_f64 v[184:185], v[0:1], v[184:185]
	ds_read2_b64 v[0:3], v25 offset0:33 offset1:34
	s_waitcnt lgkmcnt(0)
	v_fma_f64 v[130:131], -v[184:185], v[0:1], v[130:131]
	v_fma_f64 v[182:183], -v[184:185], v[2:3], v[182:183]
	ds_read2_b64 v[0:3], v25 offset0:35 offset1:36
	s_waitcnt lgkmcnt(0)
	v_fma_f64 v[128:129], -v[184:185], v[0:1], v[128:129]
	v_fma_f64 v[180:181], -v[184:185], v[2:3], v[180:181]
	;; [unrolled: 4-line block ×9, first 2 shown]
	ds_read2_b64 v[0:3], v25 offset0:51 offset1:52
	s_waitcnt lgkmcnt(0)
	v_fma_f64 v[112:113], -v[184:185], v[0:1], v[112:113]
	ds_read_b64 v[0:1], v25 offset:424
	v_fma_f64 v[164:165], -v[184:185], v[2:3], v[164:165]
	s_waitcnt lgkmcnt(0)
	v_fma_f64 v[216:217], -v[184:185], v[0:1], v[216:217]
.LBB107_166:
	s_or_b64 exec, exec, s[2:3]
	v_cmp_eq_u32_e32 vcc, 33, v26
	s_waitcnt vmcnt(63) expcnt(7) lgkmcnt(15)
	s_barrier
	s_and_saveexec_b64 s[2:3], vcc
	s_cbranch_execz .LBB107_169
; %bb.167:
	v_mov_b32_e32 v0, v182
	v_mov_b32_e32 v1, v183
	;; [unrolled: 1-line block ×4, first 2 shown]
	ds_write_b64 v24, v[130:131]
	ds_write2_b64 v25, v[0:1], v[2:3] offset0:34 offset1:35
	v_mov_b32_e32 v0, v180
	v_mov_b32_e32 v1, v181
	v_mov_b32_e32 v2, v126
	v_mov_b32_e32 v3, v127
	ds_write2_b64 v25, v[0:1], v[2:3] offset0:36 offset1:37
	v_mov_b32_e32 v0, v178
	v_mov_b32_e32 v1, v179
	v_mov_b32_e32 v2, v124
	v_mov_b32_e32 v3, v125
	;; [unrolled: 5-line block ×5, first 2 shown]
	ds_write2_b64 v25, v[0:1], v[2:3] offset0:44 offset1:45
	v_mov_b32_e32 v0, v170
	v_mov_b32_e32 v1, v171
	s_waitcnt vmcnt(62)
	v_mov_b32_e32 v2, v116
	v_mov_b32_e32 v3, v117
	ds_write2_b64 v25, v[0:1], v[2:3] offset0:46 offset1:47
	s_waitcnt vmcnt(61)
	v_mov_b32_e32 v0, v168
	v_mov_b32_e32 v1, v169
	s_waitcnt vmcnt(60)
	v_mov_b32_e32 v2, v114
	v_mov_b32_e32 v3, v115
	ds_write2_b64 v25, v[0:1], v[2:3] offset0:48 offset1:49
	s_waitcnt vmcnt(59)
	;; [unrolled: 7-line block ×3, first 2 shown]
	v_mov_b32_e32 v0, v164
	v_mov_b32_e32 v1, v165
	s_waitcnt vmcnt(54)
	ds_write2_b64 v25, v[0:1], v[216:217] offset0:52 offset1:53
	ds_read_b64 v[0:1], v24
	s_waitcnt lgkmcnt(0)
	v_cmp_neq_f64_e32 vcc, 0, v[0:1]
	s_and_b64 exec, exec, vcc
	s_cbranch_execz .LBB107_169
; %bb.168:
	v_div_scale_f64 v[2:3], s[6:7], v[0:1], v[0:1], 1.0
	v_rcp_f64_e32 v[4:5], v[2:3]
	v_div_scale_f64 v[6:7], vcc, 1.0, v[0:1], 1.0
	v_fma_f64 v[8:9], -v[2:3], v[4:5], 1.0
	v_fmac_f64_e32 v[4:5], v[4:5], v[8:9]
	v_fma_f64 v[8:9], -v[2:3], v[4:5], 1.0
	v_fmac_f64_e32 v[4:5], v[4:5], v[8:9]
	v_mul_f64 v[8:9], v[6:7], v[4:5]
	v_fma_f64 v[2:3], -v[2:3], v[8:9], v[6:7]
	v_div_fmas_f64 v[2:3], v[2:3], v[4:5], v[8:9]
	v_div_fixup_f64 v[0:1], v[2:3], v[0:1], 1.0
	ds_write_b64 v24, v[0:1]
.LBB107_169:
	s_or_b64 exec, exec, s[2:3]
	s_waitcnt lgkmcnt(0)
	s_barrier
	ds_read_b64 v[0:1], v24
	v_cmp_lt_u32_e32 vcc, 33, v26
	s_waitcnt lgkmcnt(0)
	buffer_store_dword v0, off, s[16:19], 0 offset:240 ; 4-byte Folded Spill
	s_nop 0
	buffer_store_dword v1, off, s[16:19], 0 offset:244 ; 4-byte Folded Spill
	s_and_saveexec_b64 s[2:3], vcc
	s_cbranch_execz .LBB107_171
; %bb.170:
	buffer_load_dword v0, off, s[16:19], 0 offset:240 ; 4-byte Folded Reload
	buffer_load_dword v1, off, s[16:19], 0 offset:244 ; 4-byte Folded Reload
	s_waitcnt vmcnt(0)
	v_mul_f64 v[130:131], v[0:1], v[130:131]
	ds_read2_b64 v[0:3], v25 offset0:34 offset1:35
	s_waitcnt lgkmcnt(0)
	v_fma_f64 v[182:183], -v[130:131], v[0:1], v[182:183]
	v_fma_f64 v[128:129], -v[130:131], v[2:3], v[128:129]
	ds_read2_b64 v[0:3], v25 offset0:36 offset1:37
	s_waitcnt lgkmcnt(0)
	v_fma_f64 v[180:181], -v[130:131], v[0:1], v[180:181]
	v_fma_f64 v[126:127], -v[130:131], v[2:3], v[126:127]
	;; [unrolled: 4-line block ×10, first 2 shown]
.LBB107_171:
	s_or_b64 exec, exec, s[2:3]
	v_cmp_eq_u32_e32 vcc, 34, v26
	s_waitcnt vmcnt(63) expcnt(7) lgkmcnt(15)
	s_barrier
	s_and_saveexec_b64 s[2:3], vcc
	s_cbranch_execz .LBB107_174
; %bb.172:
	ds_write_b64 v24, v[182:183]
	ds_write2_b64 v25, v[128:129], v[180:181] offset0:35 offset1:36
	ds_write2_b64 v25, v[126:127], v[178:179] offset0:37 offset1:38
	;; [unrolled: 1-line block ×7, first 2 shown]
	s_waitcnt vmcnt(61)
	ds_write2_b64 v25, v[114:115], v[166:167] offset0:49 offset1:50
	s_waitcnt vmcnt(59)
	ds_write2_b64 v25, v[112:113], v[164:165] offset0:51 offset1:52
	s_waitcnt vmcnt(56)
	ds_write_b64 v25, v[216:217] offset:424
	ds_read_b64 v[0:1], v24
	s_waitcnt lgkmcnt(0)
	v_cmp_neq_f64_e32 vcc, 0, v[0:1]
	s_and_b64 exec, exec, vcc
	s_cbranch_execz .LBB107_174
; %bb.173:
	v_div_scale_f64 v[2:3], s[6:7], v[0:1], v[0:1], 1.0
	v_rcp_f64_e32 v[4:5], v[2:3]
	v_div_scale_f64 v[6:7], vcc, 1.0, v[0:1], 1.0
	v_fma_f64 v[8:9], -v[2:3], v[4:5], 1.0
	v_fmac_f64_e32 v[4:5], v[4:5], v[8:9]
	v_fma_f64 v[8:9], -v[2:3], v[4:5], 1.0
	v_fmac_f64_e32 v[4:5], v[4:5], v[8:9]
	v_mul_f64 v[8:9], v[6:7], v[4:5]
	v_fma_f64 v[2:3], -v[2:3], v[8:9], v[6:7]
	v_div_fmas_f64 v[2:3], v[2:3], v[4:5], v[8:9]
	v_div_fixup_f64 v[0:1], v[2:3], v[0:1], 1.0
	ds_write_b64 v24, v[0:1]
.LBB107_174:
	s_or_b64 exec, exec, s[2:3]
	s_waitcnt lgkmcnt(0)
	s_barrier
	ds_read_b64 v[0:1], v24
	v_cmp_lt_u32_e32 vcc, 34, v26
	s_waitcnt lgkmcnt(0)
	buffer_store_dword v0, off, s[16:19], 0 offset:248 ; 4-byte Folded Spill
	s_nop 0
	buffer_store_dword v1, off, s[16:19], 0 offset:252 ; 4-byte Folded Spill
	s_and_saveexec_b64 s[2:3], vcc
	s_cbranch_execz .LBB107_176
; %bb.175:
	buffer_load_dword v0, off, s[16:19], 0 offset:248 ; 4-byte Folded Reload
	buffer_load_dword v1, off, s[16:19], 0 offset:252 ; 4-byte Folded Reload
	s_waitcnt vmcnt(0)
	v_mul_f64 v[182:183], v[0:1], v[182:183]
	ds_read2_b64 v[0:3], v25 offset0:35 offset1:36
	s_waitcnt lgkmcnt(0)
	v_fma_f64 v[128:129], -v[182:183], v[0:1], v[128:129]
	v_fma_f64 v[180:181], -v[182:183], v[2:3], v[180:181]
	ds_read2_b64 v[0:3], v25 offset0:37 offset1:38
	s_waitcnt lgkmcnt(0)
	v_fma_f64 v[126:127], -v[182:183], v[0:1], v[126:127]
	v_fma_f64 v[178:179], -v[182:183], v[2:3], v[178:179]
	ds_read2_b64 v[0:3], v25 offset0:39 offset1:40
	s_waitcnt lgkmcnt(0)
	v_fma_f64 v[124:125], -v[182:183], v[0:1], v[124:125]
	v_fma_f64 v[176:177], -v[182:183], v[2:3], v[176:177]
	ds_read2_b64 v[0:3], v25 offset0:41 offset1:42
	s_waitcnt lgkmcnt(0)
	v_fma_f64 v[122:123], -v[182:183], v[0:1], v[122:123]
	v_fma_f64 v[174:175], -v[182:183], v[2:3], v[174:175]
	ds_read2_b64 v[0:3], v25 offset0:43 offset1:44
	s_waitcnt lgkmcnt(0)
	v_fma_f64 v[120:121], -v[182:183], v[0:1], v[120:121]
	v_fma_f64 v[172:173], -v[182:183], v[2:3], v[172:173]
	ds_read2_b64 v[0:3], v25 offset0:45 offset1:46
	s_waitcnt lgkmcnt(0)
	v_fma_f64 v[118:119], -v[182:183], v[0:1], v[118:119]
	v_fma_f64 v[170:171], -v[182:183], v[2:3], v[170:171]
	ds_read2_b64 v[0:3], v25 offset0:47 offset1:48
	s_waitcnt lgkmcnt(0)
	v_fma_f64 v[116:117], -v[182:183], v[0:1], v[116:117]
	v_fma_f64 v[168:169], -v[182:183], v[2:3], v[168:169]
	ds_read2_b64 v[0:3], v25 offset0:49 offset1:50
	s_waitcnt lgkmcnt(0)
	v_fma_f64 v[114:115], -v[182:183], v[0:1], v[114:115]
	v_fma_f64 v[166:167], -v[182:183], v[2:3], v[166:167]
	ds_read2_b64 v[0:3], v25 offset0:51 offset1:52
	s_waitcnt lgkmcnt(0)
	v_fma_f64 v[112:113], -v[182:183], v[0:1], v[112:113]
	ds_read_b64 v[0:1], v25 offset:424
	v_fma_f64 v[164:165], -v[182:183], v[2:3], v[164:165]
	s_waitcnt lgkmcnt(0)
	v_fma_f64 v[216:217], -v[182:183], v[0:1], v[216:217]
.LBB107_176:
	s_or_b64 exec, exec, s[2:3]
	v_cmp_eq_u32_e32 vcc, 35, v26
	s_waitcnt vmcnt(63) expcnt(7) lgkmcnt(15)
	s_barrier
	s_and_saveexec_b64 s[2:3], vcc
	s_cbranch_execz .LBB107_179
; %bb.177:
	v_mov_b32_e32 v0, v180
	v_mov_b32_e32 v1, v181
	v_mov_b32_e32 v2, v126
	v_mov_b32_e32 v3, v127
	ds_write_b64 v24, v[128:129]
	ds_write2_b64 v25, v[0:1], v[2:3] offset0:36 offset1:37
	v_mov_b32_e32 v0, v178
	v_mov_b32_e32 v1, v179
	v_mov_b32_e32 v2, v124
	v_mov_b32_e32 v3, v125
	ds_write2_b64 v25, v[0:1], v[2:3] offset0:38 offset1:39
	v_mov_b32_e32 v0, v176
	v_mov_b32_e32 v1, v177
	v_mov_b32_e32 v2, v122
	v_mov_b32_e32 v3, v123
	;; [unrolled: 5-line block ×6, first 2 shown]
	ds_write2_b64 v25, v[0:1], v[2:3] offset0:48 offset1:49
	v_mov_b32_e32 v0, v166
	v_mov_b32_e32 v1, v167
	s_waitcnt vmcnt(62)
	v_mov_b32_e32 v2, v112
	v_mov_b32_e32 v3, v113
	ds_write2_b64 v25, v[0:1], v[2:3] offset0:50 offset1:51
	s_waitcnt vmcnt(61)
	v_mov_b32_e32 v0, v164
	v_mov_b32_e32 v1, v165
	s_waitcnt vmcnt(58)
	ds_write2_b64 v25, v[0:1], v[216:217] offset0:52 offset1:53
	ds_read_b64 v[0:1], v24
	s_waitcnt lgkmcnt(0)
	v_cmp_neq_f64_e32 vcc, 0, v[0:1]
	s_and_b64 exec, exec, vcc
	s_cbranch_execz .LBB107_179
; %bb.178:
	v_div_scale_f64 v[2:3], s[6:7], v[0:1], v[0:1], 1.0
	v_rcp_f64_e32 v[4:5], v[2:3]
	v_div_scale_f64 v[6:7], vcc, 1.0, v[0:1], 1.0
	v_fma_f64 v[8:9], -v[2:3], v[4:5], 1.0
	v_fmac_f64_e32 v[4:5], v[4:5], v[8:9]
	v_fma_f64 v[8:9], -v[2:3], v[4:5], 1.0
	v_fmac_f64_e32 v[4:5], v[4:5], v[8:9]
	v_mul_f64 v[8:9], v[6:7], v[4:5]
	v_fma_f64 v[2:3], -v[2:3], v[8:9], v[6:7]
	v_div_fmas_f64 v[2:3], v[2:3], v[4:5], v[8:9]
	v_div_fixup_f64 v[0:1], v[2:3], v[0:1], 1.0
	ds_write_b64 v24, v[0:1]
.LBB107_179:
	s_or_b64 exec, exec, s[2:3]
	s_waitcnt lgkmcnt(0)
	s_barrier
	ds_read_b64 v[0:1], v24
	v_cmp_lt_u32_e32 vcc, 35, v26
	s_waitcnt lgkmcnt(0)
	buffer_store_dword v0, off, s[16:19], 0 offset:256 ; 4-byte Folded Spill
	s_nop 0
	buffer_store_dword v1, off, s[16:19], 0 offset:260 ; 4-byte Folded Spill
	s_and_saveexec_b64 s[2:3], vcc
	s_cbranch_execz .LBB107_181
; %bb.180:
	buffer_load_dword v0, off, s[16:19], 0 offset:256 ; 4-byte Folded Reload
	buffer_load_dword v1, off, s[16:19], 0 offset:260 ; 4-byte Folded Reload
	s_waitcnt vmcnt(0)
	v_mul_f64 v[128:129], v[0:1], v[128:129]
	ds_read2_b64 v[0:3], v25 offset0:36 offset1:37
	s_waitcnt lgkmcnt(0)
	v_fma_f64 v[180:181], -v[128:129], v[0:1], v[180:181]
	v_fma_f64 v[126:127], -v[128:129], v[2:3], v[126:127]
	ds_read2_b64 v[0:3], v25 offset0:38 offset1:39
	s_waitcnt lgkmcnt(0)
	v_fma_f64 v[178:179], -v[128:129], v[0:1], v[178:179]
	v_fma_f64 v[124:125], -v[128:129], v[2:3], v[124:125]
	;; [unrolled: 4-line block ×9, first 2 shown]
.LBB107_181:
	s_or_b64 exec, exec, s[2:3]
	v_cmp_eq_u32_e32 vcc, 36, v26
	s_waitcnt vmcnt(63) expcnt(7) lgkmcnt(15)
	s_barrier
	s_and_saveexec_b64 s[2:3], vcc
	s_cbranch_execz .LBB107_184
; %bb.182:
	ds_write_b64 v24, v[180:181]
	ds_write2_b64 v25, v[126:127], v[178:179] offset0:37 offset1:38
	ds_write2_b64 v25, v[124:125], v[176:177] offset0:39 offset1:40
	;; [unrolled: 1-line block ×8, first 2 shown]
	s_waitcnt vmcnt(60)
	ds_write_b64 v25, v[216:217] offset:424
	ds_read_b64 v[0:1], v24
	s_waitcnt lgkmcnt(0)
	v_cmp_neq_f64_e32 vcc, 0, v[0:1]
	s_and_b64 exec, exec, vcc
	s_cbranch_execz .LBB107_184
; %bb.183:
	v_div_scale_f64 v[2:3], s[6:7], v[0:1], v[0:1], 1.0
	v_rcp_f64_e32 v[4:5], v[2:3]
	v_div_scale_f64 v[6:7], vcc, 1.0, v[0:1], 1.0
	v_fma_f64 v[8:9], -v[2:3], v[4:5], 1.0
	v_fmac_f64_e32 v[4:5], v[4:5], v[8:9]
	v_fma_f64 v[8:9], -v[2:3], v[4:5], 1.0
	v_fmac_f64_e32 v[4:5], v[4:5], v[8:9]
	v_mul_f64 v[8:9], v[6:7], v[4:5]
	v_fma_f64 v[2:3], -v[2:3], v[8:9], v[6:7]
	v_div_fmas_f64 v[2:3], v[2:3], v[4:5], v[8:9]
	v_div_fixup_f64 v[0:1], v[2:3], v[0:1], 1.0
	ds_write_b64 v24, v[0:1]
.LBB107_184:
	s_or_b64 exec, exec, s[2:3]
	s_waitcnt lgkmcnt(0)
	s_barrier
	ds_read_b64 v[2:3], v24
	v_cmp_lt_u32_e32 vcc, 36, v26
	s_and_saveexec_b64 s[2:3], vcc
	s_cbranch_execz .LBB107_186
; %bb.185:
	ds_read2_b64 v[4:7], v25 offset0:37 offset1:38
	ds_read_b64 v[0:1], v25 offset:424
	s_waitcnt lgkmcnt(2)
	v_mul_f64 v[180:181], v[2:3], v[180:181]
	s_waitcnt lgkmcnt(1)
	v_fma_f64 v[126:127], -v[180:181], v[4:5], v[126:127]
	v_fma_f64 v[178:179], -v[180:181], v[6:7], v[178:179]
	ds_read2_b64 v[4:7], v25 offset0:39 offset1:40
	s_waitcnt vmcnt(60) lgkmcnt(1)
	v_fma_f64 v[216:217], -v[180:181], v[0:1], v[216:217]
	s_waitcnt lgkmcnt(0)
	v_fma_f64 v[124:125], -v[180:181], v[4:5], v[124:125]
	v_fma_f64 v[176:177], -v[180:181], v[6:7], v[176:177]
	ds_read2_b64 v[4:7], v25 offset0:41 offset1:42
	s_waitcnt lgkmcnt(0)
	v_fma_f64 v[122:123], -v[180:181], v[4:5], v[122:123]
	v_fma_f64 v[174:175], -v[180:181], v[6:7], v[174:175]
	ds_read2_b64 v[4:7], v25 offset0:43 offset1:44
	;; [unrolled: 4-line block ×6, first 2 shown]
	s_waitcnt lgkmcnt(0)
	v_fma_f64 v[112:113], -v[180:181], v[4:5], v[112:113]
	v_fma_f64 v[164:165], -v[180:181], v[6:7], v[164:165]
.LBB107_186:
	s_or_b64 exec, exec, s[2:3]
	v_cmp_eq_u32_e32 vcc, 37, v26
	s_waitcnt lgkmcnt(0)
	s_barrier
	s_and_saveexec_b64 s[2:3], vcc
	s_cbranch_execz .LBB107_189
; %bb.187:
	v_mov_b32_e32 v0, v178
	v_mov_b32_e32 v1, v179
	;; [unrolled: 1-line block ×4, first 2 shown]
	ds_write_b64 v24, v[126:127]
	ds_write2_b64 v25, v[0:1], v[4:5] offset0:38 offset1:39
	v_mov_b32_e32 v0, v176
	v_mov_b32_e32 v1, v177
	v_mov_b32_e32 v4, v122
	v_mov_b32_e32 v5, v123
	ds_write2_b64 v25, v[0:1], v[4:5] offset0:40 offset1:41
	v_mov_b32_e32 v0, v174
	v_mov_b32_e32 v1, v175
	v_mov_b32_e32 v4, v120
	v_mov_b32_e32 v5, v121
	;; [unrolled: 5-line block ×6, first 2 shown]
	ds_write2_b64 v25, v[0:1], v[4:5] offset0:50 offset1:51
	v_mov_b32_e32 v0, v164
	v_mov_b32_e32 v1, v165
	s_waitcnt vmcnt(60)
	ds_write2_b64 v25, v[0:1], v[216:217] offset0:52 offset1:53
	ds_read_b64 v[0:1], v24
	s_waitcnt lgkmcnt(0)
	v_cmp_neq_f64_e32 vcc, 0, v[0:1]
	s_and_b64 exec, exec, vcc
	s_cbranch_execz .LBB107_189
; %bb.188:
	v_div_scale_f64 v[4:5], s[6:7], v[0:1], v[0:1], 1.0
	v_rcp_f64_e32 v[6:7], v[4:5]
	v_div_scale_f64 v[8:9], vcc, 1.0, v[0:1], 1.0
	v_fma_f64 v[10:11], -v[4:5], v[6:7], 1.0
	v_fmac_f64_e32 v[6:7], v[6:7], v[10:11]
	v_fma_f64 v[10:11], -v[4:5], v[6:7], 1.0
	v_fmac_f64_e32 v[6:7], v[6:7], v[10:11]
	v_mul_f64 v[10:11], v[8:9], v[6:7]
	v_fma_f64 v[4:5], -v[4:5], v[10:11], v[8:9]
	v_div_fmas_f64 v[4:5], v[4:5], v[6:7], v[10:11]
	v_div_fixup_f64 v[0:1], v[4:5], v[0:1], 1.0
	ds_write_b64 v24, v[0:1]
.LBB107_189:
	s_or_b64 exec, exec, s[2:3]
	s_waitcnt lgkmcnt(0)
	s_barrier
	ds_read_b64 v[0:1], v24
	v_cmp_lt_u32_e32 vcc, 37, v26
	s_and_saveexec_b64 s[2:3], vcc
	s_cbranch_execz .LBB107_191
; %bb.190:
	ds_read2_b64 v[4:7], v25 offset0:38 offset1:39
	s_waitcnt lgkmcnt(1)
	v_mul_f64 v[126:127], v[0:1], v[126:127]
	s_waitcnt lgkmcnt(0)
	v_fma_f64 v[178:179], -v[126:127], v[4:5], v[178:179]
	v_fma_f64 v[124:125], -v[126:127], v[6:7], v[124:125]
	ds_read2_b64 v[4:7], v25 offset0:40 offset1:41
	s_waitcnt lgkmcnt(0)
	v_fma_f64 v[176:177], -v[126:127], v[4:5], v[176:177]
	v_fma_f64 v[122:123], -v[126:127], v[6:7], v[122:123]
	ds_read2_b64 v[4:7], v25 offset0:42 offset1:43
	;; [unrolled: 4-line block ×7, first 2 shown]
	s_waitcnt lgkmcnt(0)
	v_fma_f64 v[164:165], -v[126:127], v[4:5], v[164:165]
	s_waitcnt vmcnt(60)
	v_fma_f64 v[216:217], -v[126:127], v[6:7], v[216:217]
.LBB107_191:
	s_or_b64 exec, exec, s[2:3]
	v_cmp_eq_u32_e32 vcc, 38, v26
	s_waitcnt lgkmcnt(0)
	buffer_store_dword v0, off, s[16:19], 0 offset:288 ; 4-byte Folded Spill
	s_nop 0
	buffer_store_dword v1, off, s[16:19], 0 offset:292 ; 4-byte Folded Spill
	s_waitcnt vmcnt(63) expcnt(7) lgkmcnt(15)
	s_barrier
	s_and_saveexec_b64 s[2:3], vcc
	s_cbranch_execz .LBB107_194
; %bb.192:
	ds_write_b64 v24, v[178:179]
	ds_write2_b64 v25, v[124:125], v[176:177] offset0:39 offset1:40
	ds_write2_b64 v25, v[122:123], v[174:175] offset0:41 offset1:42
	;; [unrolled: 1-line block ×7, first 2 shown]
	s_waitcnt vmcnt(62)
	ds_write_b64 v25, v[216:217] offset:424
	ds_read_b64 v[0:1], v24
	s_waitcnt lgkmcnt(0)
	v_cmp_neq_f64_e32 vcc, 0, v[0:1]
	s_and_b64 exec, exec, vcc
	s_cbranch_execz .LBB107_194
; %bb.193:
	v_div_scale_f64 v[4:5], s[6:7], v[0:1], v[0:1], 1.0
	v_rcp_f64_e32 v[6:7], v[4:5]
	v_div_scale_f64 v[8:9], vcc, 1.0, v[0:1], 1.0
	v_fma_f64 v[10:11], -v[4:5], v[6:7], 1.0
	v_fmac_f64_e32 v[6:7], v[6:7], v[10:11]
	v_fma_f64 v[10:11], -v[4:5], v[6:7], 1.0
	v_fmac_f64_e32 v[6:7], v[6:7], v[10:11]
	v_mul_f64 v[10:11], v[8:9], v[6:7]
	v_fma_f64 v[4:5], -v[4:5], v[10:11], v[8:9]
	v_div_fmas_f64 v[4:5], v[4:5], v[6:7], v[10:11]
	v_div_fixup_f64 v[0:1], v[4:5], v[0:1], 1.0
	ds_write_b64 v24, v[0:1]
.LBB107_194:
	s_or_b64 exec, exec, s[2:3]
	s_waitcnt lgkmcnt(0)
	s_barrier
	ds_read_b64 v[0:1], v24
	v_cmp_lt_u32_e32 vcc, 38, v26
	s_waitcnt lgkmcnt(0)
	buffer_store_dword v0, off, s[16:19], 0 offset:264 ; 4-byte Folded Spill
	s_nop 0
	buffer_store_dword v1, off, s[16:19], 0 offset:268 ; 4-byte Folded Spill
	s_and_saveexec_b64 s[2:3], vcc
	s_cbranch_execz .LBB107_196
; %bb.195:
	buffer_load_dword v0, off, s[16:19], 0 offset:264 ; 4-byte Folded Reload
	buffer_load_dword v1, off, s[16:19], 0 offset:268 ; 4-byte Folded Reload
	ds_read2_b64 v[4:7], v25 offset0:39 offset1:40
	s_waitcnt vmcnt(0)
	v_mul_f64 v[178:179], v[0:1], v[178:179]
	ds_read_b64 v[0:1], v25 offset:424
	s_waitcnt lgkmcnt(1)
	v_fma_f64 v[124:125], -v[178:179], v[4:5], v[124:125]
	v_fma_f64 v[176:177], -v[178:179], v[6:7], v[176:177]
	ds_read2_b64 v[4:7], v25 offset0:41 offset1:42
	s_waitcnt lgkmcnt(1)
	v_fma_f64 v[216:217], -v[178:179], v[0:1], v[216:217]
	s_waitcnt lgkmcnt(0)
	v_fma_f64 v[122:123], -v[178:179], v[4:5], v[122:123]
	v_fma_f64 v[174:175], -v[178:179], v[6:7], v[174:175]
	ds_read2_b64 v[4:7], v25 offset0:43 offset1:44
	s_waitcnt lgkmcnt(0)
	v_fma_f64 v[120:121], -v[178:179], v[4:5], v[120:121]
	v_fma_f64 v[172:173], -v[178:179], v[6:7], v[172:173]
	ds_read2_b64 v[4:7], v25 offset0:45 offset1:46
	;; [unrolled: 4-line block ×5, first 2 shown]
	s_waitcnt lgkmcnt(0)
	v_fma_f64 v[112:113], -v[178:179], v[4:5], v[112:113]
	v_fma_f64 v[164:165], -v[178:179], v[6:7], v[164:165]
.LBB107_196:
	s_or_b64 exec, exec, s[2:3]
	v_cmp_eq_u32_e32 vcc, 39, v26
	s_waitcnt vmcnt(63) expcnt(7) lgkmcnt(15)
	s_barrier
	s_and_saveexec_b64 s[2:3], vcc
	s_cbranch_execz .LBB107_199
; %bb.197:
	v_mov_b32_e32 v0, v176
	v_mov_b32_e32 v1, v177
	;; [unrolled: 1-line block ×4, first 2 shown]
	ds_write_b64 v24, v[124:125]
	ds_write2_b64 v25, v[0:1], v[4:5] offset0:40 offset1:41
	v_mov_b32_e32 v0, v174
	v_mov_b32_e32 v1, v175
	v_mov_b32_e32 v4, v120
	v_mov_b32_e32 v5, v121
	ds_write2_b64 v25, v[0:1], v[4:5] offset0:42 offset1:43
	v_mov_b32_e32 v0, v172
	v_mov_b32_e32 v1, v173
	v_mov_b32_e32 v4, v118
	v_mov_b32_e32 v5, v119
	;; [unrolled: 5-line block ×5, first 2 shown]
	ds_write2_b64 v25, v[0:1], v[4:5] offset0:50 offset1:51
	v_mov_b32_e32 v0, v164
	v_mov_b32_e32 v1, v165
	ds_write2_b64 v25, v[0:1], v[216:217] offset0:52 offset1:53
	ds_read_b64 v[0:1], v24
	s_waitcnt lgkmcnt(0)
	v_cmp_neq_f64_e32 vcc, 0, v[0:1]
	s_and_b64 exec, exec, vcc
	s_cbranch_execz .LBB107_199
; %bb.198:
	v_div_scale_f64 v[4:5], s[6:7], v[0:1], v[0:1], 1.0
	v_rcp_f64_e32 v[6:7], v[4:5]
	v_div_scale_f64 v[8:9], vcc, 1.0, v[0:1], 1.0
	v_fma_f64 v[10:11], -v[4:5], v[6:7], 1.0
	v_fmac_f64_e32 v[6:7], v[6:7], v[10:11]
	v_fma_f64 v[10:11], -v[4:5], v[6:7], 1.0
	v_fmac_f64_e32 v[6:7], v[6:7], v[10:11]
	v_mul_f64 v[10:11], v[8:9], v[6:7]
	v_fma_f64 v[4:5], -v[4:5], v[10:11], v[8:9]
	v_div_fmas_f64 v[4:5], v[4:5], v[6:7], v[10:11]
	v_div_fixup_f64 v[0:1], v[4:5], v[0:1], 1.0
	ds_write_b64 v24, v[0:1]
.LBB107_199:
	s_or_b64 exec, exec, s[2:3]
	s_waitcnt lgkmcnt(0)
	s_barrier
	ds_read_b64 v[0:1], v24
	v_cmp_lt_u32_e32 vcc, 39, v26
	s_and_saveexec_b64 s[2:3], vcc
	s_cbranch_execz .LBB107_201
; %bb.200:
	ds_read2_b64 v[4:7], v25 offset0:40 offset1:41
	s_waitcnt lgkmcnt(1)
	v_mul_f64 v[124:125], v[0:1], v[124:125]
	s_waitcnt lgkmcnt(0)
	v_fma_f64 v[176:177], -v[124:125], v[4:5], v[176:177]
	v_fma_f64 v[122:123], -v[124:125], v[6:7], v[122:123]
	ds_read2_b64 v[4:7], v25 offset0:42 offset1:43
	s_waitcnt lgkmcnt(0)
	v_fma_f64 v[174:175], -v[124:125], v[4:5], v[174:175]
	v_fma_f64 v[120:121], -v[124:125], v[6:7], v[120:121]
	ds_read2_b64 v[4:7], v25 offset0:44 offset1:45
	;; [unrolled: 4-line block ×6, first 2 shown]
	s_waitcnt lgkmcnt(0)
	v_fma_f64 v[164:165], -v[124:125], v[4:5], v[164:165]
	v_fma_f64 v[216:217], -v[124:125], v[6:7], v[216:217]
.LBB107_201:
	s_or_b64 exec, exec, s[2:3]
	v_cmp_eq_u32_e32 vcc, 40, v26
	s_waitcnt lgkmcnt(0)
	buffer_store_dword v0, off, s[16:19], 0 offset:296 ; 4-byte Folded Spill
	s_nop 0
	buffer_store_dword v1, off, s[16:19], 0 offset:300 ; 4-byte Folded Spill
	s_waitcnt vmcnt(63) expcnt(7) lgkmcnt(15)
	s_barrier
	s_and_saveexec_b64 s[2:3], vcc
	s_cbranch_execz .LBB107_204
; %bb.202:
	ds_write_b64 v24, v[176:177]
	ds_write2_b64 v25, v[122:123], v[174:175] offset0:41 offset1:42
	ds_write2_b64 v25, v[120:121], v[172:173] offset0:43 offset1:44
	;; [unrolled: 1-line block ×6, first 2 shown]
	ds_write_b64 v25, v[216:217] offset:424
	ds_read_b64 v[0:1], v24
	s_waitcnt lgkmcnt(0)
	v_cmp_neq_f64_e32 vcc, 0, v[0:1]
	s_and_b64 exec, exec, vcc
	s_cbranch_execz .LBB107_204
; %bb.203:
	v_div_scale_f64 v[4:5], s[6:7], v[0:1], v[0:1], 1.0
	v_rcp_f64_e32 v[6:7], v[4:5]
	v_div_scale_f64 v[8:9], vcc, 1.0, v[0:1], 1.0
	v_fma_f64 v[10:11], -v[4:5], v[6:7], 1.0
	v_fmac_f64_e32 v[6:7], v[6:7], v[10:11]
	v_fma_f64 v[10:11], -v[4:5], v[6:7], 1.0
	v_fmac_f64_e32 v[6:7], v[6:7], v[10:11]
	v_mul_f64 v[10:11], v[8:9], v[6:7]
	v_fma_f64 v[4:5], -v[4:5], v[10:11], v[8:9]
	v_div_fmas_f64 v[4:5], v[4:5], v[6:7], v[10:11]
	v_div_fixup_f64 v[0:1], v[4:5], v[0:1], 1.0
	ds_write_b64 v24, v[0:1]
.LBB107_204:
	s_or_b64 exec, exec, s[2:3]
	s_waitcnt lgkmcnt(0)
	s_barrier
	ds_read_b64 v[0:1], v24
	v_cmp_lt_u32_e32 vcc, 40, v26
	s_waitcnt lgkmcnt(0)
	buffer_store_dword v0, off, s[16:19], 0 offset:272 ; 4-byte Folded Spill
	s_nop 0
	buffer_store_dword v1, off, s[16:19], 0 offset:276 ; 4-byte Folded Spill
	s_and_saveexec_b64 s[2:3], vcc
	s_cbranch_execz .LBB107_206
; %bb.205:
	buffer_load_dword v0, off, s[16:19], 0 offset:272 ; 4-byte Folded Reload
	buffer_load_dword v1, off, s[16:19], 0 offset:276 ; 4-byte Folded Reload
	ds_read2_b64 v[4:7], v25 offset0:41 offset1:42
	s_waitcnt vmcnt(0)
	v_mul_f64 v[176:177], v[0:1], v[176:177]
	ds_read_b64 v[0:1], v25 offset:424
	s_waitcnt lgkmcnt(1)
	v_fma_f64 v[122:123], -v[176:177], v[4:5], v[122:123]
	v_fma_f64 v[174:175], -v[176:177], v[6:7], v[174:175]
	ds_read2_b64 v[4:7], v25 offset0:43 offset1:44
	s_waitcnt lgkmcnt(1)
	v_fma_f64 v[216:217], -v[176:177], v[0:1], v[216:217]
	s_waitcnt lgkmcnt(0)
	v_fma_f64 v[120:121], -v[176:177], v[4:5], v[120:121]
	v_fma_f64 v[172:173], -v[176:177], v[6:7], v[172:173]
	ds_read2_b64 v[4:7], v25 offset0:45 offset1:46
	s_waitcnt lgkmcnt(0)
	v_fma_f64 v[118:119], -v[176:177], v[4:5], v[118:119]
	v_fma_f64 v[170:171], -v[176:177], v[6:7], v[170:171]
	ds_read2_b64 v[4:7], v25 offset0:47 offset1:48
	;; [unrolled: 4-line block ×4, first 2 shown]
	s_waitcnt lgkmcnt(0)
	v_fma_f64 v[112:113], -v[176:177], v[4:5], v[112:113]
	v_fma_f64 v[164:165], -v[176:177], v[6:7], v[164:165]
.LBB107_206:
	s_or_b64 exec, exec, s[2:3]
	v_cmp_eq_u32_e32 vcc, 41, v26
	s_waitcnt vmcnt(63) expcnt(7) lgkmcnt(15)
	s_barrier
	s_and_saveexec_b64 s[2:3], vcc
	s_cbranch_execz .LBB107_209
; %bb.207:
	v_mov_b32_e32 v0, v174
	v_mov_b32_e32 v1, v175
	;; [unrolled: 1-line block ×4, first 2 shown]
	ds_write_b64 v24, v[122:123]
	ds_write2_b64 v25, v[0:1], v[4:5] offset0:42 offset1:43
	v_mov_b32_e32 v0, v172
	v_mov_b32_e32 v1, v173
	v_mov_b32_e32 v4, v118
	v_mov_b32_e32 v5, v119
	ds_write2_b64 v25, v[0:1], v[4:5] offset0:44 offset1:45
	v_mov_b32_e32 v0, v170
	v_mov_b32_e32 v1, v171
	v_mov_b32_e32 v4, v116
	v_mov_b32_e32 v5, v117
	;; [unrolled: 5-line block ×4, first 2 shown]
	ds_write2_b64 v25, v[0:1], v[4:5] offset0:50 offset1:51
	v_mov_b32_e32 v0, v164
	v_mov_b32_e32 v1, v165
	ds_write2_b64 v25, v[0:1], v[216:217] offset0:52 offset1:53
	ds_read_b64 v[0:1], v24
	s_waitcnt lgkmcnt(0)
	v_cmp_neq_f64_e32 vcc, 0, v[0:1]
	s_and_b64 exec, exec, vcc
	s_cbranch_execz .LBB107_209
; %bb.208:
	v_div_scale_f64 v[4:5], s[6:7], v[0:1], v[0:1], 1.0
	v_rcp_f64_e32 v[6:7], v[4:5]
	v_div_scale_f64 v[8:9], vcc, 1.0, v[0:1], 1.0
	v_fma_f64 v[10:11], -v[4:5], v[6:7], 1.0
	v_fmac_f64_e32 v[6:7], v[6:7], v[10:11]
	v_fma_f64 v[10:11], -v[4:5], v[6:7], 1.0
	v_fmac_f64_e32 v[6:7], v[6:7], v[10:11]
	v_mul_f64 v[10:11], v[8:9], v[6:7]
	v_fma_f64 v[4:5], -v[4:5], v[10:11], v[8:9]
	v_div_fmas_f64 v[4:5], v[4:5], v[6:7], v[10:11]
	v_div_fixup_f64 v[0:1], v[4:5], v[0:1], 1.0
	ds_write_b64 v24, v[0:1]
.LBB107_209:
	s_or_b64 exec, exec, s[2:3]
	s_waitcnt lgkmcnt(0)
	s_barrier
	ds_read_b64 v[0:1], v24
	v_cmp_lt_u32_e32 vcc, 41, v26
	s_and_saveexec_b64 s[2:3], vcc
	s_cbranch_execz .LBB107_211
; %bb.210:
	ds_read2_b64 v[4:7], v25 offset0:42 offset1:43
	s_waitcnt lgkmcnt(1)
	v_mul_f64 v[122:123], v[0:1], v[122:123]
	s_waitcnt lgkmcnt(0)
	v_fma_f64 v[174:175], -v[122:123], v[4:5], v[174:175]
	v_fma_f64 v[120:121], -v[122:123], v[6:7], v[120:121]
	ds_read2_b64 v[4:7], v25 offset0:44 offset1:45
	s_waitcnt lgkmcnt(0)
	v_fma_f64 v[172:173], -v[122:123], v[4:5], v[172:173]
	v_fma_f64 v[118:119], -v[122:123], v[6:7], v[118:119]
	ds_read2_b64 v[4:7], v25 offset0:46 offset1:47
	s_waitcnt lgkmcnt(0)
	v_fma_f64 v[170:171], -v[122:123], v[4:5], v[170:171]
	v_fma_f64 v[116:117], -v[122:123], v[6:7], v[116:117]
	ds_read2_b64 v[4:7], v25 offset0:48 offset1:49
	s_waitcnt lgkmcnt(0)
	v_fma_f64 v[168:169], -v[122:123], v[4:5], v[168:169]
	v_fma_f64 v[114:115], -v[122:123], v[6:7], v[114:115]
	ds_read2_b64 v[4:7], v25 offset0:50 offset1:51
	s_waitcnt lgkmcnt(0)
	v_fma_f64 v[166:167], -v[122:123], v[4:5], v[166:167]
	v_fma_f64 v[112:113], -v[122:123], v[6:7], v[112:113]
	ds_read2_b64 v[4:7], v25 offset0:52 offset1:53
	s_waitcnt lgkmcnt(0)
	v_fma_f64 v[164:165], -v[122:123], v[4:5], v[164:165]
	v_fma_f64 v[216:217], -v[122:123], v[6:7], v[216:217]
.LBB107_211:
	s_or_b64 exec, exec, s[2:3]
	v_cmp_eq_u32_e32 vcc, 42, v26
	s_waitcnt lgkmcnt(0)
	buffer_store_dword v0, off, s[16:19], 0 offset:304 ; 4-byte Folded Spill
	s_nop 0
	buffer_store_dword v1, off, s[16:19], 0 offset:308 ; 4-byte Folded Spill
	s_waitcnt vmcnt(63) expcnt(7) lgkmcnt(15)
	s_barrier
	s_and_saveexec_b64 s[2:3], vcc
	s_cbranch_execz .LBB107_214
; %bb.212:
	ds_write_b64 v24, v[174:175]
	ds_write2_b64 v25, v[120:121], v[172:173] offset0:43 offset1:44
	ds_write2_b64 v25, v[118:119], v[170:171] offset0:45 offset1:46
	;; [unrolled: 1-line block ×5, first 2 shown]
	ds_write_b64 v25, v[216:217] offset:424
	ds_read_b64 v[0:1], v24
	s_waitcnt lgkmcnt(0)
	v_cmp_neq_f64_e32 vcc, 0, v[0:1]
	s_and_b64 exec, exec, vcc
	s_cbranch_execz .LBB107_214
; %bb.213:
	v_div_scale_f64 v[4:5], s[6:7], v[0:1], v[0:1], 1.0
	v_rcp_f64_e32 v[6:7], v[4:5]
	v_div_scale_f64 v[8:9], vcc, 1.0, v[0:1], 1.0
	v_fma_f64 v[10:11], -v[4:5], v[6:7], 1.0
	v_fmac_f64_e32 v[6:7], v[6:7], v[10:11]
	v_fma_f64 v[10:11], -v[4:5], v[6:7], 1.0
	v_fmac_f64_e32 v[6:7], v[6:7], v[10:11]
	v_mul_f64 v[10:11], v[8:9], v[6:7]
	v_fma_f64 v[4:5], -v[4:5], v[10:11], v[8:9]
	v_div_fmas_f64 v[4:5], v[4:5], v[6:7], v[10:11]
	v_div_fixup_f64 v[0:1], v[4:5], v[0:1], 1.0
	ds_write_b64 v24, v[0:1]
.LBB107_214:
	s_or_b64 exec, exec, s[2:3]
	s_waitcnt lgkmcnt(0)
	s_barrier
	ds_read_b64 v[0:1], v24
	v_cmp_lt_u32_e32 vcc, 42, v26
	s_waitcnt lgkmcnt(0)
	buffer_store_dword v0, off, s[16:19], 0 offset:280 ; 4-byte Folded Spill
	s_nop 0
	buffer_store_dword v1, off, s[16:19], 0 offset:284 ; 4-byte Folded Spill
	s_and_saveexec_b64 s[2:3], vcc
	s_cbranch_execz .LBB107_216
; %bb.215:
	buffer_load_dword v0, off, s[16:19], 0 offset:280 ; 4-byte Folded Reload
	buffer_load_dword v1, off, s[16:19], 0 offset:284 ; 4-byte Folded Reload
	ds_read2_b64 v[4:7], v25 offset0:43 offset1:44
	s_waitcnt vmcnt(0)
	v_mul_f64 v[174:175], v[0:1], v[174:175]
	s_waitcnt lgkmcnt(0)
	v_fma_f64 v[120:121], -v[174:175], v[4:5], v[120:121]
	v_fma_f64 v[172:173], -v[174:175], v[6:7], v[172:173]
	ds_read2_b64 v[4:7], v25 offset0:45 offset1:46
	s_waitcnt lgkmcnt(0)
	v_fma_f64 v[118:119], -v[174:175], v[4:5], v[118:119]
	v_fma_f64 v[170:171], -v[174:175], v[6:7], v[170:171]
	ds_read2_b64 v[4:7], v25 offset0:47 offset1:48
	;; [unrolled: 4-line block ×4, first 2 shown]
	s_waitcnt lgkmcnt(0)
	v_fma_f64 v[112:113], -v[174:175], v[4:5], v[112:113]
	ds_read_b64 v[4:5], v25 offset:424
	v_fma_f64 v[164:165], -v[174:175], v[6:7], v[164:165]
	s_waitcnt lgkmcnt(0)
	v_fma_f64 v[216:217], -v[174:175], v[4:5], v[216:217]
.LBB107_216:
	s_or_b64 exec, exec, s[2:3]
	v_cmp_eq_u32_e32 vcc, 43, v26
	s_waitcnt vmcnt(63) expcnt(7) lgkmcnt(15)
	s_barrier
	s_and_saveexec_b64 s[2:3], vcc
	s_cbranch_execz .LBB107_219
; %bb.217:
	v_mov_b32_e32 v4, v172
	v_mov_b32_e32 v5, v173
	;; [unrolled: 1-line block ×4, first 2 shown]
	ds_write_b64 v24, v[120:121]
	ds_write2_b64 v25, v[4:5], v[6:7] offset0:44 offset1:45
	v_mov_b32_e32 v4, v170
	v_mov_b32_e32 v5, v171
	v_mov_b32_e32 v6, v116
	v_mov_b32_e32 v7, v117
	ds_write2_b64 v25, v[4:5], v[6:7] offset0:46 offset1:47
	v_mov_b32_e32 v4, v168
	v_mov_b32_e32 v5, v169
	v_mov_b32_e32 v6, v114
	v_mov_b32_e32 v7, v115
	;; [unrolled: 5-line block ×3, first 2 shown]
	ds_write2_b64 v25, v[4:5], v[6:7] offset0:50 offset1:51
	v_mov_b32_e32 v4, v164
	v_mov_b32_e32 v5, v165
	ds_write2_b64 v25, v[4:5], v[216:217] offset0:52 offset1:53
	ds_read_b64 v[4:5], v24
	s_waitcnt lgkmcnt(0)
	v_cmp_neq_f64_e32 vcc, 0, v[4:5]
	s_and_b64 exec, exec, vcc
	s_cbranch_execz .LBB107_219
; %bb.218:
	v_div_scale_f64 v[6:7], s[6:7], v[4:5], v[4:5], 1.0
	v_rcp_f64_e32 v[8:9], v[6:7]
	v_div_scale_f64 v[10:11], vcc, 1.0, v[4:5], 1.0
	v_fma_f64 v[12:13], -v[6:7], v[8:9], 1.0
	v_fmac_f64_e32 v[8:9], v[8:9], v[12:13]
	v_fma_f64 v[12:13], -v[6:7], v[8:9], 1.0
	v_fmac_f64_e32 v[8:9], v[8:9], v[12:13]
	v_mul_f64 v[12:13], v[10:11], v[8:9]
	v_fma_f64 v[6:7], -v[6:7], v[12:13], v[10:11]
	v_div_fmas_f64 v[6:7], v[6:7], v[8:9], v[12:13]
	v_div_fixup_f64 v[4:5], v[6:7], v[4:5], 1.0
	ds_write_b64 v24, v[4:5]
.LBB107_219:
	s_or_b64 exec, exec, s[2:3]
	s_waitcnt lgkmcnt(0)
	s_barrier
	ds_read_b64 v[4:5], v24
	v_cmp_lt_u32_e32 vcc, 43, v26
	s_and_saveexec_b64 s[2:3], vcc
	s_cbranch_execz .LBB107_221
; %bb.220:
	ds_read2_b64 v[6:9], v25 offset0:44 offset1:45
	s_waitcnt lgkmcnt(1)
	v_mul_f64 v[120:121], v[4:5], v[120:121]
	s_waitcnt lgkmcnt(0)
	v_fma_f64 v[172:173], -v[120:121], v[6:7], v[172:173]
	v_fma_f64 v[118:119], -v[120:121], v[8:9], v[118:119]
	ds_read2_b64 v[6:9], v25 offset0:46 offset1:47
	s_waitcnt lgkmcnt(0)
	v_fma_f64 v[170:171], -v[120:121], v[6:7], v[170:171]
	v_fma_f64 v[116:117], -v[120:121], v[8:9], v[116:117]
	ds_read2_b64 v[6:9], v25 offset0:48 offset1:49
	;; [unrolled: 4-line block ×4, first 2 shown]
	s_waitcnt lgkmcnt(0)
	v_fma_f64 v[164:165], -v[120:121], v[6:7], v[164:165]
	v_fma_f64 v[216:217], -v[120:121], v[8:9], v[216:217]
.LBB107_221:
	s_or_b64 exec, exec, s[2:3]
	v_cmp_eq_u32_e32 vcc, 44, v26
	s_waitcnt lgkmcnt(0)
	s_barrier
	s_and_saveexec_b64 s[2:3], vcc
	s_cbranch_execz .LBB107_224
; %bb.222:
	ds_write_b64 v24, v[172:173]
	ds_write2_b64 v25, v[118:119], v[170:171] offset0:45 offset1:46
	ds_write2_b64 v25, v[116:117], v[168:169] offset0:47 offset1:48
	;; [unrolled: 1-line block ×4, first 2 shown]
	ds_write_b64 v25, v[216:217] offset:424
	ds_read_b64 v[6:7], v24
	s_waitcnt lgkmcnt(0)
	v_cmp_neq_f64_e32 vcc, 0, v[6:7]
	s_and_b64 exec, exec, vcc
	s_cbranch_execz .LBB107_224
; %bb.223:
	v_div_scale_f64 v[8:9], s[6:7], v[6:7], v[6:7], 1.0
	v_rcp_f64_e32 v[10:11], v[8:9]
	v_div_scale_f64 v[12:13], vcc, 1.0, v[6:7], 1.0
	v_fma_f64 v[14:15], -v[8:9], v[10:11], 1.0
	v_fmac_f64_e32 v[10:11], v[10:11], v[14:15]
	v_fma_f64 v[14:15], -v[8:9], v[10:11], 1.0
	v_fmac_f64_e32 v[10:11], v[10:11], v[14:15]
	v_mul_f64 v[14:15], v[12:13], v[10:11]
	v_fma_f64 v[8:9], -v[8:9], v[14:15], v[12:13]
	v_div_fmas_f64 v[8:9], v[8:9], v[10:11], v[14:15]
	v_div_fixup_f64 v[6:7], v[8:9], v[6:7], 1.0
	ds_write_b64 v24, v[6:7]
.LBB107_224:
	s_or_b64 exec, exec, s[2:3]
	s_waitcnt lgkmcnt(0)
	s_barrier
	ds_read_b64 v[6:7], v24
	v_cmp_lt_u32_e32 vcc, 44, v26
	s_and_saveexec_b64 s[2:3], vcc
	s_cbranch_execz .LBB107_226
; %bb.225:
	ds_read2_b64 v[8:11], v25 offset0:45 offset1:46
	s_waitcnt lgkmcnt(1)
	v_mul_f64 v[172:173], v[6:7], v[172:173]
	s_waitcnt lgkmcnt(0)
	v_fma_f64 v[118:119], -v[172:173], v[8:9], v[118:119]
	v_fma_f64 v[170:171], -v[172:173], v[10:11], v[170:171]
	ds_read2_b64 v[8:11], v25 offset0:47 offset1:48
	s_waitcnt lgkmcnt(0)
	v_fma_f64 v[116:117], -v[172:173], v[8:9], v[116:117]
	v_fma_f64 v[168:169], -v[172:173], v[10:11], v[168:169]
	ds_read2_b64 v[8:11], v25 offset0:49 offset1:50
	;; [unrolled: 4-line block ×3, first 2 shown]
	s_waitcnt lgkmcnt(0)
	v_fma_f64 v[112:113], -v[172:173], v[8:9], v[112:113]
	ds_read_b64 v[8:9], v25 offset:424
	v_fma_f64 v[164:165], -v[172:173], v[10:11], v[164:165]
	s_waitcnt lgkmcnt(0)
	v_fma_f64 v[216:217], -v[172:173], v[8:9], v[216:217]
.LBB107_226:
	s_or_b64 exec, exec, s[2:3]
	v_cmp_eq_u32_e32 vcc, 45, v26
	s_waitcnt lgkmcnt(0)
	s_barrier
	s_and_saveexec_b64 s[2:3], vcc
	s_cbranch_execz .LBB107_229
; %bb.227:
	v_mov_b32_e32 v8, v170
	v_mov_b32_e32 v9, v171
	;; [unrolled: 1-line block ×4, first 2 shown]
	ds_write_b64 v24, v[118:119]
	ds_write2_b64 v25, v[8:9], v[10:11] offset0:46 offset1:47
	v_mov_b32_e32 v8, v168
	v_mov_b32_e32 v9, v169
	;; [unrolled: 1-line block ×4, first 2 shown]
	ds_write2_b64 v25, v[8:9], v[10:11] offset0:48 offset1:49
	v_mov_b32_e32 v8, v166
	v_mov_b32_e32 v9, v167
	;; [unrolled: 1-line block ×4, first 2 shown]
	ds_write2_b64 v25, v[8:9], v[10:11] offset0:50 offset1:51
	v_mov_b32_e32 v8, v164
	v_mov_b32_e32 v9, v165
	ds_write2_b64 v25, v[8:9], v[216:217] offset0:52 offset1:53
	ds_read_b64 v[8:9], v24
	s_waitcnt lgkmcnt(0)
	v_cmp_neq_f64_e32 vcc, 0, v[8:9]
	s_and_b64 exec, exec, vcc
	s_cbranch_execz .LBB107_229
; %bb.228:
	v_div_scale_f64 v[10:11], s[6:7], v[8:9], v[8:9], 1.0
	v_rcp_f64_e32 v[12:13], v[10:11]
	v_div_scale_f64 v[14:15], vcc, 1.0, v[8:9], 1.0
	v_fma_f64 v[16:17], -v[10:11], v[12:13], 1.0
	v_fmac_f64_e32 v[12:13], v[12:13], v[16:17]
	v_fma_f64 v[16:17], -v[10:11], v[12:13], 1.0
	v_fmac_f64_e32 v[12:13], v[12:13], v[16:17]
	v_mul_f64 v[16:17], v[14:15], v[12:13]
	v_fma_f64 v[10:11], -v[10:11], v[16:17], v[14:15]
	v_div_fmas_f64 v[10:11], v[10:11], v[12:13], v[16:17]
	v_div_fixup_f64 v[8:9], v[10:11], v[8:9], 1.0
	ds_write_b64 v24, v[8:9]
.LBB107_229:
	s_or_b64 exec, exec, s[2:3]
	s_waitcnt lgkmcnt(0)
	s_barrier
	ds_read_b64 v[8:9], v24
	v_cmp_lt_u32_e32 vcc, 45, v26
	s_and_saveexec_b64 s[2:3], vcc
	s_cbranch_execz .LBB107_231
; %bb.230:
	ds_read2_b64 v[10:13], v25 offset0:46 offset1:47
	s_waitcnt lgkmcnt(1)
	v_mul_f64 v[118:119], v[8:9], v[118:119]
	s_waitcnt lgkmcnt(0)
	v_fma_f64 v[170:171], -v[118:119], v[10:11], v[170:171]
	v_fma_f64 v[116:117], -v[118:119], v[12:13], v[116:117]
	ds_read2_b64 v[10:13], v25 offset0:48 offset1:49
	s_waitcnt lgkmcnt(0)
	v_fma_f64 v[168:169], -v[118:119], v[10:11], v[168:169]
	v_fma_f64 v[114:115], -v[118:119], v[12:13], v[114:115]
	ds_read2_b64 v[10:13], v25 offset0:50 offset1:51
	;; [unrolled: 4-line block ×3, first 2 shown]
	s_waitcnt lgkmcnt(0)
	v_fma_f64 v[164:165], -v[118:119], v[10:11], v[164:165]
	v_fma_f64 v[216:217], -v[118:119], v[12:13], v[216:217]
.LBB107_231:
	s_or_b64 exec, exec, s[2:3]
	v_cmp_eq_u32_e32 vcc, 46, v26
	s_waitcnt lgkmcnt(0)
	s_barrier
	s_and_saveexec_b64 s[2:3], vcc
	s_cbranch_execz .LBB107_234
; %bb.232:
	ds_write_b64 v24, v[170:171]
	ds_write2_b64 v25, v[116:117], v[168:169] offset0:47 offset1:48
	ds_write2_b64 v25, v[114:115], v[166:167] offset0:49 offset1:50
	;; [unrolled: 1-line block ×3, first 2 shown]
	ds_write_b64 v25, v[216:217] offset:424
	ds_read_b64 v[10:11], v24
	s_waitcnt lgkmcnt(0)
	v_cmp_neq_f64_e32 vcc, 0, v[10:11]
	s_and_b64 exec, exec, vcc
	s_cbranch_execz .LBB107_234
; %bb.233:
	v_div_scale_f64 v[12:13], s[6:7], v[10:11], v[10:11], 1.0
	v_rcp_f64_e32 v[14:15], v[12:13]
	v_div_scale_f64 v[16:17], vcc, 1.0, v[10:11], 1.0
	v_fma_f64 v[18:19], -v[12:13], v[14:15], 1.0
	v_fmac_f64_e32 v[14:15], v[14:15], v[18:19]
	v_fma_f64 v[18:19], -v[12:13], v[14:15], 1.0
	v_fmac_f64_e32 v[14:15], v[14:15], v[18:19]
	v_mul_f64 v[18:19], v[16:17], v[14:15]
	v_fma_f64 v[12:13], -v[12:13], v[18:19], v[16:17]
	v_div_fmas_f64 v[12:13], v[12:13], v[14:15], v[18:19]
	v_div_fixup_f64 v[10:11], v[12:13], v[10:11], 1.0
	ds_write_b64 v24, v[10:11]
.LBB107_234:
	s_or_b64 exec, exec, s[2:3]
	s_waitcnt lgkmcnt(0)
	s_barrier
	ds_read_b64 v[10:11], v24
	v_cmp_lt_u32_e32 vcc, 46, v26
	s_and_saveexec_b64 s[2:3], vcc
	s_cbranch_execz .LBB107_236
; %bb.235:
	ds_read2_b64 v[12:15], v25 offset0:47 offset1:48
	s_waitcnt lgkmcnt(1)
	v_mul_f64 v[170:171], v[10:11], v[170:171]
	s_waitcnt lgkmcnt(0)
	v_fma_f64 v[116:117], -v[170:171], v[12:13], v[116:117]
	v_fma_f64 v[168:169], -v[170:171], v[14:15], v[168:169]
	ds_read2_b64 v[12:15], v25 offset0:49 offset1:50
	s_waitcnt lgkmcnt(0)
	v_fma_f64 v[114:115], -v[170:171], v[12:13], v[114:115]
	v_fma_f64 v[166:167], -v[170:171], v[14:15], v[166:167]
	ds_read2_b64 v[12:15], v25 offset0:51 offset1:52
	s_waitcnt lgkmcnt(0)
	v_fma_f64 v[112:113], -v[170:171], v[12:13], v[112:113]
	ds_read_b64 v[12:13], v25 offset:424
	v_fma_f64 v[164:165], -v[170:171], v[14:15], v[164:165]
	s_waitcnt lgkmcnt(0)
	v_fma_f64 v[216:217], -v[170:171], v[12:13], v[216:217]
.LBB107_236:
	s_or_b64 exec, exec, s[2:3]
	v_cmp_eq_u32_e32 vcc, 47, v26
	s_waitcnt lgkmcnt(0)
	s_barrier
	s_and_saveexec_b64 s[2:3], vcc
	s_cbranch_execz .LBB107_239
; %bb.237:
	v_mov_b32_e32 v12, v168
	v_mov_b32_e32 v13, v169
	;; [unrolled: 1-line block ×4, first 2 shown]
	ds_write_b64 v24, v[116:117]
	ds_write2_b64 v25, v[12:13], v[14:15] offset0:48 offset1:49
	v_mov_b32_e32 v12, v166
	v_mov_b32_e32 v13, v167
	;; [unrolled: 1-line block ×4, first 2 shown]
	ds_write2_b64 v25, v[12:13], v[14:15] offset0:50 offset1:51
	v_mov_b32_e32 v12, v164
	v_mov_b32_e32 v13, v165
	ds_write2_b64 v25, v[12:13], v[216:217] offset0:52 offset1:53
	ds_read_b64 v[12:13], v24
	s_waitcnt lgkmcnt(0)
	v_cmp_neq_f64_e32 vcc, 0, v[12:13]
	s_and_b64 exec, exec, vcc
	s_cbranch_execz .LBB107_239
; %bb.238:
	v_div_scale_f64 v[14:15], s[6:7], v[12:13], v[12:13], 1.0
	v_rcp_f64_e32 v[16:17], v[14:15]
	v_div_scale_f64 v[18:19], vcc, 1.0, v[12:13], 1.0
	v_fma_f64 v[20:21], -v[14:15], v[16:17], 1.0
	v_fmac_f64_e32 v[16:17], v[16:17], v[20:21]
	v_fma_f64 v[20:21], -v[14:15], v[16:17], 1.0
	v_fmac_f64_e32 v[16:17], v[16:17], v[20:21]
	v_mul_f64 v[20:21], v[18:19], v[16:17]
	v_fma_f64 v[14:15], -v[14:15], v[20:21], v[18:19]
	v_div_fmas_f64 v[14:15], v[14:15], v[16:17], v[20:21]
	v_div_fixup_f64 v[12:13], v[14:15], v[12:13], 1.0
	ds_write_b64 v24, v[12:13]
.LBB107_239:
	s_or_b64 exec, exec, s[2:3]
	s_waitcnt lgkmcnt(0)
	s_barrier
	ds_read_b64 v[12:13], v24
	v_cmp_lt_u32_e32 vcc, 47, v26
	s_and_saveexec_b64 s[2:3], vcc
	s_cbranch_execz .LBB107_241
; %bb.240:
	ds_read2_b64 v[14:17], v25 offset0:48 offset1:49
	s_waitcnt lgkmcnt(1)
	v_mul_f64 v[116:117], v[12:13], v[116:117]
	s_waitcnt lgkmcnt(0)
	v_fma_f64 v[168:169], -v[116:117], v[14:15], v[168:169]
	v_fma_f64 v[114:115], -v[116:117], v[16:17], v[114:115]
	ds_read2_b64 v[14:17], v25 offset0:50 offset1:51
	s_waitcnt lgkmcnt(0)
	v_fma_f64 v[166:167], -v[116:117], v[14:15], v[166:167]
	v_fma_f64 v[112:113], -v[116:117], v[16:17], v[112:113]
	ds_read2_b64 v[14:17], v25 offset0:52 offset1:53
	s_waitcnt lgkmcnt(0)
	v_fma_f64 v[164:165], -v[116:117], v[14:15], v[164:165]
	v_fma_f64 v[216:217], -v[116:117], v[16:17], v[216:217]
.LBB107_241:
	s_or_b64 exec, exec, s[2:3]
	v_cmp_eq_u32_e32 vcc, 48, v26
	s_waitcnt lgkmcnt(0)
	s_barrier
	s_and_saveexec_b64 s[2:3], vcc
	s_cbranch_execz .LBB107_244
; %bb.242:
	ds_write_b64 v24, v[168:169]
	ds_write2_b64 v25, v[114:115], v[166:167] offset0:49 offset1:50
	ds_write2_b64 v25, v[112:113], v[164:165] offset0:51 offset1:52
	ds_write_b64 v25, v[216:217] offset:424
	ds_read_b64 v[14:15], v24
	s_waitcnt lgkmcnt(0)
	v_cmp_neq_f64_e32 vcc, 0, v[14:15]
	s_and_b64 exec, exec, vcc
	s_cbranch_execz .LBB107_244
; %bb.243:
	v_div_scale_f64 v[16:17], s[6:7], v[14:15], v[14:15], 1.0
	v_rcp_f64_e32 v[18:19], v[16:17]
	v_div_scale_f64 v[20:21], vcc, 1.0, v[14:15], 1.0
	v_fma_f64 v[22:23], -v[16:17], v[18:19], 1.0
	v_fmac_f64_e32 v[18:19], v[18:19], v[22:23]
	v_fma_f64 v[22:23], -v[16:17], v[18:19], 1.0
	v_fmac_f64_e32 v[18:19], v[18:19], v[22:23]
	v_mul_f64 v[22:23], v[20:21], v[18:19]
	v_fma_f64 v[16:17], -v[16:17], v[22:23], v[20:21]
	v_div_fmas_f64 v[16:17], v[16:17], v[18:19], v[22:23]
	v_div_fixup_f64 v[14:15], v[16:17], v[14:15], 1.0
	ds_write_b64 v24, v[14:15]
.LBB107_244:
	s_or_b64 exec, exec, s[2:3]
	s_waitcnt lgkmcnt(0)
	s_barrier
	ds_read_b64 v[14:15], v24
	v_cmp_lt_u32_e32 vcc, 48, v26
	s_and_saveexec_b64 s[2:3], vcc
	s_cbranch_execz .LBB107_246
; %bb.245:
	ds_read2_b64 v[16:19], v25 offset0:49 offset1:50
	s_waitcnt lgkmcnt(1)
	v_mul_f64 v[168:169], v[14:15], v[168:169]
	s_waitcnt lgkmcnt(0)
	v_fma_f64 v[114:115], -v[168:169], v[16:17], v[114:115]
	v_fma_f64 v[166:167], -v[168:169], v[18:19], v[166:167]
	ds_read2_b64 v[16:19], v25 offset0:51 offset1:52
	s_waitcnt lgkmcnt(0)
	v_fma_f64 v[112:113], -v[168:169], v[16:17], v[112:113]
	ds_read_b64 v[16:17], v25 offset:424
	v_fma_f64 v[164:165], -v[168:169], v[18:19], v[164:165]
	s_waitcnt lgkmcnt(0)
	v_fma_f64 v[216:217], -v[168:169], v[16:17], v[216:217]
.LBB107_246:
	s_or_b64 exec, exec, s[2:3]
	v_cmp_eq_u32_e32 vcc, 49, v26
	s_waitcnt lgkmcnt(0)
	s_barrier
	s_and_saveexec_b64 s[2:3], vcc
	s_cbranch_execz .LBB107_249
; %bb.247:
	v_mov_b32_e32 v16, v166
	v_mov_b32_e32 v17, v167
	;; [unrolled: 1-line block ×4, first 2 shown]
	ds_write_b64 v24, v[114:115]
	ds_write2_b64 v25, v[16:17], v[18:19] offset0:50 offset1:51
	v_mov_b32_e32 v16, v164
	v_mov_b32_e32 v17, v165
	ds_write2_b64 v25, v[16:17], v[216:217] offset0:52 offset1:53
	ds_read_b64 v[16:17], v24
	s_waitcnt lgkmcnt(0)
	v_cmp_neq_f64_e32 vcc, 0, v[16:17]
	s_and_b64 exec, exec, vcc
	s_cbranch_execz .LBB107_249
; %bb.248:
	v_div_scale_f64 v[18:19], s[6:7], v[16:17], v[16:17], 1.0
	v_rcp_f64_e32 v[20:21], v[18:19]
	v_div_scale_f64 v[22:23], vcc, 1.0, v[16:17], 1.0
	v_fma_f64 v[28:29], -v[18:19], v[20:21], 1.0
	v_fmac_f64_e32 v[20:21], v[20:21], v[28:29]
	v_fma_f64 v[28:29], -v[18:19], v[20:21], 1.0
	v_fmac_f64_e32 v[20:21], v[20:21], v[28:29]
	v_mul_f64 v[28:29], v[22:23], v[20:21]
	v_fma_f64 v[18:19], -v[18:19], v[28:29], v[22:23]
	v_div_fmas_f64 v[18:19], v[18:19], v[20:21], v[28:29]
	v_div_fixup_f64 v[16:17], v[18:19], v[16:17], 1.0
	ds_write_b64 v24, v[16:17]
.LBB107_249:
	s_or_b64 exec, exec, s[2:3]
	s_waitcnt lgkmcnt(0)
	s_barrier
	ds_read_b64 v[16:17], v24
	v_cmp_lt_u32_e32 vcc, 49, v26
	s_and_saveexec_b64 s[2:3], vcc
	s_cbranch_execz .LBB107_251
; %bb.250:
	ds_read2_b64 v[18:21], v25 offset0:50 offset1:51
	s_waitcnt lgkmcnt(1)
	v_mul_f64 v[114:115], v[16:17], v[114:115]
	s_waitcnt lgkmcnt(0)
	v_fma_f64 v[166:167], -v[114:115], v[18:19], v[166:167]
	v_fma_f64 v[112:113], -v[114:115], v[20:21], v[112:113]
	ds_read2_b64 v[18:21], v25 offset0:52 offset1:53
	s_waitcnt lgkmcnt(0)
	v_fma_f64 v[164:165], -v[114:115], v[18:19], v[164:165]
	v_fma_f64 v[216:217], -v[114:115], v[20:21], v[216:217]
.LBB107_251:
	s_or_b64 exec, exec, s[2:3]
	v_cmp_eq_u32_e32 vcc, 50, v26
	s_waitcnt lgkmcnt(0)
	s_barrier
	s_and_saveexec_b64 s[2:3], vcc
	s_cbranch_execz .LBB107_254
; %bb.252:
	ds_write_b64 v24, v[166:167]
	ds_write2_b64 v25, v[112:113], v[164:165] offset0:51 offset1:52
	ds_write_b64 v25, v[216:217] offset:424
	ds_read_b64 v[18:19], v24
	s_waitcnt lgkmcnt(0)
	v_cmp_neq_f64_e32 vcc, 0, v[18:19]
	s_and_b64 exec, exec, vcc
	s_cbranch_execz .LBB107_254
; %bb.253:
	v_div_scale_f64 v[20:21], s[6:7], v[18:19], v[18:19], 1.0
	v_rcp_f64_e32 v[22:23], v[20:21]
	v_div_scale_f64 v[28:29], vcc, 1.0, v[18:19], 1.0
	v_fma_f64 v[30:31], -v[20:21], v[22:23], 1.0
	v_fmac_f64_e32 v[22:23], v[22:23], v[30:31]
	v_fma_f64 v[30:31], -v[20:21], v[22:23], 1.0
	v_fmac_f64_e32 v[22:23], v[22:23], v[30:31]
	v_mul_f64 v[30:31], v[28:29], v[22:23]
	v_fma_f64 v[20:21], -v[20:21], v[30:31], v[28:29]
	v_div_fmas_f64 v[20:21], v[20:21], v[22:23], v[30:31]
	v_div_fixup_f64 v[18:19], v[20:21], v[18:19], 1.0
	ds_write_b64 v24, v[18:19]
.LBB107_254:
	s_or_b64 exec, exec, s[2:3]
	s_waitcnt lgkmcnt(0)
	s_barrier
	ds_read_b64 v[18:19], v24
	v_cmp_lt_u32_e32 vcc, 50, v26
	s_and_saveexec_b64 s[2:3], vcc
	s_cbranch_execz .LBB107_256
; %bb.255:
	ds_read2_b64 v[20:23], v25 offset0:51 offset1:52
	s_waitcnt lgkmcnt(1)
	v_mul_f64 v[166:167], v[18:19], v[166:167]
	s_waitcnt lgkmcnt(0)
	v_fma_f64 v[112:113], -v[166:167], v[20:21], v[112:113]
	ds_read_b64 v[20:21], v25 offset:424
	v_fma_f64 v[164:165], -v[166:167], v[22:23], v[164:165]
	s_waitcnt lgkmcnt(0)
	v_fma_f64 v[216:217], -v[166:167], v[20:21], v[216:217]
.LBB107_256:
	s_or_b64 exec, exec, s[2:3]
	v_cmp_eq_u32_e32 vcc, 51, v26
	s_waitcnt lgkmcnt(0)
	s_barrier
	s_and_saveexec_b64 s[2:3], vcc
	s_cbranch_execz .LBB107_259
; %bb.257:
	v_mov_b32_e32 v20, v164
	v_mov_b32_e32 v21, v165
	ds_write_b64 v24, v[112:113]
	ds_write2_b64 v25, v[20:21], v[216:217] offset0:52 offset1:53
	ds_read_b64 v[20:21], v24
	s_waitcnt lgkmcnt(0)
	v_cmp_neq_f64_e32 vcc, 0, v[20:21]
	s_and_b64 exec, exec, vcc
	s_cbranch_execz .LBB107_259
; %bb.258:
	v_div_scale_f64 v[22:23], s[6:7], v[20:21], v[20:21], 1.0
	v_rcp_f64_e32 v[28:29], v[22:23]
	v_pk_mov_b32 v[0:1], v[2:3], v[2:3] op_sel:[0,1]
	v_pk_mov_b32 v[2:3], v[224:225], v[224:225] op_sel:[0,1]
	;; [unrolled: 1-line block ×3, first 2 shown]
	v_fma_f64 v[32:33], -v[22:23], v[28:29], 1.0
	v_fmac_f64_e32 v[28:29], v[28:29], v[32:33]
	v_fma_f64 v[32:33], -v[22:23], v[28:29], 1.0
	v_div_scale_f64 v[30:31], vcc, 1.0, v[20:21], 1.0
	v_fmac_f64_e32 v[28:29], v[28:29], v[32:33]
	v_mul_f64 v[32:33], v[30:31], v[28:29]
	v_fma_f64 v[22:23], -v[22:23], v[32:33], v[30:31]
	s_nop 0
	v_div_fmas_f64 v[22:23], v[22:23], v[28:29], v[32:33]
	v_pk_mov_b32 v[32:33], v[224:225], v[224:225] op_sel:[0,1]
	v_pk_mov_b32 v[224:225], v[2:3], v[2:3] op_sel:[0,1]
	;; [unrolled: 1-line block ×3, first 2 shown]
	v_div_fixup_f64 v[20:21], v[22:23], v[20:21], 1.0
	ds_write_b64 v24, v[20:21]
.LBB107_259:
	s_or_b64 exec, exec, s[2:3]
	s_waitcnt lgkmcnt(0)
	s_barrier
	ds_read_b64 v[20:21], v24
	v_cmp_lt_u32_e32 vcc, 51, v26
	s_and_saveexec_b64 s[2:3], vcc
	s_cbranch_execz .LBB107_261
; %bb.260:
	ds_read2_b64 v[28:31], v25 offset0:52 offset1:53
	s_waitcnt lgkmcnt(1)
	v_mul_f64 v[112:113], v[20:21], v[112:113]
	s_waitcnt lgkmcnt(0)
	v_fma_f64 v[164:165], -v[112:113], v[28:29], v[164:165]
	v_fma_f64 v[216:217], -v[112:113], v[30:31], v[216:217]
.LBB107_261:
	s_or_b64 exec, exec, s[2:3]
	v_cmp_eq_u32_e32 vcc, 52, v26
	s_waitcnt lgkmcnt(0)
	s_barrier
	s_and_saveexec_b64 s[2:3], vcc
	s_cbranch_execz .LBB107_264
; %bb.262:
	ds_write_b64 v24, v[164:165]
	ds_write_b64 v25, v[216:217] offset:424
	ds_read_b64 v[22:23], v24
	s_waitcnt lgkmcnt(0)
	v_cmp_neq_f64_e32 vcc, 0, v[22:23]
	s_and_b64 exec, exec, vcc
	s_cbranch_execz .LBB107_264
; %bb.263:
	v_div_scale_f64 v[28:29], s[6:7], v[22:23], v[22:23], 1.0
	v_rcp_f64_e32 v[30:31], v[28:29]
	v_pk_mov_b32 v[0:1], v[222:223], v[222:223] op_sel:[0,1]
	v_pk_mov_b32 v[222:223], v[220:221], v[220:221] op_sel:[0,1]
	v_pk_mov_b32 v[220:221], v[218:219], v[218:219] op_sel:[0,1]
	v_pk_mov_b32 v[218:219], v[254:255], v[254:255] op_sel:[0,1]
	v_pk_mov_b32 v[254:255], v[252:253], v[252:253] op_sel:[0,1]
	v_pk_mov_b32 v[252:253], v[224:225], v[224:225] op_sel:[0,1]
	v_pk_mov_b32 v[224:225], v[108:109], v[108:109] op_sel:[0,1]
	v_pk_mov_b32 v[108:109], v[104:105], v[104:105] op_sel:[0,1]
	v_pk_mov_b32 v[104:105], v[102:103], v[102:103] op_sel:[0,1]
	v_pk_mov_b32 v[102:103], v[100:101], v[100:101] op_sel:[0,1]
	v_pk_mov_b32 v[100:101], v[98:99], v[98:99] op_sel:[0,1]
	v_pk_mov_b32 v[98:99], v[96:97], v[96:97] op_sel:[0,1]
	v_pk_mov_b32 v[96:97], v[94:95], v[94:95] op_sel:[0,1]
	v_pk_mov_b32 v[94:95], v[92:93], v[92:93] op_sel:[0,1]
	v_pk_mov_b32 v[92:93], v[90:91], v[90:91] op_sel:[0,1]
	v_pk_mov_b32 v[90:91], v[88:89], v[88:89] op_sel:[0,1]
	v_pk_mov_b32 v[88:89], v[86:87], v[86:87] op_sel:[0,1]
	v_pk_mov_b32 v[86:87], v[84:85], v[84:85] op_sel:[0,1]
	v_pk_mov_b32 v[84:85], v[82:83], v[82:83] op_sel:[0,1]
	v_pk_mov_b32 v[82:83], v[80:81], v[80:81] op_sel:[0,1]
	v_pk_mov_b32 v[80:81], v[78:79], v[78:79] op_sel:[0,1]
	v_pk_mov_b32 v[78:79], v[76:77], v[76:77] op_sel:[0,1]
	v_pk_mov_b32 v[76:77], v[74:75], v[74:75] op_sel:[0,1]
	v_pk_mov_b32 v[74:75], v[72:73], v[72:73] op_sel:[0,1]
	v_pk_mov_b32 v[72:73], v[70:71], v[70:71] op_sel:[0,1]
	v_pk_mov_b32 v[70:71], v[68:69], v[68:69] op_sel:[0,1]
	v_pk_mov_b32 v[68:69], v[66:67], v[66:67] op_sel:[0,1]
	v_pk_mov_b32 v[66:67], v[64:65], v[64:65] op_sel:[0,1]
	v_pk_mov_b32 v[64:65], v[62:63], v[62:63] op_sel:[0,1]
	v_pk_mov_b32 v[62:63], v[60:61], v[60:61] op_sel:[0,1]
	v_pk_mov_b32 v[60:61], v[58:59], v[58:59] op_sel:[0,1]
	v_pk_mov_b32 v[58:59], v[56:57], v[56:57] op_sel:[0,1]
	v_pk_mov_b32 v[56:57], v[54:55], v[54:55] op_sel:[0,1]
	v_pk_mov_b32 v[54:55], v[52:53], v[52:53] op_sel:[0,1]
	v_pk_mov_b32 v[52:53], v[50:51], v[50:51] op_sel:[0,1]
	v_pk_mov_b32 v[50:51], v[48:49], v[48:49] op_sel:[0,1]
	v_pk_mov_b32 v[48:49], v[46:47], v[46:47] op_sel:[0,1]
	v_pk_mov_b32 v[46:47], v[44:45], v[44:45] op_sel:[0,1]
	v_pk_mov_b32 v[44:45], v[42:43], v[42:43] op_sel:[0,1]
	v_pk_mov_b32 v[42:43], v[40:41], v[40:41] op_sel:[0,1]
	v_pk_mov_b32 v[40:41], v[38:39], v[38:39] op_sel:[0,1]
	v_pk_mov_b32 v[38:39], v[34:35], v[34:35] op_sel:[0,1]
	v_fma_f64 v[34:35], -v[28:29], v[30:31], 1.0
	v_fmac_f64_e32 v[30:31], v[30:31], v[34:35]
	v_fma_f64 v[34:35], -v[28:29], v[30:31], 1.0
	buffer_store_dword v24, off, s[16:19], 0 offset:312 ; 4-byte Folded Spill
	v_mov_b32_e32 v24, v26
	v_pk_mov_b32 v[26:27], v[144:145], v[144:145] op_sel:[0,1]
	v_pk_mov_b32 v[144:145], v[198:199], v[198:199] op_sel:[0,1]
	;; [unrolled: 1-line block ×40, first 2 shown]
	v_div_scale_f64 v[32:33], vcc, 1.0, v[22:23], 1.0
	v_fmac_f64_e32 v[30:31], v[30:31], v[34:35]
	v_mul_f64 v[34:35], v[32:33], v[30:31]
	v_fma_f64 v[28:29], -v[28:29], v[34:35], v[32:33]
	v_pk_mov_b32 v[32:33], v[226:227], v[226:227] op_sel:[0,1]
	v_pk_mov_b32 v[226:227], v[228:229], v[228:229] op_sel:[0,1]
	;; [unrolled: 1-line block ×40, first 2 shown]
	v_mov_b32_e32 v26, v24
	buffer_load_dword v24, off, s[16:19], 0 offset:312 ; 4-byte Folded Reload
	v_div_fmas_f64 v[28:29], v[28:29], v[30:31], v[34:35]
	v_pk_mov_b32 v[34:35], v[38:39], v[38:39] op_sel:[0,1]
	v_pk_mov_b32 v[38:39], v[40:41], v[40:41] op_sel:[0,1]
	;; [unrolled: 1-line block ×42, first 2 shown]
	v_div_fixup_f64 v[22:23], v[28:29], v[22:23], 1.0
	s_waitcnt vmcnt(0)
	ds_write_b64 v24, v[22:23]
.LBB107_264:
	s_or_b64 exec, exec, s[2:3]
	s_waitcnt lgkmcnt(0)
	s_barrier
	ds_read_b64 v[22:23], v24
	v_cmp_lt_u32_e32 vcc, 52, v26
	s_and_saveexec_b64 s[2:3], vcc
	s_cbranch_execz .LBB107_266
; %bb.265:
	ds_read_b64 v[28:29], v25 offset:424
	s_waitcnt lgkmcnt(1)
	v_mul_f64 v[164:165], v[22:23], v[164:165]
	s_waitcnt lgkmcnt(0)
	v_fma_f64 v[216:217], -v[164:165], v[28:29], v[216:217]
.LBB107_266:
	s_or_b64 exec, exec, s[2:3]
	v_cmp_eq_u32_e32 vcc, 53, v26
	s_waitcnt lgkmcnt(0)
	s_barrier
	s_and_saveexec_b64 s[2:3], vcc
	s_cbranch_execz .LBB107_269
; %bb.267:
	v_cmp_neq_f64_e32 vcc, 0, v[216:217]
	ds_write_b64 v24, v[216:217]
	s_and_b64 exec, exec, vcc
	s_cbranch_execz .LBB107_269
; %bb.268:
	v_div_scale_f64 v[28:29], s[6:7], v[216:217], v[216:217], 1.0
	v_rcp_f64_e32 v[30:31], v[28:29]
	v_pk_mov_b32 v[0:1], v[222:223], v[222:223] op_sel:[0,1]
	v_pk_mov_b32 v[222:223], v[220:221], v[220:221] op_sel:[0,1]
	;; [unrolled: 1-line block ×43, first 2 shown]
	v_fma_f64 v[34:35], -v[28:29], v[30:31], 1.0
	v_fmac_f64_e32 v[30:31], v[30:31], v[34:35]
	v_fma_f64 v[34:35], -v[28:29], v[30:31], 1.0
	v_mov_b32_e32 v25, v26
	v_pk_mov_b32 v[26:27], v[144:145], v[144:145] op_sel:[0,1]
	v_pk_mov_b32 v[144:145], v[198:199], v[198:199] op_sel:[0,1]
	;; [unrolled: 1-line block ×40, first 2 shown]
	v_div_scale_f64 v[32:33], vcc, 1.0, v[216:217], 1.0
	v_fmac_f64_e32 v[30:31], v[30:31], v[34:35]
	v_mul_f64 v[34:35], v[32:33], v[30:31]
	v_fma_f64 v[28:29], -v[28:29], v[34:35], v[32:33]
	s_nop 0
	v_div_fmas_f64 v[28:29], v[28:29], v[30:31], v[34:35]
	v_pk_mov_b32 v[32:33], v[226:227], v[226:227] op_sel:[0,1]
	v_pk_mov_b32 v[226:227], v[228:229], v[228:229] op_sel:[0,1]
	v_pk_mov_b32 v[228:229], v[230:231], v[230:231] op_sel:[0,1]
	v_pk_mov_b32 v[230:231], v[232:233], v[232:233] op_sel:[0,1]
	v_pk_mov_b32 v[232:233], v[234:235], v[234:235] op_sel:[0,1]
	v_pk_mov_b32 v[234:235], v[106:107], v[106:107] op_sel:[0,1]
	v_pk_mov_b32 v[106:107], v[236:237], v[236:237] op_sel:[0,1]
	v_pk_mov_b32 v[236:237], v[238:239], v[238:239] op_sel:[0,1]
	v_pk_mov_b32 v[238:239], v[240:241], v[240:241] op_sel:[0,1]
	v_pk_mov_b32 v[240:241], v[242:243], v[242:243] op_sel:[0,1]
	v_pk_mov_b32 v[242:243], v[244:245], v[244:245] op_sel:[0,1]
	v_pk_mov_b32 v[244:245], v[246:247], v[246:247] op_sel:[0,1]
	v_pk_mov_b32 v[246:247], v[248:249], v[248:249] op_sel:[0,1]
	v_pk_mov_b32 v[248:249], v[250:251], v[250:251] op_sel:[0,1]
	v_pk_mov_b32 v[250:251], v[2:3], v[2:3] op_sel:[0,1]
	v_pk_mov_b32 v[2:3], v[110:111], v[110:111] op_sel:[0,1]
	v_pk_mov_b32 v[110:111], v[4:5], v[4:5] op_sel:[0,1]
	v_pk_mov_b32 v[4:5], v[162:163], v[162:163] op_sel:[0,1]
	v_pk_mov_b32 v[162:163], v[214:215], v[214:215] op_sel:[0,1]
	v_pk_mov_b32 v[214:215], v[160:161], v[160:161] op_sel:[0,1]
	v_pk_mov_b32 v[160:161], v[212:213], v[212:213] op_sel:[0,1]
	v_pk_mov_b32 v[212:213], v[6:7], v[6:7] op_sel:[0,1]
	v_pk_mov_b32 v[6:7], v[158:159], v[158:159] op_sel:[0,1]
	v_pk_mov_b32 v[158:159], v[210:211], v[210:211] op_sel:[0,1]
	v_pk_mov_b32 v[210:211], v[156:157], v[156:157] op_sel:[0,1]
	v_pk_mov_b32 v[156:157], v[208:209], v[208:209] op_sel:[0,1]
	v_pk_mov_b32 v[208:209], v[8:9], v[8:9] op_sel:[0,1]
	v_pk_mov_b32 v[8:9], v[154:155], v[154:155] op_sel:[0,1]
	v_pk_mov_b32 v[154:155], v[206:207], v[206:207] op_sel:[0,1]
	v_pk_mov_b32 v[206:207], v[152:153], v[152:153] op_sel:[0,1]
	v_pk_mov_b32 v[152:153], v[204:205], v[204:205] op_sel:[0,1]
	v_pk_mov_b32 v[204:205], v[150:151], v[150:151] op_sel:[0,1]
	v_pk_mov_b32 v[150:151], v[202:203], v[202:203] op_sel:[0,1]
	v_pk_mov_b32 v[202:203], v[10:11], v[10:11] op_sel:[0,1]
	v_pk_mov_b32 v[10:11], v[148:149], v[148:149] op_sel:[0,1]
	v_pk_mov_b32 v[148:149], v[200:201], v[200:201] op_sel:[0,1]
	v_pk_mov_b32 v[200:201], v[146:147], v[146:147] op_sel:[0,1]
	v_pk_mov_b32 v[146:147], v[198:199], v[198:199] op_sel:[0,1]
	v_pk_mov_b32 v[198:199], v[144:145], v[144:145] op_sel:[0,1]
	v_pk_mov_b32 v[144:145], v[26:27], v[26:27] op_sel:[0,1]
	v_mov_b32_e32 v26, v25
	v_pk_mov_b32 v[34:35], v[36:37], v[36:37] op_sel:[0,1]
	v_pk_mov_b32 v[36:37], v[38:39], v[38:39] op_sel:[0,1]
	;; [unrolled: 1-line block ×43, first 2 shown]
	v_div_fixup_f64 v[28:29], v[28:29], v[216:217], 1.0
	ds_write_b64 v24, v[28:29]
.LBB107_269:
	s_or_b64 exec, exec, s[2:3]
	s_waitcnt lgkmcnt(0)
	s_barrier
	ds_read_b64 v[24:25], v24
	s_waitcnt lgkmcnt(0)
	s_barrier
	s_and_saveexec_b64 s[2:3], s[0:1]
	s_cbranch_execz .LBB107_272
; %bb.270:
	buffer_load_dword v0, off, s[16:19], 0 offset:24 ; 4-byte Folded Reload
	buffer_load_dword v1, off, s[16:19], 0 offset:28 ; 4-byte Folded Reload
	v_cmp_eq_f64_e32 vcc, 0, v[224:225]
	v_cmp_neq_f64_e64 s[0:1], 0, v[252:253]
	v_cndmask_b32_e64 v27, 0, 1, vcc
	s_or_b64 vcc, s[0:1], vcc
	v_cndmask_b32_e32 v27, 2, v27, vcc
	v_cmp_eq_f64_e32 vcc, 0, v[254:255]
	v_cmp_eq_u32_e64 s[0:1], 0, v27
	s_and_b64 s[0:1], vcc, s[0:1]
	v_cndmask_b32_e64 v27, v27, 3, s[0:1]
	v_cmp_eq_f64_e32 vcc, 0, v[218:219]
	v_cmp_eq_u32_e64 s[0:1], 0, v27
	s_and_b64 s[0:1], vcc, s[0:1]
	v_cndmask_b32_e64 v27, v27, 4, s[0:1]
	;; [unrolled: 4-line block ×4, first 2 shown]
	v_cmp_eq_u32_e64 s[0:1], 0, v27
	s_load_dwordx2 s[4:5], s[4:5], 0x28
	v_lshlrev_b64 v[28:29], 2, v[34:35]
	s_waitcnt lgkmcnt(0)
	v_mov_b32_e32 v30, s5
	s_waitcnt vmcnt(0)
	v_cmp_eq_f64_e32 vcc, 0, v[0:1]
	buffer_load_dword v0, off, s[16:19], 0 offset:32 ; 4-byte Folded Reload
	buffer_load_dword v1, off, s[16:19], 0 offset:36 ; 4-byte Folded Reload
	s_and_b64 s[0:1], vcc, s[0:1]
	v_cndmask_b32_e64 v27, v27, 7, s[0:1]
	v_cmp_eq_u32_e64 s[0:1], 0, v27
	s_waitcnt vmcnt(0)
	v_cmp_eq_f64_e32 vcc, 0, v[0:1]
	buffer_load_dword v0, off, s[16:19], 0 offset:40 ; 4-byte Folded Reload
	buffer_load_dword v1, off, s[16:19], 0 offset:44 ; 4-byte Folded Reload
	s_and_b64 s[0:1], vcc, s[0:1]
	v_cndmask_b32_e64 v27, v27, 8, s[0:1]
	v_cmp_eq_u32_e64 s[0:1], 0, v27
	s_waitcnt vmcnt(0)
	v_cmp_eq_f64_e32 vcc, 0, v[0:1]
	buffer_load_dword v0, off, s[16:19], 0 offset:48 ; 4-byte Folded Reload
	buffer_load_dword v1, off, s[16:19], 0 offset:52 ; 4-byte Folded Reload
	s_and_b64 s[0:1], vcc, s[0:1]
	v_cndmask_b32_e64 v27, v27, 9, s[0:1]
	v_cmp_eq_u32_e64 s[0:1], 0, v27
	s_waitcnt vmcnt(0)
	v_cmp_eq_f64_e32 vcc, 0, v[0:1]
	buffer_load_dword v0, off, s[16:19], 0 offset:56 ; 4-byte Folded Reload
	buffer_load_dword v1, off, s[16:19], 0 offset:60 ; 4-byte Folded Reload
	s_and_b64 s[0:1], vcc, s[0:1]
	v_cndmask_b32_e64 v27, v27, 10, s[0:1]
	v_cmp_eq_u32_e64 s[0:1], 0, v27
	s_waitcnt vmcnt(0)
	v_cmp_eq_f64_e32 vcc, 0, v[0:1]
	buffer_load_dword v0, off, s[16:19], 0 offset:64 ; 4-byte Folded Reload
	buffer_load_dword v1, off, s[16:19], 0 offset:68 ; 4-byte Folded Reload
	s_and_b64 s[0:1], vcc, s[0:1]
	v_cndmask_b32_e64 v27, v27, 11, s[0:1]
	v_cmp_eq_u32_e64 s[0:1], 0, v27
	s_waitcnt vmcnt(0)
	v_cmp_eq_f64_e32 vcc, 0, v[0:1]
	buffer_load_dword v0, off, s[16:19], 0 offset:72 ; 4-byte Folded Reload
	buffer_load_dword v1, off, s[16:19], 0 offset:76 ; 4-byte Folded Reload
	s_and_b64 s[0:1], vcc, s[0:1]
	v_cndmask_b32_e64 v27, v27, 12, s[0:1]
	v_cmp_eq_u32_e64 s[0:1], 0, v27
	s_waitcnt vmcnt(0)
	v_cmp_eq_f64_e32 vcc, 0, v[0:1]
	buffer_load_dword v0, off, s[16:19], 0 offset:80 ; 4-byte Folded Reload
	buffer_load_dword v1, off, s[16:19], 0 offset:84 ; 4-byte Folded Reload
	s_and_b64 s[0:1], vcc, s[0:1]
	v_cndmask_b32_e64 v27, v27, 13, s[0:1]
	v_cmp_eq_u32_e64 s[0:1], 0, v27
	s_waitcnt vmcnt(0)
	v_cmp_eq_f64_e32 vcc, 0, v[0:1]
	buffer_load_dword v0, off, s[16:19], 0 offset:88 ; 4-byte Folded Reload
	buffer_load_dword v1, off, s[16:19], 0 offset:92 ; 4-byte Folded Reload
	s_and_b64 s[0:1], vcc, s[0:1]
	v_cndmask_b32_e64 v27, v27, 14, s[0:1]
	v_cmp_eq_u32_e64 s[0:1], 0, v27
	s_waitcnt vmcnt(0)
	v_cmp_eq_f64_e32 vcc, 0, v[0:1]
	buffer_load_dword v0, off, s[16:19], 0 offset:96 ; 4-byte Folded Reload
	buffer_load_dword v1, off, s[16:19], 0 offset:100 ; 4-byte Folded Reload
	s_and_b64 s[0:1], vcc, s[0:1]
	v_cndmask_b32_e64 v27, v27, 15, s[0:1]
	v_cmp_eq_u32_e64 s[0:1], 0, v27
	s_waitcnt vmcnt(0)
	v_cmp_eq_f64_e32 vcc, 0, v[0:1]
	buffer_load_dword v0, off, s[16:19], 0 offset:104 ; 4-byte Folded Reload
	buffer_load_dword v1, off, s[16:19], 0 offset:108 ; 4-byte Folded Reload
	s_and_b64 s[0:1], vcc, s[0:1]
	v_cndmask_b32_e64 v27, v27, 16, s[0:1]
	v_cmp_eq_u32_e64 s[0:1], 0, v27
	s_waitcnt vmcnt(0)
	v_cmp_eq_f64_e32 vcc, 0, v[0:1]
	buffer_load_dword v0, off, s[16:19], 0 offset:112 ; 4-byte Folded Reload
	buffer_load_dword v1, off, s[16:19], 0 offset:116 ; 4-byte Folded Reload
	s_and_b64 s[0:1], vcc, s[0:1]
	v_cndmask_b32_e64 v27, v27, 17, s[0:1]
	v_cmp_eq_u32_e64 s[0:1], 0, v27
	s_waitcnt vmcnt(0)
	v_cmp_eq_f64_e32 vcc, 0, v[0:1]
	buffer_load_dword v0, off, s[16:19], 0 offset:120 ; 4-byte Folded Reload
	buffer_load_dword v1, off, s[16:19], 0 offset:124 ; 4-byte Folded Reload
	s_and_b64 s[0:1], vcc, s[0:1]
	v_cndmask_b32_e64 v27, v27, 18, s[0:1]
	v_cmp_eq_u32_e64 s[0:1], 0, v27
	s_waitcnt vmcnt(0)
	v_cmp_eq_f64_e32 vcc, 0, v[0:1]
	buffer_load_dword v0, off, s[16:19], 0 offset:128 ; 4-byte Folded Reload
	buffer_load_dword v1, off, s[16:19], 0 offset:132 ; 4-byte Folded Reload
	s_and_b64 s[0:1], vcc, s[0:1]
	v_cndmask_b32_e64 v27, v27, 19, s[0:1]
	v_cmp_eq_u32_e64 s[0:1], 0, v27
	s_waitcnt vmcnt(0)
	v_cmp_eq_f64_e32 vcc, 0, v[0:1]
	buffer_load_dword v0, off, s[16:19], 0 offset:136 ; 4-byte Folded Reload
	buffer_load_dword v1, off, s[16:19], 0 offset:140 ; 4-byte Folded Reload
	s_and_b64 s[0:1], vcc, s[0:1]
	v_cndmask_b32_e64 v27, v27, 20, s[0:1]
	v_cmp_eq_u32_e64 s[0:1], 0, v27
	s_waitcnt vmcnt(0)
	v_cmp_eq_f64_e32 vcc, 0, v[0:1]
	buffer_load_dword v0, off, s[16:19], 0 offset:144 ; 4-byte Folded Reload
	buffer_load_dword v1, off, s[16:19], 0 offset:148 ; 4-byte Folded Reload
	s_and_b64 s[0:1], vcc, s[0:1]
	v_cndmask_b32_e64 v27, v27, 21, s[0:1]
	v_cmp_eq_u32_e64 s[0:1], 0, v27
	s_waitcnt vmcnt(0)
	v_cmp_eq_f64_e32 vcc, 0, v[0:1]
	buffer_load_dword v0, off, s[16:19], 0 offset:152 ; 4-byte Folded Reload
	buffer_load_dword v1, off, s[16:19], 0 offset:156 ; 4-byte Folded Reload
	s_and_b64 s[0:1], vcc, s[0:1]
	v_cndmask_b32_e64 v27, v27, 22, s[0:1]
	v_cmp_eq_u32_e64 s[0:1], 0, v27
	s_waitcnt vmcnt(0)
	v_cmp_eq_f64_e32 vcc, 0, v[0:1]
	buffer_load_dword v0, off, s[16:19], 0 offset:160 ; 4-byte Folded Reload
	buffer_load_dword v1, off, s[16:19], 0 offset:164 ; 4-byte Folded Reload
	s_and_b64 s[0:1], vcc, s[0:1]
	v_cndmask_b32_e64 v27, v27, 23, s[0:1]
	v_cmp_eq_u32_e64 s[0:1], 0, v27
	s_waitcnt vmcnt(0)
	v_cmp_eq_f64_e32 vcc, 0, v[0:1]
	buffer_load_dword v0, off, s[16:19], 0 offset:168 ; 4-byte Folded Reload
	buffer_load_dword v1, off, s[16:19], 0 offset:172 ; 4-byte Folded Reload
	s_and_b64 s[0:1], vcc, s[0:1]
	v_cndmask_b32_e64 v27, v27, 24, s[0:1]
	v_cmp_eq_u32_e64 s[0:1], 0, v27
	s_waitcnt vmcnt(0)
	v_cmp_eq_f64_e32 vcc, 0, v[0:1]
	buffer_load_dword v0, off, s[16:19], 0 offset:176 ; 4-byte Folded Reload
	buffer_load_dword v1, off, s[16:19], 0 offset:180 ; 4-byte Folded Reload
	s_and_b64 s[0:1], vcc, s[0:1]
	v_cndmask_b32_e64 v27, v27, 25, s[0:1]
	v_cmp_eq_u32_e64 s[0:1], 0, v27
	s_waitcnt vmcnt(0)
	v_cmp_eq_f64_e32 vcc, 0, v[0:1]
	buffer_load_dword v0, off, s[16:19], 0 offset:184 ; 4-byte Folded Reload
	buffer_load_dword v1, off, s[16:19], 0 offset:188 ; 4-byte Folded Reload
	s_and_b64 s[0:1], vcc, s[0:1]
	v_cndmask_b32_e64 v27, v27, 26, s[0:1]
	v_cmp_eq_u32_e64 s[0:1], 0, v27
	s_waitcnt vmcnt(0)
	v_cmp_eq_f64_e32 vcc, 0, v[0:1]
	buffer_load_dword v0, off, s[16:19], 0 offset:192 ; 4-byte Folded Reload
	buffer_load_dword v1, off, s[16:19], 0 offset:196 ; 4-byte Folded Reload
	s_and_b64 s[0:1], vcc, s[0:1]
	v_cndmask_b32_e64 v27, v27, 27, s[0:1]
	v_cmp_eq_u32_e64 s[0:1], 0, v27
	s_waitcnt vmcnt(0)
	v_cmp_eq_f64_e32 vcc, 0, v[0:1]
	buffer_load_dword v0, off, s[16:19], 0 offset:200 ; 4-byte Folded Reload
	buffer_load_dword v1, off, s[16:19], 0 offset:204 ; 4-byte Folded Reload
	s_and_b64 s[0:1], vcc, s[0:1]
	v_cndmask_b32_e64 v27, v27, 28, s[0:1]
	v_cmp_eq_u32_e64 s[0:1], 0, v27
	s_waitcnt vmcnt(0)
	v_cmp_eq_f64_e32 vcc, 0, v[0:1]
	buffer_load_dword v0, off, s[16:19], 0 offset:208 ; 4-byte Folded Reload
	buffer_load_dword v1, off, s[16:19], 0 offset:212 ; 4-byte Folded Reload
	s_and_b64 s[0:1], vcc, s[0:1]
	v_cndmask_b32_e64 v27, v27, 29, s[0:1]
	v_cmp_eq_u32_e64 s[0:1], 0, v27
	s_waitcnt vmcnt(0)
	v_cmp_eq_f64_e32 vcc, 0, v[0:1]
	buffer_load_dword v0, off, s[16:19], 0 offset:216 ; 4-byte Folded Reload
	buffer_load_dword v1, off, s[16:19], 0 offset:220 ; 4-byte Folded Reload
	s_and_b64 s[0:1], vcc, s[0:1]
	v_cndmask_b32_e64 v27, v27, 30, s[0:1]
	v_cmp_eq_u32_e64 s[0:1], 0, v27
	s_waitcnt vmcnt(0)
	v_cmp_eq_f64_e32 vcc, 0, v[0:1]
	buffer_load_dword v0, off, s[16:19], 0 offset:224 ; 4-byte Folded Reload
	buffer_load_dword v1, off, s[16:19], 0 offset:228 ; 4-byte Folded Reload
	s_and_b64 s[0:1], vcc, s[0:1]
	v_cndmask_b32_e64 v27, v27, 31, s[0:1]
	v_cmp_eq_u32_e64 s[0:1], 0, v27
	s_waitcnt vmcnt(0)
	v_cmp_eq_f64_e32 vcc, 0, v[0:1]
	buffer_load_dword v0, off, s[16:19], 0 offset:232 ; 4-byte Folded Reload
	buffer_load_dword v1, off, s[16:19], 0 offset:236 ; 4-byte Folded Reload
	s_and_b64 s[0:1], vcc, s[0:1]
	v_cndmask_b32_e64 v27, v27, 32, s[0:1]
	v_cmp_eq_u32_e64 s[0:1], 0, v27
	s_waitcnt vmcnt(0)
	v_cmp_eq_f64_e32 vcc, 0, v[0:1]
	buffer_load_dword v0, off, s[16:19], 0 offset:240 ; 4-byte Folded Reload
	buffer_load_dword v1, off, s[16:19], 0 offset:244 ; 4-byte Folded Reload
	s_and_b64 s[0:1], vcc, s[0:1]
	v_cndmask_b32_e64 v27, v27, 33, s[0:1]
	v_cmp_eq_u32_e64 s[0:1], 0, v27
	s_waitcnt vmcnt(0)
	v_cmp_eq_f64_e32 vcc, 0, v[0:1]
	buffer_load_dword v0, off, s[16:19], 0 offset:248 ; 4-byte Folded Reload
	buffer_load_dword v1, off, s[16:19], 0 offset:252 ; 4-byte Folded Reload
	s_and_b64 s[0:1], vcc, s[0:1]
	v_cndmask_b32_e64 v27, v27, 34, s[0:1]
	v_add_co_u32_e64 v224, s[0:1], s4, v28
	v_addc_co_u32_e64 v225, s[0:1], v30, v29, s[0:1]
	global_load_dword v28, v[224:225], off
	v_cmp_eq_u32_e64 s[0:1], 0, v27
	s_waitcnt vmcnt(1)
	v_cmp_eq_f64_e32 vcc, 0, v[0:1]
	buffer_load_dword v0, off, s[16:19], 0 offset:256 ; 4-byte Folded Reload
	buffer_load_dword v1, off, s[16:19], 0 offset:260 ; 4-byte Folded Reload
	s_and_b64 s[0:1], vcc, s[0:1]
	v_cndmask_b32_e64 v27, v27, 35, s[0:1]
	v_cmp_eq_u32_e64 s[0:1], 0, v27
	s_waitcnt vmcnt(0)
	v_cmp_eq_f64_e32 vcc, 0, v[0:1]
	buffer_load_dword v0, off, s[16:19], 0 offset:288 ; 4-byte Folded Reload
	buffer_load_dword v1, off, s[16:19], 0 offset:292 ; 4-byte Folded Reload
	s_and_b64 s[0:1], vcc, s[0:1]
	v_cndmask_b32_e64 v27, v27, 36, s[0:1]
	v_cmp_eq_f64_e32 vcc, 0, v[2:3]
	v_cmp_eq_u32_e64 s[0:1], 0, v27
	s_and_b64 s[0:1], vcc, s[0:1]
	v_cndmask_b32_e64 v2, v27, 37, s[0:1]
	v_cmp_eq_u32_e64 s[0:1], 0, v2
	s_waitcnt vmcnt(0)
	v_cmp_eq_f64_e32 vcc, 0, v[0:1]
	buffer_load_dword v0, off, s[16:19], 0 offset:264 ; 4-byte Folded Reload
	buffer_load_dword v1, off, s[16:19], 0 offset:268 ; 4-byte Folded Reload
	s_and_b64 s[0:1], vcc, s[0:1]
	v_cndmask_b32_e64 v2, v2, 38, s[0:1]
	v_cmp_eq_u32_e64 s[0:1], 0, v2
	s_waitcnt vmcnt(0)
	v_cmp_eq_f64_e32 vcc, 0, v[0:1]
	buffer_load_dword v0, off, s[16:19], 0 offset:296 ; 4-byte Folded Reload
	buffer_load_dword v1, off, s[16:19], 0 offset:300 ; 4-byte Folded Reload
	;; [unrolled: 7-line block ×5, first 2 shown]
	s_and_b64 s[0:1], vcc, s[0:1]
	v_cndmask_b32_e64 v2, v2, 42, s[0:1]
	v_cmp_eq_u32_e64 s[0:1], 0, v2
	s_waitcnt vmcnt(0)
	v_cmp_eq_f64_e32 vcc, 0, v[0:1]
	s_and_b64 s[0:1], vcc, s[0:1]
	v_cndmask_b32_e64 v0, v2, 43, s[0:1]
	v_cmp_eq_f64_e32 vcc, 0, v[4:5]
	v_cmp_eq_u32_e64 s[0:1], 0, v0
	s_and_b64 s[0:1], vcc, s[0:1]
	v_cndmask_b32_e64 v0, v0, 44, s[0:1]
	v_cmp_eq_f64_e32 vcc, 0, v[6:7]
	v_cmp_eq_u32_e64 s[0:1], 0, v0
	;; [unrolled: 4-line block ×11, first 2 shown]
	s_and_b64 s[0:1], vcc, s[0:1]
	v_cndmask_b32_e64 v0, v0, 54, s[0:1]
	v_cmp_eq_u32_e32 vcc, 0, v28
	v_cmp_ne_u32_e64 s[0:1], 0, v0
	s_and_b64 s[0:1], vcc, s[0:1]
	s_and_b64 exec, exec, s[0:1]
	s_cbranch_execz .LBB107_272
; %bb.271:
	v_add_u32_e32 v0, s9, v0
	global_store_dword v[224:225], v0, off
.LBB107_272:
	s_or_b64 exec, exec, s[2:3]
	buffer_load_dword v2, off, s[16:19], 0 offset:8 ; 4-byte Folded Reload
	buffer_load_dword v3, off, s[16:19], 0 offset:12 ; 4-byte Folded Reload
	v_mul_f64 v[0:1], v[24:25], v[216:217]
	v_cmp_lt_u32_e32 vcc, 53, v26
	v_cndmask_b32_e32 v1, v217, v1, vcc
	v_cndmask_b32_e32 v0, v216, v0, vcc
	s_waitcnt vmcnt(0)
	global_store_dwordx2 v[2:3], v[110:111], off
	buffer_load_dword v2, off, s[16:19], 0 offset:16 ; 4-byte Folded Reload
	s_nop 0
	buffer_load_dword v3, off, s[16:19], 0 offset:20 ; 4-byte Folded Reload
	s_waitcnt vmcnt(0)
	global_store_dwordx2 v[2:3], v[162:163], off
	global_store_dwordx2 v[36:37], v[214:215], off
	;; [unrolled: 1-line block ×52, first 2 shown]
	buffer_load_dword v2, off, s[16:19], 0  ; 4-byte Folded Reload
	buffer_load_dword v3, off, s[16:19], 0 offset:4 ; 4-byte Folded Reload
	s_waitcnt vmcnt(0)
	global_store_dwordx2 v[2:3], v[0:1], off
.LBB107_273:
	s_endpgm
	.section	.rodata,"a",@progbits
	.p2align	6, 0x0
	.amdhsa_kernel _ZN9rocsolver6v33100L23getf2_npvt_small_kernelILi54EdiiPKPdEEvT1_T3_lS5_lPT2_S5_S5_
		.amdhsa_group_segment_fixed_size 0
		.amdhsa_private_segment_fixed_size 320
		.amdhsa_kernarg_size 312
		.amdhsa_user_sgpr_count 6
		.amdhsa_user_sgpr_private_segment_buffer 1
		.amdhsa_user_sgpr_dispatch_ptr 0
		.amdhsa_user_sgpr_queue_ptr 0
		.amdhsa_user_sgpr_kernarg_segment_ptr 1
		.amdhsa_user_sgpr_dispatch_id 0
		.amdhsa_user_sgpr_flat_scratch_init 0
		.amdhsa_user_sgpr_kernarg_preload_length 0
		.amdhsa_user_sgpr_kernarg_preload_offset 0
		.amdhsa_user_sgpr_private_segment_size 0
		.amdhsa_uses_dynamic_stack 0
		.amdhsa_system_sgpr_private_segment_wavefront_offset 1
		.amdhsa_system_sgpr_workgroup_id_x 1
		.amdhsa_system_sgpr_workgroup_id_y 1
		.amdhsa_system_sgpr_workgroup_id_z 0
		.amdhsa_system_sgpr_workgroup_info 0
		.amdhsa_system_vgpr_workitem_id 1
		.amdhsa_next_free_vgpr 256
		.amdhsa_next_free_sgpr 20
		.amdhsa_accum_offset 256
		.amdhsa_reserve_vcc 1
		.amdhsa_reserve_flat_scratch 0
		.amdhsa_float_round_mode_32 0
		.amdhsa_float_round_mode_16_64 0
		.amdhsa_float_denorm_mode_32 3
		.amdhsa_float_denorm_mode_16_64 3
		.amdhsa_dx10_clamp 1
		.amdhsa_ieee_mode 1
		.amdhsa_fp16_overflow 0
		.amdhsa_tg_split 0
		.amdhsa_exception_fp_ieee_invalid_op 0
		.amdhsa_exception_fp_denorm_src 0
		.amdhsa_exception_fp_ieee_div_zero 0
		.amdhsa_exception_fp_ieee_overflow 0
		.amdhsa_exception_fp_ieee_underflow 0
		.amdhsa_exception_fp_ieee_inexact 0
		.amdhsa_exception_int_div_zero 0
	.end_amdhsa_kernel
	.section	.text._ZN9rocsolver6v33100L23getf2_npvt_small_kernelILi54EdiiPKPdEEvT1_T3_lS5_lPT2_S5_S5_,"axG",@progbits,_ZN9rocsolver6v33100L23getf2_npvt_small_kernelILi54EdiiPKPdEEvT1_T3_lS5_lPT2_S5_S5_,comdat
.Lfunc_end107:
	.size	_ZN9rocsolver6v33100L23getf2_npvt_small_kernelILi54EdiiPKPdEEvT1_T3_lS5_lPT2_S5_S5_, .Lfunc_end107-_ZN9rocsolver6v33100L23getf2_npvt_small_kernelILi54EdiiPKPdEEvT1_T3_lS5_lPT2_S5_S5_
                                        ; -- End function
	.section	.AMDGPU.csdata,"",@progbits
; Kernel info:
; codeLenInByte = 54172
; NumSgprs: 24
; NumVgprs: 256
; NumAgprs: 0
; TotalNumVgprs: 256
; ScratchSize: 320
; MemoryBound: 0
; FloatMode: 240
; IeeeMode: 1
; LDSByteSize: 0 bytes/workgroup (compile time only)
; SGPRBlocks: 2
; VGPRBlocks: 31
; NumSGPRsForWavesPerEU: 24
; NumVGPRsForWavesPerEU: 256
; AccumOffset: 256
; Occupancy: 2
; WaveLimiterHint : 1
; COMPUTE_PGM_RSRC2:SCRATCH_EN: 1
; COMPUTE_PGM_RSRC2:USER_SGPR: 6
; COMPUTE_PGM_RSRC2:TRAP_HANDLER: 0
; COMPUTE_PGM_RSRC2:TGID_X_EN: 1
; COMPUTE_PGM_RSRC2:TGID_Y_EN: 1
; COMPUTE_PGM_RSRC2:TGID_Z_EN: 0
; COMPUTE_PGM_RSRC2:TIDIG_COMP_CNT: 1
; COMPUTE_PGM_RSRC3_GFX90A:ACCUM_OFFSET: 63
; COMPUTE_PGM_RSRC3_GFX90A:TG_SPLIT: 0
	.section	.text._ZN9rocsolver6v33100L18getf2_small_kernelILi55EdiiPKPdEEvT1_T3_lS5_lPS5_llPT2_S5_S5_S7_l,"axG",@progbits,_ZN9rocsolver6v33100L18getf2_small_kernelILi55EdiiPKPdEEvT1_T3_lS5_lPS5_llPT2_S5_S5_S7_l,comdat
	.globl	_ZN9rocsolver6v33100L18getf2_small_kernelILi55EdiiPKPdEEvT1_T3_lS5_lPS5_llPT2_S5_S5_S7_l ; -- Begin function _ZN9rocsolver6v33100L18getf2_small_kernelILi55EdiiPKPdEEvT1_T3_lS5_lPS5_llPT2_S5_S5_S7_l
	.p2align	8
	.type	_ZN9rocsolver6v33100L18getf2_small_kernelILi55EdiiPKPdEEvT1_T3_lS5_lPS5_llPT2_S5_S5_S7_l,@function
_ZN9rocsolver6v33100L18getf2_small_kernelILi55EdiiPKPdEEvT1_T3_lS5_lPS5_llPT2_S5_S5_S7_l: ; @_ZN9rocsolver6v33100L18getf2_small_kernelILi55EdiiPKPdEEvT1_T3_lS5_lPS5_llPT2_S5_S5_S7_l
; %bb.0:
	s_load_dword s0, s[4:5], 0x6c
	s_load_dwordx2 s[12:13], s[4:5], 0x48
	v_bfe_u32 v114, v0, 10, 10
	s_waitcnt lgkmcnt(0)
	s_lshr_b32 s0, s0, 16
	s_mul_i32 s7, s7, s0
	v_add_u32_e32 v2, s7, v114
	v_cmp_gt_i32_e32 vcc, s12, v2
	s_and_saveexec_b64 s[0:1], vcc
	s_cbranch_execz .LBB108_932
; %bb.1:
	s_load_dwordx4 s[0:3], s[4:5], 0x8
	s_load_dwordx4 s[8:11], s[4:5], 0x50
	v_ashrrev_i32_e32 v3, 31, v2
	v_lshlrev_b64 v[4:5], 3, v[2:3]
	s_waitcnt lgkmcnt(0)
	v_mov_b32_e32 v1, s1
	v_add_co_u32_e32 v4, vcc, s0, v4
	v_addc_co_u32_e32 v5, vcc, v1, v5, vcc
	global_load_dwordx2 v[6:7], v[4:5], off
	s_cmp_eq_u64 s[8:9], 0
	s_cselect_b64 s[6:7], -1, 0
	s_and_b64 vcc, exec, s[6:7]
	v_pk_mov_b32 v[4:5], 0, 0
	s_cbranch_vccnz .LBB108_3
; %bb.2:
	v_mul_lo_u32 v1, v3, s10
	v_mul_lo_u32 v8, v2, s11
	v_mad_u64_u32 v[4:5], s[0:1], v2, s10, 0
	v_add3_u32 v5, v5, v8, v1
	v_lshlrev_b64 v[4:5], 2, v[4:5]
	v_mov_b32_e32 v1, s9
	v_add_co_u32_e32 v4, vcc, s8, v4
	v_addc_co_u32_e32 v5, vcc, v1, v5, vcc
.LBB108_3:
	s_load_dword s8, s[4:5], 0x18
	s_load_dword s18, s[4:5], 0x0
	s_lshl_b64 s[0:1], s[2:3], 3
	v_and_b32_e32 v122, 0x3ff, v0
	v_mov_b32_e32 v1, s1
	s_waitcnt lgkmcnt(0)
	s_add_i32 s12, s8, s8
	s_waitcnt vmcnt(0)
	v_add_co_u32_e32 v120, vcc, s0, v6
	v_add_u32_e32 v0, s12, v122
	v_addc_co_u32_e32 v121, vcc, v7, v1, vcc
	v_ashrrev_i32_e32 v1, 31, v0
	v_lshlrev_b64 v[6:7], 3, v[0:1]
	v_add_u32_e32 v0, s8, v0
	v_add_co_u32_e32 v6, vcc, v120, v6
	v_ashrrev_i32_e32 v1, 31, v0
	v_addc_co_u32_e32 v7, vcc, v121, v7, vcc
	v_lshlrev_b64 v[8:9], 3, v[0:1]
	v_add_co_u32_e32 v10, vcc, v120, v8
	v_add_u32_e32 v8, s8, v0
	v_addc_co_u32_e32 v11, vcc, v121, v9, vcc
	v_ashrrev_i32_e32 v9, 31, v8
	v_lshlrev_b64 v[0:1], 3, v[8:9]
	v_add_u32_e32 v12, s8, v8
	v_add_co_u32_e32 v0, vcc, v120, v0
	v_ashrrev_i32_e32 v13, 31, v12
	v_addc_co_u32_e32 v1, vcc, v121, v1, vcc
	v_lshlrev_b64 v[8:9], 3, v[12:13]
	v_add_u32_e32 v14, s8, v12
	v_add_co_u32_e32 v8, vcc, v120, v8
	v_ashrrev_i32_e32 v15, 31, v14
	v_addc_co_u32_e32 v9, vcc, v121, v9, vcc
	;; [unrolled: 5-line block ×50, first 2 shown]
	v_lshlrev_b64 v[26:27], 3, v[26:27]
	v_add_co_u32_e32 v172, vcc, v120, v26
	v_addc_co_u32_e32 v173, vcc, v121, v27, vcc
	v_lshlrev_b32_e32 v115, 3, v122
	v_add_co_u32_e32 v26, vcc, v120, v115
	s_ashr_i32 s9, s8, 31
	v_addc_co_u32_e32 v27, vcc, 0, v121, vcc
	s_lshl_b64 s[10:11], s[8:9], 3
	v_mov_b32_e32 v57, s11
	v_add_co_u32_e32 v56, vcc, s10, v26
	v_addc_co_u32_e32 v57, vcc, v27, v57, vcc
	s_max_i32 s0, s18, 55
	global_load_dwordx2 v[110:111], v[26:27], off
	global_load_dwordx2 v[108:109], v[56:57], off
	;; [unrolled: 1-line block ×4, first 2 shown]
                                        ; kill: killed $vgpr26 killed $vgpr27
                                        ; kill: killed $vgpr6 killed $vgpr7
                                        ; kill: killed $vgpr56 killed $vgpr57
                                        ; kill: killed $vgpr10 killed $vgpr11
	global_load_dwordx2 v[104:105], v[0:1], off
	global_load_dwordx2 v[100:101], v[8:9], off
	;; [unrolled: 1-line block ×4, first 2 shown]
                                        ; kill: killed $vgpr0 killed $vgpr1
                                        ; kill: killed $vgpr12 killed $vgpr13
                                        ; kill: killed $vgpr8 killed $vgpr9
                                        ; kill: killed $vgpr16 killed $vgpr17
	global_load_dwordx2 v[94:95], v[14:15], off
	global_load_dwordx2 v[92:93], v[18:19], off
	;; [unrolled: 1-line block ×4, first 2 shown]
                                        ; kill: killed $vgpr18 killed $vgpr19
                                        ; kill: killed $vgpr24 killed $vgpr25
                                        ; kill: killed $vgpr14 killed $vgpr15
                                        ; kill: killed $vgpr20 killed $vgpr21
	global_load_dwordx2 v[86:87], v[22:23], off
	global_load_dwordx2 v[84:85], v[28:29], off
	;; [unrolled: 1-line block ×4, first 2 shown]
                                        ; kill: killed $vgpr28 killed $vgpr29
                                        ; kill: killed $vgpr32 killed $vgpr33
                                        ; kill: killed $vgpr22 killed $vgpr23
                                        ; kill: killed $vgpr30 killed $vgpr31
	global_load_dwordx2 v[78:79], v[34:35], off
	global_load_dwordx2 v[76:77], v[36:37], off
	;; [unrolled: 1-line block ×4, first 2 shown]
                                        ; kill: killed $vgpr36 killed $vgpr37
                                        ; kill: killed $vgpr40 killed $vgpr41
                                        ; kill: killed $vgpr34 killed $vgpr35
                                        ; kill: killed $vgpr38 killed $vgpr39
	global_load_dwordx2 v[70:71], v[42:43], off
	global_load_dwordx2 v[68:69], v[44:45], off
	global_load_dwordx2 v[66:67], v[46:47], off
	global_load_dwordx2 v[64:65], v[48:49], off
                                        ; kill: killed $vgpr44 killed $vgpr45
                                        ; kill: killed $vgpr48 killed $vgpr49
                                        ; kill: killed $vgpr42 killed $vgpr43
                                        ; kill: killed $vgpr46 killed $vgpr47
	global_load_dwordx2 v[62:63], v[50:51], off
	global_load_dwordx2 v[60:61], v[52:53], off
	;; [unrolled: 1-line block ×4, first 2 shown]
                                        ; kill: killed $vgpr50 killed $vgpr51
                                        ; kill: killed $vgpr54 killed $vgpr55
                                        ; kill: killed $vgpr52 killed $vgpr53
                                        ; kill: killed $vgpr112 killed $vgpr113
	s_nop 0
	global_load_dwordx2 v[54:55], v[116:117], off
	global_load_dwordx2 v[52:53], v[118:119], off
	;; [unrolled: 1-line block ×4, first 2 shown]
                                        ; kill: killed $vgpr116 killed $vgpr117
                                        ; kill: killed $vgpr124 killed $vgpr125
                                        ; kill: killed $vgpr118 killed $vgpr119
                                        ; kill: killed $vgpr126 killed $vgpr127
	global_load_dwordx2 v[46:47], v[128:129], off
	global_load_dwordx2 v[44:45], v[130:131], off
	;; [unrolled: 1-line block ×4, first 2 shown]
                                        ; kill: killed $vgpr128 killed $vgpr129
                                        ; kill: killed $vgpr132 killed $vgpr133
                                        ; kill: killed $vgpr130 killed $vgpr131
                                        ; kill: killed $vgpr134 killed $vgpr135
	global_load_dwordx2 v[38:39], v[136:137], off
	global_load_dwordx2 v[36:37], v[138:139], off
	;; [unrolled: 1-line block ×4, first 2 shown]
                                        ; kill: killed $vgpr136 killed $vgpr137
                                        ; kill: killed $vgpr140 killed $vgpr141
                                        ; kill: killed $vgpr138 killed $vgpr139
                                        ; kill: killed $vgpr142 killed $vgpr143
	global_load_dwordx2 v[30:31], v[144:145], off
	global_load_dwordx2 v[28:29], v[146:147], off
	;; [unrolled: 1-line block ×4, first 2 shown]
                                        ; kill: killed $vgpr146 killed $vgpr147
                                        ; kill: killed $vgpr150 killed $vgpr151
                                        ; kill: killed $vgpr144 killed $vgpr145
                                        ; kill: killed $vgpr148 killed $vgpr149
	global_load_dwordx2 v[22:23], v[152:153], off
	global_load_dwordx2 v[20:21], v[154:155], off
	;; [unrolled: 1-line block ×4, first 2 shown]
                                        ; kill: killed $vgpr154 killed $vgpr155
                                        ; kill: killed $vgpr158 killed $vgpr159
                                        ; kill: killed $vgpr152 killed $vgpr153
                                        ; kill: killed $vgpr156 killed $vgpr157
	global_load_dwordx2 v[14:15], v[160:161], off
	global_load_dwordx2 v[12:13], v[162:163], off
	;; [unrolled: 1-line block ×4, first 2 shown]
                                        ; kill: killed $vgpr162 killed $vgpr163
                                        ; kill: killed $vgpr166 killed $vgpr167
                                        ; kill: killed $vgpr160 killed $vgpr161
                                        ; kill: killed $vgpr164 killed $vgpr165
	global_load_dwordx2 v[6:7], v[168:169], off
	global_load_dwordx2 v[0:1], v[170:171], off
	;; [unrolled: 1-line block ×3, first 2 shown]
	v_mul_lo_u32 v116, s0, v114
	v_lshl_add_u32 v118, v116, 3, 0
	v_add_u32_e32 v114, v118, v115
	s_waitcnt vmcnt(54)
	ds_write_b64 v114, v[110:111]
	s_waitcnt lgkmcnt(0)
	s_barrier
	ds_read_b64 v[114:115], v118
	s_cmp_lt_i32 s18, 2
	v_lshlrev_b32_e32 v123, 3, v116
	v_mov_b32_e32 v116, 0
	s_cbranch_scc1 .LBB108_6
; %bb.4:
	v_add3_u32 v117, v123, 0, 8
	s_mov_b32 s0, 1
	v_mov_b32_e32 v116, 0
.LBB108_5:                              ; =>This Inner Loop Header: Depth=1
	ds_read_b64 v[124:125], v117
	v_mov_b32_e32 v119, s0
	s_add_i32 s0, s0, 1
	v_add_u32_e32 v117, 8, v117
	s_cmp_eq_u32 s18, s0
	s_waitcnt lgkmcnt(0)
	v_cmp_lt_f64_e64 vcc, |v[114:115]|, |v[124:125]|
	v_cndmask_b32_e32 v115, v115, v125, vcc
	v_cndmask_b32_e32 v114, v114, v124, vcc
	;; [unrolled: 1-line block ×3, first 2 shown]
	s_cbranch_scc0 .LBB108_5
.LBB108_6:
	v_cmp_ne_u32_e32 vcc, v122, v116
                                        ; implicit-def: $vgpr119
	s_and_saveexec_b64 s[0:1], vcc
	s_xor_b64 s[0:1], exec, s[0:1]
	s_cbranch_execz .LBB108_12
; %bb.7:
	v_cmp_eq_u32_e32 vcc, 0, v122
	s_and_saveexec_b64 s[2:3], vcc
	s_cbranch_execz .LBB108_11
; %bb.8:
	v_cmp_ne_u32_e32 vcc, 0, v116
	s_xor_b64 s[14:15], s[6:7], -1
	s_and_b64 s[16:17], s[14:15], vcc
	s_and_saveexec_b64 s[14:15], s[16:17]
	s_cbranch_execz .LBB108_10
; %bb.9:
	v_ashrrev_i32_e32 v117, 31, v116
	v_lshlrev_b64 v[124:125], 2, v[116:117]
	v_add_co_u32_e32 v124, vcc, v4, v124
	v_addc_co_u32_e32 v125, vcc, v5, v125, vcc
	flat_load_dword v117, v[124:125]
	flat_load_dword v119, v[4:5]
	s_waitcnt vmcnt(0) lgkmcnt(0)
	flat_store_dword v[4:5], v117
	flat_store_dword v[124:125], v119
.LBB108_10:
	s_or_b64 exec, exec, s[14:15]
	v_mov_b32_e32 v122, v116
.LBB108_11:
	s_or_b64 exec, exec, s[2:3]
	v_mov_b32_e32 v119, v122
                                        ; implicit-def: $vgpr122
.LBB108_12:
	s_or_saveexec_b64 s[0:1], s[0:1]
	v_mov_b32_e32 v117, v119
	s_xor_b64 exec, exec, s[0:1]
	s_cbranch_execz .LBB108_14
; %bb.13:
	v_mov_b32_e32 v119, 0
	v_mov_b32_e32 v117, v122
	s_waitcnt vmcnt(0)
	ds_write2_b64 v118, v[108:109], v[106:107] offset0:1 offset1:2
	ds_write2_b64 v118, v[102:103], v[104:105] offset0:3 offset1:4
	;; [unrolled: 1-line block ×27, first 2 shown]
.LBB108_14:
	s_or_b64 exec, exec, s[0:1]
	s_waitcnt lgkmcnt(0)
	v_cmp_eq_f64_e64 s[0:1], 0, v[114:115]
	v_cmp_lt_i32_e32 vcc, 0, v119
	s_barrier
	s_and_saveexec_b64 s[2:3], vcc
	s_cbranch_execz .LBB108_16
; %bb.15:
	v_div_scale_f64 v[124:125], s[14:15], v[114:115], v[114:115], 1.0
	v_rcp_f64_e32 v[126:127], v[124:125]
	v_div_scale_f64 v[128:129], vcc, 1.0, v[114:115], 1.0
	ds_read2_b64 v[132:135], v118 offset0:5 offset1:6
	v_fma_f64 v[130:131], -v[124:125], v[126:127], 1.0
	v_fmac_f64_e32 v[126:127], v[126:127], v[130:131]
	v_fma_f64 v[130:131], -v[124:125], v[126:127], 1.0
	v_fmac_f64_e32 v[126:127], v[126:127], v[130:131]
	v_mul_f64 v[130:131], v[128:129], v[126:127]
	v_fma_f64 v[124:125], -v[124:125], v[130:131], v[128:129]
	v_div_fmas_f64 v[124:125], v[124:125], v[126:127], v[130:131]
	v_div_fixup_f64 v[128:129], v[124:125], v[114:115], 1.0
	ds_read2_b64 v[124:127], v118 offset0:1 offset1:2
	v_cndmask_b32_e64 v115, v129, v115, s[0:1]
	v_cndmask_b32_e64 v114, v128, v114, s[0:1]
	ds_read2_b64 v[128:131], v118 offset0:3 offset1:4
	v_mul_f64 v[110:111], v[114:115], v[110:111]
	s_waitcnt vmcnt(0) lgkmcnt(0)
	v_fma_f64 v[108:109], -v[110:111], v[124:125], v[108:109]
	v_fma_f64 v[106:107], -v[110:111], v[126:127], v[106:107]
	ds_read2_b64 v[124:127], v118 offset0:7 offset1:8
	v_fma_f64 v[102:103], -v[110:111], v[128:129], v[102:103]
	v_fma_f64 v[104:105], -v[110:111], v[130:131], v[104:105]
	;; [unrolled: 1-line block ×3, first 2 shown]
	ds_read2_b64 v[128:131], v118 offset0:9 offset1:10
	v_fma_f64 v[98:99], -v[110:111], v[134:135], v[98:99]
	ds_read2_b64 v[132:135], v118 offset0:11 offset1:12
	s_waitcnt lgkmcnt(2)
	v_fma_f64 v[96:97], -v[110:111], v[124:125], v[96:97]
	v_fma_f64 v[94:95], -v[110:111], v[126:127], v[94:95]
	s_waitcnt lgkmcnt(1)
	v_fma_f64 v[92:93], -v[110:111], v[128:129], v[92:93]
	ds_read2_b64 v[124:127], v118 offset0:13 offset1:14
	v_fma_f64 v[90:91], -v[110:111], v[130:131], v[90:91]
	ds_read2_b64 v[128:131], v118 offset0:15 offset1:16
	s_waitcnt lgkmcnt(2)
	v_fma_f64 v[88:89], -v[110:111], v[132:133], v[88:89]
	v_fma_f64 v[86:87], -v[110:111], v[134:135], v[86:87]
	ds_read2_b64 v[132:135], v118 offset0:17 offset1:18
	s_waitcnt lgkmcnt(2)
	v_fma_f64 v[84:85], -v[110:111], v[124:125], v[84:85]
	v_fma_f64 v[82:83], -v[110:111], v[126:127], v[82:83]
	ds_read2_b64 v[124:127], v118 offset0:19 offset1:20
	s_waitcnt lgkmcnt(2)
	v_fma_f64 v[80:81], -v[110:111], v[128:129], v[80:81]
	v_fma_f64 v[78:79], -v[110:111], v[130:131], v[78:79]
	s_waitcnt lgkmcnt(1)
	v_fma_f64 v[76:77], -v[110:111], v[132:133], v[76:77]
	ds_read2_b64 v[128:131], v118 offset0:21 offset1:22
	v_fma_f64 v[74:75], -v[110:111], v[134:135], v[74:75]
	ds_read2_b64 v[132:135], v118 offset0:23 offset1:24
	s_waitcnt lgkmcnt(2)
	v_fma_f64 v[72:73], -v[110:111], v[124:125], v[72:73]
	v_fma_f64 v[70:71], -v[110:111], v[126:127], v[70:71]
	s_waitcnt lgkmcnt(1)
	v_fma_f64 v[68:69], -v[110:111], v[128:129], v[68:69]
	ds_read2_b64 v[124:127], v118 offset0:25 offset1:26
	v_fma_f64 v[66:67], -v[110:111], v[130:131], v[66:67]
	ds_read2_b64 v[128:131], v118 offset0:27 offset1:28
	s_waitcnt lgkmcnt(2)
	v_fma_f64 v[64:65], -v[110:111], v[132:133], v[64:65]
	v_fma_f64 v[62:63], -v[110:111], v[134:135], v[62:63]
	ds_read2_b64 v[132:135], v118 offset0:29 offset1:30
	s_waitcnt lgkmcnt(2)
	v_fma_f64 v[60:61], -v[110:111], v[124:125], v[60:61]
	v_fma_f64 v[58:59], -v[110:111], v[126:127], v[58:59]
	ds_read2_b64 v[124:127], v118 offset0:31 offset1:32
	s_waitcnt lgkmcnt(2)
	v_fma_f64 v[56:57], -v[110:111], v[128:129], v[56:57]
	v_fma_f64 v[54:55], -v[110:111], v[130:131], v[54:55]
	s_waitcnt lgkmcnt(1)
	v_fma_f64 v[52:53], -v[110:111], v[132:133], v[52:53]
	;; [unrolled: 24-line block ×3, first 2 shown]
	ds_read2_b64 v[128:131], v118 offset0:45 offset1:46
	v_fma_f64 v[26:27], -v[110:111], v[134:135], v[26:27]
	ds_read2_b64 v[132:135], v118 offset0:47 offset1:48
	s_waitcnt lgkmcnt(2)
	v_fma_f64 v[24:25], -v[110:111], v[124:125], v[24:25]
	v_fma_f64 v[22:23], -v[110:111], v[126:127], v[22:23]
	s_waitcnt lgkmcnt(1)
	v_fma_f64 v[20:21], -v[110:111], v[128:129], v[20:21]
	v_fma_f64 v[18:19], -v[110:111], v[130:131], v[18:19]
	ds_read2_b64 v[124:127], v118 offset0:49 offset1:50
	ds_read2_b64 v[128:131], v118 offset0:51 offset1:52
	s_waitcnt lgkmcnt(2)
	v_fma_f64 v[16:17], -v[110:111], v[132:133], v[16:17]
	v_fma_f64 v[14:15], -v[110:111], v[134:135], v[14:15]
	ds_read2_b64 v[132:135], v118 offset0:53 offset1:54
	s_waitcnt lgkmcnt(2)
	v_fma_f64 v[12:13], -v[110:111], v[124:125], v[12:13]
	v_fma_f64 v[10:11], -v[110:111], v[126:127], v[10:11]
	s_waitcnt lgkmcnt(1)
	v_fma_f64 v[8:9], -v[110:111], v[128:129], v[8:9]
	v_fma_f64 v[6:7], -v[110:111], v[130:131], v[6:7]
	;; [unrolled: 3-line block ×3, first 2 shown]
.LBB108_16:
	s_or_b64 exec, exec, s[2:3]
	v_lshl_add_u32 v114, v119, 3, v118
	s_barrier
	s_waitcnt vmcnt(0)
	ds_write_b64 v114, v[108:109]
	s_waitcnt lgkmcnt(0)
	s_barrier
	ds_read_b64 v[114:115], v118 offset:8
	s_cmp_lt_i32 s18, 3
	v_mov_b32_e32 v116, 1
	s_cbranch_scc1 .LBB108_19
; %bb.17:
	v_add3_u32 v122, v123, 0, 16
	s_mov_b32 s2, 2
	v_mov_b32_e32 v116, 1
.LBB108_18:                             ; =>This Inner Loop Header: Depth=1
	ds_read_b64 v[124:125], v122
	v_mov_b32_e32 v126, s2
	s_add_i32 s2, s2, 1
	v_add_u32_e32 v122, 8, v122
	s_cmp_lg_u32 s18, s2
	s_waitcnt lgkmcnt(0)
	v_cmp_lt_f64_e64 vcc, |v[114:115]|, |v[124:125]|
	v_cndmask_b32_e32 v115, v115, v125, vcc
	v_cndmask_b32_e32 v114, v114, v124, vcc
	;; [unrolled: 1-line block ×3, first 2 shown]
	s_cbranch_scc1 .LBB108_18
.LBB108_19:
	v_cmp_ne_u32_e32 vcc, v119, v116
	s_and_saveexec_b64 s[2:3], vcc
	s_xor_b64 s[2:3], exec, s[2:3]
	s_cbranch_execz .LBB108_25
; %bb.20:
	v_cmp_eq_u32_e32 vcc, 1, v119
	s_and_saveexec_b64 s[14:15], vcc
	s_cbranch_execz .LBB108_24
; %bb.21:
	v_cmp_ne_u32_e32 vcc, 1, v116
	s_xor_b64 s[16:17], s[6:7], -1
	s_and_b64 s[20:21], s[16:17], vcc
	s_and_saveexec_b64 s[16:17], s[20:21]
	s_cbranch_execz .LBB108_23
; %bb.22:
	v_ashrrev_i32_e32 v117, 31, v116
	v_lshlrev_b64 v[124:125], 2, v[116:117]
	v_add_co_u32_e32 v124, vcc, v4, v124
	v_addc_co_u32_e32 v125, vcc, v5, v125, vcc
	flat_load_dword v117, v[124:125]
	flat_load_dword v119, v[4:5] offset:4
	s_waitcnt vmcnt(0) lgkmcnt(0)
	flat_store_dword v[4:5], v117 offset:4
	flat_store_dword v[124:125], v119
.LBB108_23:
	s_or_b64 exec, exec, s[16:17]
	v_mov_b32_e32 v117, v116
	v_mov_b32_e32 v119, v116
.LBB108_24:
	s_or_b64 exec, exec, s[14:15]
.LBB108_25:
	s_andn2_saveexec_b64 s[2:3], s[2:3]
	s_cbranch_execz .LBB108_27
; %bb.26:
	v_mov_b32_e32 v124, v106
	v_mov_b32_e32 v125, v107
	v_mov_b32_e32 v126, v102
	v_mov_b32_e32 v127, v103
	ds_write2_b64 v118, v[124:125], v[126:127] offset0:2 offset1:3
	v_mov_b32_e32 v124, v104
	v_mov_b32_e32 v125, v105
	v_mov_b32_e32 v126, v100
	v_mov_b32_e32 v127, v101
	ds_write2_b64 v118, v[124:125], v[126:127] offset0:4 offset1:5
	;; [unrolled: 5-line block ×25, first 2 shown]
	v_mov_b32_e32 v124, v6
	v_mov_b32_e32 v125, v7
	;; [unrolled: 1-line block ×5, first 2 shown]
	ds_write2_b64 v118, v[124:125], v[126:127] offset0:52 offset1:53
	ds_write_b64 v118, v[112:113] offset:432
.LBB108_27:
	s_or_b64 exec, exec, s[2:3]
	s_waitcnt lgkmcnt(0)
	v_cmp_neq_f64_e64 s[2:3], 0, v[114:115]
	v_cmp_lt_i32_e32 vcc, 1, v119
	s_barrier
	s_and_saveexec_b64 s[14:15], vcc
	s_cbranch_execz .LBB108_29
; %bb.28:
	v_div_scale_f64 v[124:125], s[16:17], v[114:115], v[114:115], 1.0
	v_rcp_f64_e32 v[126:127], v[124:125]
	v_div_scale_f64 v[128:129], vcc, 1.0, v[114:115], 1.0
	ds_read2_b64 v[132:135], v118 offset0:6 offset1:7
	v_fma_f64 v[130:131], -v[124:125], v[126:127], 1.0
	v_fmac_f64_e32 v[126:127], v[126:127], v[130:131]
	v_fma_f64 v[130:131], -v[124:125], v[126:127], 1.0
	v_fmac_f64_e32 v[126:127], v[126:127], v[130:131]
	v_mul_f64 v[130:131], v[128:129], v[126:127]
	v_fma_f64 v[124:125], -v[124:125], v[130:131], v[128:129]
	v_div_fmas_f64 v[124:125], v[124:125], v[126:127], v[130:131]
	v_div_fixup_f64 v[128:129], v[124:125], v[114:115], 1.0
	ds_read2_b64 v[124:127], v118 offset0:2 offset1:3
	v_cndmask_b32_e64 v115, v115, v129, s[2:3]
	v_cndmask_b32_e64 v114, v114, v128, s[2:3]
	ds_read2_b64 v[128:131], v118 offset0:4 offset1:5
	v_mul_f64 v[108:109], v[114:115], v[108:109]
	s_waitcnt lgkmcnt(0)
	v_fma_f64 v[106:107], -v[108:109], v[124:125], v[106:107]
	v_fma_f64 v[102:103], -v[108:109], v[126:127], v[102:103]
	ds_read2_b64 v[124:127], v118 offset0:8 offset1:9
	v_fma_f64 v[104:105], -v[108:109], v[128:129], v[104:105]
	v_fma_f64 v[100:101], -v[108:109], v[130:131], v[100:101]
	ds_read2_b64 v[128:131], v118 offset0:10 offset1:11
	;; [unrolled: 3-line block ×3, first 2 shown]
	s_waitcnt lgkmcnt(0)
	v_fma_f64 v[94:95], -v[108:109], v[124:125], v[94:95]
	v_fma_f64 v[92:93], -v[108:109], v[126:127], v[92:93]
	;; [unrolled: 1-line block ×3, first 2 shown]
	ds_read2_b64 v[124:127], v118 offset0:14 offset1:15
	v_fma_f64 v[88:89], -v[108:109], v[130:131], v[88:89]
	ds_read2_b64 v[128:131], v118 offset0:16 offset1:17
	v_fma_f64 v[86:87], -v[108:109], v[132:133], v[86:87]
	v_fma_f64 v[84:85], -v[108:109], v[134:135], v[84:85]
	s_waitcnt lgkmcnt(0)
	v_fma_f64 v[82:83], -v[108:109], v[124:125], v[82:83]
	ds_read2_b64 v[132:135], v118 offset0:18 offset1:19
	v_fma_f64 v[80:81], -v[108:109], v[126:127], v[80:81]
	ds_read2_b64 v[124:127], v118 offset0:20 offset1:21
	v_fma_f64 v[78:79], -v[108:109], v[128:129], v[78:79]
	v_fma_f64 v[76:77], -v[108:109], v[130:131], v[76:77]
	ds_read2_b64 v[128:131], v118 offset0:22 offset1:23
	s_waitcnt lgkmcnt(0)
	v_fma_f64 v[74:75], -v[108:109], v[132:133], v[74:75]
	v_fma_f64 v[72:73], -v[108:109], v[134:135], v[72:73]
	ds_read2_b64 v[132:135], v118 offset0:24 offset1:25
	v_fma_f64 v[70:71], -v[108:109], v[124:125], v[70:71]
	v_fma_f64 v[68:69], -v[108:109], v[126:127], v[68:69]
	;; [unrolled: 1-line block ×3, first 2 shown]
	ds_read2_b64 v[124:127], v118 offset0:26 offset1:27
	v_fma_f64 v[64:65], -v[108:109], v[130:131], v[64:65]
	ds_read2_b64 v[128:131], v118 offset0:28 offset1:29
	s_waitcnt lgkmcnt(0)
	v_fma_f64 v[62:63], -v[108:109], v[132:133], v[62:63]
	v_fma_f64 v[60:61], -v[108:109], v[134:135], v[60:61]
	;; [unrolled: 1-line block ×3, first 2 shown]
	ds_read2_b64 v[132:135], v118 offset0:30 offset1:31
	v_fma_f64 v[56:57], -v[108:109], v[126:127], v[56:57]
	ds_read2_b64 v[124:127], v118 offset0:32 offset1:33
	v_fma_f64 v[54:55], -v[108:109], v[128:129], v[54:55]
	v_fma_f64 v[52:53], -v[108:109], v[130:131], v[52:53]
	ds_read2_b64 v[128:131], v118 offset0:34 offset1:35
	s_waitcnt lgkmcnt(0)
	v_fma_f64 v[50:51], -v[108:109], v[132:133], v[50:51]
	v_fma_f64 v[48:49], -v[108:109], v[134:135], v[48:49]
	ds_read2_b64 v[132:135], v118 offset0:36 offset1:37
	v_fma_f64 v[46:47], -v[108:109], v[124:125], v[46:47]
	v_fma_f64 v[44:45], -v[108:109], v[126:127], v[44:45]
	;; [unrolled: 1-line block ×3, first 2 shown]
	ds_read2_b64 v[124:127], v118 offset0:38 offset1:39
	v_fma_f64 v[40:41], -v[108:109], v[130:131], v[40:41]
	ds_read2_b64 v[128:131], v118 offset0:40 offset1:41
	s_waitcnt lgkmcnt(0)
	v_fma_f64 v[38:39], -v[108:109], v[132:133], v[38:39]
	v_fma_f64 v[36:37], -v[108:109], v[134:135], v[36:37]
	v_fma_f64 v[34:35], -v[108:109], v[124:125], v[34:35]
	ds_read2_b64 v[132:135], v118 offset0:42 offset1:43
	v_fma_f64 v[32:33], -v[108:109], v[126:127], v[32:33]
	ds_read2_b64 v[124:127], v118 offset0:44 offset1:45
	v_fma_f64 v[30:31], -v[108:109], v[128:129], v[30:31]
	v_fma_f64 v[28:29], -v[108:109], v[130:131], v[28:29]
	ds_read2_b64 v[128:131], v118 offset0:46 offset1:47
	s_waitcnt lgkmcnt(0)
	v_fma_f64 v[26:27], -v[108:109], v[132:133], v[26:27]
	v_fma_f64 v[24:25], -v[108:109], v[134:135], v[24:25]
	ds_read2_b64 v[132:135], v118 offset0:48 offset1:49
	v_fma_f64 v[22:23], -v[108:109], v[124:125], v[22:23]
	v_fma_f64 v[20:21], -v[108:109], v[126:127], v[20:21]
	;; [unrolled: 1-line block ×4, first 2 shown]
	ds_read2_b64 v[124:127], v118 offset0:50 offset1:51
	ds_read2_b64 v[128:131], v118 offset0:52 offset1:53
	ds_read_b64 v[114:115], v118 offset:432
	s_waitcnt lgkmcnt(0)
	v_fma_f64 v[14:15], -v[108:109], v[132:133], v[14:15]
	v_fma_f64 v[12:13], -v[108:109], v[134:135], v[12:13]
	;; [unrolled: 1-line block ×7, first 2 shown]
.LBB108_29:
	s_or_b64 exec, exec, s[14:15]
	v_lshl_add_u32 v114, v119, 3, v118
	s_barrier
	ds_write_b64 v114, v[106:107]
	s_waitcnt lgkmcnt(0)
	s_barrier
	ds_read_b64 v[114:115], v118 offset:16
	s_mov_b32 s9, 3
	s_cmp_lt_i32 s18, 4
	v_mov_b32_e32 v116, 2
	s_cbranch_scc1 .LBB108_32
; %bb.30:
	v_add3_u32 v122, v123, 0, 24
	v_mov_b32_e32 v116, 2
.LBB108_31:                             ; =>This Inner Loop Header: Depth=1
	ds_read_b64 v[124:125], v122
	v_mov_b32_e32 v126, s9
	s_add_i32 s9, s9, 1
	v_add_u32_e32 v122, 8, v122
	s_cmp_lg_u32 s18, s9
	s_waitcnt lgkmcnt(0)
	v_cmp_lt_f64_e64 vcc, |v[114:115]|, |v[124:125]|
	v_cndmask_b32_e32 v115, v115, v125, vcc
	v_cndmask_b32_e32 v114, v114, v124, vcc
	;; [unrolled: 1-line block ×3, first 2 shown]
	s_cbranch_scc1 .LBB108_31
.LBB108_32:
	v_cndmask_b32_e64 v122, 2, 1, s[0:1]
	v_cndmask_b32_e64 v124, 0, 1, s[0:1]
	;; [unrolled: 1-line block ×3, first 2 shown]
	s_waitcnt lgkmcnt(0)
	v_cmp_eq_f64_e32 vcc, 0, v[114:115]
	s_and_saveexec_b64 s[0:1], vcc
	s_xor_b64 s[0:1], exec, s[0:1]
; %bb.33:
	v_cmp_ne_u32_e32 vcc, 0, v122
	v_cndmask_b32_e32 v122, 3, v122, vcc
; %bb.34:
	s_andn2_saveexec_b64 s[0:1], s[0:1]
; %bb.35:
	v_div_scale_f64 v[124:125], s[2:3], v[114:115], v[114:115], 1.0
	v_rcp_f64_e32 v[126:127], v[124:125]
	v_div_scale_f64 v[128:129], vcc, 1.0, v[114:115], 1.0
	v_fma_f64 v[130:131], -v[124:125], v[126:127], 1.0
	v_fmac_f64_e32 v[126:127], v[126:127], v[130:131]
	v_fma_f64 v[130:131], -v[124:125], v[126:127], 1.0
	v_fmac_f64_e32 v[126:127], v[126:127], v[130:131]
	v_mul_f64 v[130:131], v[128:129], v[126:127]
	v_fma_f64 v[124:125], -v[124:125], v[130:131], v[128:129]
	v_div_fmas_f64 v[124:125], v[124:125], v[126:127], v[130:131]
	v_div_fixup_f64 v[114:115], v[124:125], v[114:115], 1.0
; %bb.36:
	s_or_b64 exec, exec, s[0:1]
	v_cmp_ne_u32_e32 vcc, v119, v116
	s_and_saveexec_b64 s[0:1], vcc
	s_xor_b64 s[0:1], exec, s[0:1]
	s_cbranch_execz .LBB108_42
; %bb.37:
	v_cmp_eq_u32_e32 vcc, 2, v119
	s_and_saveexec_b64 s[2:3], vcc
	s_cbranch_execz .LBB108_41
; %bb.38:
	v_cmp_ne_u32_e32 vcc, 2, v116
	s_xor_b64 s[14:15], s[6:7], -1
	s_and_b64 s[16:17], s[14:15], vcc
	s_and_saveexec_b64 s[14:15], s[16:17]
	s_cbranch_execz .LBB108_40
; %bb.39:
	v_ashrrev_i32_e32 v117, 31, v116
	v_lshlrev_b64 v[124:125], 2, v[116:117]
	v_add_co_u32_e32 v124, vcc, v4, v124
	v_addc_co_u32_e32 v125, vcc, v5, v125, vcc
	flat_load_dword v117, v[124:125]
	flat_load_dword v119, v[4:5] offset:8
	s_waitcnt vmcnt(0) lgkmcnt(0)
	flat_store_dword v[4:5], v117 offset:8
	flat_store_dword v[124:125], v119
.LBB108_40:
	s_or_b64 exec, exec, s[14:15]
	v_mov_b32_e32 v117, v116
	v_mov_b32_e32 v119, v116
.LBB108_41:
	s_or_b64 exec, exec, s[2:3]
.LBB108_42:
	s_andn2_saveexec_b64 s[0:1], s[0:1]
	s_cbranch_execz .LBB108_44
; %bb.43:
	v_mov_b32_e32 v119, 2
	ds_write2_b64 v118, v[102:103], v[104:105] offset0:3 offset1:4
	ds_write2_b64 v118, v[100:101], v[98:99] offset0:5 offset1:6
	;; [unrolled: 1-line block ×26, first 2 shown]
.LBB108_44:
	s_or_b64 exec, exec, s[0:1]
	v_cmp_lt_i32_e32 vcc, 2, v119
	s_waitcnt lgkmcnt(0)
	s_barrier
	s_and_saveexec_b64 s[0:1], vcc
	s_cbranch_execz .LBB108_46
; %bb.45:
	ds_read2_b64 v[124:127], v118 offset0:3 offset1:4
	ds_read2_b64 v[128:131], v118 offset0:5 offset1:6
	v_mul_f64 v[106:107], v[114:115], v[106:107]
	ds_read2_b64 v[132:135], v118 offset0:7 offset1:8
	s_waitcnt lgkmcnt(0)
	v_fma_f64 v[102:103], -v[106:107], v[124:125], v[102:103]
	v_fma_f64 v[104:105], -v[106:107], v[126:127], v[104:105]
	ds_read2_b64 v[124:127], v118 offset0:9 offset1:10
	v_fma_f64 v[100:101], -v[106:107], v[128:129], v[100:101]
	v_fma_f64 v[98:99], -v[106:107], v[130:131], v[98:99]
	ds_read2_b64 v[128:131], v118 offset0:11 offset1:12
	;; [unrolled: 3-line block ×3, first 2 shown]
	s_waitcnt lgkmcnt(0)
	v_fma_f64 v[92:93], -v[106:107], v[124:125], v[92:93]
	v_fma_f64 v[90:91], -v[106:107], v[126:127], v[90:91]
	;; [unrolled: 1-line block ×3, first 2 shown]
	ds_read2_b64 v[124:127], v118 offset0:15 offset1:16
	v_fma_f64 v[86:87], -v[106:107], v[130:131], v[86:87]
	ds_read2_b64 v[128:131], v118 offset0:17 offset1:18
	v_fma_f64 v[84:85], -v[106:107], v[132:133], v[84:85]
	v_fma_f64 v[82:83], -v[106:107], v[134:135], v[82:83]
	s_waitcnt lgkmcnt(0)
	v_fma_f64 v[80:81], -v[106:107], v[124:125], v[80:81]
	ds_read2_b64 v[132:135], v118 offset0:19 offset1:20
	v_fma_f64 v[78:79], -v[106:107], v[126:127], v[78:79]
	ds_read2_b64 v[124:127], v118 offset0:21 offset1:22
	v_fma_f64 v[76:77], -v[106:107], v[128:129], v[76:77]
	v_fma_f64 v[74:75], -v[106:107], v[130:131], v[74:75]
	ds_read2_b64 v[128:131], v118 offset0:23 offset1:24
	s_waitcnt lgkmcnt(0)
	v_fma_f64 v[72:73], -v[106:107], v[132:133], v[72:73]
	v_fma_f64 v[70:71], -v[106:107], v[134:135], v[70:71]
	ds_read2_b64 v[132:135], v118 offset0:25 offset1:26
	v_fma_f64 v[68:69], -v[106:107], v[124:125], v[68:69]
	v_fma_f64 v[66:67], -v[106:107], v[126:127], v[66:67]
	;; [unrolled: 1-line block ×3, first 2 shown]
	ds_read2_b64 v[124:127], v118 offset0:27 offset1:28
	v_fma_f64 v[62:63], -v[106:107], v[130:131], v[62:63]
	ds_read2_b64 v[128:131], v118 offset0:29 offset1:30
	s_waitcnt lgkmcnt(0)
	v_fma_f64 v[60:61], -v[106:107], v[132:133], v[60:61]
	v_fma_f64 v[58:59], -v[106:107], v[134:135], v[58:59]
	;; [unrolled: 1-line block ×3, first 2 shown]
	ds_read2_b64 v[132:135], v118 offset0:31 offset1:32
	v_fma_f64 v[54:55], -v[106:107], v[126:127], v[54:55]
	ds_read2_b64 v[124:127], v118 offset0:33 offset1:34
	v_fma_f64 v[52:53], -v[106:107], v[128:129], v[52:53]
	v_fma_f64 v[50:51], -v[106:107], v[130:131], v[50:51]
	ds_read2_b64 v[128:131], v118 offset0:35 offset1:36
	s_waitcnt lgkmcnt(0)
	v_fma_f64 v[48:49], -v[106:107], v[132:133], v[48:49]
	v_fma_f64 v[46:47], -v[106:107], v[134:135], v[46:47]
	ds_read2_b64 v[132:135], v118 offset0:37 offset1:38
	v_fma_f64 v[44:45], -v[106:107], v[124:125], v[44:45]
	v_fma_f64 v[42:43], -v[106:107], v[126:127], v[42:43]
	;; [unrolled: 1-line block ×3, first 2 shown]
	ds_read2_b64 v[124:127], v118 offset0:39 offset1:40
	v_fma_f64 v[38:39], -v[106:107], v[130:131], v[38:39]
	ds_read2_b64 v[128:131], v118 offset0:41 offset1:42
	s_waitcnt lgkmcnt(0)
	v_fma_f64 v[36:37], -v[106:107], v[132:133], v[36:37]
	v_fma_f64 v[34:35], -v[106:107], v[134:135], v[34:35]
	;; [unrolled: 1-line block ×3, first 2 shown]
	ds_read2_b64 v[132:135], v118 offset0:43 offset1:44
	v_fma_f64 v[30:31], -v[106:107], v[126:127], v[30:31]
	ds_read2_b64 v[124:127], v118 offset0:45 offset1:46
	v_fma_f64 v[28:29], -v[106:107], v[128:129], v[28:29]
	v_fma_f64 v[26:27], -v[106:107], v[130:131], v[26:27]
	ds_read2_b64 v[128:131], v118 offset0:47 offset1:48
	s_waitcnt lgkmcnt(0)
	v_fma_f64 v[24:25], -v[106:107], v[132:133], v[24:25]
	v_fma_f64 v[22:23], -v[106:107], v[134:135], v[22:23]
	;; [unrolled: 1-line block ×4, first 2 shown]
	ds_read2_b64 v[124:127], v118 offset0:49 offset1:50
	v_fma_f64 v[16:17], -v[106:107], v[128:129], v[16:17]
	ds_read2_b64 v[132:135], v118 offset0:51 offset1:52
	v_fma_f64 v[14:15], -v[106:107], v[130:131], v[14:15]
	ds_read2_b64 v[128:131], v118 offset0:53 offset1:54
	s_waitcnt lgkmcnt(0)
	v_fma_f64 v[12:13], -v[106:107], v[124:125], v[12:13]
	v_fma_f64 v[10:11], -v[106:107], v[126:127], v[10:11]
	;; [unrolled: 1-line block ×6, first 2 shown]
.LBB108_46:
	s_or_b64 exec, exec, s[0:1]
	v_lshl_add_u32 v114, v119, 3, v118
	s_barrier
	ds_write_b64 v114, v[102:103]
	s_waitcnt lgkmcnt(0)
	s_barrier
	ds_read_b64 v[114:115], v118 offset:24
	s_cmp_lt_i32 s18, 5
	v_mov_b32_e32 v116, 3
	s_cbranch_scc1 .LBB108_49
; %bb.47:
	v_add3_u32 v124, v123, 0, 32
	s_mov_b32 s0, 4
	v_mov_b32_e32 v116, 3
.LBB108_48:                             ; =>This Inner Loop Header: Depth=1
	ds_read_b64 v[126:127], v124
	v_mov_b32_e32 v125, s0
	s_add_i32 s0, s0, 1
	v_add_u32_e32 v124, 8, v124
	s_cmp_lg_u32 s18, s0
	s_waitcnt lgkmcnt(0)
	v_cmp_lt_f64_e64 vcc, |v[114:115]|, |v[126:127]|
	v_cndmask_b32_e32 v115, v115, v127, vcc
	v_cndmask_b32_e32 v114, v114, v126, vcc
	;; [unrolled: 1-line block ×3, first 2 shown]
	s_cbranch_scc1 .LBB108_48
.LBB108_49:
	s_waitcnt lgkmcnt(0)
	v_cmp_eq_f64_e32 vcc, 0, v[114:115]
	s_and_saveexec_b64 s[0:1], vcc
	s_xor_b64 s[0:1], exec, s[0:1]
; %bb.50:
	v_cmp_ne_u32_e32 vcc, 0, v122
	v_cndmask_b32_e32 v122, 4, v122, vcc
; %bb.51:
	s_andn2_saveexec_b64 s[0:1], s[0:1]
; %bb.52:
	v_div_scale_f64 v[124:125], s[2:3], v[114:115], v[114:115], 1.0
	v_rcp_f64_e32 v[126:127], v[124:125]
	v_div_scale_f64 v[128:129], vcc, 1.0, v[114:115], 1.0
	v_fma_f64 v[130:131], -v[124:125], v[126:127], 1.0
	v_fmac_f64_e32 v[126:127], v[126:127], v[130:131]
	v_fma_f64 v[130:131], -v[124:125], v[126:127], 1.0
	v_fmac_f64_e32 v[126:127], v[126:127], v[130:131]
	v_mul_f64 v[130:131], v[128:129], v[126:127]
	v_fma_f64 v[124:125], -v[124:125], v[130:131], v[128:129]
	v_div_fmas_f64 v[124:125], v[124:125], v[126:127], v[130:131]
	v_div_fixup_f64 v[114:115], v[124:125], v[114:115], 1.0
; %bb.53:
	s_or_b64 exec, exec, s[0:1]
	v_cmp_ne_u32_e32 vcc, v119, v116
	s_and_saveexec_b64 s[0:1], vcc
	s_xor_b64 s[0:1], exec, s[0:1]
	s_cbranch_execz .LBB108_59
; %bb.54:
	v_cmp_eq_u32_e32 vcc, 3, v119
	s_and_saveexec_b64 s[2:3], vcc
	s_cbranch_execz .LBB108_58
; %bb.55:
	v_cmp_ne_u32_e32 vcc, 3, v116
	s_xor_b64 s[14:15], s[6:7], -1
	s_and_b64 s[16:17], s[14:15], vcc
	s_and_saveexec_b64 s[14:15], s[16:17]
	s_cbranch_execz .LBB108_57
; %bb.56:
	v_ashrrev_i32_e32 v117, 31, v116
	v_lshlrev_b64 v[124:125], 2, v[116:117]
	v_add_co_u32_e32 v124, vcc, v4, v124
	v_addc_co_u32_e32 v125, vcc, v5, v125, vcc
	flat_load_dword v117, v[124:125]
	flat_load_dword v119, v[4:5] offset:12
	s_waitcnt vmcnt(0) lgkmcnt(0)
	flat_store_dword v[4:5], v117 offset:12
	flat_store_dword v[124:125], v119
.LBB108_57:
	s_or_b64 exec, exec, s[14:15]
	v_mov_b32_e32 v117, v116
	v_mov_b32_e32 v119, v116
.LBB108_58:
	s_or_b64 exec, exec, s[2:3]
.LBB108_59:
	s_andn2_saveexec_b64 s[0:1], s[0:1]
	s_cbranch_execz .LBB108_61
; %bb.60:
	v_mov_b32_e32 v124, v104
	v_mov_b32_e32 v125, v105
	v_mov_b32_e32 v126, v100
	v_mov_b32_e32 v127, v101
	ds_write2_b64 v118, v[124:125], v[126:127] offset0:4 offset1:5
	v_mov_b32_e32 v124, v98
	v_mov_b32_e32 v125, v99
	v_mov_b32_e32 v126, v96
	v_mov_b32_e32 v127, v97
	ds_write2_b64 v118, v[124:125], v[126:127] offset0:6 offset1:7
	v_mov_b32_e32 v124, v94
	v_mov_b32_e32 v125, v95
	v_mov_b32_e32 v126, v92
	v_mov_b32_e32 v127, v93
	ds_write2_b64 v118, v[124:125], v[126:127] offset0:8 offset1:9
	v_mov_b32_e32 v124, v90
	v_mov_b32_e32 v125, v91
	v_mov_b32_e32 v126, v88
	v_mov_b32_e32 v127, v89
	ds_write2_b64 v118, v[124:125], v[126:127] offset0:10 offset1:11
	v_mov_b32_e32 v124, v86
	v_mov_b32_e32 v125, v87
	v_mov_b32_e32 v126, v84
	v_mov_b32_e32 v127, v85
	ds_write2_b64 v118, v[124:125], v[126:127] offset0:12 offset1:13
	v_mov_b32_e32 v124, v82
	v_mov_b32_e32 v125, v83
	v_mov_b32_e32 v126, v80
	v_mov_b32_e32 v127, v81
	ds_write2_b64 v118, v[124:125], v[126:127] offset0:14 offset1:15
	v_mov_b32_e32 v124, v78
	v_mov_b32_e32 v125, v79
	v_mov_b32_e32 v126, v76
	v_mov_b32_e32 v127, v77
	ds_write2_b64 v118, v[124:125], v[126:127] offset0:16 offset1:17
	v_mov_b32_e32 v124, v74
	v_mov_b32_e32 v125, v75
	v_mov_b32_e32 v126, v72
	v_mov_b32_e32 v127, v73
	ds_write2_b64 v118, v[124:125], v[126:127] offset0:18 offset1:19
	v_mov_b32_e32 v124, v70
	v_mov_b32_e32 v125, v71
	v_mov_b32_e32 v126, v68
	v_mov_b32_e32 v127, v69
	ds_write2_b64 v118, v[124:125], v[126:127] offset0:20 offset1:21
	v_mov_b32_e32 v124, v66
	v_mov_b32_e32 v125, v67
	v_mov_b32_e32 v126, v64
	v_mov_b32_e32 v127, v65
	ds_write2_b64 v118, v[124:125], v[126:127] offset0:22 offset1:23
	v_mov_b32_e32 v124, v62
	v_mov_b32_e32 v125, v63
	v_mov_b32_e32 v126, v60
	v_mov_b32_e32 v127, v61
	ds_write2_b64 v118, v[124:125], v[126:127] offset0:24 offset1:25
	v_mov_b32_e32 v124, v58
	v_mov_b32_e32 v125, v59
	v_mov_b32_e32 v126, v56
	v_mov_b32_e32 v127, v57
	ds_write2_b64 v118, v[124:125], v[126:127] offset0:26 offset1:27
	v_mov_b32_e32 v124, v54
	v_mov_b32_e32 v125, v55
	v_mov_b32_e32 v126, v52
	v_mov_b32_e32 v127, v53
	ds_write2_b64 v118, v[124:125], v[126:127] offset0:28 offset1:29
	v_mov_b32_e32 v124, v50
	v_mov_b32_e32 v125, v51
	v_mov_b32_e32 v126, v48
	v_mov_b32_e32 v127, v49
	ds_write2_b64 v118, v[124:125], v[126:127] offset0:30 offset1:31
	v_mov_b32_e32 v124, v46
	v_mov_b32_e32 v125, v47
	v_mov_b32_e32 v126, v44
	v_mov_b32_e32 v127, v45
	ds_write2_b64 v118, v[124:125], v[126:127] offset0:32 offset1:33
	v_mov_b32_e32 v124, v42
	v_mov_b32_e32 v125, v43
	v_mov_b32_e32 v126, v40
	v_mov_b32_e32 v127, v41
	ds_write2_b64 v118, v[124:125], v[126:127] offset0:34 offset1:35
	v_mov_b32_e32 v124, v38
	v_mov_b32_e32 v125, v39
	v_mov_b32_e32 v126, v36
	v_mov_b32_e32 v127, v37
	ds_write2_b64 v118, v[124:125], v[126:127] offset0:36 offset1:37
	v_mov_b32_e32 v124, v34
	v_mov_b32_e32 v125, v35
	v_mov_b32_e32 v126, v32
	v_mov_b32_e32 v127, v33
	ds_write2_b64 v118, v[124:125], v[126:127] offset0:38 offset1:39
	v_mov_b32_e32 v124, v30
	v_mov_b32_e32 v125, v31
	v_mov_b32_e32 v126, v28
	v_mov_b32_e32 v127, v29
	ds_write2_b64 v118, v[124:125], v[126:127] offset0:40 offset1:41
	v_mov_b32_e32 v124, v26
	v_mov_b32_e32 v125, v27
	v_mov_b32_e32 v126, v24
	v_mov_b32_e32 v127, v25
	ds_write2_b64 v118, v[124:125], v[126:127] offset0:42 offset1:43
	v_mov_b32_e32 v124, v22
	v_mov_b32_e32 v125, v23
	v_mov_b32_e32 v126, v20
	v_mov_b32_e32 v127, v21
	ds_write2_b64 v118, v[124:125], v[126:127] offset0:44 offset1:45
	v_mov_b32_e32 v124, v18
	v_mov_b32_e32 v125, v19
	v_mov_b32_e32 v126, v16
	v_mov_b32_e32 v127, v17
	ds_write2_b64 v118, v[124:125], v[126:127] offset0:46 offset1:47
	v_mov_b32_e32 v124, v14
	v_mov_b32_e32 v125, v15
	v_mov_b32_e32 v126, v12
	v_mov_b32_e32 v127, v13
	ds_write2_b64 v118, v[124:125], v[126:127] offset0:48 offset1:49
	v_mov_b32_e32 v124, v10
	v_mov_b32_e32 v125, v11
	v_mov_b32_e32 v126, v8
	v_mov_b32_e32 v127, v9
	ds_write2_b64 v118, v[124:125], v[126:127] offset0:50 offset1:51
	v_mov_b32_e32 v124, v6
	v_mov_b32_e32 v125, v7
	;; [unrolled: 1-line block ×5, first 2 shown]
	ds_write2_b64 v118, v[124:125], v[126:127] offset0:52 offset1:53
	ds_write_b64 v118, v[112:113] offset:432
.LBB108_61:
	s_or_b64 exec, exec, s[0:1]
	v_cmp_lt_i32_e32 vcc, 3, v119
	s_waitcnt lgkmcnt(0)
	s_barrier
	s_and_saveexec_b64 s[0:1], vcc
	s_cbranch_execz .LBB108_63
; %bb.62:
	ds_read2_b64 v[124:127], v118 offset0:4 offset1:5
	ds_read2_b64 v[128:131], v118 offset0:6 offset1:7
	v_mul_f64 v[102:103], v[114:115], v[102:103]
	ds_read2_b64 v[132:135], v118 offset0:8 offset1:9
	ds_read_b64 v[114:115], v118 offset:432
	s_waitcnt lgkmcnt(0)
	v_fma_f64 v[104:105], -v[102:103], v[124:125], v[104:105]
	v_fma_f64 v[100:101], -v[102:103], v[126:127], v[100:101]
	ds_read2_b64 v[124:127], v118 offset0:10 offset1:11
	v_fma_f64 v[98:99], -v[102:103], v[128:129], v[98:99]
	v_fma_f64 v[96:97], -v[102:103], v[130:131], v[96:97]
	v_fma_f64 v[94:95], -v[102:103], v[132:133], v[94:95]
	ds_read2_b64 v[128:131], v118 offset0:12 offset1:13
	v_fma_f64 v[92:93], -v[102:103], v[134:135], v[92:93]
	ds_read2_b64 v[132:135], v118 offset0:14 offset1:15
	s_waitcnt lgkmcnt(0)
	v_fma_f64 v[90:91], -v[102:103], v[124:125], v[90:91]
	v_fma_f64 v[88:89], -v[102:103], v[126:127], v[88:89]
	ds_read2_b64 v[124:127], v118 offset0:16 offset1:17
	v_fma_f64 v[86:87], -v[102:103], v[128:129], v[86:87]
	v_fma_f64 v[84:85], -v[102:103], v[130:131], v[84:85]
	ds_read2_b64 v[128:131], v118 offset0:18 offset1:19
	v_fma_f64 v[82:83], -v[102:103], v[132:133], v[82:83]
	v_fma_f64 v[80:81], -v[102:103], v[134:135], v[80:81]
	s_waitcnt lgkmcnt(0)
	v_fma_f64 v[78:79], -v[102:103], v[124:125], v[78:79]
	ds_read2_b64 v[132:135], v118 offset0:20 offset1:21
	v_fma_f64 v[76:77], -v[102:103], v[126:127], v[76:77]
	ds_read2_b64 v[124:127], v118 offset0:22 offset1:23
	v_fma_f64 v[74:75], -v[102:103], v[128:129], v[74:75]
	v_fma_f64 v[72:73], -v[102:103], v[130:131], v[72:73]
	s_waitcnt lgkmcnt(0)
	v_fma_f64 v[70:71], -v[102:103], v[132:133], v[70:71]
	ds_read2_b64 v[128:131], v118 offset0:24 offset1:25
	v_fma_f64 v[68:69], -v[102:103], v[134:135], v[68:69]
	ds_read2_b64 v[132:135], v118 offset0:26 offset1:27
	v_fma_f64 v[66:67], -v[102:103], v[124:125], v[66:67]
	v_fma_f64 v[64:65], -v[102:103], v[126:127], v[64:65]
	ds_read2_b64 v[124:127], v118 offset0:28 offset1:29
	s_waitcnt lgkmcnt(0)
	v_fma_f64 v[62:63], -v[102:103], v[128:129], v[62:63]
	v_fma_f64 v[60:61], -v[102:103], v[130:131], v[60:61]
	ds_read2_b64 v[128:131], v118 offset0:30 offset1:31
	v_fma_f64 v[58:59], -v[102:103], v[132:133], v[58:59]
	v_fma_f64 v[56:57], -v[102:103], v[134:135], v[56:57]
	;; [unrolled: 1-line block ×3, first 2 shown]
	ds_read2_b64 v[132:135], v118 offset0:32 offset1:33
	v_fma_f64 v[52:53], -v[102:103], v[126:127], v[52:53]
	ds_read2_b64 v[124:127], v118 offset0:34 offset1:35
	s_waitcnt lgkmcnt(0)
	v_fma_f64 v[50:51], -v[102:103], v[128:129], v[50:51]
	v_fma_f64 v[48:49], -v[102:103], v[130:131], v[48:49]
	;; [unrolled: 1-line block ×3, first 2 shown]
	ds_read2_b64 v[128:131], v118 offset0:36 offset1:37
	v_fma_f64 v[44:45], -v[102:103], v[134:135], v[44:45]
	ds_read2_b64 v[132:135], v118 offset0:38 offset1:39
	v_fma_f64 v[42:43], -v[102:103], v[124:125], v[42:43]
	v_fma_f64 v[40:41], -v[102:103], v[126:127], v[40:41]
	ds_read2_b64 v[124:127], v118 offset0:40 offset1:41
	s_waitcnt lgkmcnt(0)
	v_fma_f64 v[38:39], -v[102:103], v[128:129], v[38:39]
	v_fma_f64 v[36:37], -v[102:103], v[130:131], v[36:37]
	ds_read2_b64 v[128:131], v118 offset0:42 offset1:43
	v_fma_f64 v[34:35], -v[102:103], v[132:133], v[34:35]
	v_fma_f64 v[32:33], -v[102:103], v[134:135], v[32:33]
	;; [unrolled: 1-line block ×3, first 2 shown]
	ds_read2_b64 v[132:135], v118 offset0:44 offset1:45
	v_fma_f64 v[28:29], -v[102:103], v[126:127], v[28:29]
	ds_read2_b64 v[124:127], v118 offset0:46 offset1:47
	s_waitcnt lgkmcnt(0)
	v_fma_f64 v[26:27], -v[102:103], v[128:129], v[26:27]
	v_fma_f64 v[24:25], -v[102:103], v[130:131], v[24:25]
	;; [unrolled: 1-line block ×3, first 2 shown]
	ds_read2_b64 v[128:131], v118 offset0:48 offset1:49
	v_fma_f64 v[20:21], -v[102:103], v[134:135], v[20:21]
	v_fma_f64 v[18:19], -v[102:103], v[124:125], v[18:19]
	;; [unrolled: 1-line block ×3, first 2 shown]
	ds_read2_b64 v[124:127], v118 offset0:50 offset1:51
	ds_read2_b64 v[132:135], v118 offset0:52 offset1:53
	s_waitcnt lgkmcnt(0)
	v_fma_f64 v[14:15], -v[102:103], v[128:129], v[14:15]
	v_fma_f64 v[12:13], -v[102:103], v[130:131], v[12:13]
	;; [unrolled: 1-line block ×7, first 2 shown]
.LBB108_63:
	s_or_b64 exec, exec, s[0:1]
	v_lshl_add_u32 v114, v119, 3, v118
	s_barrier
	ds_write_b64 v114, v[104:105]
	s_waitcnt lgkmcnt(0)
	s_barrier
	ds_read_b64 v[114:115], v118 offset:32
	s_cmp_lt_i32 s18, 6
	v_mov_b32_e32 v116, 4
	s_cbranch_scc1 .LBB108_66
; %bb.64:
	v_add3_u32 v124, v123, 0, 40
	s_mov_b32 s0, 5
	v_mov_b32_e32 v116, 4
.LBB108_65:                             ; =>This Inner Loop Header: Depth=1
	ds_read_b64 v[126:127], v124
	v_mov_b32_e32 v125, s0
	s_add_i32 s0, s0, 1
	v_add_u32_e32 v124, 8, v124
	s_cmp_lg_u32 s18, s0
	s_waitcnt lgkmcnt(0)
	v_cmp_lt_f64_e64 vcc, |v[114:115]|, |v[126:127]|
	v_cndmask_b32_e32 v115, v115, v127, vcc
	v_cndmask_b32_e32 v114, v114, v126, vcc
	;; [unrolled: 1-line block ×3, first 2 shown]
	s_cbranch_scc1 .LBB108_65
.LBB108_66:
	s_waitcnt lgkmcnt(0)
	v_cmp_eq_f64_e32 vcc, 0, v[114:115]
	s_and_saveexec_b64 s[0:1], vcc
	s_xor_b64 s[0:1], exec, s[0:1]
; %bb.67:
	v_cmp_ne_u32_e32 vcc, 0, v122
	v_cndmask_b32_e32 v122, 5, v122, vcc
; %bb.68:
	s_andn2_saveexec_b64 s[0:1], s[0:1]
; %bb.69:
	v_div_scale_f64 v[124:125], s[2:3], v[114:115], v[114:115], 1.0
	v_rcp_f64_e32 v[126:127], v[124:125]
	v_div_scale_f64 v[128:129], vcc, 1.0, v[114:115], 1.0
	v_fma_f64 v[130:131], -v[124:125], v[126:127], 1.0
	v_fmac_f64_e32 v[126:127], v[126:127], v[130:131]
	v_fma_f64 v[130:131], -v[124:125], v[126:127], 1.0
	v_fmac_f64_e32 v[126:127], v[126:127], v[130:131]
	v_mul_f64 v[130:131], v[128:129], v[126:127]
	v_fma_f64 v[124:125], -v[124:125], v[130:131], v[128:129]
	v_div_fmas_f64 v[124:125], v[124:125], v[126:127], v[130:131]
	v_div_fixup_f64 v[114:115], v[124:125], v[114:115], 1.0
; %bb.70:
	s_or_b64 exec, exec, s[0:1]
	v_cmp_ne_u32_e32 vcc, v119, v116
	s_and_saveexec_b64 s[0:1], vcc
	s_xor_b64 s[0:1], exec, s[0:1]
	s_cbranch_execz .LBB108_76
; %bb.71:
	v_cmp_eq_u32_e32 vcc, 4, v119
	s_and_saveexec_b64 s[2:3], vcc
	s_cbranch_execz .LBB108_75
; %bb.72:
	v_cmp_ne_u32_e32 vcc, 4, v116
	s_xor_b64 s[14:15], s[6:7], -1
	s_and_b64 s[16:17], s[14:15], vcc
	s_and_saveexec_b64 s[14:15], s[16:17]
	s_cbranch_execz .LBB108_74
; %bb.73:
	v_ashrrev_i32_e32 v117, 31, v116
	v_lshlrev_b64 v[124:125], 2, v[116:117]
	v_add_co_u32_e32 v124, vcc, v4, v124
	v_addc_co_u32_e32 v125, vcc, v5, v125, vcc
	flat_load_dword v117, v[124:125]
	flat_load_dword v119, v[4:5] offset:16
	s_waitcnt vmcnt(0) lgkmcnt(0)
	flat_store_dword v[4:5], v117 offset:16
	flat_store_dword v[124:125], v119
.LBB108_74:
	s_or_b64 exec, exec, s[14:15]
	v_mov_b32_e32 v117, v116
	v_mov_b32_e32 v119, v116
.LBB108_75:
	s_or_b64 exec, exec, s[2:3]
.LBB108_76:
	s_andn2_saveexec_b64 s[0:1], s[0:1]
	s_cbranch_execz .LBB108_78
; %bb.77:
	v_mov_b32_e32 v119, 4
	ds_write2_b64 v118, v[100:101], v[98:99] offset0:5 offset1:6
	ds_write2_b64 v118, v[96:97], v[94:95] offset0:7 offset1:8
	;; [unrolled: 1-line block ×25, first 2 shown]
.LBB108_78:
	s_or_b64 exec, exec, s[0:1]
	v_cmp_lt_i32_e32 vcc, 4, v119
	s_waitcnt lgkmcnt(0)
	s_barrier
	s_and_saveexec_b64 s[0:1], vcc
	s_cbranch_execz .LBB108_80
; %bb.79:
	ds_read2_b64 v[124:127], v118 offset0:5 offset1:6
	ds_read2_b64 v[128:131], v118 offset0:7 offset1:8
	v_mul_f64 v[104:105], v[114:115], v[104:105]
	ds_read2_b64 v[132:135], v118 offset0:9 offset1:10
	s_waitcnt lgkmcnt(0)
	v_fma_f64 v[100:101], -v[104:105], v[124:125], v[100:101]
	v_fma_f64 v[98:99], -v[104:105], v[126:127], v[98:99]
	ds_read2_b64 v[124:127], v118 offset0:11 offset1:12
	v_fma_f64 v[96:97], -v[104:105], v[128:129], v[96:97]
	v_fma_f64 v[94:95], -v[104:105], v[130:131], v[94:95]
	;; [unrolled: 1-line block ×3, first 2 shown]
	ds_read2_b64 v[128:131], v118 offset0:13 offset1:14
	v_fma_f64 v[90:91], -v[104:105], v[134:135], v[90:91]
	ds_read2_b64 v[132:135], v118 offset0:15 offset1:16
	s_waitcnt lgkmcnt(0)
	v_fma_f64 v[88:89], -v[104:105], v[124:125], v[88:89]
	v_fma_f64 v[86:87], -v[104:105], v[126:127], v[86:87]
	ds_read2_b64 v[124:127], v118 offset0:17 offset1:18
	v_fma_f64 v[84:85], -v[104:105], v[128:129], v[84:85]
	v_fma_f64 v[82:83], -v[104:105], v[130:131], v[82:83]
	ds_read2_b64 v[128:131], v118 offset0:19 offset1:20
	v_fma_f64 v[80:81], -v[104:105], v[132:133], v[80:81]
	v_fma_f64 v[78:79], -v[104:105], v[134:135], v[78:79]
	s_waitcnt lgkmcnt(0)
	v_fma_f64 v[76:77], -v[104:105], v[124:125], v[76:77]
	ds_read2_b64 v[132:135], v118 offset0:21 offset1:22
	v_fma_f64 v[74:75], -v[104:105], v[126:127], v[74:75]
	ds_read2_b64 v[124:127], v118 offset0:23 offset1:24
	v_fma_f64 v[72:73], -v[104:105], v[128:129], v[72:73]
	v_fma_f64 v[70:71], -v[104:105], v[130:131], v[70:71]
	s_waitcnt lgkmcnt(0)
	v_fma_f64 v[68:69], -v[104:105], v[132:133], v[68:69]
	ds_read2_b64 v[128:131], v118 offset0:25 offset1:26
	v_fma_f64 v[66:67], -v[104:105], v[134:135], v[66:67]
	ds_read2_b64 v[132:135], v118 offset0:27 offset1:28
	v_fma_f64 v[64:65], -v[104:105], v[124:125], v[64:65]
	v_fma_f64 v[62:63], -v[104:105], v[126:127], v[62:63]
	ds_read2_b64 v[124:127], v118 offset0:29 offset1:30
	s_waitcnt lgkmcnt(0)
	v_fma_f64 v[60:61], -v[104:105], v[128:129], v[60:61]
	v_fma_f64 v[58:59], -v[104:105], v[130:131], v[58:59]
	ds_read2_b64 v[128:131], v118 offset0:31 offset1:32
	v_fma_f64 v[56:57], -v[104:105], v[132:133], v[56:57]
	v_fma_f64 v[54:55], -v[104:105], v[134:135], v[54:55]
	;; [unrolled: 1-line block ×3, first 2 shown]
	ds_read2_b64 v[132:135], v118 offset0:33 offset1:34
	v_fma_f64 v[50:51], -v[104:105], v[126:127], v[50:51]
	ds_read2_b64 v[124:127], v118 offset0:35 offset1:36
	s_waitcnt lgkmcnt(0)
	v_fma_f64 v[48:49], -v[104:105], v[128:129], v[48:49]
	v_fma_f64 v[46:47], -v[104:105], v[130:131], v[46:47]
	;; [unrolled: 1-line block ×3, first 2 shown]
	ds_read2_b64 v[128:131], v118 offset0:37 offset1:38
	v_fma_f64 v[42:43], -v[104:105], v[134:135], v[42:43]
	ds_read2_b64 v[132:135], v118 offset0:39 offset1:40
	v_fma_f64 v[40:41], -v[104:105], v[124:125], v[40:41]
	v_fma_f64 v[38:39], -v[104:105], v[126:127], v[38:39]
	ds_read2_b64 v[124:127], v118 offset0:41 offset1:42
	s_waitcnt lgkmcnt(0)
	v_fma_f64 v[36:37], -v[104:105], v[128:129], v[36:37]
	v_fma_f64 v[34:35], -v[104:105], v[130:131], v[34:35]
	ds_read2_b64 v[128:131], v118 offset0:43 offset1:44
	v_fma_f64 v[32:33], -v[104:105], v[132:133], v[32:33]
	v_fma_f64 v[30:31], -v[104:105], v[134:135], v[30:31]
	v_fma_f64 v[28:29], -v[104:105], v[124:125], v[28:29]
	ds_read2_b64 v[132:135], v118 offset0:45 offset1:46
	v_fma_f64 v[26:27], -v[104:105], v[126:127], v[26:27]
	ds_read2_b64 v[124:127], v118 offset0:47 offset1:48
	s_waitcnt lgkmcnt(0)
	v_fma_f64 v[24:25], -v[104:105], v[128:129], v[24:25]
	v_fma_f64 v[22:23], -v[104:105], v[130:131], v[22:23]
	;; [unrolled: 1-line block ×4, first 2 shown]
	ds_read2_b64 v[128:131], v118 offset0:49 offset1:50
	ds_read2_b64 v[132:135], v118 offset0:51 offset1:52
	v_fma_f64 v[16:17], -v[104:105], v[124:125], v[16:17]
	v_fma_f64 v[14:15], -v[104:105], v[126:127], v[14:15]
	ds_read2_b64 v[124:127], v118 offset0:53 offset1:54
	s_waitcnt lgkmcnt(0)
	v_fma_f64 v[12:13], -v[104:105], v[128:129], v[12:13]
	v_fma_f64 v[10:11], -v[104:105], v[130:131], v[10:11]
	;; [unrolled: 1-line block ×6, first 2 shown]
.LBB108_80:
	s_or_b64 exec, exec, s[0:1]
	v_lshl_add_u32 v114, v119, 3, v118
	s_barrier
	ds_write_b64 v114, v[100:101]
	s_waitcnt lgkmcnt(0)
	s_barrier
	ds_read_b64 v[114:115], v118 offset:40
	s_cmp_lt_i32 s18, 7
	v_mov_b32_e32 v116, 5
	s_cbranch_scc1 .LBB108_83
; %bb.81:
	v_add3_u32 v124, v123, 0, 48
	s_mov_b32 s0, 6
	v_mov_b32_e32 v116, 5
.LBB108_82:                             ; =>This Inner Loop Header: Depth=1
	ds_read_b64 v[126:127], v124
	v_mov_b32_e32 v125, s0
	s_add_i32 s0, s0, 1
	v_add_u32_e32 v124, 8, v124
	s_cmp_lg_u32 s18, s0
	s_waitcnt lgkmcnt(0)
	v_cmp_lt_f64_e64 vcc, |v[114:115]|, |v[126:127]|
	v_cndmask_b32_e32 v115, v115, v127, vcc
	v_cndmask_b32_e32 v114, v114, v126, vcc
	;; [unrolled: 1-line block ×3, first 2 shown]
	s_cbranch_scc1 .LBB108_82
.LBB108_83:
	s_waitcnt lgkmcnt(0)
	v_cmp_eq_f64_e32 vcc, 0, v[114:115]
	s_and_saveexec_b64 s[0:1], vcc
	s_xor_b64 s[0:1], exec, s[0:1]
; %bb.84:
	v_cmp_ne_u32_e32 vcc, 0, v122
	v_cndmask_b32_e32 v122, 6, v122, vcc
; %bb.85:
	s_andn2_saveexec_b64 s[0:1], s[0:1]
; %bb.86:
	v_div_scale_f64 v[124:125], s[2:3], v[114:115], v[114:115], 1.0
	v_rcp_f64_e32 v[126:127], v[124:125]
	v_div_scale_f64 v[128:129], vcc, 1.0, v[114:115], 1.0
	v_fma_f64 v[130:131], -v[124:125], v[126:127], 1.0
	v_fmac_f64_e32 v[126:127], v[126:127], v[130:131]
	v_fma_f64 v[130:131], -v[124:125], v[126:127], 1.0
	v_fmac_f64_e32 v[126:127], v[126:127], v[130:131]
	v_mul_f64 v[130:131], v[128:129], v[126:127]
	v_fma_f64 v[124:125], -v[124:125], v[130:131], v[128:129]
	v_div_fmas_f64 v[124:125], v[124:125], v[126:127], v[130:131]
	v_div_fixup_f64 v[114:115], v[124:125], v[114:115], 1.0
; %bb.87:
	s_or_b64 exec, exec, s[0:1]
	v_cmp_ne_u32_e32 vcc, v119, v116
	s_and_saveexec_b64 s[0:1], vcc
	s_xor_b64 s[0:1], exec, s[0:1]
	s_cbranch_execz .LBB108_93
; %bb.88:
	v_cmp_eq_u32_e32 vcc, 5, v119
	s_and_saveexec_b64 s[2:3], vcc
	s_cbranch_execz .LBB108_92
; %bb.89:
	v_cmp_ne_u32_e32 vcc, 5, v116
	s_xor_b64 s[14:15], s[6:7], -1
	s_and_b64 s[16:17], s[14:15], vcc
	s_and_saveexec_b64 s[14:15], s[16:17]
	s_cbranch_execz .LBB108_91
; %bb.90:
	v_ashrrev_i32_e32 v117, 31, v116
	v_lshlrev_b64 v[124:125], 2, v[116:117]
	v_add_co_u32_e32 v124, vcc, v4, v124
	v_addc_co_u32_e32 v125, vcc, v5, v125, vcc
	flat_load_dword v117, v[124:125]
	flat_load_dword v119, v[4:5] offset:20
	s_waitcnt vmcnt(0) lgkmcnt(0)
	flat_store_dword v[4:5], v117 offset:20
	flat_store_dword v[124:125], v119
.LBB108_91:
	s_or_b64 exec, exec, s[14:15]
	v_mov_b32_e32 v117, v116
	v_mov_b32_e32 v119, v116
.LBB108_92:
	s_or_b64 exec, exec, s[2:3]
.LBB108_93:
	s_andn2_saveexec_b64 s[0:1], s[0:1]
	s_cbranch_execz .LBB108_95
; %bb.94:
	v_mov_b32_e32 v124, v98
	v_mov_b32_e32 v125, v99
	v_mov_b32_e32 v126, v96
	v_mov_b32_e32 v127, v97
	ds_write2_b64 v118, v[124:125], v[126:127] offset0:6 offset1:7
	v_mov_b32_e32 v124, v94
	v_mov_b32_e32 v125, v95
	v_mov_b32_e32 v126, v92
	v_mov_b32_e32 v127, v93
	ds_write2_b64 v118, v[124:125], v[126:127] offset0:8 offset1:9
	;; [unrolled: 5-line block ×23, first 2 shown]
	v_mov_b32_e32 v124, v6
	v_mov_b32_e32 v125, v7
	;; [unrolled: 1-line block ×5, first 2 shown]
	ds_write2_b64 v118, v[124:125], v[126:127] offset0:52 offset1:53
	ds_write_b64 v118, v[112:113] offset:432
.LBB108_95:
	s_or_b64 exec, exec, s[0:1]
	v_cmp_lt_i32_e32 vcc, 5, v119
	s_waitcnt lgkmcnt(0)
	s_barrier
	s_and_saveexec_b64 s[0:1], vcc
	s_cbranch_execz .LBB108_97
; %bb.96:
	ds_read2_b64 v[124:127], v118 offset0:6 offset1:7
	ds_read2_b64 v[128:131], v118 offset0:8 offset1:9
	;; [unrolled: 1-line block ×3, first 2 shown]
	v_mul_f64 v[100:101], v[114:115], v[100:101]
	ds_read_b64 v[114:115], v118 offset:432
	s_waitcnt lgkmcnt(0)
	v_fma_f64 v[98:99], -v[100:101], v[124:125], v[98:99]
	v_fma_f64 v[96:97], -v[100:101], v[126:127], v[96:97]
	ds_read2_b64 v[124:127], v118 offset0:12 offset1:13
	v_fma_f64 v[94:95], -v[100:101], v[128:129], v[94:95]
	v_fma_f64 v[92:93], -v[100:101], v[130:131], v[92:93]
	v_fma_f64 v[90:91], -v[100:101], v[132:133], v[90:91]
	ds_read2_b64 v[128:131], v118 offset0:14 offset1:15
	v_fma_f64 v[88:89], -v[100:101], v[134:135], v[88:89]
	ds_read2_b64 v[132:135], v118 offset0:16 offset1:17
	s_waitcnt lgkmcnt(0)
	v_fma_f64 v[86:87], -v[100:101], v[124:125], v[86:87]
	v_fma_f64 v[84:85], -v[100:101], v[126:127], v[84:85]
	v_fma_f64 v[82:83], -v[100:101], v[128:129], v[82:83]
	ds_read2_b64 v[124:127], v118 offset0:18 offset1:19
	v_fma_f64 v[80:81], -v[100:101], v[130:131], v[80:81]
	ds_read2_b64 v[128:131], v118 offset0:20 offset1:21
	v_fma_f64 v[78:79], -v[100:101], v[132:133], v[78:79]
	v_fma_f64 v[76:77], -v[100:101], v[134:135], v[76:77]
	ds_read2_b64 v[132:135], v118 offset0:22 offset1:23
	s_waitcnt lgkmcnt(0)
	v_fma_f64 v[74:75], -v[100:101], v[124:125], v[74:75]
	v_fma_f64 v[72:73], -v[100:101], v[126:127], v[72:73]
	ds_read2_b64 v[124:127], v118 offset0:24 offset1:25
	v_fma_f64 v[70:71], -v[100:101], v[128:129], v[70:71]
	v_fma_f64 v[68:69], -v[100:101], v[130:131], v[68:69]
	v_fma_f64 v[66:67], -v[100:101], v[132:133], v[66:67]
	ds_read2_b64 v[128:131], v118 offset0:26 offset1:27
	v_fma_f64 v[64:65], -v[100:101], v[134:135], v[64:65]
	ds_read2_b64 v[132:135], v118 offset0:28 offset1:29
	s_waitcnt lgkmcnt(0)
	v_fma_f64 v[62:63], -v[100:101], v[124:125], v[62:63]
	v_fma_f64 v[60:61], -v[100:101], v[126:127], v[60:61]
	v_fma_f64 v[58:59], -v[100:101], v[128:129], v[58:59]
	ds_read2_b64 v[124:127], v118 offset0:30 offset1:31
	v_fma_f64 v[56:57], -v[100:101], v[130:131], v[56:57]
	ds_read2_b64 v[128:131], v118 offset0:32 offset1:33
	v_fma_f64 v[54:55], -v[100:101], v[132:133], v[54:55]
	v_fma_f64 v[52:53], -v[100:101], v[134:135], v[52:53]
	ds_read2_b64 v[132:135], v118 offset0:34 offset1:35
	;; [unrolled: 20-line block ×3, first 2 shown]
	s_waitcnt lgkmcnt(0)
	v_fma_f64 v[26:27], -v[100:101], v[124:125], v[26:27]
	v_fma_f64 v[24:25], -v[100:101], v[126:127], v[24:25]
	ds_read2_b64 v[124:127], v118 offset0:48 offset1:49
	v_fma_f64 v[22:23], -v[100:101], v[128:129], v[22:23]
	v_fma_f64 v[20:21], -v[100:101], v[130:131], v[20:21]
	v_fma_f64 v[18:19], -v[100:101], v[132:133], v[18:19]
	v_fma_f64 v[16:17], -v[100:101], v[134:135], v[16:17]
	ds_read2_b64 v[128:131], v118 offset0:50 offset1:51
	ds_read2_b64 v[132:135], v118 offset0:52 offset1:53
	s_waitcnt lgkmcnt(0)
	v_fma_f64 v[14:15], -v[100:101], v[124:125], v[14:15]
	v_fma_f64 v[12:13], -v[100:101], v[126:127], v[12:13]
	;; [unrolled: 1-line block ×7, first 2 shown]
.LBB108_97:
	s_or_b64 exec, exec, s[0:1]
	v_lshl_add_u32 v114, v119, 3, v118
	s_barrier
	ds_write_b64 v114, v[98:99]
	s_waitcnt lgkmcnt(0)
	s_barrier
	ds_read_b64 v[114:115], v118 offset:48
	s_cmp_lt_i32 s18, 8
	v_mov_b32_e32 v116, 6
	s_cbranch_scc1 .LBB108_100
; %bb.98:
	v_add3_u32 v124, v123, 0, 56
	s_mov_b32 s0, 7
	v_mov_b32_e32 v116, 6
.LBB108_99:                             ; =>This Inner Loop Header: Depth=1
	ds_read_b64 v[126:127], v124
	v_mov_b32_e32 v125, s0
	s_add_i32 s0, s0, 1
	v_add_u32_e32 v124, 8, v124
	s_cmp_lg_u32 s18, s0
	s_waitcnt lgkmcnt(0)
	v_cmp_lt_f64_e64 vcc, |v[114:115]|, |v[126:127]|
	v_cndmask_b32_e32 v115, v115, v127, vcc
	v_cndmask_b32_e32 v114, v114, v126, vcc
	;; [unrolled: 1-line block ×3, first 2 shown]
	s_cbranch_scc1 .LBB108_99
.LBB108_100:
	s_waitcnt lgkmcnt(0)
	v_cmp_eq_f64_e32 vcc, 0, v[114:115]
	s_and_saveexec_b64 s[0:1], vcc
	s_xor_b64 s[0:1], exec, s[0:1]
; %bb.101:
	v_cmp_ne_u32_e32 vcc, 0, v122
	v_cndmask_b32_e32 v122, 7, v122, vcc
; %bb.102:
	s_andn2_saveexec_b64 s[0:1], s[0:1]
; %bb.103:
	v_div_scale_f64 v[124:125], s[2:3], v[114:115], v[114:115], 1.0
	v_rcp_f64_e32 v[126:127], v[124:125]
	v_div_scale_f64 v[128:129], vcc, 1.0, v[114:115], 1.0
	v_fma_f64 v[130:131], -v[124:125], v[126:127], 1.0
	v_fmac_f64_e32 v[126:127], v[126:127], v[130:131]
	v_fma_f64 v[130:131], -v[124:125], v[126:127], 1.0
	v_fmac_f64_e32 v[126:127], v[126:127], v[130:131]
	v_mul_f64 v[130:131], v[128:129], v[126:127]
	v_fma_f64 v[124:125], -v[124:125], v[130:131], v[128:129]
	v_div_fmas_f64 v[124:125], v[124:125], v[126:127], v[130:131]
	v_div_fixup_f64 v[114:115], v[124:125], v[114:115], 1.0
; %bb.104:
	s_or_b64 exec, exec, s[0:1]
	v_cmp_ne_u32_e32 vcc, v119, v116
	s_and_saveexec_b64 s[0:1], vcc
	s_xor_b64 s[0:1], exec, s[0:1]
	s_cbranch_execz .LBB108_110
; %bb.105:
	v_cmp_eq_u32_e32 vcc, 6, v119
	s_and_saveexec_b64 s[2:3], vcc
	s_cbranch_execz .LBB108_109
; %bb.106:
	v_cmp_ne_u32_e32 vcc, 6, v116
	s_xor_b64 s[14:15], s[6:7], -1
	s_and_b64 s[16:17], s[14:15], vcc
	s_and_saveexec_b64 s[14:15], s[16:17]
	s_cbranch_execz .LBB108_108
; %bb.107:
	v_ashrrev_i32_e32 v117, 31, v116
	v_lshlrev_b64 v[124:125], 2, v[116:117]
	v_add_co_u32_e32 v124, vcc, v4, v124
	v_addc_co_u32_e32 v125, vcc, v5, v125, vcc
	flat_load_dword v117, v[124:125]
	flat_load_dword v119, v[4:5] offset:24
	s_waitcnt vmcnt(0) lgkmcnt(0)
	flat_store_dword v[4:5], v117 offset:24
	flat_store_dword v[124:125], v119
.LBB108_108:
	s_or_b64 exec, exec, s[14:15]
	v_mov_b32_e32 v117, v116
	v_mov_b32_e32 v119, v116
.LBB108_109:
	s_or_b64 exec, exec, s[2:3]
.LBB108_110:
	s_andn2_saveexec_b64 s[0:1], s[0:1]
	s_cbranch_execz .LBB108_112
; %bb.111:
	v_mov_b32_e32 v119, 6
	ds_write2_b64 v118, v[96:97], v[94:95] offset0:7 offset1:8
	ds_write2_b64 v118, v[92:93], v[90:91] offset0:9 offset1:10
	;; [unrolled: 1-line block ×24, first 2 shown]
.LBB108_112:
	s_or_b64 exec, exec, s[0:1]
	v_cmp_lt_i32_e32 vcc, 6, v119
	s_waitcnt lgkmcnt(0)
	s_barrier
	s_and_saveexec_b64 s[0:1], vcc
	s_cbranch_execz .LBB108_114
; %bb.113:
	ds_read2_b64 v[124:127], v118 offset0:7 offset1:8
	ds_read2_b64 v[128:131], v118 offset0:9 offset1:10
	;; [unrolled: 1-line block ×3, first 2 shown]
	v_mul_f64 v[98:99], v[114:115], v[98:99]
	s_waitcnt lgkmcnt(0)
	v_fma_f64 v[96:97], -v[98:99], v[124:125], v[96:97]
	v_fma_f64 v[94:95], -v[98:99], v[126:127], v[94:95]
	ds_read2_b64 v[124:127], v118 offset0:13 offset1:14
	v_fma_f64 v[92:93], -v[98:99], v[128:129], v[92:93]
	v_fma_f64 v[90:91], -v[98:99], v[130:131], v[90:91]
	v_fma_f64 v[88:89], -v[98:99], v[132:133], v[88:89]
	ds_read2_b64 v[128:131], v118 offset0:15 offset1:16
	v_fma_f64 v[86:87], -v[98:99], v[134:135], v[86:87]
	ds_read2_b64 v[132:135], v118 offset0:17 offset1:18
	s_waitcnt lgkmcnt(0)
	v_fma_f64 v[84:85], -v[98:99], v[124:125], v[84:85]
	v_fma_f64 v[82:83], -v[98:99], v[126:127], v[82:83]
	v_fma_f64 v[80:81], -v[98:99], v[128:129], v[80:81]
	ds_read2_b64 v[124:127], v118 offset0:19 offset1:20
	v_fma_f64 v[78:79], -v[98:99], v[130:131], v[78:79]
	ds_read2_b64 v[128:131], v118 offset0:21 offset1:22
	v_fma_f64 v[76:77], -v[98:99], v[132:133], v[76:77]
	v_fma_f64 v[74:75], -v[98:99], v[134:135], v[74:75]
	ds_read2_b64 v[132:135], v118 offset0:23 offset1:24
	s_waitcnt lgkmcnt(0)
	v_fma_f64 v[72:73], -v[98:99], v[124:125], v[72:73]
	v_fma_f64 v[70:71], -v[98:99], v[126:127], v[70:71]
	ds_read2_b64 v[124:127], v118 offset0:25 offset1:26
	v_fma_f64 v[68:69], -v[98:99], v[128:129], v[68:69]
	v_fma_f64 v[66:67], -v[98:99], v[130:131], v[66:67]
	v_fma_f64 v[64:65], -v[98:99], v[132:133], v[64:65]
	ds_read2_b64 v[128:131], v118 offset0:27 offset1:28
	v_fma_f64 v[62:63], -v[98:99], v[134:135], v[62:63]
	ds_read2_b64 v[132:135], v118 offset0:29 offset1:30
	s_waitcnt lgkmcnt(0)
	v_fma_f64 v[60:61], -v[98:99], v[124:125], v[60:61]
	v_fma_f64 v[58:59], -v[98:99], v[126:127], v[58:59]
	v_fma_f64 v[56:57], -v[98:99], v[128:129], v[56:57]
	ds_read2_b64 v[124:127], v118 offset0:31 offset1:32
	v_fma_f64 v[54:55], -v[98:99], v[130:131], v[54:55]
	ds_read2_b64 v[128:131], v118 offset0:33 offset1:34
	v_fma_f64 v[52:53], -v[98:99], v[132:133], v[52:53]
	v_fma_f64 v[50:51], -v[98:99], v[134:135], v[50:51]
	ds_read2_b64 v[132:135], v118 offset0:35 offset1:36
	;; [unrolled: 20-line block ×3, first 2 shown]
	s_waitcnt lgkmcnt(0)
	v_fma_f64 v[24:25], -v[98:99], v[124:125], v[24:25]
	v_fma_f64 v[22:23], -v[98:99], v[126:127], v[22:23]
	ds_read2_b64 v[124:127], v118 offset0:49 offset1:50
	v_fma_f64 v[20:21], -v[98:99], v[128:129], v[20:21]
	v_fma_f64 v[18:19], -v[98:99], v[130:131], v[18:19]
	;; [unrolled: 1-line block ×3, first 2 shown]
	ds_read2_b64 v[128:131], v118 offset0:51 offset1:52
	v_fma_f64 v[14:15], -v[98:99], v[134:135], v[14:15]
	ds_read2_b64 v[132:135], v118 offset0:53 offset1:54
	s_waitcnt lgkmcnt(0)
	v_fma_f64 v[12:13], -v[98:99], v[124:125], v[12:13]
	v_fma_f64 v[10:11], -v[98:99], v[126:127], v[10:11]
	;; [unrolled: 1-line block ×6, first 2 shown]
.LBB108_114:
	s_or_b64 exec, exec, s[0:1]
	v_lshl_add_u32 v114, v119, 3, v118
	s_barrier
	ds_write_b64 v114, v[96:97]
	s_waitcnt lgkmcnt(0)
	s_barrier
	ds_read_b64 v[114:115], v118 offset:56
	s_cmp_lt_i32 s18, 9
	v_mov_b32_e32 v116, 7
	s_cbranch_scc1 .LBB108_117
; %bb.115:
	v_add3_u32 v123, v123, 0, 64
	s_mov_b32 s0, 8
	v_mov_b32_e32 v116, 7
.LBB108_116:                            ; =>This Inner Loop Header: Depth=1
	ds_read_b64 v[124:125], v123
	v_mov_b32_e32 v126, s0
	s_add_i32 s0, s0, 1
	v_add_u32_e32 v123, 8, v123
	s_cmp_lg_u32 s18, s0
	s_waitcnt lgkmcnt(0)
	v_cmp_lt_f64_e64 vcc, |v[114:115]|, |v[124:125]|
	v_cndmask_b32_e32 v115, v115, v125, vcc
	v_cndmask_b32_e32 v114, v114, v124, vcc
	;; [unrolled: 1-line block ×3, first 2 shown]
	s_cbranch_scc1 .LBB108_116
.LBB108_117:
	s_waitcnt lgkmcnt(0)
	v_cmp_eq_f64_e32 vcc, 0, v[114:115]
	s_and_saveexec_b64 s[0:1], vcc
	s_xor_b64 s[0:1], exec, s[0:1]
; %bb.118:
	v_cmp_ne_u32_e32 vcc, 0, v122
	v_cndmask_b32_e32 v122, 8, v122, vcc
; %bb.119:
	s_andn2_saveexec_b64 s[0:1], s[0:1]
; %bb.120:
	v_div_scale_f64 v[124:125], s[2:3], v[114:115], v[114:115], 1.0
	v_rcp_f64_e32 v[126:127], v[124:125]
	v_div_scale_f64 v[128:129], vcc, 1.0, v[114:115], 1.0
	v_fma_f64 v[130:131], -v[124:125], v[126:127], 1.0
	v_fmac_f64_e32 v[126:127], v[126:127], v[130:131]
	v_fma_f64 v[130:131], -v[124:125], v[126:127], 1.0
	v_fmac_f64_e32 v[126:127], v[126:127], v[130:131]
	v_mul_f64 v[130:131], v[128:129], v[126:127]
	v_fma_f64 v[124:125], -v[124:125], v[130:131], v[128:129]
	v_div_fmas_f64 v[124:125], v[124:125], v[126:127], v[130:131]
	v_div_fixup_f64 v[114:115], v[124:125], v[114:115], 1.0
; %bb.121:
	s_or_b64 exec, exec, s[0:1]
	v_cmp_ne_u32_e32 vcc, v119, v116
	s_and_saveexec_b64 s[0:1], vcc
	s_xor_b64 s[0:1], exec, s[0:1]
	s_cbranch_execz .LBB108_127
; %bb.122:
	v_cmp_eq_u32_e32 vcc, 7, v119
	s_and_saveexec_b64 s[2:3], vcc
	s_cbranch_execz .LBB108_126
; %bb.123:
	v_cmp_ne_u32_e32 vcc, 7, v116
	s_xor_b64 s[14:15], s[6:7], -1
	s_and_b64 s[16:17], s[14:15], vcc
	s_and_saveexec_b64 s[14:15], s[16:17]
	s_cbranch_execz .LBB108_125
; %bb.124:
	v_ashrrev_i32_e32 v117, 31, v116
	v_lshlrev_b64 v[124:125], 2, v[116:117]
	v_add_co_u32_e32 v124, vcc, v4, v124
	v_addc_co_u32_e32 v125, vcc, v5, v125, vcc
	flat_load_dword v117, v[124:125]
	flat_load_dword v119, v[4:5] offset:28
	s_waitcnt vmcnt(0) lgkmcnt(0)
	flat_store_dword v[4:5], v117 offset:28
	flat_store_dword v[124:125], v119
.LBB108_125:
	s_or_b64 exec, exec, s[14:15]
	v_mov_b32_e32 v117, v116
	v_mov_b32_e32 v119, v116
.LBB108_126:
	s_or_b64 exec, exec, s[2:3]
.LBB108_127:
	s_andn2_saveexec_b64 s[0:1], s[0:1]
	s_cbranch_execz .LBB108_129
; %bb.128:
	v_mov_b32_e32 v124, v94
	v_mov_b32_e32 v125, v95
	v_mov_b32_e32 v126, v92
	v_mov_b32_e32 v127, v93
	ds_write2_b64 v118, v[124:125], v[126:127] offset0:8 offset1:9
	v_mov_b32_e32 v124, v90
	v_mov_b32_e32 v125, v91
	v_mov_b32_e32 v126, v88
	v_mov_b32_e32 v127, v89
	ds_write2_b64 v118, v[124:125], v[126:127] offset0:10 offset1:11
	;; [unrolled: 5-line block ×22, first 2 shown]
	v_mov_b32_e32 v124, v6
	v_mov_b32_e32 v125, v7
	;; [unrolled: 1-line block ×5, first 2 shown]
	ds_write2_b64 v118, v[124:125], v[126:127] offset0:52 offset1:53
	ds_write_b64 v118, v[112:113] offset:432
.LBB108_129:
	s_or_b64 exec, exec, s[0:1]
	v_cmp_lt_i32_e32 vcc, 7, v119
	s_waitcnt lgkmcnt(0)
	s_barrier
	s_and_saveexec_b64 s[0:1], vcc
	s_cbranch_execz .LBB108_131
; %bb.130:
	ds_read2_b64 v[124:127], v118 offset0:8 offset1:9
	ds_read2_b64 v[128:131], v118 offset0:10 offset1:11
	v_mul_f64 v[96:97], v[114:115], v[96:97]
	ds_read2_b64 v[132:135], v118 offset0:12 offset1:13
	ds_read_b64 v[114:115], v118 offset:432
	s_waitcnt lgkmcnt(0)
	v_fma_f64 v[94:95], -v[96:97], v[124:125], v[94:95]
	v_fma_f64 v[92:93], -v[96:97], v[126:127], v[92:93]
	ds_read2_b64 v[124:127], v118 offset0:14 offset1:15
	v_fma_f64 v[90:91], -v[96:97], v[128:129], v[90:91]
	v_fma_f64 v[88:89], -v[96:97], v[130:131], v[88:89]
	ds_read2_b64 v[128:131], v118 offset0:16 offset1:17
	;; [unrolled: 3-line block ×3, first 2 shown]
	s_waitcnt lgkmcnt(0)
	v_fma_f64 v[82:83], -v[96:97], v[124:125], v[82:83]
	v_fma_f64 v[80:81], -v[96:97], v[126:127], v[80:81]
	;; [unrolled: 1-line block ×3, first 2 shown]
	ds_read2_b64 v[124:127], v118 offset0:20 offset1:21
	v_fma_f64 v[76:77], -v[96:97], v[130:131], v[76:77]
	ds_read2_b64 v[128:131], v118 offset0:22 offset1:23
	v_fma_f64 v[74:75], -v[96:97], v[132:133], v[74:75]
	v_fma_f64 v[72:73], -v[96:97], v[134:135], v[72:73]
	s_waitcnt lgkmcnt(0)
	v_fma_f64 v[70:71], -v[96:97], v[124:125], v[70:71]
	ds_read2_b64 v[132:135], v118 offset0:24 offset1:25
	v_fma_f64 v[68:69], -v[96:97], v[126:127], v[68:69]
	ds_read2_b64 v[124:127], v118 offset0:26 offset1:27
	v_fma_f64 v[66:67], -v[96:97], v[128:129], v[66:67]
	v_fma_f64 v[64:65], -v[96:97], v[130:131], v[64:65]
	ds_read2_b64 v[128:131], v118 offset0:28 offset1:29
	s_waitcnt lgkmcnt(0)
	v_fma_f64 v[62:63], -v[96:97], v[132:133], v[62:63]
	v_fma_f64 v[60:61], -v[96:97], v[134:135], v[60:61]
	ds_read2_b64 v[132:135], v118 offset0:30 offset1:31
	v_fma_f64 v[58:59], -v[96:97], v[124:125], v[58:59]
	v_fma_f64 v[56:57], -v[96:97], v[126:127], v[56:57]
	;; [unrolled: 1-line block ×3, first 2 shown]
	ds_read2_b64 v[124:127], v118 offset0:32 offset1:33
	v_fma_f64 v[52:53], -v[96:97], v[130:131], v[52:53]
	ds_read2_b64 v[128:131], v118 offset0:34 offset1:35
	s_waitcnt lgkmcnt(0)
	v_fma_f64 v[50:51], -v[96:97], v[132:133], v[50:51]
	v_fma_f64 v[48:49], -v[96:97], v[134:135], v[48:49]
	;; [unrolled: 1-line block ×3, first 2 shown]
	ds_read2_b64 v[132:135], v118 offset0:36 offset1:37
	v_fma_f64 v[44:45], -v[96:97], v[126:127], v[44:45]
	ds_read2_b64 v[124:127], v118 offset0:38 offset1:39
	v_fma_f64 v[42:43], -v[96:97], v[128:129], v[42:43]
	v_fma_f64 v[40:41], -v[96:97], v[130:131], v[40:41]
	ds_read2_b64 v[128:131], v118 offset0:40 offset1:41
	s_waitcnt lgkmcnt(0)
	v_fma_f64 v[38:39], -v[96:97], v[132:133], v[38:39]
	v_fma_f64 v[36:37], -v[96:97], v[134:135], v[36:37]
	ds_read2_b64 v[132:135], v118 offset0:42 offset1:43
	v_fma_f64 v[34:35], -v[96:97], v[124:125], v[34:35]
	v_fma_f64 v[32:33], -v[96:97], v[126:127], v[32:33]
	;; [unrolled: 1-line block ×3, first 2 shown]
	ds_read2_b64 v[124:127], v118 offset0:44 offset1:45
	v_fma_f64 v[28:29], -v[96:97], v[130:131], v[28:29]
	ds_read2_b64 v[128:131], v118 offset0:46 offset1:47
	s_waitcnt lgkmcnt(0)
	v_fma_f64 v[26:27], -v[96:97], v[132:133], v[26:27]
	v_fma_f64 v[24:25], -v[96:97], v[134:135], v[24:25]
	;; [unrolled: 1-line block ×3, first 2 shown]
	ds_read2_b64 v[132:135], v118 offset0:48 offset1:49
	v_fma_f64 v[20:21], -v[96:97], v[126:127], v[20:21]
	ds_read2_b64 v[124:127], v118 offset0:50 offset1:51
	v_fma_f64 v[18:19], -v[96:97], v[128:129], v[18:19]
	v_fma_f64 v[16:17], -v[96:97], v[130:131], v[16:17]
	ds_read2_b64 v[128:131], v118 offset0:52 offset1:53
	s_waitcnt lgkmcnt(0)
	v_fma_f64 v[14:15], -v[96:97], v[132:133], v[14:15]
	v_fma_f64 v[12:13], -v[96:97], v[134:135], v[12:13]
	;; [unrolled: 1-line block ×7, first 2 shown]
.LBB108_131:
	s_or_b64 exec, exec, s[0:1]
	v_lshl_add_u32 v114, v119, 3, v118
	s_barrier
	ds_write_b64 v114, v[94:95]
	s_waitcnt lgkmcnt(0)
	s_barrier
	ds_read_b64 v[114:115], v118 offset:64
	s_cmp_lt_i32 s18, 10
	v_mov_b32_e32 v116, 8
	s_cbranch_scc1 .LBB108_134
; %bb.132:
	v_add_u32_e32 v123, 0x48, v118
	s_mov_b32 s0, 9
	v_mov_b32_e32 v116, 8
.LBB108_133:                            ; =>This Inner Loop Header: Depth=1
	ds_read_b64 v[124:125], v123
	v_mov_b32_e32 v126, s0
	s_add_i32 s0, s0, 1
	v_add_u32_e32 v123, 8, v123
	s_cmp_lg_u32 s18, s0
	s_waitcnt lgkmcnt(0)
	v_cmp_lt_f64_e64 vcc, |v[114:115]|, |v[124:125]|
	v_cndmask_b32_e32 v115, v115, v125, vcc
	v_cndmask_b32_e32 v114, v114, v124, vcc
	;; [unrolled: 1-line block ×3, first 2 shown]
	s_cbranch_scc1 .LBB108_133
.LBB108_134:
	s_waitcnt lgkmcnt(0)
	v_cmp_eq_f64_e32 vcc, 0, v[114:115]
	s_and_saveexec_b64 s[0:1], vcc
	s_xor_b64 s[0:1], exec, s[0:1]
; %bb.135:
	v_cmp_ne_u32_e32 vcc, 0, v122
	v_cndmask_b32_e32 v122, 9, v122, vcc
; %bb.136:
	s_andn2_saveexec_b64 s[0:1], s[0:1]
; %bb.137:
	v_div_scale_f64 v[124:125], s[2:3], v[114:115], v[114:115], 1.0
	v_rcp_f64_e32 v[126:127], v[124:125]
	v_div_scale_f64 v[128:129], vcc, 1.0, v[114:115], 1.0
	v_fma_f64 v[130:131], -v[124:125], v[126:127], 1.0
	v_fmac_f64_e32 v[126:127], v[126:127], v[130:131]
	v_fma_f64 v[130:131], -v[124:125], v[126:127], 1.0
	v_fmac_f64_e32 v[126:127], v[126:127], v[130:131]
	v_mul_f64 v[130:131], v[128:129], v[126:127]
	v_fma_f64 v[124:125], -v[124:125], v[130:131], v[128:129]
	v_div_fmas_f64 v[124:125], v[124:125], v[126:127], v[130:131]
	v_div_fixup_f64 v[114:115], v[124:125], v[114:115], 1.0
; %bb.138:
	s_or_b64 exec, exec, s[0:1]
	v_cmp_ne_u32_e32 vcc, v119, v116
	s_and_saveexec_b64 s[0:1], vcc
	s_xor_b64 s[0:1], exec, s[0:1]
	s_cbranch_execz .LBB108_144
; %bb.139:
	v_cmp_eq_u32_e32 vcc, 8, v119
	s_and_saveexec_b64 s[2:3], vcc
	s_cbranch_execz .LBB108_143
; %bb.140:
	v_cmp_ne_u32_e32 vcc, 8, v116
	s_xor_b64 s[14:15], s[6:7], -1
	s_and_b64 s[16:17], s[14:15], vcc
	s_and_saveexec_b64 s[14:15], s[16:17]
	s_cbranch_execz .LBB108_142
; %bb.141:
	v_ashrrev_i32_e32 v117, 31, v116
	v_lshlrev_b64 v[124:125], 2, v[116:117]
	v_add_co_u32_e32 v124, vcc, v4, v124
	v_addc_co_u32_e32 v125, vcc, v5, v125, vcc
	flat_load_dword v117, v[124:125]
	flat_load_dword v119, v[4:5] offset:32
	s_waitcnt vmcnt(0) lgkmcnt(0)
	flat_store_dword v[4:5], v117 offset:32
	flat_store_dword v[124:125], v119
.LBB108_142:
	s_or_b64 exec, exec, s[14:15]
	v_mov_b32_e32 v117, v116
	v_mov_b32_e32 v119, v116
.LBB108_143:
	s_or_b64 exec, exec, s[2:3]
.LBB108_144:
	s_andn2_saveexec_b64 s[0:1], s[0:1]
	s_cbranch_execz .LBB108_146
; %bb.145:
	v_mov_b32_e32 v119, 8
	ds_write2_b64 v118, v[92:93], v[90:91] offset0:9 offset1:10
	ds_write2_b64 v118, v[88:89], v[86:87] offset0:11 offset1:12
	;; [unrolled: 1-line block ×23, first 2 shown]
.LBB108_146:
	s_or_b64 exec, exec, s[0:1]
	v_cmp_lt_i32_e32 vcc, 8, v119
	s_waitcnt lgkmcnt(0)
	s_barrier
	s_and_saveexec_b64 s[0:1], vcc
	s_cbranch_execz .LBB108_148
; %bb.147:
	ds_read2_b64 v[124:127], v118 offset0:9 offset1:10
	ds_read2_b64 v[128:131], v118 offset0:11 offset1:12
	v_mul_f64 v[94:95], v[114:115], v[94:95]
	ds_read2_b64 v[132:135], v118 offset0:13 offset1:14
	s_waitcnt lgkmcnt(0)
	v_fma_f64 v[92:93], -v[94:95], v[124:125], v[92:93]
	v_fma_f64 v[90:91], -v[94:95], v[126:127], v[90:91]
	ds_read2_b64 v[124:127], v118 offset0:15 offset1:16
	v_fma_f64 v[88:89], -v[94:95], v[128:129], v[88:89]
	v_fma_f64 v[86:87], -v[94:95], v[130:131], v[86:87]
	ds_read2_b64 v[128:131], v118 offset0:17 offset1:18
	;; [unrolled: 3-line block ×3, first 2 shown]
	s_waitcnt lgkmcnt(0)
	v_fma_f64 v[80:81], -v[94:95], v[124:125], v[80:81]
	v_fma_f64 v[78:79], -v[94:95], v[126:127], v[78:79]
	;; [unrolled: 1-line block ×3, first 2 shown]
	ds_read2_b64 v[124:127], v118 offset0:21 offset1:22
	v_fma_f64 v[74:75], -v[94:95], v[130:131], v[74:75]
	ds_read2_b64 v[128:131], v118 offset0:23 offset1:24
	v_fma_f64 v[72:73], -v[94:95], v[132:133], v[72:73]
	v_fma_f64 v[70:71], -v[94:95], v[134:135], v[70:71]
	s_waitcnt lgkmcnt(0)
	v_fma_f64 v[68:69], -v[94:95], v[124:125], v[68:69]
	ds_read2_b64 v[132:135], v118 offset0:25 offset1:26
	v_fma_f64 v[66:67], -v[94:95], v[126:127], v[66:67]
	ds_read2_b64 v[124:127], v118 offset0:27 offset1:28
	v_fma_f64 v[64:65], -v[94:95], v[128:129], v[64:65]
	v_fma_f64 v[62:63], -v[94:95], v[130:131], v[62:63]
	ds_read2_b64 v[128:131], v118 offset0:29 offset1:30
	s_waitcnt lgkmcnt(0)
	v_fma_f64 v[60:61], -v[94:95], v[132:133], v[60:61]
	v_fma_f64 v[58:59], -v[94:95], v[134:135], v[58:59]
	ds_read2_b64 v[132:135], v118 offset0:31 offset1:32
	v_fma_f64 v[56:57], -v[94:95], v[124:125], v[56:57]
	v_fma_f64 v[54:55], -v[94:95], v[126:127], v[54:55]
	;; [unrolled: 1-line block ×3, first 2 shown]
	ds_read2_b64 v[124:127], v118 offset0:33 offset1:34
	v_fma_f64 v[50:51], -v[94:95], v[130:131], v[50:51]
	ds_read2_b64 v[128:131], v118 offset0:35 offset1:36
	s_waitcnt lgkmcnt(0)
	v_fma_f64 v[48:49], -v[94:95], v[132:133], v[48:49]
	v_fma_f64 v[46:47], -v[94:95], v[134:135], v[46:47]
	;; [unrolled: 1-line block ×3, first 2 shown]
	ds_read2_b64 v[132:135], v118 offset0:37 offset1:38
	v_fma_f64 v[42:43], -v[94:95], v[126:127], v[42:43]
	ds_read2_b64 v[124:127], v118 offset0:39 offset1:40
	v_fma_f64 v[40:41], -v[94:95], v[128:129], v[40:41]
	v_fma_f64 v[38:39], -v[94:95], v[130:131], v[38:39]
	ds_read2_b64 v[128:131], v118 offset0:41 offset1:42
	s_waitcnt lgkmcnt(0)
	v_fma_f64 v[36:37], -v[94:95], v[132:133], v[36:37]
	v_fma_f64 v[34:35], -v[94:95], v[134:135], v[34:35]
	ds_read2_b64 v[132:135], v118 offset0:43 offset1:44
	v_fma_f64 v[32:33], -v[94:95], v[124:125], v[32:33]
	v_fma_f64 v[30:31], -v[94:95], v[126:127], v[30:31]
	;; [unrolled: 1-line block ×3, first 2 shown]
	ds_read2_b64 v[124:127], v118 offset0:45 offset1:46
	v_fma_f64 v[26:27], -v[94:95], v[130:131], v[26:27]
	ds_read2_b64 v[128:131], v118 offset0:47 offset1:48
	s_waitcnt lgkmcnt(0)
	v_fma_f64 v[24:25], -v[94:95], v[132:133], v[24:25]
	v_fma_f64 v[22:23], -v[94:95], v[134:135], v[22:23]
	v_fma_f64 v[20:21], -v[94:95], v[124:125], v[20:21]
	v_fma_f64 v[18:19], -v[94:95], v[126:127], v[18:19]
	ds_read2_b64 v[124:127], v118 offset0:49 offset1:50
	ds_read2_b64 v[132:135], v118 offset0:51 offset1:52
	v_fma_f64 v[16:17], -v[94:95], v[128:129], v[16:17]
	v_fma_f64 v[14:15], -v[94:95], v[130:131], v[14:15]
	ds_read2_b64 v[128:131], v118 offset0:53 offset1:54
	s_waitcnt lgkmcnt(0)
	v_fma_f64 v[12:13], -v[94:95], v[124:125], v[12:13]
	v_fma_f64 v[10:11], -v[94:95], v[126:127], v[10:11]
	;; [unrolled: 1-line block ×6, first 2 shown]
.LBB108_148:
	s_or_b64 exec, exec, s[0:1]
	v_lshl_add_u32 v114, v119, 3, v118
	s_barrier
	ds_write_b64 v114, v[92:93]
	s_waitcnt lgkmcnt(0)
	s_barrier
	ds_read_b64 v[114:115], v118 offset:72
	s_cmp_lt_i32 s18, 11
	v_mov_b32_e32 v116, 9
	s_cbranch_scc1 .LBB108_151
; %bb.149:
	v_add_u32_e32 v123, 0x50, v118
	s_mov_b32 s0, 10
	v_mov_b32_e32 v116, 9
.LBB108_150:                            ; =>This Inner Loop Header: Depth=1
	ds_read_b64 v[124:125], v123
	v_mov_b32_e32 v126, s0
	s_add_i32 s0, s0, 1
	v_add_u32_e32 v123, 8, v123
	s_cmp_lg_u32 s18, s0
	s_waitcnt lgkmcnt(0)
	v_cmp_lt_f64_e64 vcc, |v[114:115]|, |v[124:125]|
	v_cndmask_b32_e32 v115, v115, v125, vcc
	v_cndmask_b32_e32 v114, v114, v124, vcc
	;; [unrolled: 1-line block ×3, first 2 shown]
	s_cbranch_scc1 .LBB108_150
.LBB108_151:
	s_waitcnt lgkmcnt(0)
	v_cmp_eq_f64_e32 vcc, 0, v[114:115]
	s_and_saveexec_b64 s[0:1], vcc
	s_xor_b64 s[0:1], exec, s[0:1]
; %bb.152:
	v_cmp_ne_u32_e32 vcc, 0, v122
	v_cndmask_b32_e32 v122, 10, v122, vcc
; %bb.153:
	s_andn2_saveexec_b64 s[0:1], s[0:1]
; %bb.154:
	v_div_scale_f64 v[124:125], s[2:3], v[114:115], v[114:115], 1.0
	v_rcp_f64_e32 v[126:127], v[124:125]
	v_div_scale_f64 v[128:129], vcc, 1.0, v[114:115], 1.0
	v_fma_f64 v[130:131], -v[124:125], v[126:127], 1.0
	v_fmac_f64_e32 v[126:127], v[126:127], v[130:131]
	v_fma_f64 v[130:131], -v[124:125], v[126:127], 1.0
	v_fmac_f64_e32 v[126:127], v[126:127], v[130:131]
	v_mul_f64 v[130:131], v[128:129], v[126:127]
	v_fma_f64 v[124:125], -v[124:125], v[130:131], v[128:129]
	v_div_fmas_f64 v[124:125], v[124:125], v[126:127], v[130:131]
	v_div_fixup_f64 v[114:115], v[124:125], v[114:115], 1.0
; %bb.155:
	s_or_b64 exec, exec, s[0:1]
	v_cmp_ne_u32_e32 vcc, v119, v116
	s_and_saveexec_b64 s[0:1], vcc
	s_xor_b64 s[0:1], exec, s[0:1]
	s_cbranch_execz .LBB108_161
; %bb.156:
	v_cmp_eq_u32_e32 vcc, 9, v119
	s_and_saveexec_b64 s[2:3], vcc
	s_cbranch_execz .LBB108_160
; %bb.157:
	v_cmp_ne_u32_e32 vcc, 9, v116
	s_xor_b64 s[14:15], s[6:7], -1
	s_and_b64 s[16:17], s[14:15], vcc
	s_and_saveexec_b64 s[14:15], s[16:17]
	s_cbranch_execz .LBB108_159
; %bb.158:
	v_ashrrev_i32_e32 v117, 31, v116
	v_lshlrev_b64 v[124:125], 2, v[116:117]
	v_add_co_u32_e32 v124, vcc, v4, v124
	v_addc_co_u32_e32 v125, vcc, v5, v125, vcc
	flat_load_dword v117, v[124:125]
	flat_load_dword v119, v[4:5] offset:36
	s_waitcnt vmcnt(0) lgkmcnt(0)
	flat_store_dword v[4:5], v117 offset:36
	flat_store_dword v[124:125], v119
.LBB108_159:
	s_or_b64 exec, exec, s[14:15]
	v_mov_b32_e32 v117, v116
	v_mov_b32_e32 v119, v116
.LBB108_160:
	s_or_b64 exec, exec, s[2:3]
.LBB108_161:
	s_andn2_saveexec_b64 s[0:1], s[0:1]
	s_cbranch_execz .LBB108_163
; %bb.162:
	v_mov_b32_e32 v124, v90
	v_mov_b32_e32 v125, v91
	v_mov_b32_e32 v126, v88
	v_mov_b32_e32 v127, v89
	ds_write2_b64 v118, v[124:125], v[126:127] offset0:10 offset1:11
	v_mov_b32_e32 v124, v86
	v_mov_b32_e32 v125, v87
	v_mov_b32_e32 v126, v84
	v_mov_b32_e32 v127, v85
	ds_write2_b64 v118, v[124:125], v[126:127] offset0:12 offset1:13
	;; [unrolled: 5-line block ×21, first 2 shown]
	v_mov_b32_e32 v124, v6
	v_mov_b32_e32 v125, v7
	;; [unrolled: 1-line block ×5, first 2 shown]
	ds_write2_b64 v118, v[124:125], v[126:127] offset0:52 offset1:53
	ds_write_b64 v118, v[112:113] offset:432
.LBB108_163:
	s_or_b64 exec, exec, s[0:1]
	v_cmp_lt_i32_e32 vcc, 9, v119
	s_waitcnt lgkmcnt(0)
	s_barrier
	s_and_saveexec_b64 s[0:1], vcc
	s_cbranch_execz .LBB108_165
; %bb.164:
	ds_read2_b64 v[124:127], v118 offset0:10 offset1:11
	ds_read2_b64 v[128:131], v118 offset0:12 offset1:13
	v_mul_f64 v[92:93], v[114:115], v[92:93]
	ds_read2_b64 v[132:135], v118 offset0:14 offset1:15
	ds_read_b64 v[114:115], v118 offset:432
	s_waitcnt lgkmcnt(0)
	v_fma_f64 v[90:91], -v[92:93], v[124:125], v[90:91]
	v_fma_f64 v[88:89], -v[92:93], v[126:127], v[88:89]
	ds_read2_b64 v[124:127], v118 offset0:16 offset1:17
	v_fma_f64 v[86:87], -v[92:93], v[128:129], v[86:87]
	v_fma_f64 v[84:85], -v[92:93], v[130:131], v[84:85]
	;; [unrolled: 1-line block ×3, first 2 shown]
	ds_read2_b64 v[128:131], v118 offset0:18 offset1:19
	v_fma_f64 v[80:81], -v[92:93], v[134:135], v[80:81]
	ds_read2_b64 v[132:135], v118 offset0:20 offset1:21
	s_waitcnt lgkmcnt(0)
	v_fma_f64 v[78:79], -v[92:93], v[124:125], v[78:79]
	v_fma_f64 v[76:77], -v[92:93], v[126:127], v[76:77]
	ds_read2_b64 v[124:127], v118 offset0:22 offset1:23
	v_fma_f64 v[74:75], -v[92:93], v[128:129], v[74:75]
	v_fma_f64 v[72:73], -v[92:93], v[130:131], v[72:73]
	ds_read2_b64 v[128:131], v118 offset0:24 offset1:25
	v_fma_f64 v[70:71], -v[92:93], v[132:133], v[70:71]
	v_fma_f64 v[68:69], -v[92:93], v[134:135], v[68:69]
	s_waitcnt lgkmcnt(0)
	v_fma_f64 v[66:67], -v[92:93], v[124:125], v[66:67]
	ds_read2_b64 v[132:135], v118 offset0:26 offset1:27
	v_fma_f64 v[64:65], -v[92:93], v[126:127], v[64:65]
	ds_read2_b64 v[124:127], v118 offset0:28 offset1:29
	v_fma_f64 v[62:63], -v[92:93], v[128:129], v[62:63]
	v_fma_f64 v[60:61], -v[92:93], v[130:131], v[60:61]
	s_waitcnt lgkmcnt(0)
	v_fma_f64 v[58:59], -v[92:93], v[132:133], v[58:59]
	ds_read2_b64 v[128:131], v118 offset0:30 offset1:31
	v_fma_f64 v[56:57], -v[92:93], v[134:135], v[56:57]
	ds_read2_b64 v[132:135], v118 offset0:32 offset1:33
	v_fma_f64 v[54:55], -v[92:93], v[124:125], v[54:55]
	v_fma_f64 v[52:53], -v[92:93], v[126:127], v[52:53]
	ds_read2_b64 v[124:127], v118 offset0:34 offset1:35
	s_waitcnt lgkmcnt(0)
	v_fma_f64 v[50:51], -v[92:93], v[128:129], v[50:51]
	v_fma_f64 v[48:49], -v[92:93], v[130:131], v[48:49]
	ds_read2_b64 v[128:131], v118 offset0:36 offset1:37
	v_fma_f64 v[46:47], -v[92:93], v[132:133], v[46:47]
	v_fma_f64 v[44:45], -v[92:93], v[134:135], v[44:45]
	;; [unrolled: 1-line block ×3, first 2 shown]
	ds_read2_b64 v[132:135], v118 offset0:38 offset1:39
	v_fma_f64 v[40:41], -v[92:93], v[126:127], v[40:41]
	ds_read2_b64 v[124:127], v118 offset0:40 offset1:41
	s_waitcnt lgkmcnt(0)
	v_fma_f64 v[38:39], -v[92:93], v[128:129], v[38:39]
	v_fma_f64 v[36:37], -v[92:93], v[130:131], v[36:37]
	;; [unrolled: 1-line block ×3, first 2 shown]
	ds_read2_b64 v[128:131], v118 offset0:42 offset1:43
	v_fma_f64 v[32:33], -v[92:93], v[134:135], v[32:33]
	ds_read2_b64 v[132:135], v118 offset0:44 offset1:45
	v_fma_f64 v[30:31], -v[92:93], v[124:125], v[30:31]
	v_fma_f64 v[28:29], -v[92:93], v[126:127], v[28:29]
	ds_read2_b64 v[124:127], v118 offset0:46 offset1:47
	s_waitcnt lgkmcnt(0)
	v_fma_f64 v[26:27], -v[92:93], v[128:129], v[26:27]
	v_fma_f64 v[24:25], -v[92:93], v[130:131], v[24:25]
	ds_read2_b64 v[128:131], v118 offset0:48 offset1:49
	v_fma_f64 v[22:23], -v[92:93], v[132:133], v[22:23]
	v_fma_f64 v[20:21], -v[92:93], v[134:135], v[20:21]
	;; [unrolled: 1-line block ×4, first 2 shown]
	ds_read2_b64 v[124:127], v118 offset0:50 offset1:51
	ds_read2_b64 v[132:135], v118 offset0:52 offset1:53
	s_waitcnt lgkmcnt(0)
	v_fma_f64 v[14:15], -v[92:93], v[128:129], v[14:15]
	v_fma_f64 v[12:13], -v[92:93], v[130:131], v[12:13]
	;; [unrolled: 1-line block ×7, first 2 shown]
.LBB108_165:
	s_or_b64 exec, exec, s[0:1]
	v_lshl_add_u32 v114, v119, 3, v118
	s_barrier
	ds_write_b64 v114, v[90:91]
	s_waitcnt lgkmcnt(0)
	s_barrier
	ds_read_b64 v[114:115], v118 offset:80
	s_cmp_lt_i32 s18, 12
	v_mov_b32_e32 v116, 10
	s_cbranch_scc1 .LBB108_168
; %bb.166:
	v_add_u32_e32 v123, 0x58, v118
	s_mov_b32 s0, 11
	v_mov_b32_e32 v116, 10
.LBB108_167:                            ; =>This Inner Loop Header: Depth=1
	ds_read_b64 v[124:125], v123
	v_mov_b32_e32 v126, s0
	s_add_i32 s0, s0, 1
	v_add_u32_e32 v123, 8, v123
	s_cmp_lg_u32 s18, s0
	s_waitcnt lgkmcnt(0)
	v_cmp_lt_f64_e64 vcc, |v[114:115]|, |v[124:125]|
	v_cndmask_b32_e32 v115, v115, v125, vcc
	v_cndmask_b32_e32 v114, v114, v124, vcc
	v_cndmask_b32_e32 v116, v116, v126, vcc
	s_cbranch_scc1 .LBB108_167
.LBB108_168:
	s_waitcnt lgkmcnt(0)
	v_cmp_eq_f64_e32 vcc, 0, v[114:115]
	s_and_saveexec_b64 s[0:1], vcc
	s_xor_b64 s[0:1], exec, s[0:1]
; %bb.169:
	v_cmp_ne_u32_e32 vcc, 0, v122
	v_cndmask_b32_e32 v122, 11, v122, vcc
; %bb.170:
	s_andn2_saveexec_b64 s[0:1], s[0:1]
; %bb.171:
	v_div_scale_f64 v[124:125], s[2:3], v[114:115], v[114:115], 1.0
	v_rcp_f64_e32 v[126:127], v[124:125]
	v_div_scale_f64 v[128:129], vcc, 1.0, v[114:115], 1.0
	v_fma_f64 v[130:131], -v[124:125], v[126:127], 1.0
	v_fmac_f64_e32 v[126:127], v[126:127], v[130:131]
	v_fma_f64 v[130:131], -v[124:125], v[126:127], 1.0
	v_fmac_f64_e32 v[126:127], v[126:127], v[130:131]
	v_mul_f64 v[130:131], v[128:129], v[126:127]
	v_fma_f64 v[124:125], -v[124:125], v[130:131], v[128:129]
	v_div_fmas_f64 v[124:125], v[124:125], v[126:127], v[130:131]
	v_div_fixup_f64 v[114:115], v[124:125], v[114:115], 1.0
; %bb.172:
	s_or_b64 exec, exec, s[0:1]
	v_cmp_ne_u32_e32 vcc, v119, v116
	s_and_saveexec_b64 s[0:1], vcc
	s_xor_b64 s[0:1], exec, s[0:1]
	s_cbranch_execz .LBB108_178
; %bb.173:
	v_cmp_eq_u32_e32 vcc, 10, v119
	s_and_saveexec_b64 s[2:3], vcc
	s_cbranch_execz .LBB108_177
; %bb.174:
	v_cmp_ne_u32_e32 vcc, 10, v116
	s_xor_b64 s[14:15], s[6:7], -1
	s_and_b64 s[16:17], s[14:15], vcc
	s_and_saveexec_b64 s[14:15], s[16:17]
	s_cbranch_execz .LBB108_176
; %bb.175:
	v_ashrrev_i32_e32 v117, 31, v116
	v_lshlrev_b64 v[124:125], 2, v[116:117]
	v_add_co_u32_e32 v124, vcc, v4, v124
	v_addc_co_u32_e32 v125, vcc, v5, v125, vcc
	flat_load_dword v117, v[124:125]
	flat_load_dword v119, v[4:5] offset:40
	s_waitcnt vmcnt(0) lgkmcnt(0)
	flat_store_dword v[4:5], v117 offset:40
	flat_store_dword v[124:125], v119
.LBB108_176:
	s_or_b64 exec, exec, s[14:15]
	v_mov_b32_e32 v117, v116
	v_mov_b32_e32 v119, v116
.LBB108_177:
	s_or_b64 exec, exec, s[2:3]
.LBB108_178:
	s_andn2_saveexec_b64 s[0:1], s[0:1]
	s_cbranch_execz .LBB108_180
; %bb.179:
	v_mov_b32_e32 v119, 10
	ds_write2_b64 v118, v[88:89], v[86:87] offset0:11 offset1:12
	ds_write2_b64 v118, v[84:85], v[82:83] offset0:13 offset1:14
	;; [unrolled: 1-line block ×22, first 2 shown]
.LBB108_180:
	s_or_b64 exec, exec, s[0:1]
	v_cmp_lt_i32_e32 vcc, 10, v119
	s_waitcnt lgkmcnt(0)
	s_barrier
	s_and_saveexec_b64 s[0:1], vcc
	s_cbranch_execz .LBB108_182
; %bb.181:
	ds_read2_b64 v[124:127], v118 offset0:11 offset1:12
	ds_read2_b64 v[128:131], v118 offset0:13 offset1:14
	v_mul_f64 v[90:91], v[114:115], v[90:91]
	ds_read2_b64 v[132:135], v118 offset0:15 offset1:16
	s_waitcnt lgkmcnt(0)
	v_fma_f64 v[88:89], -v[90:91], v[124:125], v[88:89]
	v_fma_f64 v[86:87], -v[90:91], v[126:127], v[86:87]
	ds_read2_b64 v[124:127], v118 offset0:17 offset1:18
	v_fma_f64 v[84:85], -v[90:91], v[128:129], v[84:85]
	v_fma_f64 v[82:83], -v[90:91], v[130:131], v[82:83]
	;; [unrolled: 1-line block ×3, first 2 shown]
	ds_read2_b64 v[128:131], v118 offset0:19 offset1:20
	v_fma_f64 v[78:79], -v[90:91], v[134:135], v[78:79]
	ds_read2_b64 v[132:135], v118 offset0:21 offset1:22
	s_waitcnt lgkmcnt(0)
	v_fma_f64 v[76:77], -v[90:91], v[124:125], v[76:77]
	v_fma_f64 v[74:75], -v[90:91], v[126:127], v[74:75]
	ds_read2_b64 v[124:127], v118 offset0:23 offset1:24
	v_fma_f64 v[72:73], -v[90:91], v[128:129], v[72:73]
	v_fma_f64 v[70:71], -v[90:91], v[130:131], v[70:71]
	ds_read2_b64 v[128:131], v118 offset0:25 offset1:26
	v_fma_f64 v[68:69], -v[90:91], v[132:133], v[68:69]
	v_fma_f64 v[66:67], -v[90:91], v[134:135], v[66:67]
	s_waitcnt lgkmcnt(0)
	v_fma_f64 v[64:65], -v[90:91], v[124:125], v[64:65]
	ds_read2_b64 v[132:135], v118 offset0:27 offset1:28
	v_fma_f64 v[62:63], -v[90:91], v[126:127], v[62:63]
	ds_read2_b64 v[124:127], v118 offset0:29 offset1:30
	v_fma_f64 v[60:61], -v[90:91], v[128:129], v[60:61]
	v_fma_f64 v[58:59], -v[90:91], v[130:131], v[58:59]
	s_waitcnt lgkmcnt(0)
	v_fma_f64 v[56:57], -v[90:91], v[132:133], v[56:57]
	ds_read2_b64 v[128:131], v118 offset0:31 offset1:32
	v_fma_f64 v[54:55], -v[90:91], v[134:135], v[54:55]
	ds_read2_b64 v[132:135], v118 offset0:33 offset1:34
	v_fma_f64 v[52:53], -v[90:91], v[124:125], v[52:53]
	v_fma_f64 v[50:51], -v[90:91], v[126:127], v[50:51]
	ds_read2_b64 v[124:127], v118 offset0:35 offset1:36
	s_waitcnt lgkmcnt(0)
	v_fma_f64 v[48:49], -v[90:91], v[128:129], v[48:49]
	v_fma_f64 v[46:47], -v[90:91], v[130:131], v[46:47]
	ds_read2_b64 v[128:131], v118 offset0:37 offset1:38
	v_fma_f64 v[44:45], -v[90:91], v[132:133], v[44:45]
	v_fma_f64 v[42:43], -v[90:91], v[134:135], v[42:43]
	;; [unrolled: 1-line block ×3, first 2 shown]
	ds_read2_b64 v[132:135], v118 offset0:39 offset1:40
	v_fma_f64 v[38:39], -v[90:91], v[126:127], v[38:39]
	ds_read2_b64 v[124:127], v118 offset0:41 offset1:42
	s_waitcnt lgkmcnt(0)
	v_fma_f64 v[36:37], -v[90:91], v[128:129], v[36:37]
	v_fma_f64 v[34:35], -v[90:91], v[130:131], v[34:35]
	;; [unrolled: 1-line block ×3, first 2 shown]
	ds_read2_b64 v[128:131], v118 offset0:43 offset1:44
	v_fma_f64 v[30:31], -v[90:91], v[134:135], v[30:31]
	ds_read2_b64 v[132:135], v118 offset0:45 offset1:46
	v_fma_f64 v[28:29], -v[90:91], v[124:125], v[28:29]
	v_fma_f64 v[26:27], -v[90:91], v[126:127], v[26:27]
	ds_read2_b64 v[124:127], v118 offset0:47 offset1:48
	s_waitcnt lgkmcnt(0)
	v_fma_f64 v[24:25], -v[90:91], v[128:129], v[24:25]
	v_fma_f64 v[22:23], -v[90:91], v[130:131], v[22:23]
	ds_read2_b64 v[128:131], v118 offset0:49 offset1:50
	v_fma_f64 v[20:21], -v[90:91], v[132:133], v[20:21]
	v_fma_f64 v[18:19], -v[90:91], v[134:135], v[18:19]
	;; [unrolled: 1-line block ×3, first 2 shown]
	ds_read2_b64 v[132:135], v118 offset0:51 offset1:52
	v_fma_f64 v[14:15], -v[90:91], v[126:127], v[14:15]
	ds_read2_b64 v[124:127], v118 offset0:53 offset1:54
	s_waitcnt lgkmcnt(0)
	v_fma_f64 v[12:13], -v[90:91], v[128:129], v[12:13]
	v_fma_f64 v[10:11], -v[90:91], v[130:131], v[10:11]
	;; [unrolled: 1-line block ×6, first 2 shown]
.LBB108_182:
	s_or_b64 exec, exec, s[0:1]
	v_lshl_add_u32 v114, v119, 3, v118
	s_barrier
	ds_write_b64 v114, v[88:89]
	s_waitcnt lgkmcnt(0)
	s_barrier
	ds_read_b64 v[114:115], v118 offset:88
	s_cmp_lt_i32 s18, 13
	v_mov_b32_e32 v116, 11
	s_cbranch_scc1 .LBB108_185
; %bb.183:
	v_add_u32_e32 v123, 0x60, v118
	s_mov_b32 s0, 12
	v_mov_b32_e32 v116, 11
.LBB108_184:                            ; =>This Inner Loop Header: Depth=1
	ds_read_b64 v[124:125], v123
	v_mov_b32_e32 v126, s0
	s_add_i32 s0, s0, 1
	v_add_u32_e32 v123, 8, v123
	s_cmp_lg_u32 s18, s0
	s_waitcnt lgkmcnt(0)
	v_cmp_lt_f64_e64 vcc, |v[114:115]|, |v[124:125]|
	v_cndmask_b32_e32 v115, v115, v125, vcc
	v_cndmask_b32_e32 v114, v114, v124, vcc
	;; [unrolled: 1-line block ×3, first 2 shown]
	s_cbranch_scc1 .LBB108_184
.LBB108_185:
	s_waitcnt lgkmcnt(0)
	v_cmp_eq_f64_e32 vcc, 0, v[114:115]
	s_and_saveexec_b64 s[0:1], vcc
	s_xor_b64 s[0:1], exec, s[0:1]
; %bb.186:
	v_cmp_ne_u32_e32 vcc, 0, v122
	v_cndmask_b32_e32 v122, 12, v122, vcc
; %bb.187:
	s_andn2_saveexec_b64 s[0:1], s[0:1]
; %bb.188:
	v_div_scale_f64 v[124:125], s[2:3], v[114:115], v[114:115], 1.0
	v_rcp_f64_e32 v[126:127], v[124:125]
	v_div_scale_f64 v[128:129], vcc, 1.0, v[114:115], 1.0
	v_fma_f64 v[130:131], -v[124:125], v[126:127], 1.0
	v_fmac_f64_e32 v[126:127], v[126:127], v[130:131]
	v_fma_f64 v[130:131], -v[124:125], v[126:127], 1.0
	v_fmac_f64_e32 v[126:127], v[126:127], v[130:131]
	v_mul_f64 v[130:131], v[128:129], v[126:127]
	v_fma_f64 v[124:125], -v[124:125], v[130:131], v[128:129]
	v_div_fmas_f64 v[124:125], v[124:125], v[126:127], v[130:131]
	v_div_fixup_f64 v[114:115], v[124:125], v[114:115], 1.0
; %bb.189:
	s_or_b64 exec, exec, s[0:1]
	v_cmp_ne_u32_e32 vcc, v119, v116
	s_and_saveexec_b64 s[0:1], vcc
	s_xor_b64 s[0:1], exec, s[0:1]
	s_cbranch_execz .LBB108_195
; %bb.190:
	v_cmp_eq_u32_e32 vcc, 11, v119
	s_and_saveexec_b64 s[2:3], vcc
	s_cbranch_execz .LBB108_194
; %bb.191:
	v_cmp_ne_u32_e32 vcc, 11, v116
	s_xor_b64 s[14:15], s[6:7], -1
	s_and_b64 s[16:17], s[14:15], vcc
	s_and_saveexec_b64 s[14:15], s[16:17]
	s_cbranch_execz .LBB108_193
; %bb.192:
	v_ashrrev_i32_e32 v117, 31, v116
	v_lshlrev_b64 v[124:125], 2, v[116:117]
	v_add_co_u32_e32 v124, vcc, v4, v124
	v_addc_co_u32_e32 v125, vcc, v5, v125, vcc
	flat_load_dword v117, v[124:125]
	flat_load_dword v119, v[4:5] offset:44
	s_waitcnt vmcnt(0) lgkmcnt(0)
	flat_store_dword v[4:5], v117 offset:44
	flat_store_dword v[124:125], v119
.LBB108_193:
	s_or_b64 exec, exec, s[14:15]
	v_mov_b32_e32 v117, v116
	v_mov_b32_e32 v119, v116
.LBB108_194:
	s_or_b64 exec, exec, s[2:3]
.LBB108_195:
	s_andn2_saveexec_b64 s[0:1], s[0:1]
	s_cbranch_execz .LBB108_197
; %bb.196:
	v_mov_b32_e32 v124, v86
	v_mov_b32_e32 v125, v87
	v_mov_b32_e32 v126, v84
	v_mov_b32_e32 v127, v85
	ds_write2_b64 v118, v[124:125], v[126:127] offset0:12 offset1:13
	v_mov_b32_e32 v124, v82
	v_mov_b32_e32 v125, v83
	v_mov_b32_e32 v126, v80
	v_mov_b32_e32 v127, v81
	ds_write2_b64 v118, v[124:125], v[126:127] offset0:14 offset1:15
	;; [unrolled: 5-line block ×20, first 2 shown]
	v_mov_b32_e32 v124, v6
	v_mov_b32_e32 v125, v7
	;; [unrolled: 1-line block ×5, first 2 shown]
	ds_write2_b64 v118, v[124:125], v[126:127] offset0:52 offset1:53
	ds_write_b64 v118, v[112:113] offset:432
.LBB108_197:
	s_or_b64 exec, exec, s[0:1]
	v_cmp_lt_i32_e32 vcc, 11, v119
	s_waitcnt lgkmcnt(0)
	s_barrier
	s_and_saveexec_b64 s[0:1], vcc
	s_cbranch_execz .LBB108_199
; %bb.198:
	ds_read2_b64 v[124:127], v118 offset0:12 offset1:13
	ds_read2_b64 v[128:131], v118 offset0:14 offset1:15
	;; [unrolled: 1-line block ×3, first 2 shown]
	v_mul_f64 v[88:89], v[114:115], v[88:89]
	ds_read_b64 v[114:115], v118 offset:432
	s_waitcnt lgkmcnt(0)
	v_fma_f64 v[86:87], -v[88:89], v[124:125], v[86:87]
	v_fma_f64 v[84:85], -v[88:89], v[126:127], v[84:85]
	ds_read2_b64 v[124:127], v118 offset0:18 offset1:19
	v_fma_f64 v[82:83], -v[88:89], v[128:129], v[82:83]
	v_fma_f64 v[80:81], -v[88:89], v[130:131], v[80:81]
	v_fma_f64 v[78:79], -v[88:89], v[132:133], v[78:79]
	ds_read2_b64 v[128:131], v118 offset0:20 offset1:21
	v_fma_f64 v[76:77], -v[88:89], v[134:135], v[76:77]
	ds_read2_b64 v[132:135], v118 offset0:22 offset1:23
	s_waitcnt lgkmcnt(0)
	v_fma_f64 v[74:75], -v[88:89], v[124:125], v[74:75]
	v_fma_f64 v[72:73], -v[88:89], v[126:127], v[72:73]
	v_fma_f64 v[70:71], -v[88:89], v[128:129], v[70:71]
	ds_read2_b64 v[124:127], v118 offset0:24 offset1:25
	v_fma_f64 v[68:69], -v[88:89], v[130:131], v[68:69]
	ds_read2_b64 v[128:131], v118 offset0:26 offset1:27
	v_fma_f64 v[66:67], -v[88:89], v[132:133], v[66:67]
	v_fma_f64 v[64:65], -v[88:89], v[134:135], v[64:65]
	ds_read2_b64 v[132:135], v118 offset0:28 offset1:29
	s_waitcnt lgkmcnt(0)
	v_fma_f64 v[62:63], -v[88:89], v[124:125], v[62:63]
	v_fma_f64 v[60:61], -v[88:89], v[126:127], v[60:61]
	ds_read2_b64 v[124:127], v118 offset0:30 offset1:31
	v_fma_f64 v[58:59], -v[88:89], v[128:129], v[58:59]
	v_fma_f64 v[56:57], -v[88:89], v[130:131], v[56:57]
	v_fma_f64 v[54:55], -v[88:89], v[132:133], v[54:55]
	ds_read2_b64 v[128:131], v118 offset0:32 offset1:33
	v_fma_f64 v[52:53], -v[88:89], v[134:135], v[52:53]
	ds_read2_b64 v[132:135], v118 offset0:34 offset1:35
	s_waitcnt lgkmcnt(0)
	v_fma_f64 v[50:51], -v[88:89], v[124:125], v[50:51]
	v_fma_f64 v[48:49], -v[88:89], v[126:127], v[48:49]
	v_fma_f64 v[46:47], -v[88:89], v[128:129], v[46:47]
	ds_read2_b64 v[124:127], v118 offset0:36 offset1:37
	v_fma_f64 v[44:45], -v[88:89], v[130:131], v[44:45]
	ds_read2_b64 v[128:131], v118 offset0:38 offset1:39
	v_fma_f64 v[42:43], -v[88:89], v[132:133], v[42:43]
	v_fma_f64 v[40:41], -v[88:89], v[134:135], v[40:41]
	ds_read2_b64 v[132:135], v118 offset0:40 offset1:41
	;; [unrolled: 20-line block ×3, first 2 shown]
	s_waitcnt lgkmcnt(0)
	v_fma_f64 v[14:15], -v[88:89], v[124:125], v[14:15]
	v_fma_f64 v[12:13], -v[88:89], v[126:127], v[12:13]
	;; [unrolled: 1-line block ×7, first 2 shown]
.LBB108_199:
	s_or_b64 exec, exec, s[0:1]
	v_lshl_add_u32 v114, v119, 3, v118
	s_barrier
	ds_write_b64 v114, v[86:87]
	s_waitcnt lgkmcnt(0)
	s_barrier
	ds_read_b64 v[114:115], v118 offset:96
	s_cmp_lt_i32 s18, 14
	v_mov_b32_e32 v116, 12
	s_cbranch_scc1 .LBB108_202
; %bb.200:
	v_add_u32_e32 v123, 0x68, v118
	s_mov_b32 s0, 13
	v_mov_b32_e32 v116, 12
.LBB108_201:                            ; =>This Inner Loop Header: Depth=1
	ds_read_b64 v[124:125], v123
	v_mov_b32_e32 v126, s0
	s_add_i32 s0, s0, 1
	v_add_u32_e32 v123, 8, v123
	s_cmp_lg_u32 s18, s0
	s_waitcnt lgkmcnt(0)
	v_cmp_lt_f64_e64 vcc, |v[114:115]|, |v[124:125]|
	v_cndmask_b32_e32 v115, v115, v125, vcc
	v_cndmask_b32_e32 v114, v114, v124, vcc
	v_cndmask_b32_e32 v116, v116, v126, vcc
	s_cbranch_scc1 .LBB108_201
.LBB108_202:
	s_waitcnt lgkmcnt(0)
	v_cmp_eq_f64_e32 vcc, 0, v[114:115]
	s_and_saveexec_b64 s[0:1], vcc
	s_xor_b64 s[0:1], exec, s[0:1]
; %bb.203:
	v_cmp_ne_u32_e32 vcc, 0, v122
	v_cndmask_b32_e32 v122, 13, v122, vcc
; %bb.204:
	s_andn2_saveexec_b64 s[0:1], s[0:1]
; %bb.205:
	v_div_scale_f64 v[124:125], s[2:3], v[114:115], v[114:115], 1.0
	v_rcp_f64_e32 v[126:127], v[124:125]
	v_div_scale_f64 v[128:129], vcc, 1.0, v[114:115], 1.0
	v_fma_f64 v[130:131], -v[124:125], v[126:127], 1.0
	v_fmac_f64_e32 v[126:127], v[126:127], v[130:131]
	v_fma_f64 v[130:131], -v[124:125], v[126:127], 1.0
	v_fmac_f64_e32 v[126:127], v[126:127], v[130:131]
	v_mul_f64 v[130:131], v[128:129], v[126:127]
	v_fma_f64 v[124:125], -v[124:125], v[130:131], v[128:129]
	v_div_fmas_f64 v[124:125], v[124:125], v[126:127], v[130:131]
	v_div_fixup_f64 v[114:115], v[124:125], v[114:115], 1.0
; %bb.206:
	s_or_b64 exec, exec, s[0:1]
	v_cmp_ne_u32_e32 vcc, v119, v116
	s_and_saveexec_b64 s[0:1], vcc
	s_xor_b64 s[0:1], exec, s[0:1]
	s_cbranch_execz .LBB108_212
; %bb.207:
	v_cmp_eq_u32_e32 vcc, 12, v119
	s_and_saveexec_b64 s[2:3], vcc
	s_cbranch_execz .LBB108_211
; %bb.208:
	v_cmp_ne_u32_e32 vcc, 12, v116
	s_xor_b64 s[14:15], s[6:7], -1
	s_and_b64 s[16:17], s[14:15], vcc
	s_and_saveexec_b64 s[14:15], s[16:17]
	s_cbranch_execz .LBB108_210
; %bb.209:
	v_ashrrev_i32_e32 v117, 31, v116
	v_lshlrev_b64 v[124:125], 2, v[116:117]
	v_add_co_u32_e32 v124, vcc, v4, v124
	v_addc_co_u32_e32 v125, vcc, v5, v125, vcc
	flat_load_dword v117, v[124:125]
	flat_load_dword v119, v[4:5] offset:48
	s_waitcnt vmcnt(0) lgkmcnt(0)
	flat_store_dword v[4:5], v117 offset:48
	flat_store_dword v[124:125], v119
.LBB108_210:
	s_or_b64 exec, exec, s[14:15]
	v_mov_b32_e32 v117, v116
	v_mov_b32_e32 v119, v116
.LBB108_211:
	s_or_b64 exec, exec, s[2:3]
.LBB108_212:
	s_andn2_saveexec_b64 s[0:1], s[0:1]
	s_cbranch_execz .LBB108_214
; %bb.213:
	v_mov_b32_e32 v119, 12
	ds_write2_b64 v118, v[84:85], v[82:83] offset0:13 offset1:14
	ds_write2_b64 v118, v[80:81], v[78:79] offset0:15 offset1:16
	;; [unrolled: 1-line block ×21, first 2 shown]
.LBB108_214:
	s_or_b64 exec, exec, s[0:1]
	v_cmp_lt_i32_e32 vcc, 12, v119
	s_waitcnt lgkmcnt(0)
	s_barrier
	s_and_saveexec_b64 s[0:1], vcc
	s_cbranch_execz .LBB108_216
; %bb.215:
	ds_read2_b64 v[124:127], v118 offset0:13 offset1:14
	ds_read2_b64 v[128:131], v118 offset0:15 offset1:16
	;; [unrolled: 1-line block ×3, first 2 shown]
	v_mul_f64 v[86:87], v[114:115], v[86:87]
	s_waitcnt lgkmcnt(0)
	v_fma_f64 v[84:85], -v[86:87], v[124:125], v[84:85]
	v_fma_f64 v[82:83], -v[86:87], v[126:127], v[82:83]
	ds_read2_b64 v[124:127], v118 offset0:19 offset1:20
	v_fma_f64 v[80:81], -v[86:87], v[128:129], v[80:81]
	v_fma_f64 v[78:79], -v[86:87], v[130:131], v[78:79]
	;; [unrolled: 1-line block ×3, first 2 shown]
	ds_read2_b64 v[128:131], v118 offset0:21 offset1:22
	v_fma_f64 v[74:75], -v[86:87], v[134:135], v[74:75]
	ds_read2_b64 v[132:135], v118 offset0:23 offset1:24
	s_waitcnt lgkmcnt(0)
	v_fma_f64 v[72:73], -v[86:87], v[124:125], v[72:73]
	v_fma_f64 v[70:71], -v[86:87], v[126:127], v[70:71]
	v_fma_f64 v[68:69], -v[86:87], v[128:129], v[68:69]
	ds_read2_b64 v[124:127], v118 offset0:25 offset1:26
	v_fma_f64 v[66:67], -v[86:87], v[130:131], v[66:67]
	ds_read2_b64 v[128:131], v118 offset0:27 offset1:28
	v_fma_f64 v[64:65], -v[86:87], v[132:133], v[64:65]
	v_fma_f64 v[62:63], -v[86:87], v[134:135], v[62:63]
	ds_read2_b64 v[132:135], v118 offset0:29 offset1:30
	s_waitcnt lgkmcnt(0)
	v_fma_f64 v[60:61], -v[86:87], v[124:125], v[60:61]
	v_fma_f64 v[58:59], -v[86:87], v[126:127], v[58:59]
	ds_read2_b64 v[124:127], v118 offset0:31 offset1:32
	v_fma_f64 v[56:57], -v[86:87], v[128:129], v[56:57]
	v_fma_f64 v[54:55], -v[86:87], v[130:131], v[54:55]
	;; [unrolled: 1-line block ×3, first 2 shown]
	ds_read2_b64 v[128:131], v118 offset0:33 offset1:34
	v_fma_f64 v[50:51], -v[86:87], v[134:135], v[50:51]
	ds_read2_b64 v[132:135], v118 offset0:35 offset1:36
	s_waitcnt lgkmcnt(0)
	v_fma_f64 v[48:49], -v[86:87], v[124:125], v[48:49]
	v_fma_f64 v[46:47], -v[86:87], v[126:127], v[46:47]
	;; [unrolled: 1-line block ×3, first 2 shown]
	ds_read2_b64 v[124:127], v118 offset0:37 offset1:38
	v_fma_f64 v[42:43], -v[86:87], v[130:131], v[42:43]
	ds_read2_b64 v[128:131], v118 offset0:39 offset1:40
	v_fma_f64 v[40:41], -v[86:87], v[132:133], v[40:41]
	v_fma_f64 v[38:39], -v[86:87], v[134:135], v[38:39]
	ds_read2_b64 v[132:135], v118 offset0:41 offset1:42
	s_waitcnt lgkmcnt(0)
	v_fma_f64 v[36:37], -v[86:87], v[124:125], v[36:37]
	v_fma_f64 v[34:35], -v[86:87], v[126:127], v[34:35]
	ds_read2_b64 v[124:127], v118 offset0:43 offset1:44
	v_fma_f64 v[32:33], -v[86:87], v[128:129], v[32:33]
	v_fma_f64 v[30:31], -v[86:87], v[130:131], v[30:31]
	;; [unrolled: 1-line block ×3, first 2 shown]
	ds_read2_b64 v[128:131], v118 offset0:45 offset1:46
	v_fma_f64 v[26:27], -v[86:87], v[134:135], v[26:27]
	ds_read2_b64 v[132:135], v118 offset0:47 offset1:48
	s_waitcnt lgkmcnt(0)
	v_fma_f64 v[24:25], -v[86:87], v[124:125], v[24:25]
	v_fma_f64 v[22:23], -v[86:87], v[126:127], v[22:23]
	v_fma_f64 v[20:21], -v[86:87], v[128:129], v[20:21]
	v_fma_f64 v[18:19], -v[86:87], v[130:131], v[18:19]
	ds_read2_b64 v[124:127], v118 offset0:49 offset1:50
	ds_read2_b64 v[128:131], v118 offset0:51 offset1:52
	v_fma_f64 v[16:17], -v[86:87], v[132:133], v[16:17]
	v_fma_f64 v[14:15], -v[86:87], v[134:135], v[14:15]
	ds_read2_b64 v[132:135], v118 offset0:53 offset1:54
	s_waitcnt lgkmcnt(0)
	v_fma_f64 v[12:13], -v[86:87], v[124:125], v[12:13]
	v_fma_f64 v[10:11], -v[86:87], v[126:127], v[10:11]
	;; [unrolled: 1-line block ×6, first 2 shown]
.LBB108_216:
	s_or_b64 exec, exec, s[0:1]
	v_lshl_add_u32 v114, v119, 3, v118
	s_barrier
	ds_write_b64 v114, v[84:85]
	s_waitcnt lgkmcnt(0)
	s_barrier
	ds_read_b64 v[114:115], v118 offset:104
	s_cmp_lt_i32 s18, 15
	v_mov_b32_e32 v116, 13
	s_cbranch_scc1 .LBB108_219
; %bb.217:
	v_add_u32_e32 v123, 0x70, v118
	s_mov_b32 s0, 14
	v_mov_b32_e32 v116, 13
.LBB108_218:                            ; =>This Inner Loop Header: Depth=1
	ds_read_b64 v[124:125], v123
	v_mov_b32_e32 v126, s0
	s_add_i32 s0, s0, 1
	v_add_u32_e32 v123, 8, v123
	s_cmp_lg_u32 s18, s0
	s_waitcnt lgkmcnt(0)
	v_cmp_lt_f64_e64 vcc, |v[114:115]|, |v[124:125]|
	v_cndmask_b32_e32 v115, v115, v125, vcc
	v_cndmask_b32_e32 v114, v114, v124, vcc
	;; [unrolled: 1-line block ×3, first 2 shown]
	s_cbranch_scc1 .LBB108_218
.LBB108_219:
	s_waitcnt lgkmcnt(0)
	v_cmp_eq_f64_e32 vcc, 0, v[114:115]
	s_and_saveexec_b64 s[0:1], vcc
	s_xor_b64 s[0:1], exec, s[0:1]
; %bb.220:
	v_cmp_ne_u32_e32 vcc, 0, v122
	v_cndmask_b32_e32 v122, 14, v122, vcc
; %bb.221:
	s_andn2_saveexec_b64 s[0:1], s[0:1]
; %bb.222:
	v_div_scale_f64 v[124:125], s[2:3], v[114:115], v[114:115], 1.0
	v_rcp_f64_e32 v[126:127], v[124:125]
	v_div_scale_f64 v[128:129], vcc, 1.0, v[114:115], 1.0
	v_fma_f64 v[130:131], -v[124:125], v[126:127], 1.0
	v_fmac_f64_e32 v[126:127], v[126:127], v[130:131]
	v_fma_f64 v[130:131], -v[124:125], v[126:127], 1.0
	v_fmac_f64_e32 v[126:127], v[126:127], v[130:131]
	v_mul_f64 v[130:131], v[128:129], v[126:127]
	v_fma_f64 v[124:125], -v[124:125], v[130:131], v[128:129]
	v_div_fmas_f64 v[124:125], v[124:125], v[126:127], v[130:131]
	v_div_fixup_f64 v[114:115], v[124:125], v[114:115], 1.0
; %bb.223:
	s_or_b64 exec, exec, s[0:1]
	v_cmp_ne_u32_e32 vcc, v119, v116
	s_and_saveexec_b64 s[0:1], vcc
	s_xor_b64 s[0:1], exec, s[0:1]
	s_cbranch_execz .LBB108_229
; %bb.224:
	v_cmp_eq_u32_e32 vcc, 13, v119
	s_and_saveexec_b64 s[2:3], vcc
	s_cbranch_execz .LBB108_228
; %bb.225:
	v_cmp_ne_u32_e32 vcc, 13, v116
	s_xor_b64 s[14:15], s[6:7], -1
	s_and_b64 s[16:17], s[14:15], vcc
	s_and_saveexec_b64 s[14:15], s[16:17]
	s_cbranch_execz .LBB108_227
; %bb.226:
	v_ashrrev_i32_e32 v117, 31, v116
	v_lshlrev_b64 v[124:125], 2, v[116:117]
	v_add_co_u32_e32 v124, vcc, v4, v124
	v_addc_co_u32_e32 v125, vcc, v5, v125, vcc
	flat_load_dword v117, v[124:125]
	flat_load_dword v119, v[4:5] offset:52
	s_waitcnt vmcnt(0) lgkmcnt(0)
	flat_store_dword v[4:5], v117 offset:52
	flat_store_dword v[124:125], v119
.LBB108_227:
	s_or_b64 exec, exec, s[14:15]
	v_mov_b32_e32 v117, v116
	v_mov_b32_e32 v119, v116
.LBB108_228:
	s_or_b64 exec, exec, s[2:3]
.LBB108_229:
	s_andn2_saveexec_b64 s[0:1], s[0:1]
	s_cbranch_execz .LBB108_231
; %bb.230:
	v_mov_b32_e32 v124, v82
	v_mov_b32_e32 v125, v83
	v_mov_b32_e32 v126, v80
	v_mov_b32_e32 v127, v81
	ds_write2_b64 v118, v[124:125], v[126:127] offset0:14 offset1:15
	v_mov_b32_e32 v124, v78
	v_mov_b32_e32 v125, v79
	v_mov_b32_e32 v126, v76
	v_mov_b32_e32 v127, v77
	ds_write2_b64 v118, v[124:125], v[126:127] offset0:16 offset1:17
	;; [unrolled: 5-line block ×19, first 2 shown]
	v_mov_b32_e32 v124, v6
	v_mov_b32_e32 v125, v7
	;; [unrolled: 1-line block ×5, first 2 shown]
	ds_write2_b64 v118, v[124:125], v[126:127] offset0:52 offset1:53
	ds_write_b64 v118, v[112:113] offset:432
.LBB108_231:
	s_or_b64 exec, exec, s[0:1]
	v_cmp_lt_i32_e32 vcc, 13, v119
	s_waitcnt lgkmcnt(0)
	s_barrier
	s_and_saveexec_b64 s[0:1], vcc
	s_cbranch_execz .LBB108_233
; %bb.232:
	ds_read2_b64 v[124:127], v118 offset0:14 offset1:15
	ds_read2_b64 v[128:131], v118 offset0:16 offset1:17
	v_mul_f64 v[84:85], v[114:115], v[84:85]
	ds_read2_b64 v[132:135], v118 offset0:18 offset1:19
	ds_read_b64 v[114:115], v118 offset:432
	s_waitcnt lgkmcnt(0)
	v_fma_f64 v[82:83], -v[84:85], v[124:125], v[82:83]
	v_fma_f64 v[80:81], -v[84:85], v[126:127], v[80:81]
	ds_read2_b64 v[124:127], v118 offset0:20 offset1:21
	v_fma_f64 v[78:79], -v[84:85], v[128:129], v[78:79]
	v_fma_f64 v[76:77], -v[84:85], v[130:131], v[76:77]
	ds_read2_b64 v[128:131], v118 offset0:22 offset1:23
	;; [unrolled: 3-line block ×3, first 2 shown]
	s_waitcnt lgkmcnt(0)
	v_fma_f64 v[70:71], -v[84:85], v[124:125], v[70:71]
	v_fma_f64 v[68:69], -v[84:85], v[126:127], v[68:69]
	;; [unrolled: 1-line block ×3, first 2 shown]
	ds_read2_b64 v[124:127], v118 offset0:26 offset1:27
	v_fma_f64 v[64:65], -v[84:85], v[130:131], v[64:65]
	ds_read2_b64 v[128:131], v118 offset0:28 offset1:29
	v_fma_f64 v[62:63], -v[84:85], v[132:133], v[62:63]
	v_fma_f64 v[60:61], -v[84:85], v[134:135], v[60:61]
	s_waitcnt lgkmcnt(0)
	v_fma_f64 v[58:59], -v[84:85], v[124:125], v[58:59]
	ds_read2_b64 v[132:135], v118 offset0:30 offset1:31
	v_fma_f64 v[56:57], -v[84:85], v[126:127], v[56:57]
	ds_read2_b64 v[124:127], v118 offset0:32 offset1:33
	v_fma_f64 v[54:55], -v[84:85], v[128:129], v[54:55]
	v_fma_f64 v[52:53], -v[84:85], v[130:131], v[52:53]
	ds_read2_b64 v[128:131], v118 offset0:34 offset1:35
	s_waitcnt lgkmcnt(0)
	v_fma_f64 v[50:51], -v[84:85], v[132:133], v[50:51]
	v_fma_f64 v[48:49], -v[84:85], v[134:135], v[48:49]
	ds_read2_b64 v[132:135], v118 offset0:36 offset1:37
	v_fma_f64 v[46:47], -v[84:85], v[124:125], v[46:47]
	v_fma_f64 v[44:45], -v[84:85], v[126:127], v[44:45]
	;; [unrolled: 1-line block ×3, first 2 shown]
	ds_read2_b64 v[124:127], v118 offset0:38 offset1:39
	v_fma_f64 v[40:41], -v[84:85], v[130:131], v[40:41]
	ds_read2_b64 v[128:131], v118 offset0:40 offset1:41
	s_waitcnt lgkmcnt(0)
	v_fma_f64 v[38:39], -v[84:85], v[132:133], v[38:39]
	v_fma_f64 v[36:37], -v[84:85], v[134:135], v[36:37]
	;; [unrolled: 1-line block ×3, first 2 shown]
	ds_read2_b64 v[132:135], v118 offset0:42 offset1:43
	v_fma_f64 v[32:33], -v[84:85], v[126:127], v[32:33]
	ds_read2_b64 v[124:127], v118 offset0:44 offset1:45
	v_fma_f64 v[30:31], -v[84:85], v[128:129], v[30:31]
	v_fma_f64 v[28:29], -v[84:85], v[130:131], v[28:29]
	ds_read2_b64 v[128:131], v118 offset0:46 offset1:47
	s_waitcnt lgkmcnt(0)
	v_fma_f64 v[26:27], -v[84:85], v[132:133], v[26:27]
	v_fma_f64 v[24:25], -v[84:85], v[134:135], v[24:25]
	ds_read2_b64 v[132:135], v118 offset0:48 offset1:49
	v_fma_f64 v[22:23], -v[84:85], v[124:125], v[22:23]
	v_fma_f64 v[20:21], -v[84:85], v[126:127], v[20:21]
	;; [unrolled: 1-line block ×4, first 2 shown]
	ds_read2_b64 v[124:127], v118 offset0:50 offset1:51
	ds_read2_b64 v[128:131], v118 offset0:52 offset1:53
	s_waitcnt lgkmcnt(0)
	v_fma_f64 v[14:15], -v[84:85], v[132:133], v[14:15]
	v_fma_f64 v[12:13], -v[84:85], v[134:135], v[12:13]
	;; [unrolled: 1-line block ×7, first 2 shown]
.LBB108_233:
	s_or_b64 exec, exec, s[0:1]
	v_lshl_add_u32 v114, v119, 3, v118
	s_barrier
	ds_write_b64 v114, v[82:83]
	s_waitcnt lgkmcnt(0)
	s_barrier
	ds_read_b64 v[114:115], v118 offset:112
	s_cmp_lt_i32 s18, 16
	v_mov_b32_e32 v116, 14
	s_cbranch_scc1 .LBB108_236
; %bb.234:
	v_add_u32_e32 v123, 0x78, v118
	s_mov_b32 s0, 15
	v_mov_b32_e32 v116, 14
.LBB108_235:                            ; =>This Inner Loop Header: Depth=1
	ds_read_b64 v[124:125], v123
	v_mov_b32_e32 v126, s0
	s_add_i32 s0, s0, 1
	v_add_u32_e32 v123, 8, v123
	s_cmp_lg_u32 s18, s0
	s_waitcnt lgkmcnt(0)
	v_cmp_lt_f64_e64 vcc, |v[114:115]|, |v[124:125]|
	v_cndmask_b32_e32 v115, v115, v125, vcc
	v_cndmask_b32_e32 v114, v114, v124, vcc
	;; [unrolled: 1-line block ×3, first 2 shown]
	s_cbranch_scc1 .LBB108_235
.LBB108_236:
	s_waitcnt lgkmcnt(0)
	v_cmp_eq_f64_e32 vcc, 0, v[114:115]
	s_and_saveexec_b64 s[0:1], vcc
	s_xor_b64 s[0:1], exec, s[0:1]
; %bb.237:
	v_cmp_ne_u32_e32 vcc, 0, v122
	v_cndmask_b32_e32 v122, 15, v122, vcc
; %bb.238:
	s_andn2_saveexec_b64 s[0:1], s[0:1]
; %bb.239:
	v_div_scale_f64 v[124:125], s[2:3], v[114:115], v[114:115], 1.0
	v_rcp_f64_e32 v[126:127], v[124:125]
	v_div_scale_f64 v[128:129], vcc, 1.0, v[114:115], 1.0
	v_fma_f64 v[130:131], -v[124:125], v[126:127], 1.0
	v_fmac_f64_e32 v[126:127], v[126:127], v[130:131]
	v_fma_f64 v[130:131], -v[124:125], v[126:127], 1.0
	v_fmac_f64_e32 v[126:127], v[126:127], v[130:131]
	v_mul_f64 v[130:131], v[128:129], v[126:127]
	v_fma_f64 v[124:125], -v[124:125], v[130:131], v[128:129]
	v_div_fmas_f64 v[124:125], v[124:125], v[126:127], v[130:131]
	v_div_fixup_f64 v[114:115], v[124:125], v[114:115], 1.0
; %bb.240:
	s_or_b64 exec, exec, s[0:1]
	v_cmp_ne_u32_e32 vcc, v119, v116
	s_and_saveexec_b64 s[0:1], vcc
	s_xor_b64 s[0:1], exec, s[0:1]
	s_cbranch_execz .LBB108_246
; %bb.241:
	v_cmp_eq_u32_e32 vcc, 14, v119
	s_and_saveexec_b64 s[2:3], vcc
	s_cbranch_execz .LBB108_245
; %bb.242:
	v_cmp_ne_u32_e32 vcc, 14, v116
	s_xor_b64 s[14:15], s[6:7], -1
	s_and_b64 s[16:17], s[14:15], vcc
	s_and_saveexec_b64 s[14:15], s[16:17]
	s_cbranch_execz .LBB108_244
; %bb.243:
	v_ashrrev_i32_e32 v117, 31, v116
	v_lshlrev_b64 v[124:125], 2, v[116:117]
	v_add_co_u32_e32 v124, vcc, v4, v124
	v_addc_co_u32_e32 v125, vcc, v5, v125, vcc
	flat_load_dword v117, v[124:125]
	flat_load_dword v119, v[4:5] offset:56
	s_waitcnt vmcnt(0) lgkmcnt(0)
	flat_store_dword v[4:5], v117 offset:56
	flat_store_dword v[124:125], v119
.LBB108_244:
	s_or_b64 exec, exec, s[14:15]
	v_mov_b32_e32 v117, v116
	v_mov_b32_e32 v119, v116
.LBB108_245:
	s_or_b64 exec, exec, s[2:3]
.LBB108_246:
	s_andn2_saveexec_b64 s[0:1], s[0:1]
	s_cbranch_execz .LBB108_248
; %bb.247:
	v_mov_b32_e32 v119, 14
	ds_write2_b64 v118, v[80:81], v[78:79] offset0:15 offset1:16
	ds_write2_b64 v118, v[76:77], v[74:75] offset0:17 offset1:18
	;; [unrolled: 1-line block ×20, first 2 shown]
.LBB108_248:
	s_or_b64 exec, exec, s[0:1]
	v_cmp_lt_i32_e32 vcc, 14, v119
	s_waitcnt lgkmcnt(0)
	s_barrier
	s_and_saveexec_b64 s[0:1], vcc
	s_cbranch_execz .LBB108_250
; %bb.249:
	ds_read2_b64 v[124:127], v118 offset0:15 offset1:16
	ds_read2_b64 v[128:131], v118 offset0:17 offset1:18
	v_mul_f64 v[82:83], v[114:115], v[82:83]
	ds_read2_b64 v[132:135], v118 offset0:19 offset1:20
	s_waitcnt lgkmcnt(0)
	v_fma_f64 v[80:81], -v[82:83], v[124:125], v[80:81]
	v_fma_f64 v[78:79], -v[82:83], v[126:127], v[78:79]
	ds_read2_b64 v[124:127], v118 offset0:21 offset1:22
	v_fma_f64 v[76:77], -v[82:83], v[128:129], v[76:77]
	v_fma_f64 v[74:75], -v[82:83], v[130:131], v[74:75]
	ds_read2_b64 v[128:131], v118 offset0:23 offset1:24
	;; [unrolled: 3-line block ×3, first 2 shown]
	s_waitcnt lgkmcnt(0)
	v_fma_f64 v[68:69], -v[82:83], v[124:125], v[68:69]
	v_fma_f64 v[66:67], -v[82:83], v[126:127], v[66:67]
	;; [unrolled: 1-line block ×3, first 2 shown]
	ds_read2_b64 v[124:127], v118 offset0:27 offset1:28
	v_fma_f64 v[62:63], -v[82:83], v[130:131], v[62:63]
	ds_read2_b64 v[128:131], v118 offset0:29 offset1:30
	v_fma_f64 v[60:61], -v[82:83], v[132:133], v[60:61]
	v_fma_f64 v[58:59], -v[82:83], v[134:135], v[58:59]
	s_waitcnt lgkmcnt(0)
	v_fma_f64 v[56:57], -v[82:83], v[124:125], v[56:57]
	ds_read2_b64 v[132:135], v118 offset0:31 offset1:32
	v_fma_f64 v[54:55], -v[82:83], v[126:127], v[54:55]
	ds_read2_b64 v[124:127], v118 offset0:33 offset1:34
	v_fma_f64 v[52:53], -v[82:83], v[128:129], v[52:53]
	v_fma_f64 v[50:51], -v[82:83], v[130:131], v[50:51]
	ds_read2_b64 v[128:131], v118 offset0:35 offset1:36
	s_waitcnt lgkmcnt(0)
	v_fma_f64 v[48:49], -v[82:83], v[132:133], v[48:49]
	v_fma_f64 v[46:47], -v[82:83], v[134:135], v[46:47]
	ds_read2_b64 v[132:135], v118 offset0:37 offset1:38
	v_fma_f64 v[44:45], -v[82:83], v[124:125], v[44:45]
	v_fma_f64 v[42:43], -v[82:83], v[126:127], v[42:43]
	;; [unrolled: 1-line block ×3, first 2 shown]
	ds_read2_b64 v[124:127], v118 offset0:39 offset1:40
	v_fma_f64 v[38:39], -v[82:83], v[130:131], v[38:39]
	ds_read2_b64 v[128:131], v118 offset0:41 offset1:42
	s_waitcnt lgkmcnt(0)
	v_fma_f64 v[36:37], -v[82:83], v[132:133], v[36:37]
	v_fma_f64 v[34:35], -v[82:83], v[134:135], v[34:35]
	;; [unrolled: 1-line block ×3, first 2 shown]
	ds_read2_b64 v[132:135], v118 offset0:43 offset1:44
	v_fma_f64 v[30:31], -v[82:83], v[126:127], v[30:31]
	ds_read2_b64 v[124:127], v118 offset0:45 offset1:46
	v_fma_f64 v[28:29], -v[82:83], v[128:129], v[28:29]
	v_fma_f64 v[26:27], -v[82:83], v[130:131], v[26:27]
	ds_read2_b64 v[128:131], v118 offset0:47 offset1:48
	s_waitcnt lgkmcnt(0)
	v_fma_f64 v[24:25], -v[82:83], v[132:133], v[24:25]
	v_fma_f64 v[22:23], -v[82:83], v[134:135], v[22:23]
	;; [unrolled: 1-line block ×4, first 2 shown]
	ds_read2_b64 v[124:127], v118 offset0:49 offset1:50
	v_fma_f64 v[16:17], -v[82:83], v[128:129], v[16:17]
	ds_read2_b64 v[132:135], v118 offset0:51 offset1:52
	v_fma_f64 v[14:15], -v[82:83], v[130:131], v[14:15]
	ds_read2_b64 v[128:131], v118 offset0:53 offset1:54
	s_waitcnt lgkmcnt(0)
	v_fma_f64 v[12:13], -v[82:83], v[124:125], v[12:13]
	v_fma_f64 v[10:11], -v[82:83], v[126:127], v[10:11]
	;; [unrolled: 1-line block ×6, first 2 shown]
.LBB108_250:
	s_or_b64 exec, exec, s[0:1]
	v_lshl_add_u32 v114, v119, 3, v118
	s_barrier
	ds_write_b64 v114, v[80:81]
	s_waitcnt lgkmcnt(0)
	s_barrier
	ds_read_b64 v[114:115], v118 offset:120
	s_cmp_lt_i32 s18, 17
	v_mov_b32_e32 v116, 15
	s_cbranch_scc1 .LBB108_253
; %bb.251:
	v_add_u32_e32 v123, 0x80, v118
	s_mov_b32 s0, 16
	v_mov_b32_e32 v116, 15
.LBB108_252:                            ; =>This Inner Loop Header: Depth=1
	ds_read_b64 v[124:125], v123
	v_mov_b32_e32 v126, s0
	s_add_i32 s0, s0, 1
	v_add_u32_e32 v123, 8, v123
	s_cmp_lg_u32 s18, s0
	s_waitcnt lgkmcnt(0)
	v_cmp_lt_f64_e64 vcc, |v[114:115]|, |v[124:125]|
	v_cndmask_b32_e32 v115, v115, v125, vcc
	v_cndmask_b32_e32 v114, v114, v124, vcc
	;; [unrolled: 1-line block ×3, first 2 shown]
	s_cbranch_scc1 .LBB108_252
.LBB108_253:
	s_waitcnt lgkmcnt(0)
	v_cmp_eq_f64_e32 vcc, 0, v[114:115]
	s_and_saveexec_b64 s[0:1], vcc
	s_xor_b64 s[0:1], exec, s[0:1]
; %bb.254:
	v_cmp_ne_u32_e32 vcc, 0, v122
	v_cndmask_b32_e32 v122, 16, v122, vcc
; %bb.255:
	s_andn2_saveexec_b64 s[0:1], s[0:1]
; %bb.256:
	v_div_scale_f64 v[124:125], s[2:3], v[114:115], v[114:115], 1.0
	v_rcp_f64_e32 v[126:127], v[124:125]
	v_div_scale_f64 v[128:129], vcc, 1.0, v[114:115], 1.0
	v_fma_f64 v[130:131], -v[124:125], v[126:127], 1.0
	v_fmac_f64_e32 v[126:127], v[126:127], v[130:131]
	v_fma_f64 v[130:131], -v[124:125], v[126:127], 1.0
	v_fmac_f64_e32 v[126:127], v[126:127], v[130:131]
	v_mul_f64 v[130:131], v[128:129], v[126:127]
	v_fma_f64 v[124:125], -v[124:125], v[130:131], v[128:129]
	v_div_fmas_f64 v[124:125], v[124:125], v[126:127], v[130:131]
	v_div_fixup_f64 v[114:115], v[124:125], v[114:115], 1.0
; %bb.257:
	s_or_b64 exec, exec, s[0:1]
	v_cmp_ne_u32_e32 vcc, v119, v116
	s_and_saveexec_b64 s[0:1], vcc
	s_xor_b64 s[0:1], exec, s[0:1]
	s_cbranch_execz .LBB108_263
; %bb.258:
	v_cmp_eq_u32_e32 vcc, 15, v119
	s_and_saveexec_b64 s[2:3], vcc
	s_cbranch_execz .LBB108_262
; %bb.259:
	v_cmp_ne_u32_e32 vcc, 15, v116
	s_xor_b64 s[14:15], s[6:7], -1
	s_and_b64 s[16:17], s[14:15], vcc
	s_and_saveexec_b64 s[14:15], s[16:17]
	s_cbranch_execz .LBB108_261
; %bb.260:
	v_ashrrev_i32_e32 v117, 31, v116
	v_lshlrev_b64 v[124:125], 2, v[116:117]
	v_add_co_u32_e32 v124, vcc, v4, v124
	v_addc_co_u32_e32 v125, vcc, v5, v125, vcc
	flat_load_dword v117, v[124:125]
	flat_load_dword v119, v[4:5] offset:60
	s_waitcnt vmcnt(0) lgkmcnt(0)
	flat_store_dword v[4:5], v117 offset:60
	flat_store_dword v[124:125], v119
.LBB108_261:
	s_or_b64 exec, exec, s[14:15]
	v_mov_b32_e32 v117, v116
	v_mov_b32_e32 v119, v116
.LBB108_262:
	s_or_b64 exec, exec, s[2:3]
.LBB108_263:
	s_andn2_saveexec_b64 s[0:1], s[0:1]
	s_cbranch_execz .LBB108_265
; %bb.264:
	v_mov_b32_e32 v124, v78
	v_mov_b32_e32 v125, v79
	v_mov_b32_e32 v126, v76
	v_mov_b32_e32 v127, v77
	ds_write2_b64 v118, v[124:125], v[126:127] offset0:16 offset1:17
	v_mov_b32_e32 v124, v74
	v_mov_b32_e32 v125, v75
	v_mov_b32_e32 v126, v72
	v_mov_b32_e32 v127, v73
	ds_write2_b64 v118, v[124:125], v[126:127] offset0:18 offset1:19
	;; [unrolled: 5-line block ×18, first 2 shown]
	v_mov_b32_e32 v124, v6
	v_mov_b32_e32 v125, v7
	v_mov_b32_e32 v126, v0
	v_mov_b32_e32 v127, v1
	v_mov_b32_e32 v119, 15
	ds_write2_b64 v118, v[124:125], v[126:127] offset0:52 offset1:53
	ds_write_b64 v118, v[112:113] offset:432
.LBB108_265:
	s_or_b64 exec, exec, s[0:1]
	v_cmp_lt_i32_e32 vcc, 15, v119
	s_waitcnt lgkmcnt(0)
	s_barrier
	s_and_saveexec_b64 s[0:1], vcc
	s_cbranch_execz .LBB108_267
; %bb.266:
	ds_read2_b64 v[124:127], v118 offset0:16 offset1:17
	ds_read2_b64 v[128:131], v118 offset0:18 offset1:19
	v_mul_f64 v[80:81], v[114:115], v[80:81]
	ds_read2_b64 v[132:135], v118 offset0:20 offset1:21
	ds_read_b64 v[114:115], v118 offset:432
	s_waitcnt lgkmcnt(0)
	v_fma_f64 v[78:79], -v[80:81], v[124:125], v[78:79]
	v_fma_f64 v[76:77], -v[80:81], v[126:127], v[76:77]
	ds_read2_b64 v[124:127], v118 offset0:22 offset1:23
	v_fma_f64 v[74:75], -v[80:81], v[128:129], v[74:75]
	v_fma_f64 v[72:73], -v[80:81], v[130:131], v[72:73]
	;; [unrolled: 1-line block ×3, first 2 shown]
	ds_read2_b64 v[128:131], v118 offset0:24 offset1:25
	v_fma_f64 v[68:69], -v[80:81], v[134:135], v[68:69]
	ds_read2_b64 v[132:135], v118 offset0:26 offset1:27
	s_waitcnt lgkmcnt(0)
	v_fma_f64 v[66:67], -v[80:81], v[124:125], v[66:67]
	v_fma_f64 v[64:65], -v[80:81], v[126:127], v[64:65]
	ds_read2_b64 v[124:127], v118 offset0:28 offset1:29
	v_fma_f64 v[62:63], -v[80:81], v[128:129], v[62:63]
	v_fma_f64 v[60:61], -v[80:81], v[130:131], v[60:61]
	ds_read2_b64 v[128:131], v118 offset0:30 offset1:31
	v_fma_f64 v[58:59], -v[80:81], v[132:133], v[58:59]
	v_fma_f64 v[56:57], -v[80:81], v[134:135], v[56:57]
	s_waitcnt lgkmcnt(0)
	v_fma_f64 v[54:55], -v[80:81], v[124:125], v[54:55]
	ds_read2_b64 v[132:135], v118 offset0:32 offset1:33
	v_fma_f64 v[52:53], -v[80:81], v[126:127], v[52:53]
	ds_read2_b64 v[124:127], v118 offset0:34 offset1:35
	v_fma_f64 v[50:51], -v[80:81], v[128:129], v[50:51]
	v_fma_f64 v[48:49], -v[80:81], v[130:131], v[48:49]
	s_waitcnt lgkmcnt(0)
	v_fma_f64 v[46:47], -v[80:81], v[132:133], v[46:47]
	ds_read2_b64 v[128:131], v118 offset0:36 offset1:37
	v_fma_f64 v[44:45], -v[80:81], v[134:135], v[44:45]
	ds_read2_b64 v[132:135], v118 offset0:38 offset1:39
	v_fma_f64 v[42:43], -v[80:81], v[124:125], v[42:43]
	v_fma_f64 v[40:41], -v[80:81], v[126:127], v[40:41]
	ds_read2_b64 v[124:127], v118 offset0:40 offset1:41
	s_waitcnt lgkmcnt(0)
	v_fma_f64 v[38:39], -v[80:81], v[128:129], v[38:39]
	v_fma_f64 v[36:37], -v[80:81], v[130:131], v[36:37]
	ds_read2_b64 v[128:131], v118 offset0:42 offset1:43
	v_fma_f64 v[34:35], -v[80:81], v[132:133], v[34:35]
	v_fma_f64 v[32:33], -v[80:81], v[134:135], v[32:33]
	;; [unrolled: 1-line block ×3, first 2 shown]
	ds_read2_b64 v[132:135], v118 offset0:44 offset1:45
	v_fma_f64 v[28:29], -v[80:81], v[126:127], v[28:29]
	ds_read2_b64 v[124:127], v118 offset0:46 offset1:47
	s_waitcnt lgkmcnt(0)
	v_fma_f64 v[26:27], -v[80:81], v[128:129], v[26:27]
	v_fma_f64 v[24:25], -v[80:81], v[130:131], v[24:25]
	;; [unrolled: 1-line block ×3, first 2 shown]
	ds_read2_b64 v[128:131], v118 offset0:48 offset1:49
	v_fma_f64 v[20:21], -v[80:81], v[134:135], v[20:21]
	v_fma_f64 v[18:19], -v[80:81], v[124:125], v[18:19]
	v_fma_f64 v[16:17], -v[80:81], v[126:127], v[16:17]
	ds_read2_b64 v[124:127], v118 offset0:50 offset1:51
	ds_read2_b64 v[132:135], v118 offset0:52 offset1:53
	s_waitcnt lgkmcnt(0)
	v_fma_f64 v[14:15], -v[80:81], v[128:129], v[14:15]
	v_fma_f64 v[12:13], -v[80:81], v[130:131], v[12:13]
	;; [unrolled: 1-line block ×7, first 2 shown]
.LBB108_267:
	s_or_b64 exec, exec, s[0:1]
	v_lshl_add_u32 v114, v119, 3, v118
	s_barrier
	ds_write_b64 v114, v[78:79]
	s_waitcnt lgkmcnt(0)
	s_barrier
	ds_read_b64 v[114:115], v118 offset:128
	s_cmp_lt_i32 s18, 18
	v_mov_b32_e32 v116, 16
	s_cbranch_scc1 .LBB108_270
; %bb.268:
	v_add_u32_e32 v123, 0x88, v118
	s_mov_b32 s0, 17
	v_mov_b32_e32 v116, 16
.LBB108_269:                            ; =>This Inner Loop Header: Depth=1
	ds_read_b64 v[124:125], v123
	v_mov_b32_e32 v126, s0
	s_add_i32 s0, s0, 1
	v_add_u32_e32 v123, 8, v123
	s_cmp_lg_u32 s18, s0
	s_waitcnt lgkmcnt(0)
	v_cmp_lt_f64_e64 vcc, |v[114:115]|, |v[124:125]|
	v_cndmask_b32_e32 v115, v115, v125, vcc
	v_cndmask_b32_e32 v114, v114, v124, vcc
	;; [unrolled: 1-line block ×3, first 2 shown]
	s_cbranch_scc1 .LBB108_269
.LBB108_270:
	s_waitcnt lgkmcnt(0)
	v_cmp_eq_f64_e32 vcc, 0, v[114:115]
	s_and_saveexec_b64 s[0:1], vcc
	s_xor_b64 s[0:1], exec, s[0:1]
; %bb.271:
	v_cmp_ne_u32_e32 vcc, 0, v122
	v_cndmask_b32_e32 v122, 17, v122, vcc
; %bb.272:
	s_andn2_saveexec_b64 s[0:1], s[0:1]
; %bb.273:
	v_div_scale_f64 v[124:125], s[2:3], v[114:115], v[114:115], 1.0
	v_rcp_f64_e32 v[126:127], v[124:125]
	v_div_scale_f64 v[128:129], vcc, 1.0, v[114:115], 1.0
	v_fma_f64 v[130:131], -v[124:125], v[126:127], 1.0
	v_fmac_f64_e32 v[126:127], v[126:127], v[130:131]
	v_fma_f64 v[130:131], -v[124:125], v[126:127], 1.0
	v_fmac_f64_e32 v[126:127], v[126:127], v[130:131]
	v_mul_f64 v[130:131], v[128:129], v[126:127]
	v_fma_f64 v[124:125], -v[124:125], v[130:131], v[128:129]
	v_div_fmas_f64 v[124:125], v[124:125], v[126:127], v[130:131]
	v_div_fixup_f64 v[114:115], v[124:125], v[114:115], 1.0
; %bb.274:
	s_or_b64 exec, exec, s[0:1]
	v_cmp_ne_u32_e32 vcc, v119, v116
	s_and_saveexec_b64 s[0:1], vcc
	s_xor_b64 s[0:1], exec, s[0:1]
	s_cbranch_execz .LBB108_280
; %bb.275:
	v_cmp_eq_u32_e32 vcc, 16, v119
	s_and_saveexec_b64 s[2:3], vcc
	s_cbranch_execz .LBB108_279
; %bb.276:
	v_cmp_ne_u32_e32 vcc, 16, v116
	s_xor_b64 s[14:15], s[6:7], -1
	s_and_b64 s[16:17], s[14:15], vcc
	s_and_saveexec_b64 s[14:15], s[16:17]
	s_cbranch_execz .LBB108_278
; %bb.277:
	v_ashrrev_i32_e32 v117, 31, v116
	v_lshlrev_b64 v[124:125], 2, v[116:117]
	v_add_co_u32_e32 v124, vcc, v4, v124
	v_addc_co_u32_e32 v125, vcc, v5, v125, vcc
	flat_load_dword v117, v[124:125]
	flat_load_dword v119, v[4:5] offset:64
	s_waitcnt vmcnt(0) lgkmcnt(0)
	flat_store_dword v[4:5], v117 offset:64
	flat_store_dword v[124:125], v119
.LBB108_278:
	s_or_b64 exec, exec, s[14:15]
	v_mov_b32_e32 v117, v116
	v_mov_b32_e32 v119, v116
.LBB108_279:
	s_or_b64 exec, exec, s[2:3]
.LBB108_280:
	s_andn2_saveexec_b64 s[0:1], s[0:1]
	s_cbranch_execz .LBB108_282
; %bb.281:
	v_mov_b32_e32 v119, 16
	ds_write2_b64 v118, v[76:77], v[74:75] offset0:17 offset1:18
	ds_write2_b64 v118, v[72:73], v[70:71] offset0:19 offset1:20
	;; [unrolled: 1-line block ×19, first 2 shown]
.LBB108_282:
	s_or_b64 exec, exec, s[0:1]
	v_cmp_lt_i32_e32 vcc, 16, v119
	s_waitcnt lgkmcnt(0)
	s_barrier
	s_and_saveexec_b64 s[0:1], vcc
	s_cbranch_execz .LBB108_284
; %bb.283:
	ds_read2_b64 v[124:127], v118 offset0:17 offset1:18
	ds_read2_b64 v[128:131], v118 offset0:19 offset1:20
	v_mul_f64 v[78:79], v[114:115], v[78:79]
	ds_read2_b64 v[132:135], v118 offset0:21 offset1:22
	s_waitcnt lgkmcnt(0)
	v_fma_f64 v[76:77], -v[78:79], v[124:125], v[76:77]
	v_fma_f64 v[74:75], -v[78:79], v[126:127], v[74:75]
	ds_read2_b64 v[124:127], v118 offset0:23 offset1:24
	v_fma_f64 v[72:73], -v[78:79], v[128:129], v[72:73]
	v_fma_f64 v[70:71], -v[78:79], v[130:131], v[70:71]
	;; [unrolled: 1-line block ×3, first 2 shown]
	ds_read2_b64 v[128:131], v118 offset0:25 offset1:26
	v_fma_f64 v[66:67], -v[78:79], v[134:135], v[66:67]
	ds_read2_b64 v[132:135], v118 offset0:27 offset1:28
	s_waitcnt lgkmcnt(0)
	v_fma_f64 v[64:65], -v[78:79], v[124:125], v[64:65]
	v_fma_f64 v[62:63], -v[78:79], v[126:127], v[62:63]
	ds_read2_b64 v[124:127], v118 offset0:29 offset1:30
	v_fma_f64 v[60:61], -v[78:79], v[128:129], v[60:61]
	v_fma_f64 v[58:59], -v[78:79], v[130:131], v[58:59]
	ds_read2_b64 v[128:131], v118 offset0:31 offset1:32
	v_fma_f64 v[56:57], -v[78:79], v[132:133], v[56:57]
	v_fma_f64 v[54:55], -v[78:79], v[134:135], v[54:55]
	s_waitcnt lgkmcnt(0)
	v_fma_f64 v[52:53], -v[78:79], v[124:125], v[52:53]
	ds_read2_b64 v[132:135], v118 offset0:33 offset1:34
	v_fma_f64 v[50:51], -v[78:79], v[126:127], v[50:51]
	ds_read2_b64 v[124:127], v118 offset0:35 offset1:36
	v_fma_f64 v[48:49], -v[78:79], v[128:129], v[48:49]
	v_fma_f64 v[46:47], -v[78:79], v[130:131], v[46:47]
	s_waitcnt lgkmcnt(0)
	v_fma_f64 v[44:45], -v[78:79], v[132:133], v[44:45]
	ds_read2_b64 v[128:131], v118 offset0:37 offset1:38
	v_fma_f64 v[42:43], -v[78:79], v[134:135], v[42:43]
	ds_read2_b64 v[132:135], v118 offset0:39 offset1:40
	v_fma_f64 v[40:41], -v[78:79], v[124:125], v[40:41]
	v_fma_f64 v[38:39], -v[78:79], v[126:127], v[38:39]
	ds_read2_b64 v[124:127], v118 offset0:41 offset1:42
	s_waitcnt lgkmcnt(0)
	v_fma_f64 v[36:37], -v[78:79], v[128:129], v[36:37]
	v_fma_f64 v[34:35], -v[78:79], v[130:131], v[34:35]
	ds_read2_b64 v[128:131], v118 offset0:43 offset1:44
	v_fma_f64 v[32:33], -v[78:79], v[132:133], v[32:33]
	v_fma_f64 v[30:31], -v[78:79], v[134:135], v[30:31]
	;; [unrolled: 1-line block ×3, first 2 shown]
	ds_read2_b64 v[132:135], v118 offset0:45 offset1:46
	v_fma_f64 v[26:27], -v[78:79], v[126:127], v[26:27]
	ds_read2_b64 v[124:127], v118 offset0:47 offset1:48
	s_waitcnt lgkmcnt(0)
	v_fma_f64 v[24:25], -v[78:79], v[128:129], v[24:25]
	v_fma_f64 v[22:23], -v[78:79], v[130:131], v[22:23]
	;; [unrolled: 1-line block ×4, first 2 shown]
	ds_read2_b64 v[128:131], v118 offset0:49 offset1:50
	ds_read2_b64 v[132:135], v118 offset0:51 offset1:52
	v_fma_f64 v[16:17], -v[78:79], v[124:125], v[16:17]
	v_fma_f64 v[14:15], -v[78:79], v[126:127], v[14:15]
	ds_read2_b64 v[124:127], v118 offset0:53 offset1:54
	s_waitcnt lgkmcnt(0)
	v_fma_f64 v[12:13], -v[78:79], v[128:129], v[12:13]
	v_fma_f64 v[10:11], -v[78:79], v[130:131], v[10:11]
	;; [unrolled: 1-line block ×6, first 2 shown]
.LBB108_284:
	s_or_b64 exec, exec, s[0:1]
	v_lshl_add_u32 v114, v119, 3, v118
	s_barrier
	ds_write_b64 v114, v[76:77]
	s_waitcnt lgkmcnt(0)
	s_barrier
	ds_read_b64 v[114:115], v118 offset:136
	s_cmp_lt_i32 s18, 19
	v_mov_b32_e32 v116, 17
	s_cbranch_scc1 .LBB108_287
; %bb.285:
	v_add_u32_e32 v123, 0x90, v118
	s_mov_b32 s0, 18
	v_mov_b32_e32 v116, 17
.LBB108_286:                            ; =>This Inner Loop Header: Depth=1
	ds_read_b64 v[124:125], v123
	v_mov_b32_e32 v126, s0
	s_add_i32 s0, s0, 1
	v_add_u32_e32 v123, 8, v123
	s_cmp_lg_u32 s18, s0
	s_waitcnt lgkmcnt(0)
	v_cmp_lt_f64_e64 vcc, |v[114:115]|, |v[124:125]|
	v_cndmask_b32_e32 v115, v115, v125, vcc
	v_cndmask_b32_e32 v114, v114, v124, vcc
	;; [unrolled: 1-line block ×3, first 2 shown]
	s_cbranch_scc1 .LBB108_286
.LBB108_287:
	s_waitcnt lgkmcnt(0)
	v_cmp_eq_f64_e32 vcc, 0, v[114:115]
	s_and_saveexec_b64 s[0:1], vcc
	s_xor_b64 s[0:1], exec, s[0:1]
; %bb.288:
	v_cmp_ne_u32_e32 vcc, 0, v122
	v_cndmask_b32_e32 v122, 18, v122, vcc
; %bb.289:
	s_andn2_saveexec_b64 s[0:1], s[0:1]
; %bb.290:
	v_div_scale_f64 v[124:125], s[2:3], v[114:115], v[114:115], 1.0
	v_rcp_f64_e32 v[126:127], v[124:125]
	v_div_scale_f64 v[128:129], vcc, 1.0, v[114:115], 1.0
	v_fma_f64 v[130:131], -v[124:125], v[126:127], 1.0
	v_fmac_f64_e32 v[126:127], v[126:127], v[130:131]
	v_fma_f64 v[130:131], -v[124:125], v[126:127], 1.0
	v_fmac_f64_e32 v[126:127], v[126:127], v[130:131]
	v_mul_f64 v[130:131], v[128:129], v[126:127]
	v_fma_f64 v[124:125], -v[124:125], v[130:131], v[128:129]
	v_div_fmas_f64 v[124:125], v[124:125], v[126:127], v[130:131]
	v_div_fixup_f64 v[114:115], v[124:125], v[114:115], 1.0
; %bb.291:
	s_or_b64 exec, exec, s[0:1]
	v_cmp_ne_u32_e32 vcc, v119, v116
	s_and_saveexec_b64 s[0:1], vcc
	s_xor_b64 s[0:1], exec, s[0:1]
	s_cbranch_execz .LBB108_297
; %bb.292:
	v_cmp_eq_u32_e32 vcc, 17, v119
	s_and_saveexec_b64 s[2:3], vcc
	s_cbranch_execz .LBB108_296
; %bb.293:
	v_cmp_ne_u32_e32 vcc, 17, v116
	s_xor_b64 s[14:15], s[6:7], -1
	s_and_b64 s[16:17], s[14:15], vcc
	s_and_saveexec_b64 s[14:15], s[16:17]
	s_cbranch_execz .LBB108_295
; %bb.294:
	v_ashrrev_i32_e32 v117, 31, v116
	v_lshlrev_b64 v[124:125], 2, v[116:117]
	v_add_co_u32_e32 v124, vcc, v4, v124
	v_addc_co_u32_e32 v125, vcc, v5, v125, vcc
	flat_load_dword v117, v[124:125]
	flat_load_dword v119, v[4:5] offset:68
	s_waitcnt vmcnt(0) lgkmcnt(0)
	flat_store_dword v[4:5], v117 offset:68
	flat_store_dword v[124:125], v119
.LBB108_295:
	s_or_b64 exec, exec, s[14:15]
	v_mov_b32_e32 v117, v116
	v_mov_b32_e32 v119, v116
.LBB108_296:
	s_or_b64 exec, exec, s[2:3]
.LBB108_297:
	s_andn2_saveexec_b64 s[0:1], s[0:1]
	s_cbranch_execz .LBB108_299
; %bb.298:
	v_mov_b32_e32 v124, v74
	v_mov_b32_e32 v125, v75
	v_mov_b32_e32 v126, v72
	v_mov_b32_e32 v127, v73
	ds_write2_b64 v118, v[124:125], v[126:127] offset0:18 offset1:19
	v_mov_b32_e32 v124, v70
	v_mov_b32_e32 v125, v71
	v_mov_b32_e32 v126, v68
	v_mov_b32_e32 v127, v69
	ds_write2_b64 v118, v[124:125], v[126:127] offset0:20 offset1:21
	;; [unrolled: 5-line block ×17, first 2 shown]
	v_mov_b32_e32 v124, v6
	v_mov_b32_e32 v125, v7
	;; [unrolled: 1-line block ×5, first 2 shown]
	ds_write2_b64 v118, v[124:125], v[126:127] offset0:52 offset1:53
	ds_write_b64 v118, v[112:113] offset:432
.LBB108_299:
	s_or_b64 exec, exec, s[0:1]
	v_cmp_lt_i32_e32 vcc, 17, v119
	s_waitcnt lgkmcnt(0)
	s_barrier
	s_and_saveexec_b64 s[0:1], vcc
	s_cbranch_execz .LBB108_301
; %bb.300:
	ds_read2_b64 v[124:127], v118 offset0:18 offset1:19
	ds_read2_b64 v[128:131], v118 offset0:20 offset1:21
	;; [unrolled: 1-line block ×3, first 2 shown]
	v_mul_f64 v[76:77], v[114:115], v[76:77]
	ds_read_b64 v[114:115], v118 offset:432
	s_waitcnt lgkmcnt(0)
	v_fma_f64 v[74:75], -v[76:77], v[124:125], v[74:75]
	v_fma_f64 v[72:73], -v[76:77], v[126:127], v[72:73]
	ds_read2_b64 v[124:127], v118 offset0:24 offset1:25
	v_fma_f64 v[70:71], -v[76:77], v[128:129], v[70:71]
	v_fma_f64 v[68:69], -v[76:77], v[130:131], v[68:69]
	;; [unrolled: 1-line block ×3, first 2 shown]
	ds_read2_b64 v[128:131], v118 offset0:26 offset1:27
	v_fma_f64 v[64:65], -v[76:77], v[134:135], v[64:65]
	ds_read2_b64 v[132:135], v118 offset0:28 offset1:29
	s_waitcnt lgkmcnt(0)
	v_fma_f64 v[62:63], -v[76:77], v[124:125], v[62:63]
	v_fma_f64 v[60:61], -v[76:77], v[126:127], v[60:61]
	;; [unrolled: 1-line block ×3, first 2 shown]
	ds_read2_b64 v[124:127], v118 offset0:30 offset1:31
	v_fma_f64 v[56:57], -v[76:77], v[130:131], v[56:57]
	ds_read2_b64 v[128:131], v118 offset0:32 offset1:33
	v_fma_f64 v[54:55], -v[76:77], v[132:133], v[54:55]
	v_fma_f64 v[52:53], -v[76:77], v[134:135], v[52:53]
	ds_read2_b64 v[132:135], v118 offset0:34 offset1:35
	s_waitcnt lgkmcnt(0)
	v_fma_f64 v[50:51], -v[76:77], v[124:125], v[50:51]
	v_fma_f64 v[48:49], -v[76:77], v[126:127], v[48:49]
	ds_read2_b64 v[124:127], v118 offset0:36 offset1:37
	v_fma_f64 v[46:47], -v[76:77], v[128:129], v[46:47]
	v_fma_f64 v[44:45], -v[76:77], v[130:131], v[44:45]
	;; [unrolled: 1-line block ×3, first 2 shown]
	ds_read2_b64 v[128:131], v118 offset0:38 offset1:39
	v_fma_f64 v[40:41], -v[76:77], v[134:135], v[40:41]
	ds_read2_b64 v[132:135], v118 offset0:40 offset1:41
	s_waitcnt lgkmcnt(0)
	v_fma_f64 v[38:39], -v[76:77], v[124:125], v[38:39]
	v_fma_f64 v[36:37], -v[76:77], v[126:127], v[36:37]
	;; [unrolled: 1-line block ×3, first 2 shown]
	ds_read2_b64 v[124:127], v118 offset0:42 offset1:43
	v_fma_f64 v[32:33], -v[76:77], v[130:131], v[32:33]
	ds_read2_b64 v[128:131], v118 offset0:44 offset1:45
	v_fma_f64 v[30:31], -v[76:77], v[132:133], v[30:31]
	v_fma_f64 v[28:29], -v[76:77], v[134:135], v[28:29]
	ds_read2_b64 v[132:135], v118 offset0:46 offset1:47
	s_waitcnt lgkmcnt(0)
	v_fma_f64 v[26:27], -v[76:77], v[124:125], v[26:27]
	v_fma_f64 v[24:25], -v[76:77], v[126:127], v[24:25]
	ds_read2_b64 v[124:127], v118 offset0:48 offset1:49
	v_fma_f64 v[22:23], -v[76:77], v[128:129], v[22:23]
	v_fma_f64 v[20:21], -v[76:77], v[130:131], v[20:21]
	;; [unrolled: 1-line block ×4, first 2 shown]
	ds_read2_b64 v[128:131], v118 offset0:50 offset1:51
	ds_read2_b64 v[132:135], v118 offset0:52 offset1:53
	s_waitcnt lgkmcnt(0)
	v_fma_f64 v[14:15], -v[76:77], v[124:125], v[14:15]
	v_fma_f64 v[12:13], -v[76:77], v[126:127], v[12:13]
	;; [unrolled: 1-line block ×7, first 2 shown]
.LBB108_301:
	s_or_b64 exec, exec, s[0:1]
	v_lshl_add_u32 v114, v119, 3, v118
	s_barrier
	ds_write_b64 v114, v[74:75]
	s_waitcnt lgkmcnt(0)
	s_barrier
	ds_read_b64 v[114:115], v118 offset:144
	s_cmp_lt_i32 s18, 20
	v_mov_b32_e32 v116, 18
	s_cbranch_scc1 .LBB108_304
; %bb.302:
	v_add_u32_e32 v123, 0x98, v118
	s_mov_b32 s0, 19
	v_mov_b32_e32 v116, 18
.LBB108_303:                            ; =>This Inner Loop Header: Depth=1
	ds_read_b64 v[124:125], v123
	v_mov_b32_e32 v126, s0
	s_add_i32 s0, s0, 1
	v_add_u32_e32 v123, 8, v123
	s_cmp_lg_u32 s18, s0
	s_waitcnt lgkmcnt(0)
	v_cmp_lt_f64_e64 vcc, |v[114:115]|, |v[124:125]|
	v_cndmask_b32_e32 v115, v115, v125, vcc
	v_cndmask_b32_e32 v114, v114, v124, vcc
	;; [unrolled: 1-line block ×3, first 2 shown]
	s_cbranch_scc1 .LBB108_303
.LBB108_304:
	s_waitcnt lgkmcnt(0)
	v_cmp_eq_f64_e32 vcc, 0, v[114:115]
	s_and_saveexec_b64 s[0:1], vcc
	s_xor_b64 s[0:1], exec, s[0:1]
; %bb.305:
	v_cmp_ne_u32_e32 vcc, 0, v122
	v_cndmask_b32_e32 v122, 19, v122, vcc
; %bb.306:
	s_andn2_saveexec_b64 s[0:1], s[0:1]
; %bb.307:
	v_div_scale_f64 v[124:125], s[2:3], v[114:115], v[114:115], 1.0
	v_rcp_f64_e32 v[126:127], v[124:125]
	v_div_scale_f64 v[128:129], vcc, 1.0, v[114:115], 1.0
	v_fma_f64 v[130:131], -v[124:125], v[126:127], 1.0
	v_fmac_f64_e32 v[126:127], v[126:127], v[130:131]
	v_fma_f64 v[130:131], -v[124:125], v[126:127], 1.0
	v_fmac_f64_e32 v[126:127], v[126:127], v[130:131]
	v_mul_f64 v[130:131], v[128:129], v[126:127]
	v_fma_f64 v[124:125], -v[124:125], v[130:131], v[128:129]
	v_div_fmas_f64 v[124:125], v[124:125], v[126:127], v[130:131]
	v_div_fixup_f64 v[114:115], v[124:125], v[114:115], 1.0
; %bb.308:
	s_or_b64 exec, exec, s[0:1]
	v_cmp_ne_u32_e32 vcc, v119, v116
	s_and_saveexec_b64 s[0:1], vcc
	s_xor_b64 s[0:1], exec, s[0:1]
	s_cbranch_execz .LBB108_314
; %bb.309:
	v_cmp_eq_u32_e32 vcc, 18, v119
	s_and_saveexec_b64 s[2:3], vcc
	s_cbranch_execz .LBB108_313
; %bb.310:
	v_cmp_ne_u32_e32 vcc, 18, v116
	s_xor_b64 s[14:15], s[6:7], -1
	s_and_b64 s[16:17], s[14:15], vcc
	s_and_saveexec_b64 s[14:15], s[16:17]
	s_cbranch_execz .LBB108_312
; %bb.311:
	v_ashrrev_i32_e32 v117, 31, v116
	v_lshlrev_b64 v[124:125], 2, v[116:117]
	v_add_co_u32_e32 v124, vcc, v4, v124
	v_addc_co_u32_e32 v125, vcc, v5, v125, vcc
	flat_load_dword v117, v[124:125]
	flat_load_dword v119, v[4:5] offset:72
	s_waitcnt vmcnt(0) lgkmcnt(0)
	flat_store_dword v[4:5], v117 offset:72
	flat_store_dword v[124:125], v119
.LBB108_312:
	s_or_b64 exec, exec, s[14:15]
	v_mov_b32_e32 v117, v116
	v_mov_b32_e32 v119, v116
.LBB108_313:
	s_or_b64 exec, exec, s[2:3]
.LBB108_314:
	s_andn2_saveexec_b64 s[0:1], s[0:1]
	s_cbranch_execz .LBB108_316
; %bb.315:
	v_mov_b32_e32 v119, 18
	ds_write2_b64 v118, v[72:73], v[70:71] offset0:19 offset1:20
	ds_write2_b64 v118, v[68:69], v[66:67] offset0:21 offset1:22
	ds_write2_b64 v118, v[64:65], v[62:63] offset0:23 offset1:24
	ds_write2_b64 v118, v[60:61], v[58:59] offset0:25 offset1:26
	ds_write2_b64 v118, v[56:57], v[54:55] offset0:27 offset1:28
	ds_write2_b64 v118, v[52:53], v[50:51] offset0:29 offset1:30
	ds_write2_b64 v118, v[48:49], v[46:47] offset0:31 offset1:32
	ds_write2_b64 v118, v[44:45], v[42:43] offset0:33 offset1:34
	ds_write2_b64 v118, v[40:41], v[38:39] offset0:35 offset1:36
	ds_write2_b64 v118, v[36:37], v[34:35] offset0:37 offset1:38
	ds_write2_b64 v118, v[32:33], v[30:31] offset0:39 offset1:40
	ds_write2_b64 v118, v[28:29], v[26:27] offset0:41 offset1:42
	ds_write2_b64 v118, v[24:25], v[22:23] offset0:43 offset1:44
	ds_write2_b64 v118, v[20:21], v[18:19] offset0:45 offset1:46
	ds_write2_b64 v118, v[16:17], v[14:15] offset0:47 offset1:48
	ds_write2_b64 v118, v[12:13], v[10:11] offset0:49 offset1:50
	ds_write2_b64 v118, v[8:9], v[6:7] offset0:51 offset1:52
	ds_write2_b64 v118, v[0:1], v[112:113] offset0:53 offset1:54
.LBB108_316:
	s_or_b64 exec, exec, s[0:1]
	v_cmp_lt_i32_e32 vcc, 18, v119
	s_waitcnt lgkmcnt(0)
	s_barrier
	s_and_saveexec_b64 s[0:1], vcc
	s_cbranch_execz .LBB108_318
; %bb.317:
	ds_read2_b64 v[124:127], v118 offset0:19 offset1:20
	ds_read2_b64 v[128:131], v118 offset0:21 offset1:22
	;; [unrolled: 1-line block ×3, first 2 shown]
	v_mul_f64 v[74:75], v[114:115], v[74:75]
	s_waitcnt lgkmcnt(0)
	v_fma_f64 v[72:73], -v[74:75], v[124:125], v[72:73]
	v_fma_f64 v[70:71], -v[74:75], v[126:127], v[70:71]
	ds_read2_b64 v[124:127], v118 offset0:25 offset1:26
	v_fma_f64 v[68:69], -v[74:75], v[128:129], v[68:69]
	v_fma_f64 v[66:67], -v[74:75], v[130:131], v[66:67]
	;; [unrolled: 1-line block ×3, first 2 shown]
	ds_read2_b64 v[128:131], v118 offset0:27 offset1:28
	v_fma_f64 v[62:63], -v[74:75], v[134:135], v[62:63]
	ds_read2_b64 v[132:135], v118 offset0:29 offset1:30
	s_waitcnt lgkmcnt(0)
	v_fma_f64 v[60:61], -v[74:75], v[124:125], v[60:61]
	v_fma_f64 v[58:59], -v[74:75], v[126:127], v[58:59]
	;; [unrolled: 1-line block ×3, first 2 shown]
	ds_read2_b64 v[124:127], v118 offset0:31 offset1:32
	v_fma_f64 v[54:55], -v[74:75], v[130:131], v[54:55]
	ds_read2_b64 v[128:131], v118 offset0:33 offset1:34
	v_fma_f64 v[52:53], -v[74:75], v[132:133], v[52:53]
	v_fma_f64 v[50:51], -v[74:75], v[134:135], v[50:51]
	ds_read2_b64 v[132:135], v118 offset0:35 offset1:36
	s_waitcnt lgkmcnt(0)
	v_fma_f64 v[48:49], -v[74:75], v[124:125], v[48:49]
	v_fma_f64 v[46:47], -v[74:75], v[126:127], v[46:47]
	ds_read2_b64 v[124:127], v118 offset0:37 offset1:38
	v_fma_f64 v[44:45], -v[74:75], v[128:129], v[44:45]
	v_fma_f64 v[42:43], -v[74:75], v[130:131], v[42:43]
	;; [unrolled: 1-line block ×3, first 2 shown]
	ds_read2_b64 v[128:131], v118 offset0:39 offset1:40
	v_fma_f64 v[38:39], -v[74:75], v[134:135], v[38:39]
	ds_read2_b64 v[132:135], v118 offset0:41 offset1:42
	s_waitcnt lgkmcnt(0)
	v_fma_f64 v[36:37], -v[74:75], v[124:125], v[36:37]
	v_fma_f64 v[34:35], -v[74:75], v[126:127], v[34:35]
	;; [unrolled: 1-line block ×3, first 2 shown]
	ds_read2_b64 v[124:127], v118 offset0:43 offset1:44
	v_fma_f64 v[30:31], -v[74:75], v[130:131], v[30:31]
	ds_read2_b64 v[128:131], v118 offset0:45 offset1:46
	v_fma_f64 v[28:29], -v[74:75], v[132:133], v[28:29]
	v_fma_f64 v[26:27], -v[74:75], v[134:135], v[26:27]
	ds_read2_b64 v[132:135], v118 offset0:47 offset1:48
	s_waitcnt lgkmcnt(0)
	v_fma_f64 v[24:25], -v[74:75], v[124:125], v[24:25]
	v_fma_f64 v[22:23], -v[74:75], v[126:127], v[22:23]
	ds_read2_b64 v[124:127], v118 offset0:49 offset1:50
	v_fma_f64 v[20:21], -v[74:75], v[128:129], v[20:21]
	v_fma_f64 v[18:19], -v[74:75], v[130:131], v[18:19]
	;; [unrolled: 1-line block ×3, first 2 shown]
	ds_read2_b64 v[128:131], v118 offset0:51 offset1:52
	v_fma_f64 v[14:15], -v[74:75], v[134:135], v[14:15]
	ds_read2_b64 v[132:135], v118 offset0:53 offset1:54
	s_waitcnt lgkmcnt(0)
	v_fma_f64 v[12:13], -v[74:75], v[124:125], v[12:13]
	v_fma_f64 v[10:11], -v[74:75], v[126:127], v[10:11]
	;; [unrolled: 1-line block ×6, first 2 shown]
.LBB108_318:
	s_or_b64 exec, exec, s[0:1]
	v_lshl_add_u32 v114, v119, 3, v118
	s_barrier
	ds_write_b64 v114, v[72:73]
	s_waitcnt lgkmcnt(0)
	s_barrier
	ds_read_b64 v[114:115], v118 offset:152
	s_cmp_lt_i32 s18, 21
	v_mov_b32_e32 v116, 19
	s_cbranch_scc1 .LBB108_321
; %bb.319:
	v_add_u32_e32 v123, 0xa0, v118
	s_mov_b32 s0, 20
	v_mov_b32_e32 v116, 19
.LBB108_320:                            ; =>This Inner Loop Header: Depth=1
	ds_read_b64 v[124:125], v123
	v_mov_b32_e32 v126, s0
	s_add_i32 s0, s0, 1
	v_add_u32_e32 v123, 8, v123
	s_cmp_lg_u32 s18, s0
	s_waitcnt lgkmcnt(0)
	v_cmp_lt_f64_e64 vcc, |v[114:115]|, |v[124:125]|
	v_cndmask_b32_e32 v115, v115, v125, vcc
	v_cndmask_b32_e32 v114, v114, v124, vcc
	;; [unrolled: 1-line block ×3, first 2 shown]
	s_cbranch_scc1 .LBB108_320
.LBB108_321:
	s_waitcnt lgkmcnt(0)
	v_cmp_eq_f64_e32 vcc, 0, v[114:115]
	s_and_saveexec_b64 s[0:1], vcc
	s_xor_b64 s[0:1], exec, s[0:1]
; %bb.322:
	v_cmp_ne_u32_e32 vcc, 0, v122
	v_cndmask_b32_e32 v122, 20, v122, vcc
; %bb.323:
	s_andn2_saveexec_b64 s[0:1], s[0:1]
; %bb.324:
	v_div_scale_f64 v[124:125], s[2:3], v[114:115], v[114:115], 1.0
	v_rcp_f64_e32 v[126:127], v[124:125]
	v_div_scale_f64 v[128:129], vcc, 1.0, v[114:115], 1.0
	v_fma_f64 v[130:131], -v[124:125], v[126:127], 1.0
	v_fmac_f64_e32 v[126:127], v[126:127], v[130:131]
	v_fma_f64 v[130:131], -v[124:125], v[126:127], 1.0
	v_fmac_f64_e32 v[126:127], v[126:127], v[130:131]
	v_mul_f64 v[130:131], v[128:129], v[126:127]
	v_fma_f64 v[124:125], -v[124:125], v[130:131], v[128:129]
	v_div_fmas_f64 v[124:125], v[124:125], v[126:127], v[130:131]
	v_div_fixup_f64 v[114:115], v[124:125], v[114:115], 1.0
; %bb.325:
	s_or_b64 exec, exec, s[0:1]
	v_cmp_ne_u32_e32 vcc, v119, v116
	s_and_saveexec_b64 s[0:1], vcc
	s_xor_b64 s[0:1], exec, s[0:1]
	s_cbranch_execz .LBB108_331
; %bb.326:
	v_cmp_eq_u32_e32 vcc, 19, v119
	s_and_saveexec_b64 s[2:3], vcc
	s_cbranch_execz .LBB108_330
; %bb.327:
	v_cmp_ne_u32_e32 vcc, 19, v116
	s_xor_b64 s[14:15], s[6:7], -1
	s_and_b64 s[16:17], s[14:15], vcc
	s_and_saveexec_b64 s[14:15], s[16:17]
	s_cbranch_execz .LBB108_329
; %bb.328:
	v_ashrrev_i32_e32 v117, 31, v116
	v_lshlrev_b64 v[124:125], 2, v[116:117]
	v_add_co_u32_e32 v124, vcc, v4, v124
	v_addc_co_u32_e32 v125, vcc, v5, v125, vcc
	flat_load_dword v117, v[124:125]
	flat_load_dword v119, v[4:5] offset:76
	s_waitcnt vmcnt(0) lgkmcnt(0)
	flat_store_dword v[4:5], v117 offset:76
	flat_store_dword v[124:125], v119
.LBB108_329:
	s_or_b64 exec, exec, s[14:15]
	v_mov_b32_e32 v117, v116
	v_mov_b32_e32 v119, v116
.LBB108_330:
	s_or_b64 exec, exec, s[2:3]
.LBB108_331:
	s_andn2_saveexec_b64 s[0:1], s[0:1]
	s_cbranch_execz .LBB108_333
; %bb.332:
	v_mov_b32_e32 v124, v70
	v_mov_b32_e32 v125, v71
	v_mov_b32_e32 v126, v68
	v_mov_b32_e32 v127, v69
	ds_write2_b64 v118, v[124:125], v[126:127] offset0:20 offset1:21
	v_mov_b32_e32 v124, v66
	v_mov_b32_e32 v125, v67
	v_mov_b32_e32 v126, v64
	v_mov_b32_e32 v127, v65
	ds_write2_b64 v118, v[124:125], v[126:127] offset0:22 offset1:23
	;; [unrolled: 5-line block ×16, first 2 shown]
	v_mov_b32_e32 v124, v6
	v_mov_b32_e32 v125, v7
	;; [unrolled: 1-line block ×5, first 2 shown]
	ds_write2_b64 v118, v[124:125], v[126:127] offset0:52 offset1:53
	ds_write_b64 v118, v[112:113] offset:432
.LBB108_333:
	s_or_b64 exec, exec, s[0:1]
	v_cmp_lt_i32_e32 vcc, 19, v119
	s_waitcnt lgkmcnt(0)
	s_barrier
	s_and_saveexec_b64 s[0:1], vcc
	s_cbranch_execz .LBB108_335
; %bb.334:
	ds_read2_b64 v[124:127], v118 offset0:20 offset1:21
	ds_read2_b64 v[128:131], v118 offset0:22 offset1:23
	v_mul_f64 v[72:73], v[114:115], v[72:73]
	ds_read2_b64 v[132:135], v118 offset0:24 offset1:25
	ds_read_b64 v[114:115], v118 offset:432
	s_waitcnt lgkmcnt(0)
	v_fma_f64 v[70:71], -v[72:73], v[124:125], v[70:71]
	v_fma_f64 v[68:69], -v[72:73], v[126:127], v[68:69]
	ds_read2_b64 v[124:127], v118 offset0:26 offset1:27
	v_fma_f64 v[66:67], -v[72:73], v[128:129], v[66:67]
	v_fma_f64 v[64:65], -v[72:73], v[130:131], v[64:65]
	ds_read2_b64 v[128:131], v118 offset0:28 offset1:29
	;; [unrolled: 3-line block ×3, first 2 shown]
	s_waitcnt lgkmcnt(0)
	v_fma_f64 v[58:59], -v[72:73], v[124:125], v[58:59]
	v_fma_f64 v[56:57], -v[72:73], v[126:127], v[56:57]
	;; [unrolled: 1-line block ×3, first 2 shown]
	ds_read2_b64 v[124:127], v118 offset0:32 offset1:33
	v_fma_f64 v[52:53], -v[72:73], v[130:131], v[52:53]
	ds_read2_b64 v[128:131], v118 offset0:34 offset1:35
	v_fma_f64 v[50:51], -v[72:73], v[132:133], v[50:51]
	v_fma_f64 v[48:49], -v[72:73], v[134:135], v[48:49]
	s_waitcnt lgkmcnt(0)
	v_fma_f64 v[46:47], -v[72:73], v[124:125], v[46:47]
	ds_read2_b64 v[132:135], v118 offset0:36 offset1:37
	v_fma_f64 v[44:45], -v[72:73], v[126:127], v[44:45]
	ds_read2_b64 v[124:127], v118 offset0:38 offset1:39
	v_fma_f64 v[42:43], -v[72:73], v[128:129], v[42:43]
	v_fma_f64 v[40:41], -v[72:73], v[130:131], v[40:41]
	ds_read2_b64 v[128:131], v118 offset0:40 offset1:41
	s_waitcnt lgkmcnt(0)
	v_fma_f64 v[38:39], -v[72:73], v[132:133], v[38:39]
	v_fma_f64 v[36:37], -v[72:73], v[134:135], v[36:37]
	ds_read2_b64 v[132:135], v118 offset0:42 offset1:43
	v_fma_f64 v[34:35], -v[72:73], v[124:125], v[34:35]
	v_fma_f64 v[32:33], -v[72:73], v[126:127], v[32:33]
	;; [unrolled: 1-line block ×3, first 2 shown]
	ds_read2_b64 v[124:127], v118 offset0:44 offset1:45
	v_fma_f64 v[28:29], -v[72:73], v[130:131], v[28:29]
	ds_read2_b64 v[128:131], v118 offset0:46 offset1:47
	s_waitcnt lgkmcnt(0)
	v_fma_f64 v[26:27], -v[72:73], v[132:133], v[26:27]
	v_fma_f64 v[24:25], -v[72:73], v[134:135], v[24:25]
	;; [unrolled: 1-line block ×3, first 2 shown]
	ds_read2_b64 v[132:135], v118 offset0:48 offset1:49
	v_fma_f64 v[20:21], -v[72:73], v[126:127], v[20:21]
	ds_read2_b64 v[124:127], v118 offset0:50 offset1:51
	v_fma_f64 v[18:19], -v[72:73], v[128:129], v[18:19]
	v_fma_f64 v[16:17], -v[72:73], v[130:131], v[16:17]
	ds_read2_b64 v[128:131], v118 offset0:52 offset1:53
	s_waitcnt lgkmcnt(0)
	v_fma_f64 v[14:15], -v[72:73], v[132:133], v[14:15]
	v_fma_f64 v[12:13], -v[72:73], v[134:135], v[12:13]
	;; [unrolled: 1-line block ×7, first 2 shown]
.LBB108_335:
	s_or_b64 exec, exec, s[0:1]
	v_lshl_add_u32 v114, v119, 3, v118
	s_barrier
	ds_write_b64 v114, v[70:71]
	s_waitcnt lgkmcnt(0)
	s_barrier
	ds_read_b64 v[114:115], v118 offset:160
	s_cmp_lt_i32 s18, 22
	v_mov_b32_e32 v116, 20
	s_cbranch_scc1 .LBB108_338
; %bb.336:
	v_add_u32_e32 v123, 0xa8, v118
	s_mov_b32 s0, 21
	v_mov_b32_e32 v116, 20
.LBB108_337:                            ; =>This Inner Loop Header: Depth=1
	ds_read_b64 v[124:125], v123
	v_mov_b32_e32 v126, s0
	s_add_i32 s0, s0, 1
	v_add_u32_e32 v123, 8, v123
	s_cmp_lg_u32 s18, s0
	s_waitcnt lgkmcnt(0)
	v_cmp_lt_f64_e64 vcc, |v[114:115]|, |v[124:125]|
	v_cndmask_b32_e32 v115, v115, v125, vcc
	v_cndmask_b32_e32 v114, v114, v124, vcc
	;; [unrolled: 1-line block ×3, first 2 shown]
	s_cbranch_scc1 .LBB108_337
.LBB108_338:
	s_waitcnt lgkmcnt(0)
	v_cmp_eq_f64_e32 vcc, 0, v[114:115]
	s_and_saveexec_b64 s[0:1], vcc
	s_xor_b64 s[0:1], exec, s[0:1]
; %bb.339:
	v_cmp_ne_u32_e32 vcc, 0, v122
	v_cndmask_b32_e32 v122, 21, v122, vcc
; %bb.340:
	s_andn2_saveexec_b64 s[0:1], s[0:1]
; %bb.341:
	v_div_scale_f64 v[124:125], s[2:3], v[114:115], v[114:115], 1.0
	v_rcp_f64_e32 v[126:127], v[124:125]
	v_div_scale_f64 v[128:129], vcc, 1.0, v[114:115], 1.0
	v_fma_f64 v[130:131], -v[124:125], v[126:127], 1.0
	v_fmac_f64_e32 v[126:127], v[126:127], v[130:131]
	v_fma_f64 v[130:131], -v[124:125], v[126:127], 1.0
	v_fmac_f64_e32 v[126:127], v[126:127], v[130:131]
	v_mul_f64 v[130:131], v[128:129], v[126:127]
	v_fma_f64 v[124:125], -v[124:125], v[130:131], v[128:129]
	v_div_fmas_f64 v[124:125], v[124:125], v[126:127], v[130:131]
	v_div_fixup_f64 v[114:115], v[124:125], v[114:115], 1.0
; %bb.342:
	s_or_b64 exec, exec, s[0:1]
	v_cmp_ne_u32_e32 vcc, v119, v116
	s_and_saveexec_b64 s[0:1], vcc
	s_xor_b64 s[0:1], exec, s[0:1]
	s_cbranch_execz .LBB108_348
; %bb.343:
	v_cmp_eq_u32_e32 vcc, 20, v119
	s_and_saveexec_b64 s[2:3], vcc
	s_cbranch_execz .LBB108_347
; %bb.344:
	v_cmp_ne_u32_e32 vcc, 20, v116
	s_xor_b64 s[14:15], s[6:7], -1
	s_and_b64 s[16:17], s[14:15], vcc
	s_and_saveexec_b64 s[14:15], s[16:17]
	s_cbranch_execz .LBB108_346
; %bb.345:
	v_ashrrev_i32_e32 v117, 31, v116
	v_lshlrev_b64 v[124:125], 2, v[116:117]
	v_add_co_u32_e32 v124, vcc, v4, v124
	v_addc_co_u32_e32 v125, vcc, v5, v125, vcc
	flat_load_dword v117, v[124:125]
	flat_load_dword v119, v[4:5] offset:80
	s_waitcnt vmcnt(0) lgkmcnt(0)
	flat_store_dword v[4:5], v117 offset:80
	flat_store_dword v[124:125], v119
.LBB108_346:
	s_or_b64 exec, exec, s[14:15]
	v_mov_b32_e32 v117, v116
	v_mov_b32_e32 v119, v116
.LBB108_347:
	s_or_b64 exec, exec, s[2:3]
.LBB108_348:
	s_andn2_saveexec_b64 s[0:1], s[0:1]
	s_cbranch_execz .LBB108_350
; %bb.349:
	v_mov_b32_e32 v119, 20
	ds_write2_b64 v118, v[68:69], v[66:67] offset0:21 offset1:22
	ds_write2_b64 v118, v[64:65], v[62:63] offset0:23 offset1:24
	ds_write2_b64 v118, v[60:61], v[58:59] offset0:25 offset1:26
	ds_write2_b64 v118, v[56:57], v[54:55] offset0:27 offset1:28
	ds_write2_b64 v118, v[52:53], v[50:51] offset0:29 offset1:30
	ds_write2_b64 v118, v[48:49], v[46:47] offset0:31 offset1:32
	ds_write2_b64 v118, v[44:45], v[42:43] offset0:33 offset1:34
	ds_write2_b64 v118, v[40:41], v[38:39] offset0:35 offset1:36
	ds_write2_b64 v118, v[36:37], v[34:35] offset0:37 offset1:38
	ds_write2_b64 v118, v[32:33], v[30:31] offset0:39 offset1:40
	ds_write2_b64 v118, v[28:29], v[26:27] offset0:41 offset1:42
	ds_write2_b64 v118, v[24:25], v[22:23] offset0:43 offset1:44
	ds_write2_b64 v118, v[20:21], v[18:19] offset0:45 offset1:46
	ds_write2_b64 v118, v[16:17], v[14:15] offset0:47 offset1:48
	ds_write2_b64 v118, v[12:13], v[10:11] offset0:49 offset1:50
	ds_write2_b64 v118, v[8:9], v[6:7] offset0:51 offset1:52
	ds_write2_b64 v118, v[0:1], v[112:113] offset0:53 offset1:54
.LBB108_350:
	s_or_b64 exec, exec, s[0:1]
	v_cmp_lt_i32_e32 vcc, 20, v119
	s_waitcnt lgkmcnt(0)
	s_barrier
	s_and_saveexec_b64 s[0:1], vcc
	s_cbranch_execz .LBB108_352
; %bb.351:
	ds_read2_b64 v[124:127], v118 offset0:21 offset1:22
	ds_read2_b64 v[128:131], v118 offset0:23 offset1:24
	v_mul_f64 v[70:71], v[114:115], v[70:71]
	ds_read2_b64 v[132:135], v118 offset0:25 offset1:26
	s_waitcnt lgkmcnt(0)
	v_fma_f64 v[68:69], -v[70:71], v[124:125], v[68:69]
	v_fma_f64 v[66:67], -v[70:71], v[126:127], v[66:67]
	ds_read2_b64 v[124:127], v118 offset0:27 offset1:28
	v_fma_f64 v[64:65], -v[70:71], v[128:129], v[64:65]
	v_fma_f64 v[62:63], -v[70:71], v[130:131], v[62:63]
	ds_read2_b64 v[128:131], v118 offset0:29 offset1:30
	;; [unrolled: 3-line block ×3, first 2 shown]
	s_waitcnt lgkmcnt(0)
	v_fma_f64 v[56:57], -v[70:71], v[124:125], v[56:57]
	v_fma_f64 v[54:55], -v[70:71], v[126:127], v[54:55]
	;; [unrolled: 1-line block ×3, first 2 shown]
	ds_read2_b64 v[124:127], v118 offset0:33 offset1:34
	v_fma_f64 v[50:51], -v[70:71], v[130:131], v[50:51]
	ds_read2_b64 v[128:131], v118 offset0:35 offset1:36
	v_fma_f64 v[48:49], -v[70:71], v[132:133], v[48:49]
	v_fma_f64 v[46:47], -v[70:71], v[134:135], v[46:47]
	s_waitcnt lgkmcnt(0)
	v_fma_f64 v[44:45], -v[70:71], v[124:125], v[44:45]
	ds_read2_b64 v[132:135], v118 offset0:37 offset1:38
	v_fma_f64 v[42:43], -v[70:71], v[126:127], v[42:43]
	ds_read2_b64 v[124:127], v118 offset0:39 offset1:40
	v_fma_f64 v[40:41], -v[70:71], v[128:129], v[40:41]
	v_fma_f64 v[38:39], -v[70:71], v[130:131], v[38:39]
	ds_read2_b64 v[128:131], v118 offset0:41 offset1:42
	s_waitcnt lgkmcnt(0)
	v_fma_f64 v[36:37], -v[70:71], v[132:133], v[36:37]
	v_fma_f64 v[34:35], -v[70:71], v[134:135], v[34:35]
	ds_read2_b64 v[132:135], v118 offset0:43 offset1:44
	v_fma_f64 v[32:33], -v[70:71], v[124:125], v[32:33]
	v_fma_f64 v[30:31], -v[70:71], v[126:127], v[30:31]
	;; [unrolled: 1-line block ×3, first 2 shown]
	ds_read2_b64 v[124:127], v118 offset0:45 offset1:46
	v_fma_f64 v[26:27], -v[70:71], v[130:131], v[26:27]
	ds_read2_b64 v[128:131], v118 offset0:47 offset1:48
	s_waitcnt lgkmcnt(0)
	v_fma_f64 v[24:25], -v[70:71], v[132:133], v[24:25]
	v_fma_f64 v[22:23], -v[70:71], v[134:135], v[22:23]
	;; [unrolled: 1-line block ×4, first 2 shown]
	ds_read2_b64 v[124:127], v118 offset0:49 offset1:50
	ds_read2_b64 v[132:135], v118 offset0:51 offset1:52
	v_fma_f64 v[16:17], -v[70:71], v[128:129], v[16:17]
	v_fma_f64 v[14:15], -v[70:71], v[130:131], v[14:15]
	ds_read2_b64 v[128:131], v118 offset0:53 offset1:54
	s_waitcnt lgkmcnt(0)
	v_fma_f64 v[12:13], -v[70:71], v[124:125], v[12:13]
	v_fma_f64 v[10:11], -v[70:71], v[126:127], v[10:11]
	v_fma_f64 v[8:9], -v[70:71], v[132:133], v[8:9]
	v_fma_f64 v[6:7], -v[70:71], v[134:135], v[6:7]
	v_fma_f64 v[0:1], -v[70:71], v[128:129], v[0:1]
	v_fma_f64 v[112:113], -v[70:71], v[130:131], v[112:113]
.LBB108_352:
	s_or_b64 exec, exec, s[0:1]
	v_lshl_add_u32 v114, v119, 3, v118
	s_barrier
	ds_write_b64 v114, v[68:69]
	s_waitcnt lgkmcnt(0)
	s_barrier
	ds_read_b64 v[114:115], v118 offset:168
	s_cmp_lt_i32 s18, 23
	v_mov_b32_e32 v116, 21
	s_cbranch_scc1 .LBB108_355
; %bb.353:
	v_add_u32_e32 v123, 0xb0, v118
	s_mov_b32 s0, 22
	v_mov_b32_e32 v116, 21
.LBB108_354:                            ; =>This Inner Loop Header: Depth=1
	ds_read_b64 v[124:125], v123
	v_mov_b32_e32 v126, s0
	s_add_i32 s0, s0, 1
	v_add_u32_e32 v123, 8, v123
	s_cmp_lg_u32 s18, s0
	s_waitcnt lgkmcnt(0)
	v_cmp_lt_f64_e64 vcc, |v[114:115]|, |v[124:125]|
	v_cndmask_b32_e32 v115, v115, v125, vcc
	v_cndmask_b32_e32 v114, v114, v124, vcc
	;; [unrolled: 1-line block ×3, first 2 shown]
	s_cbranch_scc1 .LBB108_354
.LBB108_355:
	s_waitcnt lgkmcnt(0)
	v_cmp_eq_f64_e32 vcc, 0, v[114:115]
	s_and_saveexec_b64 s[0:1], vcc
	s_xor_b64 s[0:1], exec, s[0:1]
; %bb.356:
	v_cmp_ne_u32_e32 vcc, 0, v122
	v_cndmask_b32_e32 v122, 22, v122, vcc
; %bb.357:
	s_andn2_saveexec_b64 s[0:1], s[0:1]
; %bb.358:
	v_div_scale_f64 v[124:125], s[2:3], v[114:115], v[114:115], 1.0
	v_rcp_f64_e32 v[126:127], v[124:125]
	v_div_scale_f64 v[128:129], vcc, 1.0, v[114:115], 1.0
	v_fma_f64 v[130:131], -v[124:125], v[126:127], 1.0
	v_fmac_f64_e32 v[126:127], v[126:127], v[130:131]
	v_fma_f64 v[130:131], -v[124:125], v[126:127], 1.0
	v_fmac_f64_e32 v[126:127], v[126:127], v[130:131]
	v_mul_f64 v[130:131], v[128:129], v[126:127]
	v_fma_f64 v[124:125], -v[124:125], v[130:131], v[128:129]
	v_div_fmas_f64 v[124:125], v[124:125], v[126:127], v[130:131]
	v_div_fixup_f64 v[114:115], v[124:125], v[114:115], 1.0
; %bb.359:
	s_or_b64 exec, exec, s[0:1]
	v_cmp_ne_u32_e32 vcc, v119, v116
	s_and_saveexec_b64 s[0:1], vcc
	s_xor_b64 s[0:1], exec, s[0:1]
	s_cbranch_execz .LBB108_365
; %bb.360:
	v_cmp_eq_u32_e32 vcc, 21, v119
	s_and_saveexec_b64 s[2:3], vcc
	s_cbranch_execz .LBB108_364
; %bb.361:
	v_cmp_ne_u32_e32 vcc, 21, v116
	s_xor_b64 s[14:15], s[6:7], -1
	s_and_b64 s[16:17], s[14:15], vcc
	s_and_saveexec_b64 s[14:15], s[16:17]
	s_cbranch_execz .LBB108_363
; %bb.362:
	v_ashrrev_i32_e32 v117, 31, v116
	v_lshlrev_b64 v[124:125], 2, v[116:117]
	v_add_co_u32_e32 v124, vcc, v4, v124
	v_addc_co_u32_e32 v125, vcc, v5, v125, vcc
	flat_load_dword v117, v[124:125]
	flat_load_dword v119, v[4:5] offset:84
	s_waitcnt vmcnt(0) lgkmcnt(0)
	flat_store_dword v[4:5], v117 offset:84
	flat_store_dword v[124:125], v119
.LBB108_363:
	s_or_b64 exec, exec, s[14:15]
	v_mov_b32_e32 v117, v116
	v_mov_b32_e32 v119, v116
.LBB108_364:
	s_or_b64 exec, exec, s[2:3]
.LBB108_365:
	s_andn2_saveexec_b64 s[0:1], s[0:1]
	s_cbranch_execz .LBB108_367
; %bb.366:
	v_mov_b32_e32 v124, v66
	v_mov_b32_e32 v125, v67
	v_mov_b32_e32 v126, v64
	v_mov_b32_e32 v127, v65
	ds_write2_b64 v118, v[124:125], v[126:127] offset0:22 offset1:23
	v_mov_b32_e32 v124, v62
	v_mov_b32_e32 v125, v63
	v_mov_b32_e32 v126, v60
	v_mov_b32_e32 v127, v61
	ds_write2_b64 v118, v[124:125], v[126:127] offset0:24 offset1:25
	v_mov_b32_e32 v124, v58
	v_mov_b32_e32 v125, v59
	v_mov_b32_e32 v126, v56
	v_mov_b32_e32 v127, v57
	ds_write2_b64 v118, v[124:125], v[126:127] offset0:26 offset1:27
	v_mov_b32_e32 v124, v54
	v_mov_b32_e32 v125, v55
	v_mov_b32_e32 v126, v52
	v_mov_b32_e32 v127, v53
	ds_write2_b64 v118, v[124:125], v[126:127] offset0:28 offset1:29
	v_mov_b32_e32 v124, v50
	v_mov_b32_e32 v125, v51
	v_mov_b32_e32 v126, v48
	v_mov_b32_e32 v127, v49
	ds_write2_b64 v118, v[124:125], v[126:127] offset0:30 offset1:31
	v_mov_b32_e32 v124, v46
	v_mov_b32_e32 v125, v47
	v_mov_b32_e32 v126, v44
	v_mov_b32_e32 v127, v45
	ds_write2_b64 v118, v[124:125], v[126:127] offset0:32 offset1:33
	v_mov_b32_e32 v124, v42
	v_mov_b32_e32 v125, v43
	v_mov_b32_e32 v126, v40
	v_mov_b32_e32 v127, v41
	ds_write2_b64 v118, v[124:125], v[126:127] offset0:34 offset1:35
	v_mov_b32_e32 v124, v38
	v_mov_b32_e32 v125, v39
	v_mov_b32_e32 v126, v36
	v_mov_b32_e32 v127, v37
	ds_write2_b64 v118, v[124:125], v[126:127] offset0:36 offset1:37
	v_mov_b32_e32 v124, v34
	v_mov_b32_e32 v125, v35
	v_mov_b32_e32 v126, v32
	v_mov_b32_e32 v127, v33
	ds_write2_b64 v118, v[124:125], v[126:127] offset0:38 offset1:39
	v_mov_b32_e32 v124, v30
	v_mov_b32_e32 v125, v31
	v_mov_b32_e32 v126, v28
	v_mov_b32_e32 v127, v29
	ds_write2_b64 v118, v[124:125], v[126:127] offset0:40 offset1:41
	v_mov_b32_e32 v124, v26
	v_mov_b32_e32 v125, v27
	v_mov_b32_e32 v126, v24
	v_mov_b32_e32 v127, v25
	ds_write2_b64 v118, v[124:125], v[126:127] offset0:42 offset1:43
	v_mov_b32_e32 v124, v22
	v_mov_b32_e32 v125, v23
	v_mov_b32_e32 v126, v20
	v_mov_b32_e32 v127, v21
	ds_write2_b64 v118, v[124:125], v[126:127] offset0:44 offset1:45
	v_mov_b32_e32 v124, v18
	v_mov_b32_e32 v125, v19
	v_mov_b32_e32 v126, v16
	v_mov_b32_e32 v127, v17
	ds_write2_b64 v118, v[124:125], v[126:127] offset0:46 offset1:47
	v_mov_b32_e32 v124, v14
	v_mov_b32_e32 v125, v15
	v_mov_b32_e32 v126, v12
	v_mov_b32_e32 v127, v13
	ds_write2_b64 v118, v[124:125], v[126:127] offset0:48 offset1:49
	v_mov_b32_e32 v124, v10
	v_mov_b32_e32 v125, v11
	v_mov_b32_e32 v126, v8
	v_mov_b32_e32 v127, v9
	ds_write2_b64 v118, v[124:125], v[126:127] offset0:50 offset1:51
	v_mov_b32_e32 v124, v6
	v_mov_b32_e32 v125, v7
	;; [unrolled: 1-line block ×5, first 2 shown]
	ds_write2_b64 v118, v[124:125], v[126:127] offset0:52 offset1:53
	ds_write_b64 v118, v[112:113] offset:432
.LBB108_367:
	s_or_b64 exec, exec, s[0:1]
	v_cmp_lt_i32_e32 vcc, 21, v119
	s_waitcnt lgkmcnt(0)
	s_barrier
	s_and_saveexec_b64 s[0:1], vcc
	s_cbranch_execz .LBB108_369
; %bb.368:
	ds_read2_b64 v[124:127], v118 offset0:22 offset1:23
	ds_read2_b64 v[128:131], v118 offset0:24 offset1:25
	v_mul_f64 v[68:69], v[114:115], v[68:69]
	ds_read2_b64 v[132:135], v118 offset0:26 offset1:27
	ds_read_b64 v[114:115], v118 offset:432
	s_waitcnt lgkmcnt(0)
	v_fma_f64 v[66:67], -v[68:69], v[124:125], v[66:67]
	v_fma_f64 v[64:65], -v[68:69], v[126:127], v[64:65]
	ds_read2_b64 v[124:127], v118 offset0:28 offset1:29
	v_fma_f64 v[62:63], -v[68:69], v[128:129], v[62:63]
	v_fma_f64 v[60:61], -v[68:69], v[130:131], v[60:61]
	;; [unrolled: 1-line block ×3, first 2 shown]
	ds_read2_b64 v[128:131], v118 offset0:30 offset1:31
	v_fma_f64 v[56:57], -v[68:69], v[134:135], v[56:57]
	ds_read2_b64 v[132:135], v118 offset0:32 offset1:33
	s_waitcnt lgkmcnt(0)
	v_fma_f64 v[54:55], -v[68:69], v[124:125], v[54:55]
	v_fma_f64 v[52:53], -v[68:69], v[126:127], v[52:53]
	ds_read2_b64 v[124:127], v118 offset0:34 offset1:35
	v_fma_f64 v[50:51], -v[68:69], v[128:129], v[50:51]
	v_fma_f64 v[48:49], -v[68:69], v[130:131], v[48:49]
	ds_read2_b64 v[128:131], v118 offset0:36 offset1:37
	v_fma_f64 v[46:47], -v[68:69], v[132:133], v[46:47]
	v_fma_f64 v[44:45], -v[68:69], v[134:135], v[44:45]
	s_waitcnt lgkmcnt(0)
	v_fma_f64 v[42:43], -v[68:69], v[124:125], v[42:43]
	ds_read2_b64 v[132:135], v118 offset0:38 offset1:39
	v_fma_f64 v[40:41], -v[68:69], v[126:127], v[40:41]
	ds_read2_b64 v[124:127], v118 offset0:40 offset1:41
	v_fma_f64 v[38:39], -v[68:69], v[128:129], v[38:39]
	v_fma_f64 v[36:37], -v[68:69], v[130:131], v[36:37]
	s_waitcnt lgkmcnt(0)
	v_fma_f64 v[34:35], -v[68:69], v[132:133], v[34:35]
	ds_read2_b64 v[128:131], v118 offset0:42 offset1:43
	v_fma_f64 v[32:33], -v[68:69], v[134:135], v[32:33]
	ds_read2_b64 v[132:135], v118 offset0:44 offset1:45
	v_fma_f64 v[30:31], -v[68:69], v[124:125], v[30:31]
	v_fma_f64 v[28:29], -v[68:69], v[126:127], v[28:29]
	ds_read2_b64 v[124:127], v118 offset0:46 offset1:47
	s_waitcnt lgkmcnt(0)
	v_fma_f64 v[26:27], -v[68:69], v[128:129], v[26:27]
	v_fma_f64 v[24:25], -v[68:69], v[130:131], v[24:25]
	ds_read2_b64 v[128:131], v118 offset0:48 offset1:49
	v_fma_f64 v[22:23], -v[68:69], v[132:133], v[22:23]
	v_fma_f64 v[20:21], -v[68:69], v[134:135], v[20:21]
	;; [unrolled: 1-line block ×4, first 2 shown]
	ds_read2_b64 v[124:127], v118 offset0:50 offset1:51
	ds_read2_b64 v[132:135], v118 offset0:52 offset1:53
	s_waitcnt lgkmcnt(0)
	v_fma_f64 v[14:15], -v[68:69], v[128:129], v[14:15]
	v_fma_f64 v[12:13], -v[68:69], v[130:131], v[12:13]
	;; [unrolled: 1-line block ×7, first 2 shown]
.LBB108_369:
	s_or_b64 exec, exec, s[0:1]
	v_lshl_add_u32 v114, v119, 3, v118
	s_barrier
	ds_write_b64 v114, v[66:67]
	s_waitcnt lgkmcnt(0)
	s_barrier
	ds_read_b64 v[114:115], v118 offset:176
	s_cmp_lt_i32 s18, 24
	v_mov_b32_e32 v116, 22
	s_cbranch_scc1 .LBB108_372
; %bb.370:
	v_add_u32_e32 v123, 0xb8, v118
	s_mov_b32 s0, 23
	v_mov_b32_e32 v116, 22
.LBB108_371:                            ; =>This Inner Loop Header: Depth=1
	ds_read_b64 v[124:125], v123
	v_mov_b32_e32 v126, s0
	s_add_i32 s0, s0, 1
	v_add_u32_e32 v123, 8, v123
	s_cmp_lg_u32 s18, s0
	s_waitcnt lgkmcnt(0)
	v_cmp_lt_f64_e64 vcc, |v[114:115]|, |v[124:125]|
	v_cndmask_b32_e32 v115, v115, v125, vcc
	v_cndmask_b32_e32 v114, v114, v124, vcc
	;; [unrolled: 1-line block ×3, first 2 shown]
	s_cbranch_scc1 .LBB108_371
.LBB108_372:
	s_waitcnt lgkmcnt(0)
	v_cmp_eq_f64_e32 vcc, 0, v[114:115]
	s_and_saveexec_b64 s[0:1], vcc
	s_xor_b64 s[0:1], exec, s[0:1]
; %bb.373:
	v_cmp_ne_u32_e32 vcc, 0, v122
	v_cndmask_b32_e32 v122, 23, v122, vcc
; %bb.374:
	s_andn2_saveexec_b64 s[0:1], s[0:1]
; %bb.375:
	v_div_scale_f64 v[124:125], s[2:3], v[114:115], v[114:115], 1.0
	v_rcp_f64_e32 v[126:127], v[124:125]
	v_div_scale_f64 v[128:129], vcc, 1.0, v[114:115], 1.0
	v_fma_f64 v[130:131], -v[124:125], v[126:127], 1.0
	v_fmac_f64_e32 v[126:127], v[126:127], v[130:131]
	v_fma_f64 v[130:131], -v[124:125], v[126:127], 1.0
	v_fmac_f64_e32 v[126:127], v[126:127], v[130:131]
	v_mul_f64 v[130:131], v[128:129], v[126:127]
	v_fma_f64 v[124:125], -v[124:125], v[130:131], v[128:129]
	v_div_fmas_f64 v[124:125], v[124:125], v[126:127], v[130:131]
	v_div_fixup_f64 v[114:115], v[124:125], v[114:115], 1.0
; %bb.376:
	s_or_b64 exec, exec, s[0:1]
	v_cmp_ne_u32_e32 vcc, v119, v116
	s_and_saveexec_b64 s[0:1], vcc
	s_xor_b64 s[0:1], exec, s[0:1]
	s_cbranch_execz .LBB108_382
; %bb.377:
	v_cmp_eq_u32_e32 vcc, 22, v119
	s_and_saveexec_b64 s[2:3], vcc
	s_cbranch_execz .LBB108_381
; %bb.378:
	v_cmp_ne_u32_e32 vcc, 22, v116
	s_xor_b64 s[14:15], s[6:7], -1
	s_and_b64 s[16:17], s[14:15], vcc
	s_and_saveexec_b64 s[14:15], s[16:17]
	s_cbranch_execz .LBB108_380
; %bb.379:
	v_ashrrev_i32_e32 v117, 31, v116
	v_lshlrev_b64 v[124:125], 2, v[116:117]
	v_add_co_u32_e32 v124, vcc, v4, v124
	v_addc_co_u32_e32 v125, vcc, v5, v125, vcc
	flat_load_dword v117, v[124:125]
	flat_load_dword v119, v[4:5] offset:88
	s_waitcnt vmcnt(0) lgkmcnt(0)
	flat_store_dword v[4:5], v117 offset:88
	flat_store_dword v[124:125], v119
.LBB108_380:
	s_or_b64 exec, exec, s[14:15]
	v_mov_b32_e32 v117, v116
	v_mov_b32_e32 v119, v116
.LBB108_381:
	s_or_b64 exec, exec, s[2:3]
.LBB108_382:
	s_andn2_saveexec_b64 s[0:1], s[0:1]
	s_cbranch_execz .LBB108_384
; %bb.383:
	v_mov_b32_e32 v119, 22
	ds_write2_b64 v118, v[64:65], v[62:63] offset0:23 offset1:24
	ds_write2_b64 v118, v[60:61], v[58:59] offset0:25 offset1:26
	;; [unrolled: 1-line block ×16, first 2 shown]
.LBB108_384:
	s_or_b64 exec, exec, s[0:1]
	v_cmp_lt_i32_e32 vcc, 22, v119
	s_waitcnt lgkmcnt(0)
	s_barrier
	s_and_saveexec_b64 s[0:1], vcc
	s_cbranch_execz .LBB108_386
; %bb.385:
	ds_read2_b64 v[124:127], v118 offset0:23 offset1:24
	ds_read2_b64 v[128:131], v118 offset0:25 offset1:26
	v_mul_f64 v[66:67], v[114:115], v[66:67]
	ds_read2_b64 v[132:135], v118 offset0:27 offset1:28
	s_waitcnt lgkmcnt(0)
	v_fma_f64 v[64:65], -v[66:67], v[124:125], v[64:65]
	v_fma_f64 v[62:63], -v[66:67], v[126:127], v[62:63]
	ds_read2_b64 v[124:127], v118 offset0:29 offset1:30
	v_fma_f64 v[60:61], -v[66:67], v[128:129], v[60:61]
	v_fma_f64 v[58:59], -v[66:67], v[130:131], v[58:59]
	;; [unrolled: 1-line block ×3, first 2 shown]
	ds_read2_b64 v[128:131], v118 offset0:31 offset1:32
	v_fma_f64 v[54:55], -v[66:67], v[134:135], v[54:55]
	ds_read2_b64 v[132:135], v118 offset0:33 offset1:34
	s_waitcnt lgkmcnt(0)
	v_fma_f64 v[52:53], -v[66:67], v[124:125], v[52:53]
	v_fma_f64 v[50:51], -v[66:67], v[126:127], v[50:51]
	ds_read2_b64 v[124:127], v118 offset0:35 offset1:36
	v_fma_f64 v[48:49], -v[66:67], v[128:129], v[48:49]
	v_fma_f64 v[46:47], -v[66:67], v[130:131], v[46:47]
	ds_read2_b64 v[128:131], v118 offset0:37 offset1:38
	v_fma_f64 v[44:45], -v[66:67], v[132:133], v[44:45]
	v_fma_f64 v[42:43], -v[66:67], v[134:135], v[42:43]
	s_waitcnt lgkmcnt(0)
	v_fma_f64 v[40:41], -v[66:67], v[124:125], v[40:41]
	ds_read2_b64 v[132:135], v118 offset0:39 offset1:40
	v_fma_f64 v[38:39], -v[66:67], v[126:127], v[38:39]
	ds_read2_b64 v[124:127], v118 offset0:41 offset1:42
	v_fma_f64 v[36:37], -v[66:67], v[128:129], v[36:37]
	v_fma_f64 v[34:35], -v[66:67], v[130:131], v[34:35]
	s_waitcnt lgkmcnt(0)
	v_fma_f64 v[32:33], -v[66:67], v[132:133], v[32:33]
	ds_read2_b64 v[128:131], v118 offset0:43 offset1:44
	v_fma_f64 v[30:31], -v[66:67], v[134:135], v[30:31]
	ds_read2_b64 v[132:135], v118 offset0:45 offset1:46
	v_fma_f64 v[28:29], -v[66:67], v[124:125], v[28:29]
	v_fma_f64 v[26:27], -v[66:67], v[126:127], v[26:27]
	ds_read2_b64 v[124:127], v118 offset0:47 offset1:48
	s_waitcnt lgkmcnt(0)
	v_fma_f64 v[24:25], -v[66:67], v[128:129], v[24:25]
	v_fma_f64 v[22:23], -v[66:67], v[130:131], v[22:23]
	ds_read2_b64 v[128:131], v118 offset0:49 offset1:50
	v_fma_f64 v[20:21], -v[66:67], v[132:133], v[20:21]
	v_fma_f64 v[18:19], -v[66:67], v[134:135], v[18:19]
	;; [unrolled: 1-line block ×3, first 2 shown]
	ds_read2_b64 v[132:135], v118 offset0:51 offset1:52
	v_fma_f64 v[14:15], -v[66:67], v[126:127], v[14:15]
	ds_read2_b64 v[124:127], v118 offset0:53 offset1:54
	s_waitcnt lgkmcnt(0)
	v_fma_f64 v[12:13], -v[66:67], v[128:129], v[12:13]
	v_fma_f64 v[10:11], -v[66:67], v[130:131], v[10:11]
	;; [unrolled: 1-line block ×6, first 2 shown]
.LBB108_386:
	s_or_b64 exec, exec, s[0:1]
	v_lshl_add_u32 v114, v119, 3, v118
	s_barrier
	ds_write_b64 v114, v[64:65]
	s_waitcnt lgkmcnt(0)
	s_barrier
	ds_read_b64 v[114:115], v118 offset:184
	s_cmp_lt_i32 s18, 25
	v_mov_b32_e32 v116, 23
	s_cbranch_scc1 .LBB108_389
; %bb.387:
	v_add_u32_e32 v123, 0xc0, v118
	s_mov_b32 s0, 24
	v_mov_b32_e32 v116, 23
.LBB108_388:                            ; =>This Inner Loop Header: Depth=1
	ds_read_b64 v[124:125], v123
	v_mov_b32_e32 v126, s0
	s_add_i32 s0, s0, 1
	v_add_u32_e32 v123, 8, v123
	s_cmp_lg_u32 s18, s0
	s_waitcnt lgkmcnt(0)
	v_cmp_lt_f64_e64 vcc, |v[114:115]|, |v[124:125]|
	v_cndmask_b32_e32 v115, v115, v125, vcc
	v_cndmask_b32_e32 v114, v114, v124, vcc
	;; [unrolled: 1-line block ×3, first 2 shown]
	s_cbranch_scc1 .LBB108_388
.LBB108_389:
	s_waitcnt lgkmcnt(0)
	v_cmp_eq_f64_e32 vcc, 0, v[114:115]
	s_and_saveexec_b64 s[0:1], vcc
	s_xor_b64 s[0:1], exec, s[0:1]
; %bb.390:
	v_cmp_ne_u32_e32 vcc, 0, v122
	v_cndmask_b32_e32 v122, 24, v122, vcc
; %bb.391:
	s_andn2_saveexec_b64 s[0:1], s[0:1]
; %bb.392:
	v_div_scale_f64 v[124:125], s[2:3], v[114:115], v[114:115], 1.0
	v_rcp_f64_e32 v[126:127], v[124:125]
	v_div_scale_f64 v[128:129], vcc, 1.0, v[114:115], 1.0
	v_fma_f64 v[130:131], -v[124:125], v[126:127], 1.0
	v_fmac_f64_e32 v[126:127], v[126:127], v[130:131]
	v_fma_f64 v[130:131], -v[124:125], v[126:127], 1.0
	v_fmac_f64_e32 v[126:127], v[126:127], v[130:131]
	v_mul_f64 v[130:131], v[128:129], v[126:127]
	v_fma_f64 v[124:125], -v[124:125], v[130:131], v[128:129]
	v_div_fmas_f64 v[124:125], v[124:125], v[126:127], v[130:131]
	v_div_fixup_f64 v[114:115], v[124:125], v[114:115], 1.0
; %bb.393:
	s_or_b64 exec, exec, s[0:1]
	v_cmp_ne_u32_e32 vcc, v119, v116
	s_and_saveexec_b64 s[0:1], vcc
	s_xor_b64 s[0:1], exec, s[0:1]
	s_cbranch_execz .LBB108_399
; %bb.394:
	v_cmp_eq_u32_e32 vcc, 23, v119
	s_and_saveexec_b64 s[2:3], vcc
	s_cbranch_execz .LBB108_398
; %bb.395:
	v_cmp_ne_u32_e32 vcc, 23, v116
	s_xor_b64 s[14:15], s[6:7], -1
	s_and_b64 s[16:17], s[14:15], vcc
	s_and_saveexec_b64 s[14:15], s[16:17]
	s_cbranch_execz .LBB108_397
; %bb.396:
	v_ashrrev_i32_e32 v117, 31, v116
	v_lshlrev_b64 v[124:125], 2, v[116:117]
	v_add_co_u32_e32 v124, vcc, v4, v124
	v_addc_co_u32_e32 v125, vcc, v5, v125, vcc
	flat_load_dword v117, v[124:125]
	flat_load_dword v119, v[4:5] offset:92
	s_waitcnt vmcnt(0) lgkmcnt(0)
	flat_store_dword v[4:5], v117 offset:92
	flat_store_dword v[124:125], v119
.LBB108_397:
	s_or_b64 exec, exec, s[14:15]
	v_mov_b32_e32 v117, v116
	v_mov_b32_e32 v119, v116
.LBB108_398:
	s_or_b64 exec, exec, s[2:3]
.LBB108_399:
	s_andn2_saveexec_b64 s[0:1], s[0:1]
	s_cbranch_execz .LBB108_401
; %bb.400:
	v_mov_b32_e32 v124, v62
	v_mov_b32_e32 v125, v63
	v_mov_b32_e32 v126, v60
	v_mov_b32_e32 v127, v61
	ds_write2_b64 v118, v[124:125], v[126:127] offset0:24 offset1:25
	v_mov_b32_e32 v124, v58
	v_mov_b32_e32 v125, v59
	v_mov_b32_e32 v126, v56
	v_mov_b32_e32 v127, v57
	ds_write2_b64 v118, v[124:125], v[126:127] offset0:26 offset1:27
	;; [unrolled: 5-line block ×14, first 2 shown]
	v_mov_b32_e32 v124, v6
	v_mov_b32_e32 v125, v7
	;; [unrolled: 1-line block ×5, first 2 shown]
	ds_write2_b64 v118, v[124:125], v[126:127] offset0:52 offset1:53
	ds_write_b64 v118, v[112:113] offset:432
.LBB108_401:
	s_or_b64 exec, exec, s[0:1]
	v_cmp_lt_i32_e32 vcc, 23, v119
	s_waitcnt lgkmcnt(0)
	s_barrier
	s_and_saveexec_b64 s[0:1], vcc
	s_cbranch_execz .LBB108_403
; %bb.402:
	ds_read2_b64 v[124:127], v118 offset0:24 offset1:25
	ds_read2_b64 v[128:131], v118 offset0:26 offset1:27
	;; [unrolled: 1-line block ×3, first 2 shown]
	v_mul_f64 v[64:65], v[114:115], v[64:65]
	ds_read_b64 v[114:115], v118 offset:432
	s_waitcnt lgkmcnt(0)
	v_fma_f64 v[62:63], -v[64:65], v[124:125], v[62:63]
	v_fma_f64 v[60:61], -v[64:65], v[126:127], v[60:61]
	ds_read2_b64 v[124:127], v118 offset0:30 offset1:31
	v_fma_f64 v[58:59], -v[64:65], v[128:129], v[58:59]
	v_fma_f64 v[56:57], -v[64:65], v[130:131], v[56:57]
	;; [unrolled: 1-line block ×3, first 2 shown]
	ds_read2_b64 v[128:131], v118 offset0:32 offset1:33
	v_fma_f64 v[52:53], -v[64:65], v[134:135], v[52:53]
	ds_read2_b64 v[132:135], v118 offset0:34 offset1:35
	s_waitcnt lgkmcnt(0)
	v_fma_f64 v[50:51], -v[64:65], v[124:125], v[50:51]
	v_fma_f64 v[48:49], -v[64:65], v[126:127], v[48:49]
	;; [unrolled: 1-line block ×3, first 2 shown]
	ds_read2_b64 v[124:127], v118 offset0:36 offset1:37
	v_fma_f64 v[44:45], -v[64:65], v[130:131], v[44:45]
	ds_read2_b64 v[128:131], v118 offset0:38 offset1:39
	v_fma_f64 v[42:43], -v[64:65], v[132:133], v[42:43]
	v_fma_f64 v[40:41], -v[64:65], v[134:135], v[40:41]
	ds_read2_b64 v[132:135], v118 offset0:40 offset1:41
	s_waitcnt lgkmcnt(0)
	v_fma_f64 v[38:39], -v[64:65], v[124:125], v[38:39]
	v_fma_f64 v[36:37], -v[64:65], v[126:127], v[36:37]
	ds_read2_b64 v[124:127], v118 offset0:42 offset1:43
	v_fma_f64 v[34:35], -v[64:65], v[128:129], v[34:35]
	v_fma_f64 v[32:33], -v[64:65], v[130:131], v[32:33]
	;; [unrolled: 1-line block ×3, first 2 shown]
	ds_read2_b64 v[128:131], v118 offset0:44 offset1:45
	v_fma_f64 v[28:29], -v[64:65], v[134:135], v[28:29]
	ds_read2_b64 v[132:135], v118 offset0:46 offset1:47
	s_waitcnt lgkmcnt(0)
	v_fma_f64 v[26:27], -v[64:65], v[124:125], v[26:27]
	v_fma_f64 v[24:25], -v[64:65], v[126:127], v[24:25]
	;; [unrolled: 1-line block ×3, first 2 shown]
	ds_read2_b64 v[124:127], v118 offset0:48 offset1:49
	v_fma_f64 v[20:21], -v[64:65], v[130:131], v[20:21]
	ds_read2_b64 v[128:131], v118 offset0:50 offset1:51
	v_fma_f64 v[18:19], -v[64:65], v[132:133], v[18:19]
	v_fma_f64 v[16:17], -v[64:65], v[134:135], v[16:17]
	ds_read2_b64 v[132:135], v118 offset0:52 offset1:53
	s_waitcnt lgkmcnt(0)
	v_fma_f64 v[14:15], -v[64:65], v[124:125], v[14:15]
	v_fma_f64 v[12:13], -v[64:65], v[126:127], v[12:13]
	;; [unrolled: 1-line block ×7, first 2 shown]
.LBB108_403:
	s_or_b64 exec, exec, s[0:1]
	v_lshl_add_u32 v114, v119, 3, v118
	s_barrier
	ds_write_b64 v114, v[62:63]
	s_waitcnt lgkmcnt(0)
	s_barrier
	ds_read_b64 v[114:115], v118 offset:192
	s_cmp_lt_i32 s18, 26
	v_mov_b32_e32 v116, 24
	s_cbranch_scc1 .LBB108_406
; %bb.404:
	v_add_u32_e32 v123, 0xc8, v118
	s_mov_b32 s0, 25
	v_mov_b32_e32 v116, 24
.LBB108_405:                            ; =>This Inner Loop Header: Depth=1
	ds_read_b64 v[124:125], v123
	v_mov_b32_e32 v126, s0
	s_add_i32 s0, s0, 1
	v_add_u32_e32 v123, 8, v123
	s_cmp_lg_u32 s18, s0
	s_waitcnt lgkmcnt(0)
	v_cmp_lt_f64_e64 vcc, |v[114:115]|, |v[124:125]|
	v_cndmask_b32_e32 v115, v115, v125, vcc
	v_cndmask_b32_e32 v114, v114, v124, vcc
	;; [unrolled: 1-line block ×3, first 2 shown]
	s_cbranch_scc1 .LBB108_405
.LBB108_406:
	s_waitcnt lgkmcnt(0)
	v_cmp_eq_f64_e32 vcc, 0, v[114:115]
	s_and_saveexec_b64 s[0:1], vcc
	s_xor_b64 s[0:1], exec, s[0:1]
; %bb.407:
	v_cmp_ne_u32_e32 vcc, 0, v122
	v_cndmask_b32_e32 v122, 25, v122, vcc
; %bb.408:
	s_andn2_saveexec_b64 s[0:1], s[0:1]
; %bb.409:
	v_div_scale_f64 v[124:125], s[2:3], v[114:115], v[114:115], 1.0
	v_rcp_f64_e32 v[126:127], v[124:125]
	v_div_scale_f64 v[128:129], vcc, 1.0, v[114:115], 1.0
	v_fma_f64 v[130:131], -v[124:125], v[126:127], 1.0
	v_fmac_f64_e32 v[126:127], v[126:127], v[130:131]
	v_fma_f64 v[130:131], -v[124:125], v[126:127], 1.0
	v_fmac_f64_e32 v[126:127], v[126:127], v[130:131]
	v_mul_f64 v[130:131], v[128:129], v[126:127]
	v_fma_f64 v[124:125], -v[124:125], v[130:131], v[128:129]
	v_div_fmas_f64 v[124:125], v[124:125], v[126:127], v[130:131]
	v_div_fixup_f64 v[114:115], v[124:125], v[114:115], 1.0
; %bb.410:
	s_or_b64 exec, exec, s[0:1]
	v_cmp_ne_u32_e32 vcc, v119, v116
	s_and_saveexec_b64 s[0:1], vcc
	s_xor_b64 s[0:1], exec, s[0:1]
	s_cbranch_execz .LBB108_416
; %bb.411:
	v_cmp_eq_u32_e32 vcc, 24, v119
	s_and_saveexec_b64 s[2:3], vcc
	s_cbranch_execz .LBB108_415
; %bb.412:
	v_cmp_ne_u32_e32 vcc, 24, v116
	s_xor_b64 s[14:15], s[6:7], -1
	s_and_b64 s[16:17], s[14:15], vcc
	s_and_saveexec_b64 s[14:15], s[16:17]
	s_cbranch_execz .LBB108_414
; %bb.413:
	v_ashrrev_i32_e32 v117, 31, v116
	v_lshlrev_b64 v[124:125], 2, v[116:117]
	v_add_co_u32_e32 v124, vcc, v4, v124
	v_addc_co_u32_e32 v125, vcc, v5, v125, vcc
	flat_load_dword v117, v[124:125]
	flat_load_dword v119, v[4:5] offset:96
	s_waitcnt vmcnt(0) lgkmcnt(0)
	flat_store_dword v[4:5], v117 offset:96
	flat_store_dword v[124:125], v119
.LBB108_414:
	s_or_b64 exec, exec, s[14:15]
	v_mov_b32_e32 v117, v116
	v_mov_b32_e32 v119, v116
.LBB108_415:
	s_or_b64 exec, exec, s[2:3]
.LBB108_416:
	s_andn2_saveexec_b64 s[0:1], s[0:1]
	s_cbranch_execz .LBB108_418
; %bb.417:
	v_mov_b32_e32 v119, 24
	ds_write2_b64 v118, v[60:61], v[58:59] offset0:25 offset1:26
	ds_write2_b64 v118, v[56:57], v[54:55] offset0:27 offset1:28
	;; [unrolled: 1-line block ×15, first 2 shown]
.LBB108_418:
	s_or_b64 exec, exec, s[0:1]
	v_cmp_lt_i32_e32 vcc, 24, v119
	s_waitcnt lgkmcnt(0)
	s_barrier
	s_and_saveexec_b64 s[0:1], vcc
	s_cbranch_execz .LBB108_420
; %bb.419:
	ds_read2_b64 v[124:127], v118 offset0:25 offset1:26
	ds_read2_b64 v[128:131], v118 offset0:27 offset1:28
	;; [unrolled: 1-line block ×3, first 2 shown]
	v_mul_f64 v[62:63], v[114:115], v[62:63]
	s_waitcnt lgkmcnt(0)
	v_fma_f64 v[60:61], -v[62:63], v[124:125], v[60:61]
	v_fma_f64 v[58:59], -v[62:63], v[126:127], v[58:59]
	ds_read2_b64 v[124:127], v118 offset0:31 offset1:32
	v_fma_f64 v[56:57], -v[62:63], v[128:129], v[56:57]
	v_fma_f64 v[54:55], -v[62:63], v[130:131], v[54:55]
	;; [unrolled: 1-line block ×3, first 2 shown]
	ds_read2_b64 v[128:131], v118 offset0:33 offset1:34
	v_fma_f64 v[50:51], -v[62:63], v[134:135], v[50:51]
	ds_read2_b64 v[132:135], v118 offset0:35 offset1:36
	s_waitcnt lgkmcnt(0)
	v_fma_f64 v[48:49], -v[62:63], v[124:125], v[48:49]
	v_fma_f64 v[46:47], -v[62:63], v[126:127], v[46:47]
	;; [unrolled: 1-line block ×3, first 2 shown]
	ds_read2_b64 v[124:127], v118 offset0:37 offset1:38
	v_fma_f64 v[42:43], -v[62:63], v[130:131], v[42:43]
	ds_read2_b64 v[128:131], v118 offset0:39 offset1:40
	v_fma_f64 v[40:41], -v[62:63], v[132:133], v[40:41]
	v_fma_f64 v[38:39], -v[62:63], v[134:135], v[38:39]
	ds_read2_b64 v[132:135], v118 offset0:41 offset1:42
	s_waitcnt lgkmcnt(0)
	v_fma_f64 v[36:37], -v[62:63], v[124:125], v[36:37]
	v_fma_f64 v[34:35], -v[62:63], v[126:127], v[34:35]
	ds_read2_b64 v[124:127], v118 offset0:43 offset1:44
	v_fma_f64 v[32:33], -v[62:63], v[128:129], v[32:33]
	v_fma_f64 v[30:31], -v[62:63], v[130:131], v[30:31]
	;; [unrolled: 1-line block ×3, first 2 shown]
	ds_read2_b64 v[128:131], v118 offset0:45 offset1:46
	v_fma_f64 v[26:27], -v[62:63], v[134:135], v[26:27]
	ds_read2_b64 v[132:135], v118 offset0:47 offset1:48
	s_waitcnt lgkmcnt(0)
	v_fma_f64 v[24:25], -v[62:63], v[124:125], v[24:25]
	v_fma_f64 v[22:23], -v[62:63], v[126:127], v[22:23]
	;; [unrolled: 1-line block ×4, first 2 shown]
	ds_read2_b64 v[124:127], v118 offset0:49 offset1:50
	ds_read2_b64 v[128:131], v118 offset0:51 offset1:52
	v_fma_f64 v[16:17], -v[62:63], v[132:133], v[16:17]
	v_fma_f64 v[14:15], -v[62:63], v[134:135], v[14:15]
	ds_read2_b64 v[132:135], v118 offset0:53 offset1:54
	s_waitcnt lgkmcnt(0)
	v_fma_f64 v[12:13], -v[62:63], v[124:125], v[12:13]
	v_fma_f64 v[10:11], -v[62:63], v[126:127], v[10:11]
	v_fma_f64 v[8:9], -v[62:63], v[128:129], v[8:9]
	v_fma_f64 v[6:7], -v[62:63], v[130:131], v[6:7]
	v_fma_f64 v[0:1], -v[62:63], v[132:133], v[0:1]
	v_fma_f64 v[112:113], -v[62:63], v[134:135], v[112:113]
.LBB108_420:
	s_or_b64 exec, exec, s[0:1]
	v_lshl_add_u32 v114, v119, 3, v118
	s_barrier
	ds_write_b64 v114, v[60:61]
	s_waitcnt lgkmcnt(0)
	s_barrier
	ds_read_b64 v[114:115], v118 offset:200
	s_cmp_lt_i32 s18, 27
	v_mov_b32_e32 v116, 25
	s_cbranch_scc1 .LBB108_423
; %bb.421:
	v_add_u32_e32 v123, 0xd0, v118
	s_mov_b32 s0, 26
	v_mov_b32_e32 v116, 25
.LBB108_422:                            ; =>This Inner Loop Header: Depth=1
	ds_read_b64 v[124:125], v123
	v_mov_b32_e32 v126, s0
	s_add_i32 s0, s0, 1
	v_add_u32_e32 v123, 8, v123
	s_cmp_lg_u32 s18, s0
	s_waitcnt lgkmcnt(0)
	v_cmp_lt_f64_e64 vcc, |v[114:115]|, |v[124:125]|
	v_cndmask_b32_e32 v115, v115, v125, vcc
	v_cndmask_b32_e32 v114, v114, v124, vcc
	;; [unrolled: 1-line block ×3, first 2 shown]
	s_cbranch_scc1 .LBB108_422
.LBB108_423:
	s_waitcnt lgkmcnt(0)
	v_cmp_eq_f64_e32 vcc, 0, v[114:115]
	s_and_saveexec_b64 s[0:1], vcc
	s_xor_b64 s[0:1], exec, s[0:1]
; %bb.424:
	v_cmp_ne_u32_e32 vcc, 0, v122
	v_cndmask_b32_e32 v122, 26, v122, vcc
; %bb.425:
	s_andn2_saveexec_b64 s[0:1], s[0:1]
; %bb.426:
	v_div_scale_f64 v[124:125], s[2:3], v[114:115], v[114:115], 1.0
	v_rcp_f64_e32 v[126:127], v[124:125]
	v_div_scale_f64 v[128:129], vcc, 1.0, v[114:115], 1.0
	v_fma_f64 v[130:131], -v[124:125], v[126:127], 1.0
	v_fmac_f64_e32 v[126:127], v[126:127], v[130:131]
	v_fma_f64 v[130:131], -v[124:125], v[126:127], 1.0
	v_fmac_f64_e32 v[126:127], v[126:127], v[130:131]
	v_mul_f64 v[130:131], v[128:129], v[126:127]
	v_fma_f64 v[124:125], -v[124:125], v[130:131], v[128:129]
	v_div_fmas_f64 v[124:125], v[124:125], v[126:127], v[130:131]
	v_div_fixup_f64 v[114:115], v[124:125], v[114:115], 1.0
; %bb.427:
	s_or_b64 exec, exec, s[0:1]
	v_cmp_ne_u32_e32 vcc, v119, v116
	s_and_saveexec_b64 s[0:1], vcc
	s_xor_b64 s[0:1], exec, s[0:1]
	s_cbranch_execz .LBB108_433
; %bb.428:
	v_cmp_eq_u32_e32 vcc, 25, v119
	s_and_saveexec_b64 s[2:3], vcc
	s_cbranch_execz .LBB108_432
; %bb.429:
	v_cmp_ne_u32_e32 vcc, 25, v116
	s_xor_b64 s[14:15], s[6:7], -1
	s_and_b64 s[16:17], s[14:15], vcc
	s_and_saveexec_b64 s[14:15], s[16:17]
	s_cbranch_execz .LBB108_431
; %bb.430:
	v_ashrrev_i32_e32 v117, 31, v116
	v_lshlrev_b64 v[124:125], 2, v[116:117]
	v_add_co_u32_e32 v124, vcc, v4, v124
	v_addc_co_u32_e32 v125, vcc, v5, v125, vcc
	flat_load_dword v117, v[124:125]
	flat_load_dword v119, v[4:5] offset:100
	s_waitcnt vmcnt(0) lgkmcnt(0)
	flat_store_dword v[4:5], v117 offset:100
	flat_store_dword v[124:125], v119
.LBB108_431:
	s_or_b64 exec, exec, s[14:15]
	v_mov_b32_e32 v117, v116
	v_mov_b32_e32 v119, v116
.LBB108_432:
	s_or_b64 exec, exec, s[2:3]
.LBB108_433:
	s_andn2_saveexec_b64 s[0:1], s[0:1]
	s_cbranch_execz .LBB108_435
; %bb.434:
	v_mov_b32_e32 v124, v58
	v_mov_b32_e32 v125, v59
	v_mov_b32_e32 v126, v56
	v_mov_b32_e32 v127, v57
	ds_write2_b64 v118, v[124:125], v[126:127] offset0:26 offset1:27
	v_mov_b32_e32 v124, v54
	v_mov_b32_e32 v125, v55
	v_mov_b32_e32 v126, v52
	v_mov_b32_e32 v127, v53
	ds_write2_b64 v118, v[124:125], v[126:127] offset0:28 offset1:29
	;; [unrolled: 5-line block ×13, first 2 shown]
	v_mov_b32_e32 v124, v6
	v_mov_b32_e32 v125, v7
	;; [unrolled: 1-line block ×5, first 2 shown]
	ds_write2_b64 v118, v[124:125], v[126:127] offset0:52 offset1:53
	ds_write_b64 v118, v[112:113] offset:432
.LBB108_435:
	s_or_b64 exec, exec, s[0:1]
	v_cmp_lt_i32_e32 vcc, 25, v119
	s_waitcnt lgkmcnt(0)
	s_barrier
	s_and_saveexec_b64 s[0:1], vcc
	s_cbranch_execz .LBB108_437
; %bb.436:
	ds_read2_b64 v[124:127], v118 offset0:26 offset1:27
	ds_read2_b64 v[128:131], v118 offset0:28 offset1:29
	v_mul_f64 v[60:61], v[114:115], v[60:61]
	ds_read2_b64 v[132:135], v118 offset0:30 offset1:31
	ds_read_b64 v[114:115], v118 offset:432
	s_waitcnt lgkmcnt(0)
	v_fma_f64 v[58:59], -v[60:61], v[124:125], v[58:59]
	v_fma_f64 v[56:57], -v[60:61], v[126:127], v[56:57]
	ds_read2_b64 v[124:127], v118 offset0:32 offset1:33
	v_fma_f64 v[54:55], -v[60:61], v[128:129], v[54:55]
	v_fma_f64 v[52:53], -v[60:61], v[130:131], v[52:53]
	ds_read2_b64 v[128:131], v118 offset0:34 offset1:35
	;; [unrolled: 3-line block ×3, first 2 shown]
	s_waitcnt lgkmcnt(0)
	v_fma_f64 v[46:47], -v[60:61], v[124:125], v[46:47]
	v_fma_f64 v[44:45], -v[60:61], v[126:127], v[44:45]
	;; [unrolled: 1-line block ×3, first 2 shown]
	ds_read2_b64 v[124:127], v118 offset0:38 offset1:39
	v_fma_f64 v[40:41], -v[60:61], v[130:131], v[40:41]
	ds_read2_b64 v[128:131], v118 offset0:40 offset1:41
	v_fma_f64 v[38:39], -v[60:61], v[132:133], v[38:39]
	v_fma_f64 v[36:37], -v[60:61], v[134:135], v[36:37]
	s_waitcnt lgkmcnt(0)
	v_fma_f64 v[34:35], -v[60:61], v[124:125], v[34:35]
	ds_read2_b64 v[132:135], v118 offset0:42 offset1:43
	v_fma_f64 v[32:33], -v[60:61], v[126:127], v[32:33]
	ds_read2_b64 v[124:127], v118 offset0:44 offset1:45
	v_fma_f64 v[30:31], -v[60:61], v[128:129], v[30:31]
	v_fma_f64 v[28:29], -v[60:61], v[130:131], v[28:29]
	ds_read2_b64 v[128:131], v118 offset0:46 offset1:47
	s_waitcnt lgkmcnt(0)
	v_fma_f64 v[26:27], -v[60:61], v[132:133], v[26:27]
	v_fma_f64 v[24:25], -v[60:61], v[134:135], v[24:25]
	ds_read2_b64 v[132:135], v118 offset0:48 offset1:49
	v_fma_f64 v[22:23], -v[60:61], v[124:125], v[22:23]
	v_fma_f64 v[20:21], -v[60:61], v[126:127], v[20:21]
	;; [unrolled: 1-line block ×4, first 2 shown]
	ds_read2_b64 v[124:127], v118 offset0:50 offset1:51
	ds_read2_b64 v[128:131], v118 offset0:52 offset1:53
	s_waitcnt lgkmcnt(0)
	v_fma_f64 v[14:15], -v[60:61], v[132:133], v[14:15]
	v_fma_f64 v[12:13], -v[60:61], v[134:135], v[12:13]
	;; [unrolled: 1-line block ×7, first 2 shown]
.LBB108_437:
	s_or_b64 exec, exec, s[0:1]
	v_lshl_add_u32 v114, v119, 3, v118
	s_barrier
	ds_write_b64 v114, v[58:59]
	s_waitcnt lgkmcnt(0)
	s_barrier
	ds_read_b64 v[114:115], v118 offset:208
	s_cmp_lt_i32 s18, 28
	v_mov_b32_e32 v116, 26
	s_cbranch_scc1 .LBB108_440
; %bb.438:
	v_add_u32_e32 v123, 0xd8, v118
	s_mov_b32 s0, 27
	v_mov_b32_e32 v116, 26
.LBB108_439:                            ; =>This Inner Loop Header: Depth=1
	ds_read_b64 v[124:125], v123
	v_mov_b32_e32 v126, s0
	s_add_i32 s0, s0, 1
	v_add_u32_e32 v123, 8, v123
	s_cmp_lg_u32 s18, s0
	s_waitcnt lgkmcnt(0)
	v_cmp_lt_f64_e64 vcc, |v[114:115]|, |v[124:125]|
	v_cndmask_b32_e32 v115, v115, v125, vcc
	v_cndmask_b32_e32 v114, v114, v124, vcc
	;; [unrolled: 1-line block ×3, first 2 shown]
	s_cbranch_scc1 .LBB108_439
.LBB108_440:
	s_waitcnt lgkmcnt(0)
	v_cmp_eq_f64_e32 vcc, 0, v[114:115]
	s_and_saveexec_b64 s[0:1], vcc
	s_xor_b64 s[0:1], exec, s[0:1]
; %bb.441:
	v_cmp_ne_u32_e32 vcc, 0, v122
	v_cndmask_b32_e32 v122, 27, v122, vcc
; %bb.442:
	s_andn2_saveexec_b64 s[0:1], s[0:1]
; %bb.443:
	v_div_scale_f64 v[124:125], s[2:3], v[114:115], v[114:115], 1.0
	v_rcp_f64_e32 v[126:127], v[124:125]
	v_div_scale_f64 v[128:129], vcc, 1.0, v[114:115], 1.0
	v_fma_f64 v[130:131], -v[124:125], v[126:127], 1.0
	v_fmac_f64_e32 v[126:127], v[126:127], v[130:131]
	v_fma_f64 v[130:131], -v[124:125], v[126:127], 1.0
	v_fmac_f64_e32 v[126:127], v[126:127], v[130:131]
	v_mul_f64 v[130:131], v[128:129], v[126:127]
	v_fma_f64 v[124:125], -v[124:125], v[130:131], v[128:129]
	v_div_fmas_f64 v[124:125], v[124:125], v[126:127], v[130:131]
	v_div_fixup_f64 v[114:115], v[124:125], v[114:115], 1.0
; %bb.444:
	s_or_b64 exec, exec, s[0:1]
	v_cmp_ne_u32_e32 vcc, v119, v116
	s_and_saveexec_b64 s[0:1], vcc
	s_xor_b64 s[0:1], exec, s[0:1]
	s_cbranch_execz .LBB108_450
; %bb.445:
	v_cmp_eq_u32_e32 vcc, 26, v119
	s_and_saveexec_b64 s[2:3], vcc
	s_cbranch_execz .LBB108_449
; %bb.446:
	v_cmp_ne_u32_e32 vcc, 26, v116
	s_xor_b64 s[14:15], s[6:7], -1
	s_and_b64 s[16:17], s[14:15], vcc
	s_and_saveexec_b64 s[14:15], s[16:17]
	s_cbranch_execz .LBB108_448
; %bb.447:
	v_ashrrev_i32_e32 v117, 31, v116
	v_lshlrev_b64 v[124:125], 2, v[116:117]
	v_add_co_u32_e32 v124, vcc, v4, v124
	v_addc_co_u32_e32 v125, vcc, v5, v125, vcc
	flat_load_dword v117, v[124:125]
	flat_load_dword v119, v[4:5] offset:104
	s_waitcnt vmcnt(0) lgkmcnt(0)
	flat_store_dword v[4:5], v117 offset:104
	flat_store_dword v[124:125], v119
.LBB108_448:
	s_or_b64 exec, exec, s[14:15]
	v_mov_b32_e32 v117, v116
	v_mov_b32_e32 v119, v116
.LBB108_449:
	s_or_b64 exec, exec, s[2:3]
.LBB108_450:
	s_andn2_saveexec_b64 s[0:1], s[0:1]
	s_cbranch_execz .LBB108_452
; %bb.451:
	v_mov_b32_e32 v119, 26
	ds_write2_b64 v118, v[56:57], v[54:55] offset0:27 offset1:28
	ds_write2_b64 v118, v[52:53], v[50:51] offset0:29 offset1:30
	;; [unrolled: 1-line block ×14, first 2 shown]
.LBB108_452:
	s_or_b64 exec, exec, s[0:1]
	v_cmp_lt_i32_e32 vcc, 26, v119
	s_waitcnt lgkmcnt(0)
	s_barrier
	s_and_saveexec_b64 s[0:1], vcc
	s_cbranch_execz .LBB108_454
; %bb.453:
	ds_read2_b64 v[124:127], v118 offset0:27 offset1:28
	ds_read2_b64 v[128:131], v118 offset0:29 offset1:30
	v_mul_f64 v[58:59], v[114:115], v[58:59]
	ds_read2_b64 v[132:135], v118 offset0:31 offset1:32
	s_waitcnt lgkmcnt(0)
	v_fma_f64 v[56:57], -v[58:59], v[124:125], v[56:57]
	v_fma_f64 v[54:55], -v[58:59], v[126:127], v[54:55]
	ds_read2_b64 v[124:127], v118 offset0:33 offset1:34
	v_fma_f64 v[52:53], -v[58:59], v[128:129], v[52:53]
	v_fma_f64 v[50:51], -v[58:59], v[130:131], v[50:51]
	ds_read2_b64 v[128:131], v118 offset0:35 offset1:36
	;; [unrolled: 3-line block ×3, first 2 shown]
	s_waitcnt lgkmcnt(0)
	v_fma_f64 v[44:45], -v[58:59], v[124:125], v[44:45]
	v_fma_f64 v[42:43], -v[58:59], v[126:127], v[42:43]
	v_fma_f64 v[40:41], -v[58:59], v[128:129], v[40:41]
	ds_read2_b64 v[124:127], v118 offset0:39 offset1:40
	v_fma_f64 v[38:39], -v[58:59], v[130:131], v[38:39]
	ds_read2_b64 v[128:131], v118 offset0:41 offset1:42
	v_fma_f64 v[36:37], -v[58:59], v[132:133], v[36:37]
	v_fma_f64 v[34:35], -v[58:59], v[134:135], v[34:35]
	s_waitcnt lgkmcnt(0)
	v_fma_f64 v[32:33], -v[58:59], v[124:125], v[32:33]
	ds_read2_b64 v[132:135], v118 offset0:43 offset1:44
	v_fma_f64 v[30:31], -v[58:59], v[126:127], v[30:31]
	ds_read2_b64 v[124:127], v118 offset0:45 offset1:46
	v_fma_f64 v[28:29], -v[58:59], v[128:129], v[28:29]
	v_fma_f64 v[26:27], -v[58:59], v[130:131], v[26:27]
	ds_read2_b64 v[128:131], v118 offset0:47 offset1:48
	s_waitcnt lgkmcnt(0)
	v_fma_f64 v[24:25], -v[58:59], v[132:133], v[24:25]
	v_fma_f64 v[22:23], -v[58:59], v[134:135], v[22:23]
	;; [unrolled: 1-line block ×4, first 2 shown]
	ds_read2_b64 v[124:127], v118 offset0:49 offset1:50
	v_fma_f64 v[16:17], -v[58:59], v[128:129], v[16:17]
	ds_read2_b64 v[132:135], v118 offset0:51 offset1:52
	v_fma_f64 v[14:15], -v[58:59], v[130:131], v[14:15]
	ds_read2_b64 v[128:131], v118 offset0:53 offset1:54
	s_waitcnt lgkmcnt(0)
	v_fma_f64 v[12:13], -v[58:59], v[124:125], v[12:13]
	v_fma_f64 v[10:11], -v[58:59], v[126:127], v[10:11]
	v_fma_f64 v[8:9], -v[58:59], v[132:133], v[8:9]
	v_fma_f64 v[6:7], -v[58:59], v[134:135], v[6:7]
	v_fma_f64 v[0:1], -v[58:59], v[128:129], v[0:1]
	v_fma_f64 v[112:113], -v[58:59], v[130:131], v[112:113]
.LBB108_454:
	s_or_b64 exec, exec, s[0:1]
	v_lshl_add_u32 v114, v119, 3, v118
	s_barrier
	ds_write_b64 v114, v[56:57]
	s_waitcnt lgkmcnt(0)
	s_barrier
	ds_read_b64 v[114:115], v118 offset:216
	s_cmp_lt_i32 s18, 29
	v_mov_b32_e32 v116, 27
	s_cbranch_scc1 .LBB108_457
; %bb.455:
	v_add_u32_e32 v123, 0xe0, v118
	s_mov_b32 s0, 28
	v_mov_b32_e32 v116, 27
.LBB108_456:                            ; =>This Inner Loop Header: Depth=1
	ds_read_b64 v[124:125], v123
	v_mov_b32_e32 v126, s0
	s_add_i32 s0, s0, 1
	v_add_u32_e32 v123, 8, v123
	s_cmp_lg_u32 s18, s0
	s_waitcnt lgkmcnt(0)
	v_cmp_lt_f64_e64 vcc, |v[114:115]|, |v[124:125]|
	v_cndmask_b32_e32 v115, v115, v125, vcc
	v_cndmask_b32_e32 v114, v114, v124, vcc
	;; [unrolled: 1-line block ×3, first 2 shown]
	s_cbranch_scc1 .LBB108_456
.LBB108_457:
	s_waitcnt lgkmcnt(0)
	v_cmp_eq_f64_e32 vcc, 0, v[114:115]
	s_and_saveexec_b64 s[0:1], vcc
	s_xor_b64 s[0:1], exec, s[0:1]
; %bb.458:
	v_cmp_ne_u32_e32 vcc, 0, v122
	v_cndmask_b32_e32 v122, 28, v122, vcc
; %bb.459:
	s_andn2_saveexec_b64 s[0:1], s[0:1]
; %bb.460:
	v_div_scale_f64 v[124:125], s[2:3], v[114:115], v[114:115], 1.0
	v_rcp_f64_e32 v[126:127], v[124:125]
	v_div_scale_f64 v[128:129], vcc, 1.0, v[114:115], 1.0
	v_fma_f64 v[130:131], -v[124:125], v[126:127], 1.0
	v_fmac_f64_e32 v[126:127], v[126:127], v[130:131]
	v_fma_f64 v[130:131], -v[124:125], v[126:127], 1.0
	v_fmac_f64_e32 v[126:127], v[126:127], v[130:131]
	v_mul_f64 v[130:131], v[128:129], v[126:127]
	v_fma_f64 v[124:125], -v[124:125], v[130:131], v[128:129]
	v_div_fmas_f64 v[124:125], v[124:125], v[126:127], v[130:131]
	v_div_fixup_f64 v[114:115], v[124:125], v[114:115], 1.0
; %bb.461:
	s_or_b64 exec, exec, s[0:1]
	v_cmp_ne_u32_e32 vcc, v119, v116
	s_and_saveexec_b64 s[0:1], vcc
	s_xor_b64 s[0:1], exec, s[0:1]
	s_cbranch_execz .LBB108_467
; %bb.462:
	v_cmp_eq_u32_e32 vcc, 27, v119
	s_and_saveexec_b64 s[2:3], vcc
	s_cbranch_execz .LBB108_466
; %bb.463:
	v_cmp_ne_u32_e32 vcc, 27, v116
	s_xor_b64 s[14:15], s[6:7], -1
	s_and_b64 s[16:17], s[14:15], vcc
	s_and_saveexec_b64 s[14:15], s[16:17]
	s_cbranch_execz .LBB108_465
; %bb.464:
	v_ashrrev_i32_e32 v117, 31, v116
	v_lshlrev_b64 v[124:125], 2, v[116:117]
	v_add_co_u32_e32 v124, vcc, v4, v124
	v_addc_co_u32_e32 v125, vcc, v5, v125, vcc
	flat_load_dword v117, v[124:125]
	flat_load_dword v119, v[4:5] offset:108
	s_waitcnt vmcnt(0) lgkmcnt(0)
	flat_store_dword v[4:5], v117 offset:108
	flat_store_dword v[124:125], v119
.LBB108_465:
	s_or_b64 exec, exec, s[14:15]
	v_mov_b32_e32 v117, v116
	v_mov_b32_e32 v119, v116
.LBB108_466:
	s_or_b64 exec, exec, s[2:3]
.LBB108_467:
	s_andn2_saveexec_b64 s[0:1], s[0:1]
	s_cbranch_execz .LBB108_469
; %bb.468:
	v_mov_b32_e32 v124, v54
	v_mov_b32_e32 v125, v55
	v_mov_b32_e32 v126, v52
	v_mov_b32_e32 v127, v53
	ds_write2_b64 v118, v[124:125], v[126:127] offset0:28 offset1:29
	v_mov_b32_e32 v124, v50
	v_mov_b32_e32 v125, v51
	v_mov_b32_e32 v126, v48
	v_mov_b32_e32 v127, v49
	ds_write2_b64 v118, v[124:125], v[126:127] offset0:30 offset1:31
	;; [unrolled: 5-line block ×12, first 2 shown]
	v_mov_b32_e32 v124, v6
	v_mov_b32_e32 v125, v7
	v_mov_b32_e32 v126, v0
	v_mov_b32_e32 v127, v1
	v_mov_b32_e32 v119, 27
	ds_write2_b64 v118, v[124:125], v[126:127] offset0:52 offset1:53
	ds_write_b64 v118, v[112:113] offset:432
.LBB108_469:
	s_or_b64 exec, exec, s[0:1]
	v_cmp_lt_i32_e32 vcc, 27, v119
	s_waitcnt lgkmcnt(0)
	s_barrier
	s_and_saveexec_b64 s[0:1], vcc
	s_cbranch_execz .LBB108_471
; %bb.470:
	ds_read2_b64 v[124:127], v118 offset0:28 offset1:29
	ds_read2_b64 v[128:131], v118 offset0:30 offset1:31
	v_mul_f64 v[56:57], v[114:115], v[56:57]
	ds_read2_b64 v[132:135], v118 offset0:32 offset1:33
	ds_read_b64 v[114:115], v118 offset:432
	s_waitcnt lgkmcnt(0)
	v_fma_f64 v[54:55], -v[56:57], v[124:125], v[54:55]
	v_fma_f64 v[52:53], -v[56:57], v[126:127], v[52:53]
	ds_read2_b64 v[124:127], v118 offset0:34 offset1:35
	v_fma_f64 v[50:51], -v[56:57], v[128:129], v[50:51]
	v_fma_f64 v[48:49], -v[56:57], v[130:131], v[48:49]
	;; [unrolled: 1-line block ×3, first 2 shown]
	ds_read2_b64 v[128:131], v118 offset0:36 offset1:37
	v_fma_f64 v[44:45], -v[56:57], v[134:135], v[44:45]
	ds_read2_b64 v[132:135], v118 offset0:38 offset1:39
	s_waitcnt lgkmcnt(0)
	v_fma_f64 v[42:43], -v[56:57], v[124:125], v[42:43]
	v_fma_f64 v[40:41], -v[56:57], v[126:127], v[40:41]
	ds_read2_b64 v[124:127], v118 offset0:40 offset1:41
	v_fma_f64 v[38:39], -v[56:57], v[128:129], v[38:39]
	v_fma_f64 v[36:37], -v[56:57], v[130:131], v[36:37]
	ds_read2_b64 v[128:131], v118 offset0:42 offset1:43
	v_fma_f64 v[34:35], -v[56:57], v[132:133], v[34:35]
	v_fma_f64 v[32:33], -v[56:57], v[134:135], v[32:33]
	s_waitcnt lgkmcnt(0)
	v_fma_f64 v[30:31], -v[56:57], v[124:125], v[30:31]
	ds_read2_b64 v[132:135], v118 offset0:44 offset1:45
	v_fma_f64 v[28:29], -v[56:57], v[126:127], v[28:29]
	ds_read2_b64 v[124:127], v118 offset0:46 offset1:47
	v_fma_f64 v[26:27], -v[56:57], v[128:129], v[26:27]
	v_fma_f64 v[24:25], -v[56:57], v[130:131], v[24:25]
	s_waitcnt lgkmcnt(0)
	v_fma_f64 v[22:23], -v[56:57], v[132:133], v[22:23]
	ds_read2_b64 v[128:131], v118 offset0:48 offset1:49
	v_fma_f64 v[20:21], -v[56:57], v[134:135], v[20:21]
	v_fma_f64 v[18:19], -v[56:57], v[124:125], v[18:19]
	;; [unrolled: 1-line block ×3, first 2 shown]
	ds_read2_b64 v[124:127], v118 offset0:50 offset1:51
	ds_read2_b64 v[132:135], v118 offset0:52 offset1:53
	s_waitcnt lgkmcnt(0)
	v_fma_f64 v[14:15], -v[56:57], v[128:129], v[14:15]
	v_fma_f64 v[12:13], -v[56:57], v[130:131], v[12:13]
	;; [unrolled: 1-line block ×7, first 2 shown]
.LBB108_471:
	s_or_b64 exec, exec, s[0:1]
	v_lshl_add_u32 v114, v119, 3, v118
	s_barrier
	ds_write_b64 v114, v[54:55]
	s_waitcnt lgkmcnt(0)
	s_barrier
	ds_read_b64 v[114:115], v118 offset:224
	s_cmp_lt_i32 s18, 30
	v_mov_b32_e32 v116, 28
	s_cbranch_scc1 .LBB108_474
; %bb.472:
	v_add_u32_e32 v123, 0xe8, v118
	s_mov_b32 s0, 29
	v_mov_b32_e32 v116, 28
.LBB108_473:                            ; =>This Inner Loop Header: Depth=1
	ds_read_b64 v[124:125], v123
	v_mov_b32_e32 v126, s0
	s_add_i32 s0, s0, 1
	v_add_u32_e32 v123, 8, v123
	s_cmp_lg_u32 s18, s0
	s_waitcnt lgkmcnt(0)
	v_cmp_lt_f64_e64 vcc, |v[114:115]|, |v[124:125]|
	v_cndmask_b32_e32 v115, v115, v125, vcc
	v_cndmask_b32_e32 v114, v114, v124, vcc
	;; [unrolled: 1-line block ×3, first 2 shown]
	s_cbranch_scc1 .LBB108_473
.LBB108_474:
	s_waitcnt lgkmcnt(0)
	v_cmp_eq_f64_e32 vcc, 0, v[114:115]
	s_and_saveexec_b64 s[0:1], vcc
	s_xor_b64 s[0:1], exec, s[0:1]
; %bb.475:
	v_cmp_ne_u32_e32 vcc, 0, v122
	v_cndmask_b32_e32 v122, 29, v122, vcc
; %bb.476:
	s_andn2_saveexec_b64 s[0:1], s[0:1]
; %bb.477:
	v_div_scale_f64 v[124:125], s[2:3], v[114:115], v[114:115], 1.0
	v_rcp_f64_e32 v[126:127], v[124:125]
	v_div_scale_f64 v[128:129], vcc, 1.0, v[114:115], 1.0
	v_fma_f64 v[130:131], -v[124:125], v[126:127], 1.0
	v_fmac_f64_e32 v[126:127], v[126:127], v[130:131]
	v_fma_f64 v[130:131], -v[124:125], v[126:127], 1.0
	v_fmac_f64_e32 v[126:127], v[126:127], v[130:131]
	v_mul_f64 v[130:131], v[128:129], v[126:127]
	v_fma_f64 v[124:125], -v[124:125], v[130:131], v[128:129]
	v_div_fmas_f64 v[124:125], v[124:125], v[126:127], v[130:131]
	v_div_fixup_f64 v[114:115], v[124:125], v[114:115], 1.0
; %bb.478:
	s_or_b64 exec, exec, s[0:1]
	v_cmp_ne_u32_e32 vcc, v119, v116
	s_and_saveexec_b64 s[0:1], vcc
	s_xor_b64 s[0:1], exec, s[0:1]
	s_cbranch_execz .LBB108_484
; %bb.479:
	v_cmp_eq_u32_e32 vcc, 28, v119
	s_and_saveexec_b64 s[2:3], vcc
	s_cbranch_execz .LBB108_483
; %bb.480:
	v_cmp_ne_u32_e32 vcc, 28, v116
	s_xor_b64 s[14:15], s[6:7], -1
	s_and_b64 s[16:17], s[14:15], vcc
	s_and_saveexec_b64 s[14:15], s[16:17]
	s_cbranch_execz .LBB108_482
; %bb.481:
	v_ashrrev_i32_e32 v117, 31, v116
	v_lshlrev_b64 v[124:125], 2, v[116:117]
	v_add_co_u32_e32 v124, vcc, v4, v124
	v_addc_co_u32_e32 v125, vcc, v5, v125, vcc
	flat_load_dword v117, v[124:125]
	flat_load_dword v119, v[4:5] offset:112
	s_waitcnt vmcnt(0) lgkmcnt(0)
	flat_store_dword v[4:5], v117 offset:112
	flat_store_dword v[124:125], v119
.LBB108_482:
	s_or_b64 exec, exec, s[14:15]
	v_mov_b32_e32 v117, v116
	v_mov_b32_e32 v119, v116
.LBB108_483:
	s_or_b64 exec, exec, s[2:3]
.LBB108_484:
	s_andn2_saveexec_b64 s[0:1], s[0:1]
	s_cbranch_execz .LBB108_486
; %bb.485:
	v_mov_b32_e32 v119, 28
	ds_write2_b64 v118, v[52:53], v[50:51] offset0:29 offset1:30
	ds_write2_b64 v118, v[48:49], v[46:47] offset0:31 offset1:32
	;; [unrolled: 1-line block ×13, first 2 shown]
.LBB108_486:
	s_or_b64 exec, exec, s[0:1]
	v_cmp_lt_i32_e32 vcc, 28, v119
	s_waitcnt lgkmcnt(0)
	s_barrier
	s_and_saveexec_b64 s[0:1], vcc
	s_cbranch_execz .LBB108_488
; %bb.487:
	ds_read2_b64 v[124:127], v118 offset0:29 offset1:30
	ds_read2_b64 v[128:131], v118 offset0:31 offset1:32
	v_mul_f64 v[54:55], v[114:115], v[54:55]
	ds_read2_b64 v[132:135], v118 offset0:33 offset1:34
	s_waitcnt lgkmcnt(0)
	v_fma_f64 v[52:53], -v[54:55], v[124:125], v[52:53]
	v_fma_f64 v[50:51], -v[54:55], v[126:127], v[50:51]
	ds_read2_b64 v[124:127], v118 offset0:35 offset1:36
	v_fma_f64 v[48:49], -v[54:55], v[128:129], v[48:49]
	v_fma_f64 v[46:47], -v[54:55], v[130:131], v[46:47]
	;; [unrolled: 1-line block ×3, first 2 shown]
	ds_read2_b64 v[128:131], v118 offset0:37 offset1:38
	v_fma_f64 v[42:43], -v[54:55], v[134:135], v[42:43]
	ds_read2_b64 v[132:135], v118 offset0:39 offset1:40
	s_waitcnt lgkmcnt(0)
	v_fma_f64 v[40:41], -v[54:55], v[124:125], v[40:41]
	v_fma_f64 v[38:39], -v[54:55], v[126:127], v[38:39]
	ds_read2_b64 v[124:127], v118 offset0:41 offset1:42
	v_fma_f64 v[36:37], -v[54:55], v[128:129], v[36:37]
	v_fma_f64 v[34:35], -v[54:55], v[130:131], v[34:35]
	ds_read2_b64 v[128:131], v118 offset0:43 offset1:44
	v_fma_f64 v[32:33], -v[54:55], v[132:133], v[32:33]
	v_fma_f64 v[30:31], -v[54:55], v[134:135], v[30:31]
	s_waitcnt lgkmcnt(0)
	v_fma_f64 v[28:29], -v[54:55], v[124:125], v[28:29]
	ds_read2_b64 v[132:135], v118 offset0:45 offset1:46
	v_fma_f64 v[26:27], -v[54:55], v[126:127], v[26:27]
	ds_read2_b64 v[124:127], v118 offset0:47 offset1:48
	v_fma_f64 v[24:25], -v[54:55], v[128:129], v[24:25]
	v_fma_f64 v[22:23], -v[54:55], v[130:131], v[22:23]
	s_waitcnt lgkmcnt(0)
	v_fma_f64 v[20:21], -v[54:55], v[132:133], v[20:21]
	v_fma_f64 v[18:19], -v[54:55], v[134:135], v[18:19]
	ds_read2_b64 v[128:131], v118 offset0:49 offset1:50
	ds_read2_b64 v[132:135], v118 offset0:51 offset1:52
	v_fma_f64 v[16:17], -v[54:55], v[124:125], v[16:17]
	v_fma_f64 v[14:15], -v[54:55], v[126:127], v[14:15]
	ds_read2_b64 v[124:127], v118 offset0:53 offset1:54
	s_waitcnt lgkmcnt(0)
	v_fma_f64 v[12:13], -v[54:55], v[128:129], v[12:13]
	v_fma_f64 v[10:11], -v[54:55], v[130:131], v[10:11]
	;; [unrolled: 1-line block ×6, first 2 shown]
.LBB108_488:
	s_or_b64 exec, exec, s[0:1]
	v_lshl_add_u32 v114, v119, 3, v118
	s_barrier
	ds_write_b64 v114, v[52:53]
	s_waitcnt lgkmcnt(0)
	s_barrier
	ds_read_b64 v[114:115], v118 offset:232
	s_cmp_lt_i32 s18, 31
	v_mov_b32_e32 v116, 29
	s_cbranch_scc1 .LBB108_491
; %bb.489:
	v_add_u32_e32 v123, 0xf0, v118
	s_mov_b32 s0, 30
	v_mov_b32_e32 v116, 29
.LBB108_490:                            ; =>This Inner Loop Header: Depth=1
	ds_read_b64 v[124:125], v123
	v_mov_b32_e32 v126, s0
	s_add_i32 s0, s0, 1
	v_add_u32_e32 v123, 8, v123
	s_cmp_lg_u32 s18, s0
	s_waitcnt lgkmcnt(0)
	v_cmp_lt_f64_e64 vcc, |v[114:115]|, |v[124:125]|
	v_cndmask_b32_e32 v115, v115, v125, vcc
	v_cndmask_b32_e32 v114, v114, v124, vcc
	;; [unrolled: 1-line block ×3, first 2 shown]
	s_cbranch_scc1 .LBB108_490
.LBB108_491:
	s_waitcnt lgkmcnt(0)
	v_cmp_eq_f64_e32 vcc, 0, v[114:115]
	s_and_saveexec_b64 s[0:1], vcc
	s_xor_b64 s[0:1], exec, s[0:1]
; %bb.492:
	v_cmp_ne_u32_e32 vcc, 0, v122
	v_cndmask_b32_e32 v122, 30, v122, vcc
; %bb.493:
	s_andn2_saveexec_b64 s[0:1], s[0:1]
; %bb.494:
	v_div_scale_f64 v[124:125], s[2:3], v[114:115], v[114:115], 1.0
	v_rcp_f64_e32 v[126:127], v[124:125]
	v_div_scale_f64 v[128:129], vcc, 1.0, v[114:115], 1.0
	v_fma_f64 v[130:131], -v[124:125], v[126:127], 1.0
	v_fmac_f64_e32 v[126:127], v[126:127], v[130:131]
	v_fma_f64 v[130:131], -v[124:125], v[126:127], 1.0
	v_fmac_f64_e32 v[126:127], v[126:127], v[130:131]
	v_mul_f64 v[130:131], v[128:129], v[126:127]
	v_fma_f64 v[124:125], -v[124:125], v[130:131], v[128:129]
	v_div_fmas_f64 v[124:125], v[124:125], v[126:127], v[130:131]
	v_div_fixup_f64 v[114:115], v[124:125], v[114:115], 1.0
; %bb.495:
	s_or_b64 exec, exec, s[0:1]
	v_cmp_ne_u32_e32 vcc, v119, v116
	s_and_saveexec_b64 s[0:1], vcc
	s_xor_b64 s[0:1], exec, s[0:1]
	s_cbranch_execz .LBB108_501
; %bb.496:
	v_cmp_eq_u32_e32 vcc, 29, v119
	s_and_saveexec_b64 s[2:3], vcc
	s_cbranch_execz .LBB108_500
; %bb.497:
	v_cmp_ne_u32_e32 vcc, 29, v116
	s_xor_b64 s[14:15], s[6:7], -1
	s_and_b64 s[16:17], s[14:15], vcc
	s_and_saveexec_b64 s[14:15], s[16:17]
	s_cbranch_execz .LBB108_499
; %bb.498:
	v_ashrrev_i32_e32 v117, 31, v116
	v_lshlrev_b64 v[124:125], 2, v[116:117]
	v_add_co_u32_e32 v124, vcc, v4, v124
	v_addc_co_u32_e32 v125, vcc, v5, v125, vcc
	flat_load_dword v117, v[124:125]
	flat_load_dword v119, v[4:5] offset:116
	s_waitcnt vmcnt(0) lgkmcnt(0)
	flat_store_dword v[4:5], v117 offset:116
	flat_store_dword v[124:125], v119
.LBB108_499:
	s_or_b64 exec, exec, s[14:15]
	v_mov_b32_e32 v117, v116
	v_mov_b32_e32 v119, v116
.LBB108_500:
	s_or_b64 exec, exec, s[2:3]
.LBB108_501:
	s_andn2_saveexec_b64 s[0:1], s[0:1]
	s_cbranch_execz .LBB108_503
; %bb.502:
	v_mov_b32_e32 v124, v50
	v_mov_b32_e32 v125, v51
	v_mov_b32_e32 v126, v48
	v_mov_b32_e32 v127, v49
	ds_write2_b64 v118, v[124:125], v[126:127] offset0:30 offset1:31
	v_mov_b32_e32 v124, v46
	v_mov_b32_e32 v125, v47
	v_mov_b32_e32 v126, v44
	v_mov_b32_e32 v127, v45
	ds_write2_b64 v118, v[124:125], v[126:127] offset0:32 offset1:33
	;; [unrolled: 5-line block ×11, first 2 shown]
	v_mov_b32_e32 v124, v6
	v_mov_b32_e32 v125, v7
	v_mov_b32_e32 v126, v0
	v_mov_b32_e32 v127, v1
	v_mov_b32_e32 v119, 29
	ds_write2_b64 v118, v[124:125], v[126:127] offset0:52 offset1:53
	ds_write_b64 v118, v[112:113] offset:432
.LBB108_503:
	s_or_b64 exec, exec, s[0:1]
	v_cmp_lt_i32_e32 vcc, 29, v119
	s_waitcnt lgkmcnt(0)
	s_barrier
	s_and_saveexec_b64 s[0:1], vcc
	s_cbranch_execz .LBB108_505
; %bb.504:
	ds_read2_b64 v[124:127], v118 offset0:30 offset1:31
	ds_read2_b64 v[128:131], v118 offset0:32 offset1:33
	;; [unrolled: 1-line block ×3, first 2 shown]
	v_mul_f64 v[52:53], v[114:115], v[52:53]
	ds_read_b64 v[114:115], v118 offset:432
	s_waitcnt lgkmcnt(0)
	v_fma_f64 v[50:51], -v[52:53], v[124:125], v[50:51]
	v_fma_f64 v[48:49], -v[52:53], v[126:127], v[48:49]
	ds_read2_b64 v[124:127], v118 offset0:36 offset1:37
	v_fma_f64 v[46:47], -v[52:53], v[128:129], v[46:47]
	v_fma_f64 v[44:45], -v[52:53], v[130:131], v[44:45]
	;; [unrolled: 1-line block ×3, first 2 shown]
	ds_read2_b64 v[128:131], v118 offset0:38 offset1:39
	v_fma_f64 v[40:41], -v[52:53], v[134:135], v[40:41]
	ds_read2_b64 v[132:135], v118 offset0:40 offset1:41
	s_waitcnt lgkmcnt(0)
	v_fma_f64 v[38:39], -v[52:53], v[124:125], v[38:39]
	v_fma_f64 v[36:37], -v[52:53], v[126:127], v[36:37]
	;; [unrolled: 1-line block ×3, first 2 shown]
	ds_read2_b64 v[124:127], v118 offset0:42 offset1:43
	v_fma_f64 v[32:33], -v[52:53], v[130:131], v[32:33]
	ds_read2_b64 v[128:131], v118 offset0:44 offset1:45
	v_fma_f64 v[30:31], -v[52:53], v[132:133], v[30:31]
	v_fma_f64 v[28:29], -v[52:53], v[134:135], v[28:29]
	ds_read2_b64 v[132:135], v118 offset0:46 offset1:47
	s_waitcnt lgkmcnt(0)
	v_fma_f64 v[26:27], -v[52:53], v[124:125], v[26:27]
	v_fma_f64 v[24:25], -v[52:53], v[126:127], v[24:25]
	ds_read2_b64 v[124:127], v118 offset0:48 offset1:49
	v_fma_f64 v[22:23], -v[52:53], v[128:129], v[22:23]
	v_fma_f64 v[20:21], -v[52:53], v[130:131], v[20:21]
	;; [unrolled: 1-line block ×4, first 2 shown]
	ds_read2_b64 v[128:131], v118 offset0:50 offset1:51
	ds_read2_b64 v[132:135], v118 offset0:52 offset1:53
	s_waitcnt lgkmcnt(0)
	v_fma_f64 v[14:15], -v[52:53], v[124:125], v[14:15]
	v_fma_f64 v[12:13], -v[52:53], v[126:127], v[12:13]
	;; [unrolled: 1-line block ×7, first 2 shown]
.LBB108_505:
	s_or_b64 exec, exec, s[0:1]
	v_lshl_add_u32 v114, v119, 3, v118
	s_barrier
	ds_write_b64 v114, v[50:51]
	s_waitcnt lgkmcnt(0)
	s_barrier
	ds_read_b64 v[114:115], v118 offset:240
	s_cmp_lt_i32 s18, 32
	v_mov_b32_e32 v116, 30
	s_cbranch_scc1 .LBB108_508
; %bb.506:
	v_add_u32_e32 v123, 0xf8, v118
	s_mov_b32 s0, 31
	v_mov_b32_e32 v116, 30
.LBB108_507:                            ; =>This Inner Loop Header: Depth=1
	ds_read_b64 v[124:125], v123
	v_mov_b32_e32 v126, s0
	s_add_i32 s0, s0, 1
	v_add_u32_e32 v123, 8, v123
	s_cmp_lg_u32 s18, s0
	s_waitcnt lgkmcnt(0)
	v_cmp_lt_f64_e64 vcc, |v[114:115]|, |v[124:125]|
	v_cndmask_b32_e32 v115, v115, v125, vcc
	v_cndmask_b32_e32 v114, v114, v124, vcc
	;; [unrolled: 1-line block ×3, first 2 shown]
	s_cbranch_scc1 .LBB108_507
.LBB108_508:
	s_waitcnt lgkmcnt(0)
	v_cmp_eq_f64_e32 vcc, 0, v[114:115]
	s_and_saveexec_b64 s[0:1], vcc
	s_xor_b64 s[0:1], exec, s[0:1]
; %bb.509:
	v_cmp_ne_u32_e32 vcc, 0, v122
	v_cndmask_b32_e32 v122, 31, v122, vcc
; %bb.510:
	s_andn2_saveexec_b64 s[0:1], s[0:1]
; %bb.511:
	v_div_scale_f64 v[124:125], s[2:3], v[114:115], v[114:115], 1.0
	v_rcp_f64_e32 v[126:127], v[124:125]
	v_div_scale_f64 v[128:129], vcc, 1.0, v[114:115], 1.0
	v_fma_f64 v[130:131], -v[124:125], v[126:127], 1.0
	v_fmac_f64_e32 v[126:127], v[126:127], v[130:131]
	v_fma_f64 v[130:131], -v[124:125], v[126:127], 1.0
	v_fmac_f64_e32 v[126:127], v[126:127], v[130:131]
	v_mul_f64 v[130:131], v[128:129], v[126:127]
	v_fma_f64 v[124:125], -v[124:125], v[130:131], v[128:129]
	v_div_fmas_f64 v[124:125], v[124:125], v[126:127], v[130:131]
	v_div_fixup_f64 v[114:115], v[124:125], v[114:115], 1.0
; %bb.512:
	s_or_b64 exec, exec, s[0:1]
	v_cmp_ne_u32_e32 vcc, v119, v116
	s_and_saveexec_b64 s[0:1], vcc
	s_xor_b64 s[0:1], exec, s[0:1]
	s_cbranch_execz .LBB108_518
; %bb.513:
	v_cmp_eq_u32_e32 vcc, 30, v119
	s_and_saveexec_b64 s[2:3], vcc
	s_cbranch_execz .LBB108_517
; %bb.514:
	v_cmp_ne_u32_e32 vcc, 30, v116
	s_xor_b64 s[14:15], s[6:7], -1
	s_and_b64 s[16:17], s[14:15], vcc
	s_and_saveexec_b64 s[14:15], s[16:17]
	s_cbranch_execz .LBB108_516
; %bb.515:
	v_ashrrev_i32_e32 v117, 31, v116
	v_lshlrev_b64 v[124:125], 2, v[116:117]
	v_add_co_u32_e32 v124, vcc, v4, v124
	v_addc_co_u32_e32 v125, vcc, v5, v125, vcc
	flat_load_dword v117, v[124:125]
	flat_load_dword v119, v[4:5] offset:120
	s_waitcnt vmcnt(0) lgkmcnt(0)
	flat_store_dword v[4:5], v117 offset:120
	flat_store_dword v[124:125], v119
.LBB108_516:
	s_or_b64 exec, exec, s[14:15]
	v_mov_b32_e32 v117, v116
	v_mov_b32_e32 v119, v116
.LBB108_517:
	s_or_b64 exec, exec, s[2:3]
.LBB108_518:
	s_andn2_saveexec_b64 s[0:1], s[0:1]
	s_cbranch_execz .LBB108_520
; %bb.519:
	v_mov_b32_e32 v119, 30
	ds_write2_b64 v118, v[48:49], v[46:47] offset0:31 offset1:32
	ds_write2_b64 v118, v[44:45], v[42:43] offset0:33 offset1:34
	;; [unrolled: 1-line block ×12, first 2 shown]
.LBB108_520:
	s_or_b64 exec, exec, s[0:1]
	v_cmp_lt_i32_e32 vcc, 30, v119
	s_waitcnt lgkmcnt(0)
	s_barrier
	s_and_saveexec_b64 s[0:1], vcc
	s_cbranch_execz .LBB108_522
; %bb.521:
	ds_read2_b64 v[124:127], v118 offset0:31 offset1:32
	ds_read2_b64 v[128:131], v118 offset0:33 offset1:34
	;; [unrolled: 1-line block ×3, first 2 shown]
	v_mul_f64 v[50:51], v[114:115], v[50:51]
	s_waitcnt lgkmcnt(0)
	v_fma_f64 v[48:49], -v[50:51], v[124:125], v[48:49]
	v_fma_f64 v[46:47], -v[50:51], v[126:127], v[46:47]
	ds_read2_b64 v[124:127], v118 offset0:37 offset1:38
	v_fma_f64 v[44:45], -v[50:51], v[128:129], v[44:45]
	v_fma_f64 v[42:43], -v[50:51], v[130:131], v[42:43]
	v_fma_f64 v[40:41], -v[50:51], v[132:133], v[40:41]
	ds_read2_b64 v[128:131], v118 offset0:39 offset1:40
	v_fma_f64 v[38:39], -v[50:51], v[134:135], v[38:39]
	ds_read2_b64 v[132:135], v118 offset0:41 offset1:42
	s_waitcnt lgkmcnt(0)
	v_fma_f64 v[36:37], -v[50:51], v[124:125], v[36:37]
	v_fma_f64 v[34:35], -v[50:51], v[126:127], v[34:35]
	;; [unrolled: 1-line block ×3, first 2 shown]
	ds_read2_b64 v[124:127], v118 offset0:43 offset1:44
	v_fma_f64 v[30:31], -v[50:51], v[130:131], v[30:31]
	ds_read2_b64 v[128:131], v118 offset0:45 offset1:46
	v_fma_f64 v[28:29], -v[50:51], v[132:133], v[28:29]
	v_fma_f64 v[26:27], -v[50:51], v[134:135], v[26:27]
	ds_read2_b64 v[132:135], v118 offset0:47 offset1:48
	s_waitcnt lgkmcnt(0)
	v_fma_f64 v[24:25], -v[50:51], v[124:125], v[24:25]
	v_fma_f64 v[22:23], -v[50:51], v[126:127], v[22:23]
	ds_read2_b64 v[124:127], v118 offset0:49 offset1:50
	v_fma_f64 v[20:21], -v[50:51], v[128:129], v[20:21]
	v_fma_f64 v[18:19], -v[50:51], v[130:131], v[18:19]
	;; [unrolled: 1-line block ×3, first 2 shown]
	ds_read2_b64 v[128:131], v118 offset0:51 offset1:52
	v_fma_f64 v[14:15], -v[50:51], v[134:135], v[14:15]
	ds_read2_b64 v[132:135], v118 offset0:53 offset1:54
	s_waitcnt lgkmcnt(0)
	v_fma_f64 v[12:13], -v[50:51], v[124:125], v[12:13]
	v_fma_f64 v[10:11], -v[50:51], v[126:127], v[10:11]
	;; [unrolled: 1-line block ×6, first 2 shown]
.LBB108_522:
	s_or_b64 exec, exec, s[0:1]
	v_lshl_add_u32 v114, v119, 3, v118
	s_barrier
	ds_write_b64 v114, v[48:49]
	s_waitcnt lgkmcnt(0)
	s_barrier
	ds_read_b64 v[114:115], v118 offset:248
	s_cmp_lt_i32 s18, 33
	v_mov_b32_e32 v116, 31
	s_cbranch_scc1 .LBB108_525
; %bb.523:
	v_add_u32_e32 v123, 0x100, v118
	s_mov_b32 s0, 32
	v_mov_b32_e32 v116, 31
.LBB108_524:                            ; =>This Inner Loop Header: Depth=1
	ds_read_b64 v[124:125], v123
	v_mov_b32_e32 v126, s0
	s_add_i32 s0, s0, 1
	v_add_u32_e32 v123, 8, v123
	s_cmp_lg_u32 s18, s0
	s_waitcnt lgkmcnt(0)
	v_cmp_lt_f64_e64 vcc, |v[114:115]|, |v[124:125]|
	v_cndmask_b32_e32 v115, v115, v125, vcc
	v_cndmask_b32_e32 v114, v114, v124, vcc
	;; [unrolled: 1-line block ×3, first 2 shown]
	s_cbranch_scc1 .LBB108_524
.LBB108_525:
	s_waitcnt lgkmcnt(0)
	v_cmp_eq_f64_e32 vcc, 0, v[114:115]
	s_and_saveexec_b64 s[0:1], vcc
	s_xor_b64 s[0:1], exec, s[0:1]
; %bb.526:
	v_cmp_ne_u32_e32 vcc, 0, v122
	v_cndmask_b32_e32 v122, 32, v122, vcc
; %bb.527:
	s_andn2_saveexec_b64 s[0:1], s[0:1]
; %bb.528:
	v_div_scale_f64 v[124:125], s[2:3], v[114:115], v[114:115], 1.0
	v_rcp_f64_e32 v[126:127], v[124:125]
	v_div_scale_f64 v[128:129], vcc, 1.0, v[114:115], 1.0
	v_fma_f64 v[130:131], -v[124:125], v[126:127], 1.0
	v_fmac_f64_e32 v[126:127], v[126:127], v[130:131]
	v_fma_f64 v[130:131], -v[124:125], v[126:127], 1.0
	v_fmac_f64_e32 v[126:127], v[126:127], v[130:131]
	v_mul_f64 v[130:131], v[128:129], v[126:127]
	v_fma_f64 v[124:125], -v[124:125], v[130:131], v[128:129]
	v_div_fmas_f64 v[124:125], v[124:125], v[126:127], v[130:131]
	v_div_fixup_f64 v[114:115], v[124:125], v[114:115], 1.0
; %bb.529:
	s_or_b64 exec, exec, s[0:1]
	v_cmp_ne_u32_e32 vcc, v119, v116
	s_and_saveexec_b64 s[0:1], vcc
	s_xor_b64 s[0:1], exec, s[0:1]
	s_cbranch_execz .LBB108_535
; %bb.530:
	v_cmp_eq_u32_e32 vcc, 31, v119
	s_and_saveexec_b64 s[2:3], vcc
	s_cbranch_execz .LBB108_534
; %bb.531:
	v_cmp_ne_u32_e32 vcc, 31, v116
	s_xor_b64 s[14:15], s[6:7], -1
	s_and_b64 s[16:17], s[14:15], vcc
	s_and_saveexec_b64 s[14:15], s[16:17]
	s_cbranch_execz .LBB108_533
; %bb.532:
	v_ashrrev_i32_e32 v117, 31, v116
	v_lshlrev_b64 v[124:125], 2, v[116:117]
	v_add_co_u32_e32 v124, vcc, v4, v124
	v_addc_co_u32_e32 v125, vcc, v5, v125, vcc
	flat_load_dword v117, v[124:125]
	flat_load_dword v119, v[4:5] offset:124
	s_waitcnt vmcnt(0) lgkmcnt(0)
	flat_store_dword v[4:5], v117 offset:124
	flat_store_dword v[124:125], v119
.LBB108_533:
	s_or_b64 exec, exec, s[14:15]
	v_mov_b32_e32 v117, v116
	v_mov_b32_e32 v119, v116
.LBB108_534:
	s_or_b64 exec, exec, s[2:3]
.LBB108_535:
	s_andn2_saveexec_b64 s[0:1], s[0:1]
	s_cbranch_execz .LBB108_537
; %bb.536:
	v_mov_b32_e32 v124, v46
	v_mov_b32_e32 v125, v47
	v_mov_b32_e32 v126, v44
	v_mov_b32_e32 v127, v45
	ds_write2_b64 v118, v[124:125], v[126:127] offset0:32 offset1:33
	v_mov_b32_e32 v124, v42
	v_mov_b32_e32 v125, v43
	v_mov_b32_e32 v126, v40
	v_mov_b32_e32 v127, v41
	ds_write2_b64 v118, v[124:125], v[126:127] offset0:34 offset1:35
	v_mov_b32_e32 v124, v38
	v_mov_b32_e32 v125, v39
	v_mov_b32_e32 v126, v36
	v_mov_b32_e32 v127, v37
	ds_write2_b64 v118, v[124:125], v[126:127] offset0:36 offset1:37
	v_mov_b32_e32 v124, v34
	v_mov_b32_e32 v125, v35
	v_mov_b32_e32 v126, v32
	v_mov_b32_e32 v127, v33
	ds_write2_b64 v118, v[124:125], v[126:127] offset0:38 offset1:39
	v_mov_b32_e32 v124, v30
	v_mov_b32_e32 v125, v31
	v_mov_b32_e32 v126, v28
	v_mov_b32_e32 v127, v29
	ds_write2_b64 v118, v[124:125], v[126:127] offset0:40 offset1:41
	v_mov_b32_e32 v124, v26
	v_mov_b32_e32 v125, v27
	v_mov_b32_e32 v126, v24
	v_mov_b32_e32 v127, v25
	ds_write2_b64 v118, v[124:125], v[126:127] offset0:42 offset1:43
	v_mov_b32_e32 v124, v22
	v_mov_b32_e32 v125, v23
	v_mov_b32_e32 v126, v20
	v_mov_b32_e32 v127, v21
	ds_write2_b64 v118, v[124:125], v[126:127] offset0:44 offset1:45
	v_mov_b32_e32 v124, v18
	v_mov_b32_e32 v125, v19
	v_mov_b32_e32 v126, v16
	v_mov_b32_e32 v127, v17
	ds_write2_b64 v118, v[124:125], v[126:127] offset0:46 offset1:47
	v_mov_b32_e32 v124, v14
	v_mov_b32_e32 v125, v15
	v_mov_b32_e32 v126, v12
	v_mov_b32_e32 v127, v13
	ds_write2_b64 v118, v[124:125], v[126:127] offset0:48 offset1:49
	v_mov_b32_e32 v124, v10
	v_mov_b32_e32 v125, v11
	v_mov_b32_e32 v126, v8
	v_mov_b32_e32 v127, v9
	ds_write2_b64 v118, v[124:125], v[126:127] offset0:50 offset1:51
	v_mov_b32_e32 v124, v6
	v_mov_b32_e32 v125, v7
	;; [unrolled: 1-line block ×5, first 2 shown]
	ds_write2_b64 v118, v[124:125], v[126:127] offset0:52 offset1:53
	ds_write_b64 v118, v[112:113] offset:432
.LBB108_537:
	s_or_b64 exec, exec, s[0:1]
	v_cmp_lt_i32_e32 vcc, 31, v119
	s_waitcnt lgkmcnt(0)
	s_barrier
	s_and_saveexec_b64 s[0:1], vcc
	s_cbranch_execz .LBB108_539
; %bb.538:
	ds_read2_b64 v[124:127], v118 offset0:32 offset1:33
	ds_read2_b64 v[128:131], v118 offset0:34 offset1:35
	v_mul_f64 v[48:49], v[114:115], v[48:49]
	ds_read2_b64 v[132:135], v118 offset0:36 offset1:37
	ds_read_b64 v[114:115], v118 offset:432
	s_waitcnt lgkmcnt(0)
	v_fma_f64 v[46:47], -v[48:49], v[124:125], v[46:47]
	v_fma_f64 v[44:45], -v[48:49], v[126:127], v[44:45]
	ds_read2_b64 v[124:127], v118 offset0:38 offset1:39
	v_fma_f64 v[42:43], -v[48:49], v[128:129], v[42:43]
	v_fma_f64 v[40:41], -v[48:49], v[130:131], v[40:41]
	ds_read2_b64 v[128:131], v118 offset0:40 offset1:41
	;; [unrolled: 3-line block ×3, first 2 shown]
	s_waitcnt lgkmcnt(0)
	v_fma_f64 v[34:35], -v[48:49], v[124:125], v[34:35]
	v_fma_f64 v[32:33], -v[48:49], v[126:127], v[32:33]
	;; [unrolled: 1-line block ×3, first 2 shown]
	ds_read2_b64 v[124:127], v118 offset0:44 offset1:45
	v_fma_f64 v[28:29], -v[48:49], v[130:131], v[28:29]
	ds_read2_b64 v[128:131], v118 offset0:46 offset1:47
	v_fma_f64 v[26:27], -v[48:49], v[132:133], v[26:27]
	v_fma_f64 v[24:25], -v[48:49], v[134:135], v[24:25]
	s_waitcnt lgkmcnt(0)
	v_fma_f64 v[22:23], -v[48:49], v[124:125], v[22:23]
	ds_read2_b64 v[132:135], v118 offset0:48 offset1:49
	v_fma_f64 v[20:21], -v[48:49], v[126:127], v[20:21]
	ds_read2_b64 v[124:127], v118 offset0:50 offset1:51
	v_fma_f64 v[18:19], -v[48:49], v[128:129], v[18:19]
	v_fma_f64 v[16:17], -v[48:49], v[130:131], v[16:17]
	ds_read2_b64 v[128:131], v118 offset0:52 offset1:53
	s_waitcnt lgkmcnt(0)
	v_fma_f64 v[14:15], -v[48:49], v[132:133], v[14:15]
	v_fma_f64 v[12:13], -v[48:49], v[134:135], v[12:13]
	;; [unrolled: 1-line block ×7, first 2 shown]
.LBB108_539:
	s_or_b64 exec, exec, s[0:1]
	v_lshl_add_u32 v114, v119, 3, v118
	s_barrier
	ds_write_b64 v114, v[46:47]
	s_waitcnt lgkmcnt(0)
	s_barrier
	ds_read_b64 v[114:115], v118 offset:256
	s_cmp_lt_i32 s18, 34
	v_mov_b32_e32 v116, 32
	s_cbranch_scc1 .LBB108_542
; %bb.540:
	v_add_u32_e32 v123, 0x108, v118
	s_mov_b32 s0, 33
	v_mov_b32_e32 v116, 32
.LBB108_541:                            ; =>This Inner Loop Header: Depth=1
	ds_read_b64 v[124:125], v123
	v_mov_b32_e32 v126, s0
	s_add_i32 s0, s0, 1
	v_add_u32_e32 v123, 8, v123
	s_cmp_lg_u32 s18, s0
	s_waitcnt lgkmcnt(0)
	v_cmp_lt_f64_e64 vcc, |v[114:115]|, |v[124:125]|
	v_cndmask_b32_e32 v115, v115, v125, vcc
	v_cndmask_b32_e32 v114, v114, v124, vcc
	v_cndmask_b32_e32 v116, v116, v126, vcc
	s_cbranch_scc1 .LBB108_541
.LBB108_542:
	s_waitcnt lgkmcnt(0)
	v_cmp_eq_f64_e32 vcc, 0, v[114:115]
	s_and_saveexec_b64 s[0:1], vcc
	s_xor_b64 s[0:1], exec, s[0:1]
; %bb.543:
	v_cmp_ne_u32_e32 vcc, 0, v122
	v_cndmask_b32_e32 v122, 33, v122, vcc
; %bb.544:
	s_andn2_saveexec_b64 s[0:1], s[0:1]
; %bb.545:
	v_div_scale_f64 v[124:125], s[2:3], v[114:115], v[114:115], 1.0
	v_rcp_f64_e32 v[126:127], v[124:125]
	v_div_scale_f64 v[128:129], vcc, 1.0, v[114:115], 1.0
	v_fma_f64 v[130:131], -v[124:125], v[126:127], 1.0
	v_fmac_f64_e32 v[126:127], v[126:127], v[130:131]
	v_fma_f64 v[130:131], -v[124:125], v[126:127], 1.0
	v_fmac_f64_e32 v[126:127], v[126:127], v[130:131]
	v_mul_f64 v[130:131], v[128:129], v[126:127]
	v_fma_f64 v[124:125], -v[124:125], v[130:131], v[128:129]
	v_div_fmas_f64 v[124:125], v[124:125], v[126:127], v[130:131]
	v_div_fixup_f64 v[114:115], v[124:125], v[114:115], 1.0
; %bb.546:
	s_or_b64 exec, exec, s[0:1]
	v_cmp_ne_u32_e32 vcc, v119, v116
	s_and_saveexec_b64 s[0:1], vcc
	s_xor_b64 s[0:1], exec, s[0:1]
	s_cbranch_execz .LBB108_552
; %bb.547:
	v_cmp_eq_u32_e32 vcc, 32, v119
	s_and_saveexec_b64 s[2:3], vcc
	s_cbranch_execz .LBB108_551
; %bb.548:
	v_cmp_ne_u32_e32 vcc, 32, v116
	s_xor_b64 s[14:15], s[6:7], -1
	s_and_b64 s[16:17], s[14:15], vcc
	s_and_saveexec_b64 s[14:15], s[16:17]
	s_cbranch_execz .LBB108_550
; %bb.549:
	v_ashrrev_i32_e32 v117, 31, v116
	v_lshlrev_b64 v[124:125], 2, v[116:117]
	v_add_co_u32_e32 v124, vcc, v4, v124
	v_addc_co_u32_e32 v125, vcc, v5, v125, vcc
	flat_load_dword v117, v[124:125]
	flat_load_dword v119, v[4:5] offset:128
	s_waitcnt vmcnt(0) lgkmcnt(0)
	flat_store_dword v[4:5], v117 offset:128
	flat_store_dword v[124:125], v119
.LBB108_550:
	s_or_b64 exec, exec, s[14:15]
	v_mov_b32_e32 v117, v116
	v_mov_b32_e32 v119, v116
.LBB108_551:
	s_or_b64 exec, exec, s[2:3]
.LBB108_552:
	s_andn2_saveexec_b64 s[0:1], s[0:1]
	s_cbranch_execz .LBB108_554
; %bb.553:
	v_mov_b32_e32 v119, 32
	ds_write2_b64 v118, v[44:45], v[42:43] offset0:33 offset1:34
	ds_write2_b64 v118, v[40:41], v[38:39] offset0:35 offset1:36
	ds_write2_b64 v118, v[36:37], v[34:35] offset0:37 offset1:38
	ds_write2_b64 v118, v[32:33], v[30:31] offset0:39 offset1:40
	ds_write2_b64 v118, v[28:29], v[26:27] offset0:41 offset1:42
	ds_write2_b64 v118, v[24:25], v[22:23] offset0:43 offset1:44
	ds_write2_b64 v118, v[20:21], v[18:19] offset0:45 offset1:46
	ds_write2_b64 v118, v[16:17], v[14:15] offset0:47 offset1:48
	ds_write2_b64 v118, v[12:13], v[10:11] offset0:49 offset1:50
	ds_write2_b64 v118, v[8:9], v[6:7] offset0:51 offset1:52
	ds_write2_b64 v118, v[0:1], v[112:113] offset0:53 offset1:54
.LBB108_554:
	s_or_b64 exec, exec, s[0:1]
	v_cmp_lt_i32_e32 vcc, 32, v119
	s_waitcnt lgkmcnt(0)
	s_barrier
	s_and_saveexec_b64 s[0:1], vcc
	s_cbranch_execz .LBB108_556
; %bb.555:
	ds_read2_b64 v[124:127], v118 offset0:33 offset1:34
	ds_read2_b64 v[128:131], v118 offset0:35 offset1:36
	v_mul_f64 v[46:47], v[114:115], v[46:47]
	ds_read2_b64 v[132:135], v118 offset0:37 offset1:38
	s_waitcnt lgkmcnt(0)
	v_fma_f64 v[44:45], -v[46:47], v[124:125], v[44:45]
	v_fma_f64 v[42:43], -v[46:47], v[126:127], v[42:43]
	ds_read2_b64 v[124:127], v118 offset0:39 offset1:40
	v_fma_f64 v[40:41], -v[46:47], v[128:129], v[40:41]
	v_fma_f64 v[38:39], -v[46:47], v[130:131], v[38:39]
	ds_read2_b64 v[128:131], v118 offset0:41 offset1:42
	;; [unrolled: 3-line block ×3, first 2 shown]
	s_waitcnt lgkmcnt(0)
	v_fma_f64 v[32:33], -v[46:47], v[124:125], v[32:33]
	v_fma_f64 v[30:31], -v[46:47], v[126:127], v[30:31]
	;; [unrolled: 1-line block ×3, first 2 shown]
	ds_read2_b64 v[124:127], v118 offset0:45 offset1:46
	v_fma_f64 v[26:27], -v[46:47], v[130:131], v[26:27]
	ds_read2_b64 v[128:131], v118 offset0:47 offset1:48
	v_fma_f64 v[24:25], -v[46:47], v[132:133], v[24:25]
	v_fma_f64 v[22:23], -v[46:47], v[134:135], v[22:23]
	s_waitcnt lgkmcnt(0)
	v_fma_f64 v[20:21], -v[46:47], v[124:125], v[20:21]
	v_fma_f64 v[18:19], -v[46:47], v[126:127], v[18:19]
	ds_read2_b64 v[124:127], v118 offset0:49 offset1:50
	ds_read2_b64 v[132:135], v118 offset0:51 offset1:52
	v_fma_f64 v[16:17], -v[46:47], v[128:129], v[16:17]
	v_fma_f64 v[14:15], -v[46:47], v[130:131], v[14:15]
	ds_read2_b64 v[128:131], v118 offset0:53 offset1:54
	s_waitcnt lgkmcnt(0)
	v_fma_f64 v[12:13], -v[46:47], v[124:125], v[12:13]
	v_fma_f64 v[10:11], -v[46:47], v[126:127], v[10:11]
	;; [unrolled: 1-line block ×6, first 2 shown]
.LBB108_556:
	s_or_b64 exec, exec, s[0:1]
	v_lshl_add_u32 v114, v119, 3, v118
	s_barrier
	ds_write_b64 v114, v[44:45]
	s_waitcnt lgkmcnt(0)
	s_barrier
	ds_read_b64 v[114:115], v118 offset:264
	s_cmp_lt_i32 s18, 35
	v_mov_b32_e32 v116, 33
	s_cbranch_scc1 .LBB108_559
; %bb.557:
	v_add_u32_e32 v123, 0x110, v118
	s_mov_b32 s0, 34
	v_mov_b32_e32 v116, 33
.LBB108_558:                            ; =>This Inner Loop Header: Depth=1
	ds_read_b64 v[124:125], v123
	v_mov_b32_e32 v126, s0
	s_add_i32 s0, s0, 1
	v_add_u32_e32 v123, 8, v123
	s_cmp_lg_u32 s18, s0
	s_waitcnt lgkmcnt(0)
	v_cmp_lt_f64_e64 vcc, |v[114:115]|, |v[124:125]|
	v_cndmask_b32_e32 v115, v115, v125, vcc
	v_cndmask_b32_e32 v114, v114, v124, vcc
	;; [unrolled: 1-line block ×3, first 2 shown]
	s_cbranch_scc1 .LBB108_558
.LBB108_559:
	s_waitcnt lgkmcnt(0)
	v_cmp_eq_f64_e32 vcc, 0, v[114:115]
	s_and_saveexec_b64 s[0:1], vcc
	s_xor_b64 s[0:1], exec, s[0:1]
; %bb.560:
	v_cmp_ne_u32_e32 vcc, 0, v122
	v_cndmask_b32_e32 v122, 34, v122, vcc
; %bb.561:
	s_andn2_saveexec_b64 s[0:1], s[0:1]
; %bb.562:
	v_div_scale_f64 v[124:125], s[2:3], v[114:115], v[114:115], 1.0
	v_rcp_f64_e32 v[126:127], v[124:125]
	v_div_scale_f64 v[128:129], vcc, 1.0, v[114:115], 1.0
	v_fma_f64 v[130:131], -v[124:125], v[126:127], 1.0
	v_fmac_f64_e32 v[126:127], v[126:127], v[130:131]
	v_fma_f64 v[130:131], -v[124:125], v[126:127], 1.0
	v_fmac_f64_e32 v[126:127], v[126:127], v[130:131]
	v_mul_f64 v[130:131], v[128:129], v[126:127]
	v_fma_f64 v[124:125], -v[124:125], v[130:131], v[128:129]
	v_div_fmas_f64 v[124:125], v[124:125], v[126:127], v[130:131]
	v_div_fixup_f64 v[114:115], v[124:125], v[114:115], 1.0
; %bb.563:
	s_or_b64 exec, exec, s[0:1]
	v_cmp_ne_u32_e32 vcc, v119, v116
	s_and_saveexec_b64 s[0:1], vcc
	s_xor_b64 s[0:1], exec, s[0:1]
	s_cbranch_execz .LBB108_569
; %bb.564:
	v_cmp_eq_u32_e32 vcc, 33, v119
	s_and_saveexec_b64 s[2:3], vcc
	s_cbranch_execz .LBB108_568
; %bb.565:
	v_cmp_ne_u32_e32 vcc, 33, v116
	s_xor_b64 s[14:15], s[6:7], -1
	s_and_b64 s[16:17], s[14:15], vcc
	s_and_saveexec_b64 s[14:15], s[16:17]
	s_cbranch_execz .LBB108_567
; %bb.566:
	v_ashrrev_i32_e32 v117, 31, v116
	v_lshlrev_b64 v[124:125], 2, v[116:117]
	v_add_co_u32_e32 v124, vcc, v4, v124
	v_addc_co_u32_e32 v125, vcc, v5, v125, vcc
	flat_load_dword v117, v[124:125]
	flat_load_dword v119, v[4:5] offset:132
	s_waitcnt vmcnt(0) lgkmcnt(0)
	flat_store_dword v[4:5], v117 offset:132
	flat_store_dword v[124:125], v119
.LBB108_567:
	s_or_b64 exec, exec, s[14:15]
	v_mov_b32_e32 v117, v116
	v_mov_b32_e32 v119, v116
.LBB108_568:
	s_or_b64 exec, exec, s[2:3]
.LBB108_569:
	s_andn2_saveexec_b64 s[0:1], s[0:1]
	s_cbranch_execz .LBB108_571
; %bb.570:
	v_mov_b32_e32 v124, v42
	v_mov_b32_e32 v125, v43
	v_mov_b32_e32 v126, v40
	v_mov_b32_e32 v127, v41
	ds_write2_b64 v118, v[124:125], v[126:127] offset0:34 offset1:35
	v_mov_b32_e32 v124, v38
	v_mov_b32_e32 v125, v39
	v_mov_b32_e32 v126, v36
	v_mov_b32_e32 v127, v37
	ds_write2_b64 v118, v[124:125], v[126:127] offset0:36 offset1:37
	;; [unrolled: 5-line block ×9, first 2 shown]
	v_mov_b32_e32 v124, v6
	v_mov_b32_e32 v125, v7
	;; [unrolled: 1-line block ×5, first 2 shown]
	ds_write2_b64 v118, v[124:125], v[126:127] offset0:52 offset1:53
	ds_write_b64 v118, v[112:113] offset:432
.LBB108_571:
	s_or_b64 exec, exec, s[0:1]
	v_cmp_lt_i32_e32 vcc, 33, v119
	s_waitcnt lgkmcnt(0)
	s_barrier
	s_and_saveexec_b64 s[0:1], vcc
	s_cbranch_execz .LBB108_573
; %bb.572:
	ds_read2_b64 v[124:127], v118 offset0:34 offset1:35
	ds_read2_b64 v[128:131], v118 offset0:36 offset1:37
	v_mul_f64 v[44:45], v[114:115], v[44:45]
	ds_read2_b64 v[132:135], v118 offset0:38 offset1:39
	ds_read_b64 v[114:115], v118 offset:432
	s_waitcnt lgkmcnt(0)
	v_fma_f64 v[42:43], -v[44:45], v[124:125], v[42:43]
	v_fma_f64 v[40:41], -v[44:45], v[126:127], v[40:41]
	ds_read2_b64 v[124:127], v118 offset0:40 offset1:41
	v_fma_f64 v[38:39], -v[44:45], v[128:129], v[38:39]
	v_fma_f64 v[36:37], -v[44:45], v[130:131], v[36:37]
	;; [unrolled: 1-line block ×3, first 2 shown]
	ds_read2_b64 v[128:131], v118 offset0:42 offset1:43
	v_fma_f64 v[32:33], -v[44:45], v[134:135], v[32:33]
	ds_read2_b64 v[132:135], v118 offset0:44 offset1:45
	s_waitcnt lgkmcnt(0)
	v_fma_f64 v[30:31], -v[44:45], v[124:125], v[30:31]
	v_fma_f64 v[28:29], -v[44:45], v[126:127], v[28:29]
	ds_read2_b64 v[124:127], v118 offset0:46 offset1:47
	v_fma_f64 v[26:27], -v[44:45], v[128:129], v[26:27]
	v_fma_f64 v[24:25], -v[44:45], v[130:131], v[24:25]
	ds_read2_b64 v[128:131], v118 offset0:48 offset1:49
	v_fma_f64 v[22:23], -v[44:45], v[132:133], v[22:23]
	v_fma_f64 v[20:21], -v[44:45], v[134:135], v[20:21]
	s_waitcnt lgkmcnt(0)
	v_fma_f64 v[18:19], -v[44:45], v[124:125], v[18:19]
	v_fma_f64 v[16:17], -v[44:45], v[126:127], v[16:17]
	ds_read2_b64 v[124:127], v118 offset0:50 offset1:51
	ds_read2_b64 v[132:135], v118 offset0:52 offset1:53
	v_fma_f64 v[14:15], -v[44:45], v[128:129], v[14:15]
	v_fma_f64 v[12:13], -v[44:45], v[130:131], v[12:13]
	;; [unrolled: 1-line block ×3, first 2 shown]
	s_waitcnt lgkmcnt(0)
	v_fma_f64 v[10:11], -v[44:45], v[124:125], v[10:11]
	v_fma_f64 v[8:9], -v[44:45], v[126:127], v[8:9]
	;; [unrolled: 1-line block ×4, first 2 shown]
.LBB108_573:
	s_or_b64 exec, exec, s[0:1]
	v_lshl_add_u32 v114, v119, 3, v118
	s_barrier
	ds_write_b64 v114, v[42:43]
	s_waitcnt lgkmcnt(0)
	s_barrier
	ds_read_b64 v[114:115], v118 offset:272
	s_cmp_lt_i32 s18, 36
	v_mov_b32_e32 v116, 34
	s_cbranch_scc1 .LBB108_576
; %bb.574:
	v_add_u32_e32 v123, 0x118, v118
	s_mov_b32 s0, 35
	v_mov_b32_e32 v116, 34
.LBB108_575:                            ; =>This Inner Loop Header: Depth=1
	ds_read_b64 v[124:125], v123
	v_mov_b32_e32 v126, s0
	s_add_i32 s0, s0, 1
	v_add_u32_e32 v123, 8, v123
	s_cmp_lg_u32 s18, s0
	s_waitcnt lgkmcnt(0)
	v_cmp_lt_f64_e64 vcc, |v[114:115]|, |v[124:125]|
	v_cndmask_b32_e32 v115, v115, v125, vcc
	v_cndmask_b32_e32 v114, v114, v124, vcc
	;; [unrolled: 1-line block ×3, first 2 shown]
	s_cbranch_scc1 .LBB108_575
.LBB108_576:
	s_waitcnt lgkmcnt(0)
	v_cmp_eq_f64_e32 vcc, 0, v[114:115]
	s_and_saveexec_b64 s[0:1], vcc
	s_xor_b64 s[0:1], exec, s[0:1]
; %bb.577:
	v_cmp_ne_u32_e32 vcc, 0, v122
	v_cndmask_b32_e32 v122, 35, v122, vcc
; %bb.578:
	s_andn2_saveexec_b64 s[0:1], s[0:1]
; %bb.579:
	v_div_scale_f64 v[124:125], s[2:3], v[114:115], v[114:115], 1.0
	v_rcp_f64_e32 v[126:127], v[124:125]
	v_div_scale_f64 v[128:129], vcc, 1.0, v[114:115], 1.0
	v_fma_f64 v[130:131], -v[124:125], v[126:127], 1.0
	v_fmac_f64_e32 v[126:127], v[126:127], v[130:131]
	v_fma_f64 v[130:131], -v[124:125], v[126:127], 1.0
	v_fmac_f64_e32 v[126:127], v[126:127], v[130:131]
	v_mul_f64 v[130:131], v[128:129], v[126:127]
	v_fma_f64 v[124:125], -v[124:125], v[130:131], v[128:129]
	v_div_fmas_f64 v[124:125], v[124:125], v[126:127], v[130:131]
	v_div_fixup_f64 v[114:115], v[124:125], v[114:115], 1.0
; %bb.580:
	s_or_b64 exec, exec, s[0:1]
	v_cmp_ne_u32_e32 vcc, v119, v116
	s_and_saveexec_b64 s[0:1], vcc
	s_xor_b64 s[0:1], exec, s[0:1]
	s_cbranch_execz .LBB108_586
; %bb.581:
	v_cmp_eq_u32_e32 vcc, 34, v119
	s_and_saveexec_b64 s[2:3], vcc
	s_cbranch_execz .LBB108_585
; %bb.582:
	v_cmp_ne_u32_e32 vcc, 34, v116
	s_xor_b64 s[14:15], s[6:7], -1
	s_and_b64 s[16:17], s[14:15], vcc
	s_and_saveexec_b64 s[14:15], s[16:17]
	s_cbranch_execz .LBB108_584
; %bb.583:
	v_ashrrev_i32_e32 v117, 31, v116
	v_lshlrev_b64 v[124:125], 2, v[116:117]
	v_add_co_u32_e32 v124, vcc, v4, v124
	v_addc_co_u32_e32 v125, vcc, v5, v125, vcc
	flat_load_dword v117, v[124:125]
	flat_load_dword v119, v[4:5] offset:136
	s_waitcnt vmcnt(0) lgkmcnt(0)
	flat_store_dword v[4:5], v117 offset:136
	flat_store_dword v[124:125], v119
.LBB108_584:
	s_or_b64 exec, exec, s[14:15]
	v_mov_b32_e32 v117, v116
	v_mov_b32_e32 v119, v116
.LBB108_585:
	s_or_b64 exec, exec, s[2:3]
.LBB108_586:
	s_andn2_saveexec_b64 s[0:1], s[0:1]
	s_cbranch_execz .LBB108_588
; %bb.587:
	v_mov_b32_e32 v119, 34
	ds_write2_b64 v118, v[40:41], v[38:39] offset0:35 offset1:36
	ds_write2_b64 v118, v[36:37], v[34:35] offset0:37 offset1:38
	;; [unrolled: 1-line block ×10, first 2 shown]
.LBB108_588:
	s_or_b64 exec, exec, s[0:1]
	v_cmp_lt_i32_e32 vcc, 34, v119
	s_waitcnt lgkmcnt(0)
	s_barrier
	s_and_saveexec_b64 s[0:1], vcc
	s_cbranch_execz .LBB108_590
; %bb.589:
	ds_read2_b64 v[124:127], v118 offset0:35 offset1:36
	ds_read2_b64 v[128:131], v118 offset0:37 offset1:38
	v_mul_f64 v[42:43], v[114:115], v[42:43]
	ds_read2_b64 v[132:135], v118 offset0:39 offset1:40
	s_waitcnt lgkmcnt(0)
	v_fma_f64 v[40:41], -v[42:43], v[124:125], v[40:41]
	v_fma_f64 v[38:39], -v[42:43], v[126:127], v[38:39]
	ds_read2_b64 v[124:127], v118 offset0:41 offset1:42
	v_fma_f64 v[36:37], -v[42:43], v[128:129], v[36:37]
	v_fma_f64 v[34:35], -v[42:43], v[130:131], v[34:35]
	;; [unrolled: 1-line block ×3, first 2 shown]
	ds_read2_b64 v[128:131], v118 offset0:43 offset1:44
	v_fma_f64 v[30:31], -v[42:43], v[134:135], v[30:31]
	ds_read2_b64 v[132:135], v118 offset0:45 offset1:46
	s_waitcnt lgkmcnt(0)
	v_fma_f64 v[28:29], -v[42:43], v[124:125], v[28:29]
	v_fma_f64 v[26:27], -v[42:43], v[126:127], v[26:27]
	ds_read2_b64 v[124:127], v118 offset0:47 offset1:48
	v_fma_f64 v[24:25], -v[42:43], v[128:129], v[24:25]
	v_fma_f64 v[22:23], -v[42:43], v[130:131], v[22:23]
	ds_read2_b64 v[128:131], v118 offset0:49 offset1:50
	v_fma_f64 v[20:21], -v[42:43], v[132:133], v[20:21]
	v_fma_f64 v[18:19], -v[42:43], v[134:135], v[18:19]
	s_waitcnt lgkmcnt(0)
	v_fma_f64 v[16:17], -v[42:43], v[124:125], v[16:17]
	ds_read2_b64 v[132:135], v118 offset0:51 offset1:52
	v_fma_f64 v[14:15], -v[42:43], v[126:127], v[14:15]
	ds_read2_b64 v[124:127], v118 offset0:53 offset1:54
	v_fma_f64 v[12:13], -v[42:43], v[128:129], v[12:13]
	v_fma_f64 v[10:11], -v[42:43], v[130:131], v[10:11]
	s_waitcnt lgkmcnt(0)
	v_fma_f64 v[8:9], -v[42:43], v[132:133], v[8:9]
	v_fma_f64 v[6:7], -v[42:43], v[134:135], v[6:7]
	;; [unrolled: 1-line block ×4, first 2 shown]
.LBB108_590:
	s_or_b64 exec, exec, s[0:1]
	v_lshl_add_u32 v114, v119, 3, v118
	s_barrier
	ds_write_b64 v114, v[40:41]
	s_waitcnt lgkmcnt(0)
	s_barrier
	ds_read_b64 v[114:115], v118 offset:280
	s_cmp_lt_i32 s18, 37
	v_mov_b32_e32 v116, 35
	s_cbranch_scc1 .LBB108_593
; %bb.591:
	v_add_u32_e32 v123, 0x120, v118
	s_mov_b32 s0, 36
	v_mov_b32_e32 v116, 35
.LBB108_592:                            ; =>This Inner Loop Header: Depth=1
	ds_read_b64 v[124:125], v123
	v_mov_b32_e32 v126, s0
	s_add_i32 s0, s0, 1
	v_add_u32_e32 v123, 8, v123
	s_cmp_lg_u32 s18, s0
	s_waitcnt lgkmcnt(0)
	v_cmp_lt_f64_e64 vcc, |v[114:115]|, |v[124:125]|
	v_cndmask_b32_e32 v115, v115, v125, vcc
	v_cndmask_b32_e32 v114, v114, v124, vcc
	;; [unrolled: 1-line block ×3, first 2 shown]
	s_cbranch_scc1 .LBB108_592
.LBB108_593:
	s_waitcnt lgkmcnt(0)
	v_cmp_eq_f64_e32 vcc, 0, v[114:115]
	s_and_saveexec_b64 s[0:1], vcc
	s_xor_b64 s[0:1], exec, s[0:1]
; %bb.594:
	v_cmp_ne_u32_e32 vcc, 0, v122
	v_cndmask_b32_e32 v122, 36, v122, vcc
; %bb.595:
	s_andn2_saveexec_b64 s[0:1], s[0:1]
; %bb.596:
	v_div_scale_f64 v[124:125], s[2:3], v[114:115], v[114:115], 1.0
	v_rcp_f64_e32 v[126:127], v[124:125]
	v_div_scale_f64 v[128:129], vcc, 1.0, v[114:115], 1.0
	v_fma_f64 v[130:131], -v[124:125], v[126:127], 1.0
	v_fmac_f64_e32 v[126:127], v[126:127], v[130:131]
	v_fma_f64 v[130:131], -v[124:125], v[126:127], 1.0
	v_fmac_f64_e32 v[126:127], v[126:127], v[130:131]
	v_mul_f64 v[130:131], v[128:129], v[126:127]
	v_fma_f64 v[124:125], -v[124:125], v[130:131], v[128:129]
	v_div_fmas_f64 v[124:125], v[124:125], v[126:127], v[130:131]
	v_div_fixup_f64 v[114:115], v[124:125], v[114:115], 1.0
; %bb.597:
	s_or_b64 exec, exec, s[0:1]
	v_cmp_ne_u32_e32 vcc, v119, v116
	s_and_saveexec_b64 s[0:1], vcc
	s_xor_b64 s[0:1], exec, s[0:1]
	s_cbranch_execz .LBB108_603
; %bb.598:
	v_cmp_eq_u32_e32 vcc, 35, v119
	s_and_saveexec_b64 s[2:3], vcc
	s_cbranch_execz .LBB108_602
; %bb.599:
	v_cmp_ne_u32_e32 vcc, 35, v116
	s_xor_b64 s[14:15], s[6:7], -1
	s_and_b64 s[16:17], s[14:15], vcc
	s_and_saveexec_b64 s[14:15], s[16:17]
	s_cbranch_execz .LBB108_601
; %bb.600:
	v_ashrrev_i32_e32 v117, 31, v116
	v_lshlrev_b64 v[124:125], 2, v[116:117]
	v_add_co_u32_e32 v124, vcc, v4, v124
	v_addc_co_u32_e32 v125, vcc, v5, v125, vcc
	flat_load_dword v117, v[124:125]
	flat_load_dword v119, v[4:5] offset:140
	s_waitcnt vmcnt(0) lgkmcnt(0)
	flat_store_dword v[4:5], v117 offset:140
	flat_store_dword v[124:125], v119
.LBB108_601:
	s_or_b64 exec, exec, s[14:15]
	v_mov_b32_e32 v117, v116
	v_mov_b32_e32 v119, v116
.LBB108_602:
	s_or_b64 exec, exec, s[2:3]
.LBB108_603:
	s_andn2_saveexec_b64 s[0:1], s[0:1]
	s_cbranch_execz .LBB108_605
; %bb.604:
	v_mov_b32_e32 v124, v38
	v_mov_b32_e32 v125, v39
	v_mov_b32_e32 v126, v36
	v_mov_b32_e32 v127, v37
	ds_write2_b64 v118, v[124:125], v[126:127] offset0:36 offset1:37
	v_mov_b32_e32 v124, v34
	v_mov_b32_e32 v125, v35
	v_mov_b32_e32 v126, v32
	v_mov_b32_e32 v127, v33
	ds_write2_b64 v118, v[124:125], v[126:127] offset0:38 offset1:39
	;; [unrolled: 5-line block ×8, first 2 shown]
	v_mov_b32_e32 v124, v6
	v_mov_b32_e32 v125, v7
	;; [unrolled: 1-line block ×5, first 2 shown]
	ds_write2_b64 v118, v[124:125], v[126:127] offset0:52 offset1:53
	ds_write_b64 v118, v[112:113] offset:432
.LBB108_605:
	s_or_b64 exec, exec, s[0:1]
	v_cmp_lt_i32_e32 vcc, 35, v119
	s_waitcnt lgkmcnt(0)
	s_barrier
	s_and_saveexec_b64 s[0:1], vcc
	s_cbranch_execz .LBB108_607
; %bb.606:
	ds_read2_b64 v[124:127], v118 offset0:36 offset1:37
	ds_read2_b64 v[128:131], v118 offset0:38 offset1:39
	;; [unrolled: 1-line block ×3, first 2 shown]
	v_mul_f64 v[40:41], v[114:115], v[40:41]
	ds_read_b64 v[114:115], v118 offset:432
	s_waitcnt lgkmcnt(0)
	v_fma_f64 v[38:39], -v[40:41], v[124:125], v[38:39]
	v_fma_f64 v[36:37], -v[40:41], v[126:127], v[36:37]
	ds_read2_b64 v[124:127], v118 offset0:42 offset1:43
	v_fma_f64 v[34:35], -v[40:41], v[128:129], v[34:35]
	v_fma_f64 v[32:33], -v[40:41], v[130:131], v[32:33]
	;; [unrolled: 1-line block ×3, first 2 shown]
	ds_read2_b64 v[128:131], v118 offset0:44 offset1:45
	v_fma_f64 v[28:29], -v[40:41], v[134:135], v[28:29]
	ds_read2_b64 v[132:135], v118 offset0:46 offset1:47
	s_waitcnt lgkmcnt(0)
	v_fma_f64 v[26:27], -v[40:41], v[124:125], v[26:27]
	v_fma_f64 v[24:25], -v[40:41], v[126:127], v[24:25]
	;; [unrolled: 1-line block ×3, first 2 shown]
	ds_read2_b64 v[124:127], v118 offset0:48 offset1:49
	v_fma_f64 v[20:21], -v[40:41], v[130:131], v[20:21]
	ds_read2_b64 v[128:131], v118 offset0:50 offset1:51
	v_fma_f64 v[18:19], -v[40:41], v[132:133], v[18:19]
	v_fma_f64 v[16:17], -v[40:41], v[134:135], v[16:17]
	ds_read2_b64 v[132:135], v118 offset0:52 offset1:53
	s_waitcnt lgkmcnt(0)
	v_fma_f64 v[14:15], -v[40:41], v[124:125], v[14:15]
	v_fma_f64 v[12:13], -v[40:41], v[126:127], v[12:13]
	;; [unrolled: 1-line block ×7, first 2 shown]
.LBB108_607:
	s_or_b64 exec, exec, s[0:1]
	v_lshl_add_u32 v114, v119, 3, v118
	s_barrier
	ds_write_b64 v114, v[38:39]
	s_waitcnt lgkmcnt(0)
	s_barrier
	ds_read_b64 v[114:115], v118 offset:288
	s_cmp_lt_i32 s18, 38
	v_mov_b32_e32 v116, 36
	s_cbranch_scc1 .LBB108_610
; %bb.608:
	v_add_u32_e32 v123, 0x128, v118
	s_mov_b32 s0, 37
	v_mov_b32_e32 v116, 36
.LBB108_609:                            ; =>This Inner Loop Header: Depth=1
	ds_read_b64 v[124:125], v123
	v_mov_b32_e32 v126, s0
	s_add_i32 s0, s0, 1
	v_add_u32_e32 v123, 8, v123
	s_cmp_lg_u32 s18, s0
	s_waitcnt lgkmcnt(0)
	v_cmp_lt_f64_e64 vcc, |v[114:115]|, |v[124:125]|
	v_cndmask_b32_e32 v115, v115, v125, vcc
	v_cndmask_b32_e32 v114, v114, v124, vcc
	;; [unrolled: 1-line block ×3, first 2 shown]
	s_cbranch_scc1 .LBB108_609
.LBB108_610:
	s_waitcnt lgkmcnt(0)
	v_cmp_eq_f64_e32 vcc, 0, v[114:115]
	s_and_saveexec_b64 s[0:1], vcc
	s_xor_b64 s[0:1], exec, s[0:1]
; %bb.611:
	v_cmp_ne_u32_e32 vcc, 0, v122
	v_cndmask_b32_e32 v122, 37, v122, vcc
; %bb.612:
	s_andn2_saveexec_b64 s[0:1], s[0:1]
; %bb.613:
	v_div_scale_f64 v[124:125], s[2:3], v[114:115], v[114:115], 1.0
	v_rcp_f64_e32 v[126:127], v[124:125]
	v_div_scale_f64 v[128:129], vcc, 1.0, v[114:115], 1.0
	v_fma_f64 v[130:131], -v[124:125], v[126:127], 1.0
	v_fmac_f64_e32 v[126:127], v[126:127], v[130:131]
	v_fma_f64 v[130:131], -v[124:125], v[126:127], 1.0
	v_fmac_f64_e32 v[126:127], v[126:127], v[130:131]
	v_mul_f64 v[130:131], v[128:129], v[126:127]
	v_fma_f64 v[124:125], -v[124:125], v[130:131], v[128:129]
	v_div_fmas_f64 v[124:125], v[124:125], v[126:127], v[130:131]
	v_div_fixup_f64 v[114:115], v[124:125], v[114:115], 1.0
; %bb.614:
	s_or_b64 exec, exec, s[0:1]
	v_cmp_ne_u32_e32 vcc, v119, v116
	s_and_saveexec_b64 s[0:1], vcc
	s_xor_b64 s[0:1], exec, s[0:1]
	s_cbranch_execz .LBB108_620
; %bb.615:
	v_cmp_eq_u32_e32 vcc, 36, v119
	s_and_saveexec_b64 s[2:3], vcc
	s_cbranch_execz .LBB108_619
; %bb.616:
	v_cmp_ne_u32_e32 vcc, 36, v116
	s_xor_b64 s[14:15], s[6:7], -1
	s_and_b64 s[16:17], s[14:15], vcc
	s_and_saveexec_b64 s[14:15], s[16:17]
	s_cbranch_execz .LBB108_618
; %bb.617:
	v_ashrrev_i32_e32 v117, 31, v116
	v_lshlrev_b64 v[124:125], 2, v[116:117]
	v_add_co_u32_e32 v124, vcc, v4, v124
	v_addc_co_u32_e32 v125, vcc, v5, v125, vcc
	flat_load_dword v117, v[124:125]
	flat_load_dword v119, v[4:5] offset:144
	s_waitcnt vmcnt(0) lgkmcnt(0)
	flat_store_dword v[4:5], v117 offset:144
	flat_store_dword v[124:125], v119
.LBB108_618:
	s_or_b64 exec, exec, s[14:15]
	v_mov_b32_e32 v117, v116
	v_mov_b32_e32 v119, v116
.LBB108_619:
	s_or_b64 exec, exec, s[2:3]
.LBB108_620:
	s_andn2_saveexec_b64 s[0:1], s[0:1]
	s_cbranch_execz .LBB108_622
; %bb.621:
	v_mov_b32_e32 v119, 36
	ds_write2_b64 v118, v[36:37], v[34:35] offset0:37 offset1:38
	ds_write2_b64 v118, v[32:33], v[30:31] offset0:39 offset1:40
	ds_write2_b64 v118, v[28:29], v[26:27] offset0:41 offset1:42
	ds_write2_b64 v118, v[24:25], v[22:23] offset0:43 offset1:44
	ds_write2_b64 v118, v[20:21], v[18:19] offset0:45 offset1:46
	ds_write2_b64 v118, v[16:17], v[14:15] offset0:47 offset1:48
	ds_write2_b64 v118, v[12:13], v[10:11] offset0:49 offset1:50
	ds_write2_b64 v118, v[8:9], v[6:7] offset0:51 offset1:52
	ds_write2_b64 v118, v[0:1], v[112:113] offset0:53 offset1:54
.LBB108_622:
	s_or_b64 exec, exec, s[0:1]
	v_cmp_lt_i32_e32 vcc, 36, v119
	s_waitcnt lgkmcnt(0)
	s_barrier
	s_and_saveexec_b64 s[0:1], vcc
	s_cbranch_execz .LBB108_624
; %bb.623:
	ds_read2_b64 v[124:127], v118 offset0:37 offset1:38
	ds_read2_b64 v[128:131], v118 offset0:39 offset1:40
	ds_read2_b64 v[132:135], v118 offset0:41 offset1:42
	v_mul_f64 v[38:39], v[114:115], v[38:39]
	s_waitcnt lgkmcnt(0)
	v_fma_f64 v[36:37], -v[38:39], v[124:125], v[36:37]
	v_fma_f64 v[34:35], -v[38:39], v[126:127], v[34:35]
	ds_read2_b64 v[124:127], v118 offset0:43 offset1:44
	v_fma_f64 v[32:33], -v[38:39], v[128:129], v[32:33]
	v_fma_f64 v[30:31], -v[38:39], v[130:131], v[30:31]
	;; [unrolled: 1-line block ×3, first 2 shown]
	ds_read2_b64 v[128:131], v118 offset0:45 offset1:46
	v_fma_f64 v[26:27], -v[38:39], v[134:135], v[26:27]
	ds_read2_b64 v[132:135], v118 offset0:47 offset1:48
	s_waitcnt lgkmcnt(0)
	v_fma_f64 v[24:25], -v[38:39], v[124:125], v[24:25]
	v_fma_f64 v[22:23], -v[38:39], v[126:127], v[22:23]
	;; [unrolled: 1-line block ×4, first 2 shown]
	ds_read2_b64 v[124:127], v118 offset0:49 offset1:50
	ds_read2_b64 v[128:131], v118 offset0:51 offset1:52
	v_fma_f64 v[16:17], -v[38:39], v[132:133], v[16:17]
	v_fma_f64 v[14:15], -v[38:39], v[134:135], v[14:15]
	ds_read2_b64 v[132:135], v118 offset0:53 offset1:54
	s_waitcnt lgkmcnt(0)
	v_fma_f64 v[12:13], -v[38:39], v[124:125], v[12:13]
	v_fma_f64 v[10:11], -v[38:39], v[126:127], v[10:11]
	;; [unrolled: 1-line block ×6, first 2 shown]
.LBB108_624:
	s_or_b64 exec, exec, s[0:1]
	v_lshl_add_u32 v114, v119, 3, v118
	s_barrier
	ds_write_b64 v114, v[36:37]
	s_waitcnt lgkmcnt(0)
	s_barrier
	ds_read_b64 v[114:115], v118 offset:296
	s_cmp_lt_i32 s18, 39
	v_mov_b32_e32 v116, 37
	s_cbranch_scc1 .LBB108_627
; %bb.625:
	v_add_u32_e32 v123, 0x130, v118
	s_mov_b32 s0, 38
	v_mov_b32_e32 v116, 37
.LBB108_626:                            ; =>This Inner Loop Header: Depth=1
	ds_read_b64 v[124:125], v123
	v_mov_b32_e32 v126, s0
	s_add_i32 s0, s0, 1
	v_add_u32_e32 v123, 8, v123
	s_cmp_lg_u32 s18, s0
	s_waitcnt lgkmcnt(0)
	v_cmp_lt_f64_e64 vcc, |v[114:115]|, |v[124:125]|
	v_cndmask_b32_e32 v115, v115, v125, vcc
	v_cndmask_b32_e32 v114, v114, v124, vcc
	;; [unrolled: 1-line block ×3, first 2 shown]
	s_cbranch_scc1 .LBB108_626
.LBB108_627:
	s_waitcnt lgkmcnt(0)
	v_cmp_eq_f64_e32 vcc, 0, v[114:115]
	s_and_saveexec_b64 s[0:1], vcc
	s_xor_b64 s[0:1], exec, s[0:1]
; %bb.628:
	v_cmp_ne_u32_e32 vcc, 0, v122
	v_cndmask_b32_e32 v122, 38, v122, vcc
; %bb.629:
	s_andn2_saveexec_b64 s[0:1], s[0:1]
; %bb.630:
	v_div_scale_f64 v[124:125], s[2:3], v[114:115], v[114:115], 1.0
	v_rcp_f64_e32 v[126:127], v[124:125]
	v_div_scale_f64 v[128:129], vcc, 1.0, v[114:115], 1.0
	v_fma_f64 v[130:131], -v[124:125], v[126:127], 1.0
	v_fmac_f64_e32 v[126:127], v[126:127], v[130:131]
	v_fma_f64 v[130:131], -v[124:125], v[126:127], 1.0
	v_fmac_f64_e32 v[126:127], v[126:127], v[130:131]
	v_mul_f64 v[130:131], v[128:129], v[126:127]
	v_fma_f64 v[124:125], -v[124:125], v[130:131], v[128:129]
	v_div_fmas_f64 v[124:125], v[124:125], v[126:127], v[130:131]
	v_div_fixup_f64 v[114:115], v[124:125], v[114:115], 1.0
; %bb.631:
	s_or_b64 exec, exec, s[0:1]
	v_cmp_ne_u32_e32 vcc, v119, v116
	s_and_saveexec_b64 s[0:1], vcc
	s_xor_b64 s[0:1], exec, s[0:1]
	s_cbranch_execz .LBB108_637
; %bb.632:
	v_cmp_eq_u32_e32 vcc, 37, v119
	s_and_saveexec_b64 s[2:3], vcc
	s_cbranch_execz .LBB108_636
; %bb.633:
	v_cmp_ne_u32_e32 vcc, 37, v116
	s_xor_b64 s[14:15], s[6:7], -1
	s_and_b64 s[16:17], s[14:15], vcc
	s_and_saveexec_b64 s[14:15], s[16:17]
	s_cbranch_execz .LBB108_635
; %bb.634:
	v_ashrrev_i32_e32 v117, 31, v116
	v_lshlrev_b64 v[124:125], 2, v[116:117]
	v_add_co_u32_e32 v124, vcc, v4, v124
	v_addc_co_u32_e32 v125, vcc, v5, v125, vcc
	flat_load_dword v117, v[124:125]
	flat_load_dword v119, v[4:5] offset:148
	s_waitcnt vmcnt(0) lgkmcnt(0)
	flat_store_dword v[4:5], v117 offset:148
	flat_store_dword v[124:125], v119
.LBB108_635:
	s_or_b64 exec, exec, s[14:15]
	v_mov_b32_e32 v117, v116
	v_mov_b32_e32 v119, v116
.LBB108_636:
	s_or_b64 exec, exec, s[2:3]
.LBB108_637:
	s_andn2_saveexec_b64 s[0:1], s[0:1]
	s_cbranch_execz .LBB108_639
; %bb.638:
	v_mov_b32_e32 v124, v34
	v_mov_b32_e32 v125, v35
	v_mov_b32_e32 v126, v32
	v_mov_b32_e32 v127, v33
	ds_write2_b64 v118, v[124:125], v[126:127] offset0:38 offset1:39
	v_mov_b32_e32 v124, v30
	v_mov_b32_e32 v125, v31
	v_mov_b32_e32 v126, v28
	v_mov_b32_e32 v127, v29
	ds_write2_b64 v118, v[124:125], v[126:127] offset0:40 offset1:41
	;; [unrolled: 5-line block ×7, first 2 shown]
	v_mov_b32_e32 v124, v6
	v_mov_b32_e32 v125, v7
	;; [unrolled: 1-line block ×5, first 2 shown]
	ds_write2_b64 v118, v[124:125], v[126:127] offset0:52 offset1:53
	ds_write_b64 v118, v[112:113] offset:432
.LBB108_639:
	s_or_b64 exec, exec, s[0:1]
	v_cmp_lt_i32_e32 vcc, 37, v119
	s_waitcnt lgkmcnt(0)
	s_barrier
	s_and_saveexec_b64 s[0:1], vcc
	s_cbranch_execz .LBB108_641
; %bb.640:
	ds_read2_b64 v[124:127], v118 offset0:38 offset1:39
	ds_read2_b64 v[128:131], v118 offset0:40 offset1:41
	v_mul_f64 v[36:37], v[114:115], v[36:37]
	ds_read2_b64 v[132:135], v118 offset0:42 offset1:43
	ds_read_b64 v[114:115], v118 offset:432
	s_waitcnt lgkmcnt(0)
	v_fma_f64 v[34:35], -v[36:37], v[124:125], v[34:35]
	v_fma_f64 v[32:33], -v[36:37], v[126:127], v[32:33]
	ds_read2_b64 v[124:127], v118 offset0:44 offset1:45
	v_fma_f64 v[30:31], -v[36:37], v[128:129], v[30:31]
	v_fma_f64 v[28:29], -v[36:37], v[130:131], v[28:29]
	ds_read2_b64 v[128:131], v118 offset0:46 offset1:47
	;; [unrolled: 3-line block ×3, first 2 shown]
	s_waitcnt lgkmcnt(0)
	v_fma_f64 v[22:23], -v[36:37], v[124:125], v[22:23]
	v_fma_f64 v[20:21], -v[36:37], v[126:127], v[20:21]
	;; [unrolled: 1-line block ×4, first 2 shown]
	ds_read2_b64 v[124:127], v118 offset0:50 offset1:51
	ds_read2_b64 v[128:131], v118 offset0:52 offset1:53
	v_fma_f64 v[14:15], -v[36:37], v[132:133], v[14:15]
	v_fma_f64 v[12:13], -v[36:37], v[134:135], v[12:13]
	;; [unrolled: 1-line block ×3, first 2 shown]
	s_waitcnt lgkmcnt(0)
	v_fma_f64 v[10:11], -v[36:37], v[124:125], v[10:11]
	v_fma_f64 v[8:9], -v[36:37], v[126:127], v[8:9]
	;; [unrolled: 1-line block ×4, first 2 shown]
.LBB108_641:
	s_or_b64 exec, exec, s[0:1]
	v_lshl_add_u32 v114, v119, 3, v118
	s_barrier
	ds_write_b64 v114, v[34:35]
	s_waitcnt lgkmcnt(0)
	s_barrier
	ds_read_b64 v[114:115], v118 offset:304
	s_cmp_lt_i32 s18, 40
	v_mov_b32_e32 v116, 38
	s_cbranch_scc1 .LBB108_644
; %bb.642:
	v_add_u32_e32 v123, 0x138, v118
	s_mov_b32 s0, 39
	v_mov_b32_e32 v116, 38
.LBB108_643:                            ; =>This Inner Loop Header: Depth=1
	ds_read_b64 v[124:125], v123
	v_mov_b32_e32 v126, s0
	s_add_i32 s0, s0, 1
	v_add_u32_e32 v123, 8, v123
	s_cmp_lg_u32 s18, s0
	s_waitcnt lgkmcnt(0)
	v_cmp_lt_f64_e64 vcc, |v[114:115]|, |v[124:125]|
	v_cndmask_b32_e32 v115, v115, v125, vcc
	v_cndmask_b32_e32 v114, v114, v124, vcc
	;; [unrolled: 1-line block ×3, first 2 shown]
	s_cbranch_scc1 .LBB108_643
.LBB108_644:
	s_waitcnt lgkmcnt(0)
	v_cmp_eq_f64_e32 vcc, 0, v[114:115]
	s_and_saveexec_b64 s[0:1], vcc
	s_xor_b64 s[0:1], exec, s[0:1]
; %bb.645:
	v_cmp_ne_u32_e32 vcc, 0, v122
	v_cndmask_b32_e32 v122, 39, v122, vcc
; %bb.646:
	s_andn2_saveexec_b64 s[0:1], s[0:1]
; %bb.647:
	v_div_scale_f64 v[124:125], s[2:3], v[114:115], v[114:115], 1.0
	v_rcp_f64_e32 v[126:127], v[124:125]
	v_div_scale_f64 v[128:129], vcc, 1.0, v[114:115], 1.0
	v_fma_f64 v[130:131], -v[124:125], v[126:127], 1.0
	v_fmac_f64_e32 v[126:127], v[126:127], v[130:131]
	v_fma_f64 v[130:131], -v[124:125], v[126:127], 1.0
	v_fmac_f64_e32 v[126:127], v[126:127], v[130:131]
	v_mul_f64 v[130:131], v[128:129], v[126:127]
	v_fma_f64 v[124:125], -v[124:125], v[130:131], v[128:129]
	v_div_fmas_f64 v[124:125], v[124:125], v[126:127], v[130:131]
	v_div_fixup_f64 v[114:115], v[124:125], v[114:115], 1.0
; %bb.648:
	s_or_b64 exec, exec, s[0:1]
	v_cmp_ne_u32_e32 vcc, v119, v116
	s_and_saveexec_b64 s[0:1], vcc
	s_xor_b64 s[0:1], exec, s[0:1]
	s_cbranch_execz .LBB108_654
; %bb.649:
	v_cmp_eq_u32_e32 vcc, 38, v119
	s_and_saveexec_b64 s[2:3], vcc
	s_cbranch_execz .LBB108_653
; %bb.650:
	v_cmp_ne_u32_e32 vcc, 38, v116
	s_xor_b64 s[14:15], s[6:7], -1
	s_and_b64 s[16:17], s[14:15], vcc
	s_and_saveexec_b64 s[14:15], s[16:17]
	s_cbranch_execz .LBB108_652
; %bb.651:
	v_ashrrev_i32_e32 v117, 31, v116
	v_lshlrev_b64 v[124:125], 2, v[116:117]
	v_add_co_u32_e32 v124, vcc, v4, v124
	v_addc_co_u32_e32 v125, vcc, v5, v125, vcc
	flat_load_dword v117, v[124:125]
	flat_load_dword v119, v[4:5] offset:152
	s_waitcnt vmcnt(0) lgkmcnt(0)
	flat_store_dword v[4:5], v117 offset:152
	flat_store_dword v[124:125], v119
.LBB108_652:
	s_or_b64 exec, exec, s[14:15]
	v_mov_b32_e32 v117, v116
	v_mov_b32_e32 v119, v116
.LBB108_653:
	s_or_b64 exec, exec, s[2:3]
.LBB108_654:
	s_andn2_saveexec_b64 s[0:1], s[0:1]
	s_cbranch_execz .LBB108_656
; %bb.655:
	v_mov_b32_e32 v119, 38
	ds_write2_b64 v118, v[32:33], v[30:31] offset0:39 offset1:40
	ds_write2_b64 v118, v[28:29], v[26:27] offset0:41 offset1:42
	;; [unrolled: 1-line block ×8, first 2 shown]
.LBB108_656:
	s_or_b64 exec, exec, s[0:1]
	v_cmp_lt_i32_e32 vcc, 38, v119
	s_waitcnt lgkmcnt(0)
	s_barrier
	s_and_saveexec_b64 s[0:1], vcc
	s_cbranch_execz .LBB108_658
; %bb.657:
	ds_read2_b64 v[124:127], v118 offset0:39 offset1:40
	ds_read2_b64 v[128:131], v118 offset0:41 offset1:42
	v_mul_f64 v[34:35], v[114:115], v[34:35]
	ds_read2_b64 v[132:135], v118 offset0:43 offset1:44
	s_waitcnt lgkmcnt(0)
	v_fma_f64 v[32:33], -v[34:35], v[124:125], v[32:33]
	v_fma_f64 v[30:31], -v[34:35], v[126:127], v[30:31]
	ds_read2_b64 v[124:127], v118 offset0:45 offset1:46
	v_fma_f64 v[28:29], -v[34:35], v[128:129], v[28:29]
	v_fma_f64 v[26:27], -v[34:35], v[130:131], v[26:27]
	ds_read2_b64 v[128:131], v118 offset0:47 offset1:48
	v_fma_f64 v[24:25], -v[34:35], v[132:133], v[24:25]
	v_fma_f64 v[22:23], -v[34:35], v[134:135], v[22:23]
	s_waitcnt lgkmcnt(0)
	v_fma_f64 v[20:21], -v[34:35], v[124:125], v[20:21]
	v_fma_f64 v[18:19], -v[34:35], v[126:127], v[18:19]
	ds_read2_b64 v[124:127], v118 offset0:49 offset1:50
	v_fma_f64 v[16:17], -v[34:35], v[128:129], v[16:17]
	ds_read2_b64 v[132:135], v118 offset0:51 offset1:52
	;; [unrolled: 2-line block ×3, first 2 shown]
	s_waitcnt lgkmcnt(0)
	v_fma_f64 v[12:13], -v[34:35], v[124:125], v[12:13]
	v_fma_f64 v[10:11], -v[34:35], v[126:127], v[10:11]
	;; [unrolled: 1-line block ×6, first 2 shown]
.LBB108_658:
	s_or_b64 exec, exec, s[0:1]
	v_lshl_add_u32 v114, v119, 3, v118
	s_barrier
	ds_write_b64 v114, v[32:33]
	s_waitcnt lgkmcnt(0)
	s_barrier
	ds_read_b64 v[114:115], v118 offset:312
	s_cmp_lt_i32 s18, 41
	v_mov_b32_e32 v116, 39
	s_cbranch_scc1 .LBB108_661
; %bb.659:
	v_add_u32_e32 v123, 0x140, v118
	s_mov_b32 s0, 40
	v_mov_b32_e32 v116, 39
.LBB108_660:                            ; =>This Inner Loop Header: Depth=1
	ds_read_b64 v[124:125], v123
	v_mov_b32_e32 v126, s0
	s_add_i32 s0, s0, 1
	v_add_u32_e32 v123, 8, v123
	s_cmp_lg_u32 s18, s0
	s_waitcnt lgkmcnt(0)
	v_cmp_lt_f64_e64 vcc, |v[114:115]|, |v[124:125]|
	v_cndmask_b32_e32 v115, v115, v125, vcc
	v_cndmask_b32_e32 v114, v114, v124, vcc
	;; [unrolled: 1-line block ×3, first 2 shown]
	s_cbranch_scc1 .LBB108_660
.LBB108_661:
	s_waitcnt lgkmcnt(0)
	v_cmp_eq_f64_e32 vcc, 0, v[114:115]
	s_and_saveexec_b64 s[0:1], vcc
	s_xor_b64 s[0:1], exec, s[0:1]
; %bb.662:
	v_cmp_ne_u32_e32 vcc, 0, v122
	v_cndmask_b32_e32 v122, 40, v122, vcc
; %bb.663:
	s_andn2_saveexec_b64 s[0:1], s[0:1]
; %bb.664:
	v_div_scale_f64 v[124:125], s[2:3], v[114:115], v[114:115], 1.0
	v_rcp_f64_e32 v[126:127], v[124:125]
	v_div_scale_f64 v[128:129], vcc, 1.0, v[114:115], 1.0
	v_fma_f64 v[130:131], -v[124:125], v[126:127], 1.0
	v_fmac_f64_e32 v[126:127], v[126:127], v[130:131]
	v_fma_f64 v[130:131], -v[124:125], v[126:127], 1.0
	v_fmac_f64_e32 v[126:127], v[126:127], v[130:131]
	v_mul_f64 v[130:131], v[128:129], v[126:127]
	v_fma_f64 v[124:125], -v[124:125], v[130:131], v[128:129]
	v_div_fmas_f64 v[124:125], v[124:125], v[126:127], v[130:131]
	v_div_fixup_f64 v[114:115], v[124:125], v[114:115], 1.0
; %bb.665:
	s_or_b64 exec, exec, s[0:1]
	v_cmp_ne_u32_e32 vcc, v119, v116
	s_and_saveexec_b64 s[0:1], vcc
	s_xor_b64 s[0:1], exec, s[0:1]
	s_cbranch_execz .LBB108_671
; %bb.666:
	v_cmp_eq_u32_e32 vcc, 39, v119
	s_and_saveexec_b64 s[2:3], vcc
	s_cbranch_execz .LBB108_670
; %bb.667:
	v_cmp_ne_u32_e32 vcc, 39, v116
	s_xor_b64 s[14:15], s[6:7], -1
	s_and_b64 s[16:17], s[14:15], vcc
	s_and_saveexec_b64 s[14:15], s[16:17]
	s_cbranch_execz .LBB108_669
; %bb.668:
	v_ashrrev_i32_e32 v117, 31, v116
	v_lshlrev_b64 v[124:125], 2, v[116:117]
	v_add_co_u32_e32 v124, vcc, v4, v124
	v_addc_co_u32_e32 v125, vcc, v5, v125, vcc
	flat_load_dword v117, v[124:125]
	flat_load_dword v119, v[4:5] offset:156
	s_waitcnt vmcnt(0) lgkmcnt(0)
	flat_store_dword v[4:5], v117 offset:156
	flat_store_dword v[124:125], v119
.LBB108_669:
	s_or_b64 exec, exec, s[14:15]
	v_mov_b32_e32 v117, v116
	v_mov_b32_e32 v119, v116
.LBB108_670:
	s_or_b64 exec, exec, s[2:3]
.LBB108_671:
	s_andn2_saveexec_b64 s[0:1], s[0:1]
	s_cbranch_execz .LBB108_673
; %bb.672:
	v_mov_b32_e32 v124, v30
	v_mov_b32_e32 v125, v31
	v_mov_b32_e32 v126, v28
	v_mov_b32_e32 v127, v29
	ds_write2_b64 v118, v[124:125], v[126:127] offset0:40 offset1:41
	v_mov_b32_e32 v124, v26
	v_mov_b32_e32 v125, v27
	v_mov_b32_e32 v126, v24
	v_mov_b32_e32 v127, v25
	ds_write2_b64 v118, v[124:125], v[126:127] offset0:42 offset1:43
	;; [unrolled: 5-line block ×6, first 2 shown]
	v_mov_b32_e32 v124, v6
	v_mov_b32_e32 v125, v7
	;; [unrolled: 1-line block ×5, first 2 shown]
	ds_write2_b64 v118, v[124:125], v[126:127] offset0:52 offset1:53
	ds_write_b64 v118, v[112:113] offset:432
.LBB108_673:
	s_or_b64 exec, exec, s[0:1]
	v_cmp_lt_i32_e32 vcc, 39, v119
	s_waitcnt lgkmcnt(0)
	s_barrier
	s_and_saveexec_b64 s[0:1], vcc
	s_cbranch_execz .LBB108_675
; %bb.674:
	ds_read2_b64 v[124:127], v118 offset0:40 offset1:41
	ds_read2_b64 v[128:131], v118 offset0:42 offset1:43
	v_mul_f64 v[32:33], v[114:115], v[32:33]
	ds_read2_b64 v[132:135], v118 offset0:44 offset1:45
	ds_read_b64 v[114:115], v118 offset:432
	s_waitcnt lgkmcnt(0)
	v_fma_f64 v[30:31], -v[32:33], v[124:125], v[30:31]
	v_fma_f64 v[28:29], -v[32:33], v[126:127], v[28:29]
	ds_read2_b64 v[124:127], v118 offset0:46 offset1:47
	v_fma_f64 v[26:27], -v[32:33], v[128:129], v[26:27]
	v_fma_f64 v[24:25], -v[32:33], v[130:131], v[24:25]
	;; [unrolled: 1-line block ×3, first 2 shown]
	ds_read2_b64 v[128:131], v118 offset0:48 offset1:49
	v_fma_f64 v[20:21], -v[32:33], v[134:135], v[20:21]
	s_waitcnt lgkmcnt(0)
	v_fma_f64 v[18:19], -v[32:33], v[124:125], v[18:19]
	v_fma_f64 v[16:17], -v[32:33], v[126:127], v[16:17]
	ds_read2_b64 v[124:127], v118 offset0:50 offset1:51
	ds_read2_b64 v[132:135], v118 offset0:52 offset1:53
	v_fma_f64 v[14:15], -v[32:33], v[128:129], v[14:15]
	v_fma_f64 v[12:13], -v[32:33], v[130:131], v[12:13]
	;; [unrolled: 1-line block ×3, first 2 shown]
	s_waitcnt lgkmcnt(0)
	v_fma_f64 v[10:11], -v[32:33], v[124:125], v[10:11]
	v_fma_f64 v[8:9], -v[32:33], v[126:127], v[8:9]
	;; [unrolled: 1-line block ×4, first 2 shown]
.LBB108_675:
	s_or_b64 exec, exec, s[0:1]
	v_lshl_add_u32 v114, v119, 3, v118
	s_barrier
	ds_write_b64 v114, v[30:31]
	s_waitcnt lgkmcnt(0)
	s_barrier
	ds_read_b64 v[114:115], v118 offset:320
	s_cmp_lt_i32 s18, 42
	v_mov_b32_e32 v116, 40
	s_cbranch_scc1 .LBB108_678
; %bb.676:
	v_add_u32_e32 v123, 0x148, v118
	s_mov_b32 s0, 41
	v_mov_b32_e32 v116, 40
.LBB108_677:                            ; =>This Inner Loop Header: Depth=1
	ds_read_b64 v[124:125], v123
	v_mov_b32_e32 v126, s0
	s_add_i32 s0, s0, 1
	v_add_u32_e32 v123, 8, v123
	s_cmp_lg_u32 s18, s0
	s_waitcnt lgkmcnt(0)
	v_cmp_lt_f64_e64 vcc, |v[114:115]|, |v[124:125]|
	v_cndmask_b32_e32 v115, v115, v125, vcc
	v_cndmask_b32_e32 v114, v114, v124, vcc
	;; [unrolled: 1-line block ×3, first 2 shown]
	s_cbranch_scc1 .LBB108_677
.LBB108_678:
	s_waitcnt lgkmcnt(0)
	v_cmp_eq_f64_e32 vcc, 0, v[114:115]
	s_and_saveexec_b64 s[0:1], vcc
	s_xor_b64 s[0:1], exec, s[0:1]
; %bb.679:
	v_cmp_ne_u32_e32 vcc, 0, v122
	v_cndmask_b32_e32 v122, 41, v122, vcc
; %bb.680:
	s_andn2_saveexec_b64 s[0:1], s[0:1]
; %bb.681:
	v_div_scale_f64 v[124:125], s[2:3], v[114:115], v[114:115], 1.0
	v_rcp_f64_e32 v[126:127], v[124:125]
	v_div_scale_f64 v[128:129], vcc, 1.0, v[114:115], 1.0
	v_fma_f64 v[130:131], -v[124:125], v[126:127], 1.0
	v_fmac_f64_e32 v[126:127], v[126:127], v[130:131]
	v_fma_f64 v[130:131], -v[124:125], v[126:127], 1.0
	v_fmac_f64_e32 v[126:127], v[126:127], v[130:131]
	v_mul_f64 v[130:131], v[128:129], v[126:127]
	v_fma_f64 v[124:125], -v[124:125], v[130:131], v[128:129]
	v_div_fmas_f64 v[124:125], v[124:125], v[126:127], v[130:131]
	v_div_fixup_f64 v[114:115], v[124:125], v[114:115], 1.0
; %bb.682:
	s_or_b64 exec, exec, s[0:1]
	v_cmp_ne_u32_e32 vcc, v119, v116
	s_and_saveexec_b64 s[0:1], vcc
	s_xor_b64 s[0:1], exec, s[0:1]
	s_cbranch_execz .LBB108_688
; %bb.683:
	v_cmp_eq_u32_e32 vcc, 40, v119
	s_and_saveexec_b64 s[2:3], vcc
	s_cbranch_execz .LBB108_687
; %bb.684:
	v_cmp_ne_u32_e32 vcc, 40, v116
	s_xor_b64 s[14:15], s[6:7], -1
	s_and_b64 s[16:17], s[14:15], vcc
	s_and_saveexec_b64 s[14:15], s[16:17]
	s_cbranch_execz .LBB108_686
; %bb.685:
	v_ashrrev_i32_e32 v117, 31, v116
	v_lshlrev_b64 v[124:125], 2, v[116:117]
	v_add_co_u32_e32 v124, vcc, v4, v124
	v_addc_co_u32_e32 v125, vcc, v5, v125, vcc
	flat_load_dword v117, v[124:125]
	flat_load_dword v119, v[4:5] offset:160
	s_waitcnt vmcnt(0) lgkmcnt(0)
	flat_store_dword v[4:5], v117 offset:160
	flat_store_dword v[124:125], v119
.LBB108_686:
	s_or_b64 exec, exec, s[14:15]
	v_mov_b32_e32 v117, v116
	v_mov_b32_e32 v119, v116
.LBB108_687:
	s_or_b64 exec, exec, s[2:3]
.LBB108_688:
	s_andn2_saveexec_b64 s[0:1], s[0:1]
	s_cbranch_execz .LBB108_690
; %bb.689:
	v_mov_b32_e32 v119, 40
	ds_write2_b64 v118, v[28:29], v[26:27] offset0:41 offset1:42
	ds_write2_b64 v118, v[24:25], v[22:23] offset0:43 offset1:44
	;; [unrolled: 1-line block ×7, first 2 shown]
.LBB108_690:
	s_or_b64 exec, exec, s[0:1]
	v_cmp_lt_i32_e32 vcc, 40, v119
	s_waitcnt lgkmcnt(0)
	s_barrier
	s_and_saveexec_b64 s[0:1], vcc
	s_cbranch_execz .LBB108_692
; %bb.691:
	ds_read2_b64 v[124:127], v118 offset0:41 offset1:42
	ds_read2_b64 v[128:131], v118 offset0:43 offset1:44
	v_mul_f64 v[30:31], v[114:115], v[30:31]
	ds_read2_b64 v[132:135], v118 offset0:45 offset1:46
	s_waitcnt lgkmcnt(0)
	v_fma_f64 v[28:29], -v[30:31], v[124:125], v[28:29]
	v_fma_f64 v[26:27], -v[30:31], v[126:127], v[26:27]
	ds_read2_b64 v[124:127], v118 offset0:47 offset1:48
	v_fma_f64 v[24:25], -v[30:31], v[128:129], v[24:25]
	v_fma_f64 v[22:23], -v[30:31], v[130:131], v[22:23]
	;; [unrolled: 1-line block ×4, first 2 shown]
	ds_read2_b64 v[128:131], v118 offset0:49 offset1:50
	ds_read2_b64 v[132:135], v118 offset0:51 offset1:52
	s_waitcnt lgkmcnt(0)
	v_fma_f64 v[16:17], -v[30:31], v[124:125], v[16:17]
	v_fma_f64 v[14:15], -v[30:31], v[126:127], v[14:15]
	ds_read2_b64 v[124:127], v118 offset0:53 offset1:54
	v_fma_f64 v[12:13], -v[30:31], v[128:129], v[12:13]
	v_fma_f64 v[10:11], -v[30:31], v[130:131], v[10:11]
	v_fma_f64 v[8:9], -v[30:31], v[132:133], v[8:9]
	v_fma_f64 v[6:7], -v[30:31], v[134:135], v[6:7]
	s_waitcnt lgkmcnt(0)
	v_fma_f64 v[0:1], -v[30:31], v[124:125], v[0:1]
	v_fma_f64 v[112:113], -v[30:31], v[126:127], v[112:113]
.LBB108_692:
	s_or_b64 exec, exec, s[0:1]
	v_lshl_add_u32 v114, v119, 3, v118
	s_barrier
	ds_write_b64 v114, v[28:29]
	s_waitcnt lgkmcnt(0)
	s_barrier
	ds_read_b64 v[114:115], v118 offset:328
	s_cmp_lt_i32 s18, 43
	v_mov_b32_e32 v116, 41
	s_cbranch_scc1 .LBB108_695
; %bb.693:
	v_add_u32_e32 v123, 0x150, v118
	s_mov_b32 s0, 42
	v_mov_b32_e32 v116, 41
.LBB108_694:                            ; =>This Inner Loop Header: Depth=1
	ds_read_b64 v[124:125], v123
	v_mov_b32_e32 v126, s0
	s_add_i32 s0, s0, 1
	v_add_u32_e32 v123, 8, v123
	s_cmp_lg_u32 s18, s0
	s_waitcnt lgkmcnt(0)
	v_cmp_lt_f64_e64 vcc, |v[114:115]|, |v[124:125]|
	v_cndmask_b32_e32 v115, v115, v125, vcc
	v_cndmask_b32_e32 v114, v114, v124, vcc
	;; [unrolled: 1-line block ×3, first 2 shown]
	s_cbranch_scc1 .LBB108_694
.LBB108_695:
	s_waitcnt lgkmcnt(0)
	v_cmp_eq_f64_e32 vcc, 0, v[114:115]
	s_and_saveexec_b64 s[0:1], vcc
	s_xor_b64 s[0:1], exec, s[0:1]
; %bb.696:
	v_cmp_ne_u32_e32 vcc, 0, v122
	v_cndmask_b32_e32 v122, 42, v122, vcc
; %bb.697:
	s_andn2_saveexec_b64 s[0:1], s[0:1]
; %bb.698:
	v_div_scale_f64 v[124:125], s[2:3], v[114:115], v[114:115], 1.0
	v_rcp_f64_e32 v[126:127], v[124:125]
	v_div_scale_f64 v[128:129], vcc, 1.0, v[114:115], 1.0
	v_fma_f64 v[130:131], -v[124:125], v[126:127], 1.0
	v_fmac_f64_e32 v[126:127], v[126:127], v[130:131]
	v_fma_f64 v[130:131], -v[124:125], v[126:127], 1.0
	v_fmac_f64_e32 v[126:127], v[126:127], v[130:131]
	v_mul_f64 v[130:131], v[128:129], v[126:127]
	v_fma_f64 v[124:125], -v[124:125], v[130:131], v[128:129]
	v_div_fmas_f64 v[124:125], v[124:125], v[126:127], v[130:131]
	v_div_fixup_f64 v[114:115], v[124:125], v[114:115], 1.0
; %bb.699:
	s_or_b64 exec, exec, s[0:1]
	v_cmp_ne_u32_e32 vcc, v119, v116
	s_and_saveexec_b64 s[0:1], vcc
	s_xor_b64 s[0:1], exec, s[0:1]
	s_cbranch_execz .LBB108_705
; %bb.700:
	v_cmp_eq_u32_e32 vcc, 41, v119
	s_and_saveexec_b64 s[2:3], vcc
	s_cbranch_execz .LBB108_704
; %bb.701:
	v_cmp_ne_u32_e32 vcc, 41, v116
	s_xor_b64 s[14:15], s[6:7], -1
	s_and_b64 s[16:17], s[14:15], vcc
	s_and_saveexec_b64 s[14:15], s[16:17]
	s_cbranch_execz .LBB108_703
; %bb.702:
	v_ashrrev_i32_e32 v117, 31, v116
	v_lshlrev_b64 v[124:125], 2, v[116:117]
	v_add_co_u32_e32 v124, vcc, v4, v124
	v_addc_co_u32_e32 v125, vcc, v5, v125, vcc
	flat_load_dword v117, v[124:125]
	flat_load_dword v119, v[4:5] offset:164
	s_waitcnt vmcnt(0) lgkmcnt(0)
	flat_store_dword v[4:5], v117 offset:164
	flat_store_dword v[124:125], v119
.LBB108_703:
	s_or_b64 exec, exec, s[14:15]
	v_mov_b32_e32 v117, v116
	v_mov_b32_e32 v119, v116
.LBB108_704:
	s_or_b64 exec, exec, s[2:3]
.LBB108_705:
	s_andn2_saveexec_b64 s[0:1], s[0:1]
	s_cbranch_execz .LBB108_707
; %bb.706:
	v_mov_b32_e32 v124, v26
	v_mov_b32_e32 v125, v27
	v_mov_b32_e32 v126, v24
	v_mov_b32_e32 v127, v25
	ds_write2_b64 v118, v[124:125], v[126:127] offset0:42 offset1:43
	v_mov_b32_e32 v124, v22
	v_mov_b32_e32 v125, v23
	v_mov_b32_e32 v126, v20
	v_mov_b32_e32 v127, v21
	ds_write2_b64 v118, v[124:125], v[126:127] offset0:44 offset1:45
	;; [unrolled: 5-line block ×5, first 2 shown]
	v_mov_b32_e32 v124, v6
	v_mov_b32_e32 v125, v7
	;; [unrolled: 1-line block ×5, first 2 shown]
	ds_write2_b64 v118, v[124:125], v[126:127] offset0:52 offset1:53
	ds_write_b64 v118, v[112:113] offset:432
.LBB108_707:
	s_or_b64 exec, exec, s[0:1]
	v_cmp_lt_i32_e32 vcc, 41, v119
	s_waitcnt lgkmcnt(0)
	s_barrier
	s_and_saveexec_b64 s[0:1], vcc
	s_cbranch_execz .LBB108_709
; %bb.708:
	ds_read2_b64 v[124:127], v118 offset0:42 offset1:43
	ds_read2_b64 v[128:131], v118 offset0:44 offset1:45
	ds_read2_b64 v[132:135], v118 offset0:46 offset1:47
	v_mul_f64 v[28:29], v[114:115], v[28:29]
	ds_read_b64 v[114:115], v118 offset:432
	s_waitcnt lgkmcnt(0)
	v_fma_f64 v[26:27], -v[28:29], v[124:125], v[26:27]
	v_fma_f64 v[24:25], -v[28:29], v[126:127], v[24:25]
	ds_read2_b64 v[124:127], v118 offset0:48 offset1:49
	v_fma_f64 v[22:23], -v[28:29], v[128:129], v[22:23]
	v_fma_f64 v[20:21], -v[28:29], v[130:131], v[20:21]
	v_fma_f64 v[18:19], -v[28:29], v[132:133], v[18:19]
	v_fma_f64 v[16:17], -v[28:29], v[134:135], v[16:17]
	ds_read2_b64 v[128:131], v118 offset0:50 offset1:51
	ds_read2_b64 v[132:135], v118 offset0:52 offset1:53
	s_waitcnt lgkmcnt(0)
	v_fma_f64 v[14:15], -v[28:29], v[124:125], v[14:15]
	v_fma_f64 v[12:13], -v[28:29], v[126:127], v[12:13]
	;; [unrolled: 1-line block ×7, first 2 shown]
.LBB108_709:
	s_or_b64 exec, exec, s[0:1]
	v_lshl_add_u32 v114, v119, 3, v118
	s_barrier
	ds_write_b64 v114, v[26:27]
	s_waitcnt lgkmcnt(0)
	s_barrier
	ds_read_b64 v[114:115], v118 offset:336
	s_cmp_lt_i32 s18, 44
	v_mov_b32_e32 v116, 42
	s_cbranch_scc1 .LBB108_712
; %bb.710:
	v_add_u32_e32 v123, 0x158, v118
	s_mov_b32 s0, 43
	v_mov_b32_e32 v116, 42
.LBB108_711:                            ; =>This Inner Loop Header: Depth=1
	ds_read_b64 v[124:125], v123
	v_mov_b32_e32 v126, s0
	s_add_i32 s0, s0, 1
	v_add_u32_e32 v123, 8, v123
	s_cmp_lg_u32 s18, s0
	s_waitcnt lgkmcnt(0)
	v_cmp_lt_f64_e64 vcc, |v[114:115]|, |v[124:125]|
	v_cndmask_b32_e32 v115, v115, v125, vcc
	v_cndmask_b32_e32 v114, v114, v124, vcc
	;; [unrolled: 1-line block ×3, first 2 shown]
	s_cbranch_scc1 .LBB108_711
.LBB108_712:
	s_waitcnt lgkmcnt(0)
	v_cmp_eq_f64_e32 vcc, 0, v[114:115]
	s_and_saveexec_b64 s[0:1], vcc
	s_xor_b64 s[0:1], exec, s[0:1]
; %bb.713:
	v_cmp_ne_u32_e32 vcc, 0, v122
	v_cndmask_b32_e32 v122, 43, v122, vcc
; %bb.714:
	s_andn2_saveexec_b64 s[0:1], s[0:1]
; %bb.715:
	v_div_scale_f64 v[124:125], s[2:3], v[114:115], v[114:115], 1.0
	v_rcp_f64_e32 v[126:127], v[124:125]
	v_div_scale_f64 v[128:129], vcc, 1.0, v[114:115], 1.0
	v_fma_f64 v[130:131], -v[124:125], v[126:127], 1.0
	v_fmac_f64_e32 v[126:127], v[126:127], v[130:131]
	v_fma_f64 v[130:131], -v[124:125], v[126:127], 1.0
	v_fmac_f64_e32 v[126:127], v[126:127], v[130:131]
	v_mul_f64 v[130:131], v[128:129], v[126:127]
	v_fma_f64 v[124:125], -v[124:125], v[130:131], v[128:129]
	v_div_fmas_f64 v[124:125], v[124:125], v[126:127], v[130:131]
	v_div_fixup_f64 v[114:115], v[124:125], v[114:115], 1.0
; %bb.716:
	s_or_b64 exec, exec, s[0:1]
	v_cmp_ne_u32_e32 vcc, v119, v116
	s_and_saveexec_b64 s[0:1], vcc
	s_xor_b64 s[0:1], exec, s[0:1]
	s_cbranch_execz .LBB108_722
; %bb.717:
	v_cmp_eq_u32_e32 vcc, 42, v119
	s_and_saveexec_b64 s[2:3], vcc
	s_cbranch_execz .LBB108_721
; %bb.718:
	v_cmp_ne_u32_e32 vcc, 42, v116
	s_xor_b64 s[14:15], s[6:7], -1
	s_and_b64 s[16:17], s[14:15], vcc
	s_and_saveexec_b64 s[14:15], s[16:17]
	s_cbranch_execz .LBB108_720
; %bb.719:
	v_ashrrev_i32_e32 v117, 31, v116
	v_lshlrev_b64 v[124:125], 2, v[116:117]
	v_add_co_u32_e32 v124, vcc, v4, v124
	v_addc_co_u32_e32 v125, vcc, v5, v125, vcc
	flat_load_dword v117, v[124:125]
	flat_load_dword v119, v[4:5] offset:168
	s_waitcnt vmcnt(0) lgkmcnt(0)
	flat_store_dword v[4:5], v117 offset:168
	flat_store_dword v[124:125], v119
.LBB108_720:
	s_or_b64 exec, exec, s[14:15]
	v_mov_b32_e32 v117, v116
	v_mov_b32_e32 v119, v116
.LBB108_721:
	s_or_b64 exec, exec, s[2:3]
.LBB108_722:
	s_andn2_saveexec_b64 s[0:1], s[0:1]
	s_cbranch_execz .LBB108_724
; %bb.723:
	v_mov_b32_e32 v119, 42
	ds_write2_b64 v118, v[24:25], v[22:23] offset0:43 offset1:44
	ds_write2_b64 v118, v[20:21], v[18:19] offset0:45 offset1:46
	;; [unrolled: 1-line block ×6, first 2 shown]
.LBB108_724:
	s_or_b64 exec, exec, s[0:1]
	v_cmp_lt_i32_e32 vcc, 42, v119
	s_waitcnt lgkmcnt(0)
	s_barrier
	s_and_saveexec_b64 s[0:1], vcc
	s_cbranch_execz .LBB108_726
; %bb.725:
	ds_read2_b64 v[124:127], v118 offset0:43 offset1:44
	ds_read2_b64 v[128:131], v118 offset0:45 offset1:46
	;; [unrolled: 1-line block ×3, first 2 shown]
	v_mul_f64 v[26:27], v[114:115], v[26:27]
	s_waitcnt lgkmcnt(0)
	v_fma_f64 v[24:25], -v[26:27], v[124:125], v[24:25]
	v_fma_f64 v[22:23], -v[26:27], v[126:127], v[22:23]
	ds_read2_b64 v[124:127], v118 offset0:49 offset1:50
	v_fma_f64 v[20:21], -v[26:27], v[128:129], v[20:21]
	v_fma_f64 v[18:19], -v[26:27], v[130:131], v[18:19]
	v_fma_f64 v[16:17], -v[26:27], v[132:133], v[16:17]
	ds_read2_b64 v[128:131], v118 offset0:51 offset1:52
	v_fma_f64 v[14:15], -v[26:27], v[134:135], v[14:15]
	ds_read2_b64 v[132:135], v118 offset0:53 offset1:54
	s_waitcnt lgkmcnt(0)
	v_fma_f64 v[12:13], -v[26:27], v[124:125], v[12:13]
	v_fma_f64 v[10:11], -v[26:27], v[126:127], v[10:11]
	;; [unrolled: 1-line block ×6, first 2 shown]
.LBB108_726:
	s_or_b64 exec, exec, s[0:1]
	v_lshl_add_u32 v114, v119, 3, v118
	s_barrier
	ds_write_b64 v114, v[24:25]
	s_waitcnt lgkmcnt(0)
	s_barrier
	ds_read_b64 v[114:115], v118 offset:344
	s_cmp_lt_i32 s18, 45
	v_mov_b32_e32 v116, 43
	s_cbranch_scc1 .LBB108_729
; %bb.727:
	v_add_u32_e32 v123, 0x160, v118
	s_mov_b32 s0, 44
	v_mov_b32_e32 v116, 43
.LBB108_728:                            ; =>This Inner Loop Header: Depth=1
	ds_read_b64 v[124:125], v123
	v_mov_b32_e32 v126, s0
	s_add_i32 s0, s0, 1
	v_add_u32_e32 v123, 8, v123
	s_cmp_lg_u32 s18, s0
	s_waitcnt lgkmcnt(0)
	v_cmp_lt_f64_e64 vcc, |v[114:115]|, |v[124:125]|
	v_cndmask_b32_e32 v115, v115, v125, vcc
	v_cndmask_b32_e32 v114, v114, v124, vcc
	;; [unrolled: 1-line block ×3, first 2 shown]
	s_cbranch_scc1 .LBB108_728
.LBB108_729:
	s_waitcnt lgkmcnt(0)
	v_cmp_eq_f64_e32 vcc, 0, v[114:115]
	s_and_saveexec_b64 s[0:1], vcc
	s_xor_b64 s[0:1], exec, s[0:1]
; %bb.730:
	v_cmp_ne_u32_e32 vcc, 0, v122
	v_cndmask_b32_e32 v122, 44, v122, vcc
; %bb.731:
	s_andn2_saveexec_b64 s[0:1], s[0:1]
; %bb.732:
	v_div_scale_f64 v[124:125], s[2:3], v[114:115], v[114:115], 1.0
	v_rcp_f64_e32 v[126:127], v[124:125]
	v_div_scale_f64 v[128:129], vcc, 1.0, v[114:115], 1.0
	v_fma_f64 v[130:131], -v[124:125], v[126:127], 1.0
	v_fmac_f64_e32 v[126:127], v[126:127], v[130:131]
	v_fma_f64 v[130:131], -v[124:125], v[126:127], 1.0
	v_fmac_f64_e32 v[126:127], v[126:127], v[130:131]
	v_mul_f64 v[130:131], v[128:129], v[126:127]
	v_fma_f64 v[124:125], -v[124:125], v[130:131], v[128:129]
	v_div_fmas_f64 v[124:125], v[124:125], v[126:127], v[130:131]
	v_div_fixup_f64 v[114:115], v[124:125], v[114:115], 1.0
; %bb.733:
	s_or_b64 exec, exec, s[0:1]
	v_cmp_ne_u32_e32 vcc, v119, v116
	s_and_saveexec_b64 s[0:1], vcc
	s_xor_b64 s[0:1], exec, s[0:1]
	s_cbranch_execz .LBB108_739
; %bb.734:
	v_cmp_eq_u32_e32 vcc, 43, v119
	s_and_saveexec_b64 s[2:3], vcc
	s_cbranch_execz .LBB108_738
; %bb.735:
	v_cmp_ne_u32_e32 vcc, 43, v116
	s_xor_b64 s[14:15], s[6:7], -1
	s_and_b64 s[16:17], s[14:15], vcc
	s_and_saveexec_b64 s[14:15], s[16:17]
	s_cbranch_execz .LBB108_737
; %bb.736:
	v_ashrrev_i32_e32 v117, 31, v116
	v_lshlrev_b64 v[124:125], 2, v[116:117]
	v_add_co_u32_e32 v124, vcc, v4, v124
	v_addc_co_u32_e32 v125, vcc, v5, v125, vcc
	flat_load_dword v117, v[124:125]
	flat_load_dword v119, v[4:5] offset:172
	s_waitcnt vmcnt(0) lgkmcnt(0)
	flat_store_dword v[4:5], v117 offset:172
	flat_store_dword v[124:125], v119
.LBB108_737:
	s_or_b64 exec, exec, s[14:15]
	v_mov_b32_e32 v117, v116
	v_mov_b32_e32 v119, v116
.LBB108_738:
	s_or_b64 exec, exec, s[2:3]
.LBB108_739:
	s_andn2_saveexec_b64 s[0:1], s[0:1]
	s_cbranch_execz .LBB108_741
; %bb.740:
	v_mov_b32_e32 v124, v22
	v_mov_b32_e32 v125, v23
	v_mov_b32_e32 v126, v20
	v_mov_b32_e32 v127, v21
	ds_write2_b64 v118, v[124:125], v[126:127] offset0:44 offset1:45
	v_mov_b32_e32 v124, v18
	v_mov_b32_e32 v125, v19
	v_mov_b32_e32 v126, v16
	v_mov_b32_e32 v127, v17
	ds_write2_b64 v118, v[124:125], v[126:127] offset0:46 offset1:47
	v_mov_b32_e32 v124, v14
	v_mov_b32_e32 v125, v15
	v_mov_b32_e32 v126, v12
	v_mov_b32_e32 v127, v13
	ds_write2_b64 v118, v[124:125], v[126:127] offset0:48 offset1:49
	v_mov_b32_e32 v124, v10
	v_mov_b32_e32 v125, v11
	v_mov_b32_e32 v126, v8
	v_mov_b32_e32 v127, v9
	ds_write2_b64 v118, v[124:125], v[126:127] offset0:50 offset1:51
	v_mov_b32_e32 v124, v6
	v_mov_b32_e32 v125, v7
	;; [unrolled: 1-line block ×5, first 2 shown]
	ds_write2_b64 v118, v[124:125], v[126:127] offset0:52 offset1:53
	ds_write_b64 v118, v[112:113] offset:432
.LBB108_741:
	s_or_b64 exec, exec, s[0:1]
	v_cmp_lt_i32_e32 vcc, 43, v119
	s_waitcnt lgkmcnt(0)
	s_barrier
	s_and_saveexec_b64 s[0:1], vcc
	s_cbranch_execz .LBB108_743
; %bb.742:
	ds_read2_b64 v[124:127], v118 offset0:44 offset1:45
	ds_read2_b64 v[128:131], v118 offset0:46 offset1:47
	v_mul_f64 v[24:25], v[114:115], v[24:25]
	ds_read2_b64 v[132:135], v118 offset0:48 offset1:49
	ds_read_b64 v[114:115], v118 offset:432
	s_waitcnt lgkmcnt(0)
	v_fma_f64 v[22:23], -v[24:25], v[124:125], v[22:23]
	v_fma_f64 v[20:21], -v[24:25], v[126:127], v[20:21]
	ds_read2_b64 v[124:127], v118 offset0:50 offset1:51
	v_fma_f64 v[18:19], -v[24:25], v[128:129], v[18:19]
	v_fma_f64 v[16:17], -v[24:25], v[130:131], v[16:17]
	ds_read2_b64 v[128:131], v118 offset0:52 offset1:53
	v_fma_f64 v[14:15], -v[24:25], v[132:133], v[14:15]
	v_fma_f64 v[12:13], -v[24:25], v[134:135], v[12:13]
	s_waitcnt lgkmcnt(0)
	v_fma_f64 v[10:11], -v[24:25], v[124:125], v[10:11]
	v_fma_f64 v[8:9], -v[24:25], v[126:127], v[8:9]
	;; [unrolled: 1-line block ×5, first 2 shown]
.LBB108_743:
	s_or_b64 exec, exec, s[0:1]
	v_lshl_add_u32 v114, v119, 3, v118
	s_barrier
	ds_write_b64 v114, v[22:23]
	s_waitcnt lgkmcnt(0)
	s_barrier
	ds_read_b64 v[114:115], v118 offset:352
	s_cmp_lt_i32 s18, 46
	v_mov_b32_e32 v116, 44
	s_cbranch_scc1 .LBB108_746
; %bb.744:
	v_add_u32_e32 v123, 0x168, v118
	s_mov_b32 s0, 45
	v_mov_b32_e32 v116, 44
.LBB108_745:                            ; =>This Inner Loop Header: Depth=1
	ds_read_b64 v[124:125], v123
	v_mov_b32_e32 v126, s0
	s_add_i32 s0, s0, 1
	v_add_u32_e32 v123, 8, v123
	s_cmp_lg_u32 s18, s0
	s_waitcnt lgkmcnt(0)
	v_cmp_lt_f64_e64 vcc, |v[114:115]|, |v[124:125]|
	v_cndmask_b32_e32 v115, v115, v125, vcc
	v_cndmask_b32_e32 v114, v114, v124, vcc
	;; [unrolled: 1-line block ×3, first 2 shown]
	s_cbranch_scc1 .LBB108_745
.LBB108_746:
	s_waitcnt lgkmcnt(0)
	v_cmp_eq_f64_e32 vcc, 0, v[114:115]
	s_and_saveexec_b64 s[0:1], vcc
	s_xor_b64 s[0:1], exec, s[0:1]
; %bb.747:
	v_cmp_ne_u32_e32 vcc, 0, v122
	v_cndmask_b32_e32 v122, 45, v122, vcc
; %bb.748:
	s_andn2_saveexec_b64 s[0:1], s[0:1]
; %bb.749:
	v_div_scale_f64 v[124:125], s[2:3], v[114:115], v[114:115], 1.0
	v_rcp_f64_e32 v[126:127], v[124:125]
	v_div_scale_f64 v[128:129], vcc, 1.0, v[114:115], 1.0
	v_fma_f64 v[130:131], -v[124:125], v[126:127], 1.0
	v_fmac_f64_e32 v[126:127], v[126:127], v[130:131]
	v_fma_f64 v[130:131], -v[124:125], v[126:127], 1.0
	v_fmac_f64_e32 v[126:127], v[126:127], v[130:131]
	v_mul_f64 v[130:131], v[128:129], v[126:127]
	v_fma_f64 v[124:125], -v[124:125], v[130:131], v[128:129]
	v_div_fmas_f64 v[124:125], v[124:125], v[126:127], v[130:131]
	v_div_fixup_f64 v[114:115], v[124:125], v[114:115], 1.0
; %bb.750:
	s_or_b64 exec, exec, s[0:1]
	v_cmp_ne_u32_e32 vcc, v119, v116
	s_and_saveexec_b64 s[0:1], vcc
	s_xor_b64 s[0:1], exec, s[0:1]
	s_cbranch_execz .LBB108_756
; %bb.751:
	v_cmp_eq_u32_e32 vcc, 44, v119
	s_and_saveexec_b64 s[2:3], vcc
	s_cbranch_execz .LBB108_755
; %bb.752:
	v_cmp_ne_u32_e32 vcc, 44, v116
	s_xor_b64 s[14:15], s[6:7], -1
	s_and_b64 s[16:17], s[14:15], vcc
	s_and_saveexec_b64 s[14:15], s[16:17]
	s_cbranch_execz .LBB108_754
; %bb.753:
	v_ashrrev_i32_e32 v117, 31, v116
	v_lshlrev_b64 v[124:125], 2, v[116:117]
	v_add_co_u32_e32 v124, vcc, v4, v124
	v_addc_co_u32_e32 v125, vcc, v5, v125, vcc
	flat_load_dword v117, v[124:125]
	flat_load_dword v119, v[4:5] offset:176
	s_waitcnt vmcnt(0) lgkmcnt(0)
	flat_store_dword v[4:5], v117 offset:176
	flat_store_dword v[124:125], v119
.LBB108_754:
	s_or_b64 exec, exec, s[14:15]
	v_mov_b32_e32 v117, v116
	v_mov_b32_e32 v119, v116
.LBB108_755:
	s_or_b64 exec, exec, s[2:3]
.LBB108_756:
	s_andn2_saveexec_b64 s[0:1], s[0:1]
	s_cbranch_execz .LBB108_758
; %bb.757:
	v_mov_b32_e32 v119, 44
	ds_write2_b64 v118, v[20:21], v[18:19] offset0:45 offset1:46
	ds_write2_b64 v118, v[16:17], v[14:15] offset0:47 offset1:48
	;; [unrolled: 1-line block ×5, first 2 shown]
.LBB108_758:
	s_or_b64 exec, exec, s[0:1]
	v_cmp_lt_i32_e32 vcc, 44, v119
	s_waitcnt lgkmcnt(0)
	s_barrier
	s_and_saveexec_b64 s[0:1], vcc
	s_cbranch_execz .LBB108_760
; %bb.759:
	ds_read2_b64 v[124:127], v118 offset0:45 offset1:46
	ds_read2_b64 v[128:131], v118 offset0:47 offset1:48
	v_mul_f64 v[22:23], v[114:115], v[22:23]
	ds_read2_b64 v[132:135], v118 offset0:51 offset1:52
	s_waitcnt lgkmcnt(0)
	v_fma_f64 v[20:21], -v[22:23], v[124:125], v[20:21]
	v_fma_f64 v[18:19], -v[22:23], v[126:127], v[18:19]
	ds_read2_b64 v[124:127], v118 offset0:49 offset1:50
	v_fma_f64 v[16:17], -v[22:23], v[128:129], v[16:17]
	v_fma_f64 v[14:15], -v[22:23], v[130:131], v[14:15]
	ds_read2_b64 v[128:131], v118 offset0:53 offset1:54
	v_fma_f64 v[8:9], -v[22:23], v[132:133], v[8:9]
	s_waitcnt lgkmcnt(0)
	v_fma_f64 v[12:13], -v[22:23], v[124:125], v[12:13]
	v_fma_f64 v[10:11], -v[22:23], v[126:127], v[10:11]
	;; [unrolled: 1-line block ×5, first 2 shown]
.LBB108_760:
	s_or_b64 exec, exec, s[0:1]
	v_lshl_add_u32 v114, v119, 3, v118
	s_barrier
	ds_write_b64 v114, v[20:21]
	s_waitcnt lgkmcnt(0)
	s_barrier
	ds_read_b64 v[114:115], v118 offset:360
	s_cmp_lt_i32 s18, 47
	v_mov_b32_e32 v116, 45
	s_cbranch_scc1 .LBB108_763
; %bb.761:
	v_add_u32_e32 v123, 0x170, v118
	s_mov_b32 s0, 46
	v_mov_b32_e32 v116, 45
.LBB108_762:                            ; =>This Inner Loop Header: Depth=1
	ds_read_b64 v[124:125], v123
	v_mov_b32_e32 v126, s0
	s_add_i32 s0, s0, 1
	v_add_u32_e32 v123, 8, v123
	s_cmp_lg_u32 s18, s0
	s_waitcnt lgkmcnt(0)
	v_cmp_lt_f64_e64 vcc, |v[114:115]|, |v[124:125]|
	v_cndmask_b32_e32 v115, v115, v125, vcc
	v_cndmask_b32_e32 v114, v114, v124, vcc
	;; [unrolled: 1-line block ×3, first 2 shown]
	s_cbranch_scc1 .LBB108_762
.LBB108_763:
	s_waitcnt lgkmcnt(0)
	v_cmp_eq_f64_e32 vcc, 0, v[114:115]
	s_and_saveexec_b64 s[0:1], vcc
	s_xor_b64 s[0:1], exec, s[0:1]
; %bb.764:
	v_cmp_ne_u32_e32 vcc, 0, v122
	v_cndmask_b32_e32 v122, 46, v122, vcc
; %bb.765:
	s_andn2_saveexec_b64 s[0:1], s[0:1]
; %bb.766:
	v_div_scale_f64 v[124:125], s[2:3], v[114:115], v[114:115], 1.0
	v_rcp_f64_e32 v[126:127], v[124:125]
	v_div_scale_f64 v[128:129], vcc, 1.0, v[114:115], 1.0
	v_fma_f64 v[130:131], -v[124:125], v[126:127], 1.0
	v_fmac_f64_e32 v[126:127], v[126:127], v[130:131]
	v_fma_f64 v[130:131], -v[124:125], v[126:127], 1.0
	v_fmac_f64_e32 v[126:127], v[126:127], v[130:131]
	v_mul_f64 v[130:131], v[128:129], v[126:127]
	v_fma_f64 v[124:125], -v[124:125], v[130:131], v[128:129]
	v_div_fmas_f64 v[124:125], v[124:125], v[126:127], v[130:131]
	v_div_fixup_f64 v[114:115], v[124:125], v[114:115], 1.0
; %bb.767:
	s_or_b64 exec, exec, s[0:1]
	v_cmp_ne_u32_e32 vcc, v119, v116
	s_and_saveexec_b64 s[0:1], vcc
	s_xor_b64 s[0:1], exec, s[0:1]
	s_cbranch_execz .LBB108_773
; %bb.768:
	v_cmp_eq_u32_e32 vcc, 45, v119
	s_and_saveexec_b64 s[2:3], vcc
	s_cbranch_execz .LBB108_772
; %bb.769:
	v_cmp_ne_u32_e32 vcc, 45, v116
	s_xor_b64 s[14:15], s[6:7], -1
	s_and_b64 s[16:17], s[14:15], vcc
	s_and_saveexec_b64 s[14:15], s[16:17]
	s_cbranch_execz .LBB108_771
; %bb.770:
	v_ashrrev_i32_e32 v117, 31, v116
	v_lshlrev_b64 v[124:125], 2, v[116:117]
	v_add_co_u32_e32 v124, vcc, v4, v124
	v_addc_co_u32_e32 v125, vcc, v5, v125, vcc
	flat_load_dword v117, v[124:125]
	flat_load_dword v119, v[4:5] offset:180
	s_waitcnt vmcnt(0) lgkmcnt(0)
	flat_store_dword v[4:5], v117 offset:180
	flat_store_dword v[124:125], v119
.LBB108_771:
	s_or_b64 exec, exec, s[14:15]
	v_mov_b32_e32 v117, v116
	v_mov_b32_e32 v119, v116
.LBB108_772:
	s_or_b64 exec, exec, s[2:3]
.LBB108_773:
	s_andn2_saveexec_b64 s[0:1], s[0:1]
	s_cbranch_execz .LBB108_775
; %bb.774:
	v_mov_b32_e32 v124, v18
	v_mov_b32_e32 v125, v19
	v_mov_b32_e32 v126, v16
	v_mov_b32_e32 v127, v17
	ds_write2_b64 v118, v[124:125], v[126:127] offset0:46 offset1:47
	v_mov_b32_e32 v124, v14
	v_mov_b32_e32 v125, v15
	v_mov_b32_e32 v126, v12
	v_mov_b32_e32 v127, v13
	ds_write2_b64 v118, v[124:125], v[126:127] offset0:48 offset1:49
	;; [unrolled: 5-line block ×3, first 2 shown]
	v_mov_b32_e32 v124, v6
	v_mov_b32_e32 v125, v7
	;; [unrolled: 1-line block ×5, first 2 shown]
	ds_write2_b64 v118, v[124:125], v[126:127] offset0:52 offset1:53
	ds_write_b64 v118, v[112:113] offset:432
.LBB108_775:
	s_or_b64 exec, exec, s[0:1]
	v_cmp_lt_i32_e32 vcc, 45, v119
	s_waitcnt lgkmcnt(0)
	s_barrier
	s_and_saveexec_b64 s[0:1], vcc
	s_cbranch_execz .LBB108_777
; %bb.776:
	ds_read2_b64 v[124:127], v118 offset0:46 offset1:47
	ds_read2_b64 v[128:131], v118 offset0:48 offset1:49
	v_mul_f64 v[20:21], v[114:115], v[20:21]
	ds_read_b64 v[114:115], v118 offset:432
	ds_read2_b64 v[132:135], v118 offset0:52 offset1:53
	s_waitcnt lgkmcnt(0)
	v_fma_f64 v[18:19], -v[20:21], v[124:125], v[18:19]
	v_fma_f64 v[16:17], -v[20:21], v[126:127], v[16:17]
	ds_read2_b64 v[124:127], v118 offset0:50 offset1:51
	v_fma_f64 v[14:15], -v[20:21], v[128:129], v[14:15]
	v_fma_f64 v[12:13], -v[20:21], v[130:131], v[12:13]
	;; [unrolled: 1-line block ×4, first 2 shown]
	s_waitcnt lgkmcnt(0)
	v_fma_f64 v[10:11], -v[20:21], v[124:125], v[10:11]
	v_fma_f64 v[8:9], -v[20:21], v[126:127], v[8:9]
	;; [unrolled: 1-line block ×3, first 2 shown]
.LBB108_777:
	s_or_b64 exec, exec, s[0:1]
	v_lshl_add_u32 v114, v119, 3, v118
	s_barrier
	ds_write_b64 v114, v[18:19]
	s_waitcnt lgkmcnt(0)
	s_barrier
	ds_read_b64 v[114:115], v118 offset:368
	s_cmp_lt_i32 s18, 48
	v_mov_b32_e32 v116, 46
	s_cbranch_scc1 .LBB108_780
; %bb.778:
	v_add_u32_e32 v123, 0x178, v118
	s_mov_b32 s0, 47
	v_mov_b32_e32 v116, 46
.LBB108_779:                            ; =>This Inner Loop Header: Depth=1
	ds_read_b64 v[124:125], v123
	v_mov_b32_e32 v126, s0
	s_add_i32 s0, s0, 1
	v_add_u32_e32 v123, 8, v123
	s_cmp_lg_u32 s18, s0
	s_waitcnt lgkmcnt(0)
	v_cmp_lt_f64_e64 vcc, |v[114:115]|, |v[124:125]|
	v_cndmask_b32_e32 v115, v115, v125, vcc
	v_cndmask_b32_e32 v114, v114, v124, vcc
	;; [unrolled: 1-line block ×3, first 2 shown]
	s_cbranch_scc1 .LBB108_779
.LBB108_780:
	s_waitcnt lgkmcnt(0)
	v_cmp_eq_f64_e32 vcc, 0, v[114:115]
	s_and_saveexec_b64 s[0:1], vcc
	s_xor_b64 s[0:1], exec, s[0:1]
; %bb.781:
	v_cmp_ne_u32_e32 vcc, 0, v122
	v_cndmask_b32_e32 v122, 47, v122, vcc
; %bb.782:
	s_andn2_saveexec_b64 s[0:1], s[0:1]
; %bb.783:
	v_div_scale_f64 v[124:125], s[2:3], v[114:115], v[114:115], 1.0
	v_rcp_f64_e32 v[126:127], v[124:125]
	v_div_scale_f64 v[128:129], vcc, 1.0, v[114:115], 1.0
	v_fma_f64 v[130:131], -v[124:125], v[126:127], 1.0
	v_fmac_f64_e32 v[126:127], v[126:127], v[130:131]
	v_fma_f64 v[130:131], -v[124:125], v[126:127], 1.0
	v_fmac_f64_e32 v[126:127], v[126:127], v[130:131]
	v_mul_f64 v[130:131], v[128:129], v[126:127]
	v_fma_f64 v[124:125], -v[124:125], v[130:131], v[128:129]
	v_div_fmas_f64 v[124:125], v[124:125], v[126:127], v[130:131]
	v_div_fixup_f64 v[114:115], v[124:125], v[114:115], 1.0
; %bb.784:
	s_or_b64 exec, exec, s[0:1]
	v_cmp_ne_u32_e32 vcc, v119, v116
	s_and_saveexec_b64 s[0:1], vcc
	s_xor_b64 s[0:1], exec, s[0:1]
	s_cbranch_execz .LBB108_790
; %bb.785:
	v_cmp_eq_u32_e32 vcc, 46, v119
	s_and_saveexec_b64 s[2:3], vcc
	s_cbranch_execz .LBB108_789
; %bb.786:
	v_cmp_ne_u32_e32 vcc, 46, v116
	s_xor_b64 s[14:15], s[6:7], -1
	s_and_b64 s[16:17], s[14:15], vcc
	s_and_saveexec_b64 s[14:15], s[16:17]
	s_cbranch_execz .LBB108_788
; %bb.787:
	v_ashrrev_i32_e32 v117, 31, v116
	v_lshlrev_b64 v[124:125], 2, v[116:117]
	v_add_co_u32_e32 v124, vcc, v4, v124
	v_addc_co_u32_e32 v125, vcc, v5, v125, vcc
	flat_load_dword v117, v[124:125]
	flat_load_dword v119, v[4:5] offset:184
	s_waitcnt vmcnt(0) lgkmcnt(0)
	flat_store_dword v[4:5], v117 offset:184
	flat_store_dword v[124:125], v119
.LBB108_788:
	s_or_b64 exec, exec, s[14:15]
	v_mov_b32_e32 v117, v116
	v_mov_b32_e32 v119, v116
.LBB108_789:
	s_or_b64 exec, exec, s[2:3]
.LBB108_790:
	s_andn2_saveexec_b64 s[0:1], s[0:1]
	s_cbranch_execz .LBB108_792
; %bb.791:
	v_mov_b32_e32 v119, 46
	ds_write2_b64 v118, v[16:17], v[14:15] offset0:47 offset1:48
	ds_write2_b64 v118, v[12:13], v[10:11] offset0:49 offset1:50
	;; [unrolled: 1-line block ×4, first 2 shown]
.LBB108_792:
	s_or_b64 exec, exec, s[0:1]
	v_cmp_lt_i32_e32 vcc, 46, v119
	s_waitcnt lgkmcnt(0)
	s_barrier
	s_and_saveexec_b64 s[0:1], vcc
	s_cbranch_execz .LBB108_794
; %bb.793:
	ds_read2_b64 v[124:127], v118 offset0:47 offset1:48
	ds_read2_b64 v[128:131], v118 offset0:49 offset1:50
	v_mul_f64 v[18:19], v[114:115], v[18:19]
	ds_read2_b64 v[132:135], v118 offset0:51 offset1:52
	s_waitcnt lgkmcnt(0)
	v_fma_f64 v[16:17], -v[18:19], v[124:125], v[16:17]
	v_fma_f64 v[14:15], -v[18:19], v[126:127], v[14:15]
	ds_read2_b64 v[124:127], v118 offset0:53 offset1:54
	v_fma_f64 v[12:13], -v[18:19], v[128:129], v[12:13]
	v_fma_f64 v[10:11], -v[18:19], v[130:131], v[10:11]
	;; [unrolled: 1-line block ×4, first 2 shown]
	s_waitcnt lgkmcnt(0)
	v_fma_f64 v[0:1], -v[18:19], v[124:125], v[0:1]
	v_fma_f64 v[112:113], -v[18:19], v[126:127], v[112:113]
.LBB108_794:
	s_or_b64 exec, exec, s[0:1]
	v_lshl_add_u32 v114, v119, 3, v118
	s_barrier
	ds_write_b64 v114, v[16:17]
	s_waitcnt lgkmcnt(0)
	s_barrier
	ds_read_b64 v[114:115], v118 offset:376
	s_cmp_lt_i32 s18, 49
	v_mov_b32_e32 v116, 47
	s_cbranch_scc1 .LBB108_797
; %bb.795:
	v_add_u32_e32 v123, 0x180, v118
	s_mov_b32 s0, 48
	v_mov_b32_e32 v116, 47
.LBB108_796:                            ; =>This Inner Loop Header: Depth=1
	ds_read_b64 v[124:125], v123
	v_mov_b32_e32 v126, s0
	s_add_i32 s0, s0, 1
	v_add_u32_e32 v123, 8, v123
	s_cmp_lg_u32 s18, s0
	s_waitcnt lgkmcnt(0)
	v_cmp_lt_f64_e64 vcc, |v[114:115]|, |v[124:125]|
	v_cndmask_b32_e32 v115, v115, v125, vcc
	v_cndmask_b32_e32 v114, v114, v124, vcc
	;; [unrolled: 1-line block ×3, first 2 shown]
	s_cbranch_scc1 .LBB108_796
.LBB108_797:
	s_waitcnt lgkmcnt(0)
	v_cmp_eq_f64_e32 vcc, 0, v[114:115]
	s_and_saveexec_b64 s[0:1], vcc
	s_xor_b64 s[0:1], exec, s[0:1]
; %bb.798:
	v_cmp_ne_u32_e32 vcc, 0, v122
	v_cndmask_b32_e32 v122, 48, v122, vcc
; %bb.799:
	s_andn2_saveexec_b64 s[0:1], s[0:1]
; %bb.800:
	v_div_scale_f64 v[124:125], s[2:3], v[114:115], v[114:115], 1.0
	v_rcp_f64_e32 v[126:127], v[124:125]
	v_div_scale_f64 v[128:129], vcc, 1.0, v[114:115], 1.0
	v_fma_f64 v[130:131], -v[124:125], v[126:127], 1.0
	v_fmac_f64_e32 v[126:127], v[126:127], v[130:131]
	v_fma_f64 v[130:131], -v[124:125], v[126:127], 1.0
	v_fmac_f64_e32 v[126:127], v[126:127], v[130:131]
	v_mul_f64 v[130:131], v[128:129], v[126:127]
	v_fma_f64 v[124:125], -v[124:125], v[130:131], v[128:129]
	v_div_fmas_f64 v[124:125], v[124:125], v[126:127], v[130:131]
	v_div_fixup_f64 v[114:115], v[124:125], v[114:115], 1.0
; %bb.801:
	s_or_b64 exec, exec, s[0:1]
	v_cmp_ne_u32_e32 vcc, v119, v116
	s_and_saveexec_b64 s[0:1], vcc
	s_xor_b64 s[0:1], exec, s[0:1]
	s_cbranch_execz .LBB108_807
; %bb.802:
	v_cmp_eq_u32_e32 vcc, 47, v119
	s_and_saveexec_b64 s[2:3], vcc
	s_cbranch_execz .LBB108_806
; %bb.803:
	v_cmp_ne_u32_e32 vcc, 47, v116
	s_xor_b64 s[14:15], s[6:7], -1
	s_and_b64 s[16:17], s[14:15], vcc
	s_and_saveexec_b64 s[14:15], s[16:17]
	s_cbranch_execz .LBB108_805
; %bb.804:
	v_ashrrev_i32_e32 v117, 31, v116
	v_lshlrev_b64 v[124:125], 2, v[116:117]
	v_add_co_u32_e32 v124, vcc, v4, v124
	v_addc_co_u32_e32 v125, vcc, v5, v125, vcc
	flat_load_dword v117, v[124:125]
	flat_load_dword v119, v[4:5] offset:188
	s_waitcnt vmcnt(0) lgkmcnt(0)
	flat_store_dword v[4:5], v117 offset:188
	flat_store_dword v[124:125], v119
.LBB108_805:
	s_or_b64 exec, exec, s[14:15]
	v_mov_b32_e32 v117, v116
	v_mov_b32_e32 v119, v116
.LBB108_806:
	s_or_b64 exec, exec, s[2:3]
.LBB108_807:
	s_andn2_saveexec_b64 s[0:1], s[0:1]
	s_cbranch_execz .LBB108_809
; %bb.808:
	v_mov_b32_e32 v124, v14
	v_mov_b32_e32 v125, v15
	;; [unrolled: 1-line block ×4, first 2 shown]
	ds_write2_b64 v118, v[124:125], v[126:127] offset0:48 offset1:49
	v_mov_b32_e32 v124, v10
	v_mov_b32_e32 v125, v11
	v_mov_b32_e32 v126, v8
	v_mov_b32_e32 v127, v9
	ds_write2_b64 v118, v[124:125], v[126:127] offset0:50 offset1:51
	v_mov_b32_e32 v124, v6
	v_mov_b32_e32 v125, v7
	;; [unrolled: 1-line block ×5, first 2 shown]
	ds_write2_b64 v118, v[124:125], v[126:127] offset0:52 offset1:53
	ds_write_b64 v118, v[112:113] offset:432
.LBB108_809:
	s_or_b64 exec, exec, s[0:1]
	v_cmp_lt_i32_e32 vcc, 47, v119
	s_waitcnt lgkmcnt(0)
	s_barrier
	s_and_saveexec_b64 s[0:1], vcc
	s_cbranch_execz .LBB108_811
; %bb.810:
	ds_read2_b64 v[124:127], v118 offset0:48 offset1:49
	ds_read2_b64 v[128:131], v118 offset0:50 offset1:51
	v_mul_f64 v[16:17], v[114:115], v[16:17]
	ds_read2_b64 v[132:135], v118 offset0:52 offset1:53
	ds_read_b64 v[114:115], v118 offset:432
	s_waitcnt lgkmcnt(0)
	v_fma_f64 v[14:15], -v[16:17], v[124:125], v[14:15]
	v_fma_f64 v[12:13], -v[16:17], v[126:127], v[12:13]
	v_fma_f64 v[10:11], -v[16:17], v[128:129], v[10:11]
	v_fma_f64 v[8:9], -v[16:17], v[130:131], v[8:9]
	v_fma_f64 v[6:7], -v[16:17], v[132:133], v[6:7]
	v_fma_f64 v[0:1], -v[16:17], v[134:135], v[0:1]
	v_fma_f64 v[112:113], -v[16:17], v[114:115], v[112:113]
.LBB108_811:
	s_or_b64 exec, exec, s[0:1]
	v_lshl_add_u32 v114, v119, 3, v118
	s_barrier
	ds_write_b64 v114, v[14:15]
	s_waitcnt lgkmcnt(0)
	s_barrier
	ds_read_b64 v[114:115], v118 offset:384
	s_cmp_lt_i32 s18, 50
	v_mov_b32_e32 v116, 48
	s_cbranch_scc1 .LBB108_814
; %bb.812:
	v_add_u32_e32 v123, 0x188, v118
	s_mov_b32 s0, 49
	v_mov_b32_e32 v116, 48
.LBB108_813:                            ; =>This Inner Loop Header: Depth=1
	ds_read_b64 v[124:125], v123
	v_mov_b32_e32 v126, s0
	s_add_i32 s0, s0, 1
	v_add_u32_e32 v123, 8, v123
	s_cmp_lg_u32 s18, s0
	s_waitcnt lgkmcnt(0)
	v_cmp_lt_f64_e64 vcc, |v[114:115]|, |v[124:125]|
	v_cndmask_b32_e32 v115, v115, v125, vcc
	v_cndmask_b32_e32 v114, v114, v124, vcc
	;; [unrolled: 1-line block ×3, first 2 shown]
	s_cbranch_scc1 .LBB108_813
.LBB108_814:
	s_waitcnt lgkmcnt(0)
	v_cmp_eq_f64_e32 vcc, 0, v[114:115]
	s_and_saveexec_b64 s[0:1], vcc
	s_xor_b64 s[0:1], exec, s[0:1]
; %bb.815:
	v_cmp_ne_u32_e32 vcc, 0, v122
	v_cndmask_b32_e32 v122, 49, v122, vcc
; %bb.816:
	s_andn2_saveexec_b64 s[0:1], s[0:1]
; %bb.817:
	v_div_scale_f64 v[124:125], s[2:3], v[114:115], v[114:115], 1.0
	v_rcp_f64_e32 v[126:127], v[124:125]
	v_div_scale_f64 v[128:129], vcc, 1.0, v[114:115], 1.0
	v_fma_f64 v[130:131], -v[124:125], v[126:127], 1.0
	v_fmac_f64_e32 v[126:127], v[126:127], v[130:131]
	v_fma_f64 v[130:131], -v[124:125], v[126:127], 1.0
	v_fmac_f64_e32 v[126:127], v[126:127], v[130:131]
	v_mul_f64 v[130:131], v[128:129], v[126:127]
	v_fma_f64 v[124:125], -v[124:125], v[130:131], v[128:129]
	v_div_fmas_f64 v[124:125], v[124:125], v[126:127], v[130:131]
	v_div_fixup_f64 v[114:115], v[124:125], v[114:115], 1.0
; %bb.818:
	s_or_b64 exec, exec, s[0:1]
	v_cmp_ne_u32_e32 vcc, v119, v116
	s_and_saveexec_b64 s[0:1], vcc
	s_xor_b64 s[0:1], exec, s[0:1]
	s_cbranch_execz .LBB108_824
; %bb.819:
	v_cmp_eq_u32_e32 vcc, 48, v119
	s_and_saveexec_b64 s[2:3], vcc
	s_cbranch_execz .LBB108_823
; %bb.820:
	v_cmp_ne_u32_e32 vcc, 48, v116
	s_xor_b64 s[14:15], s[6:7], -1
	s_and_b64 s[16:17], s[14:15], vcc
	s_and_saveexec_b64 s[14:15], s[16:17]
	s_cbranch_execz .LBB108_822
; %bb.821:
	v_ashrrev_i32_e32 v117, 31, v116
	v_lshlrev_b64 v[124:125], 2, v[116:117]
	v_add_co_u32_e32 v124, vcc, v4, v124
	v_addc_co_u32_e32 v125, vcc, v5, v125, vcc
	flat_load_dword v117, v[124:125]
	flat_load_dword v119, v[4:5] offset:192
	s_waitcnt vmcnt(0) lgkmcnt(0)
	flat_store_dword v[4:5], v117 offset:192
	flat_store_dword v[124:125], v119
.LBB108_822:
	s_or_b64 exec, exec, s[14:15]
	v_mov_b32_e32 v117, v116
	v_mov_b32_e32 v119, v116
.LBB108_823:
	s_or_b64 exec, exec, s[2:3]
.LBB108_824:
	s_andn2_saveexec_b64 s[0:1], s[0:1]
	s_cbranch_execz .LBB108_826
; %bb.825:
	v_mov_b32_e32 v119, 48
	ds_write2_b64 v118, v[12:13], v[10:11] offset0:49 offset1:50
	ds_write2_b64 v118, v[8:9], v[6:7] offset0:51 offset1:52
	ds_write2_b64 v118, v[0:1], v[112:113] offset0:53 offset1:54
.LBB108_826:
	s_or_b64 exec, exec, s[0:1]
	v_cmp_lt_i32_e32 vcc, 48, v119
	s_waitcnt lgkmcnt(0)
	s_barrier
	s_and_saveexec_b64 s[0:1], vcc
	s_cbranch_execz .LBB108_828
; %bb.827:
	ds_read2_b64 v[124:127], v118 offset0:49 offset1:50
	ds_read2_b64 v[128:131], v118 offset0:51 offset1:52
	;; [unrolled: 1-line block ×3, first 2 shown]
	v_mul_f64 v[14:15], v[114:115], v[14:15]
	s_waitcnt lgkmcnt(0)
	v_fma_f64 v[12:13], -v[14:15], v[124:125], v[12:13]
	v_fma_f64 v[10:11], -v[14:15], v[126:127], v[10:11]
	;; [unrolled: 1-line block ×6, first 2 shown]
.LBB108_828:
	s_or_b64 exec, exec, s[0:1]
	v_lshl_add_u32 v114, v119, 3, v118
	s_barrier
	ds_write_b64 v114, v[12:13]
	s_waitcnt lgkmcnt(0)
	s_barrier
	ds_read_b64 v[114:115], v118 offset:392
	s_cmp_lt_i32 s18, 51
	v_mov_b32_e32 v116, 49
	s_cbranch_scc1 .LBB108_831
; %bb.829:
	v_add_u32_e32 v123, 0x190, v118
	s_mov_b32 s0, 50
	v_mov_b32_e32 v116, 49
.LBB108_830:                            ; =>This Inner Loop Header: Depth=1
	ds_read_b64 v[124:125], v123
	v_mov_b32_e32 v126, s0
	s_add_i32 s0, s0, 1
	v_add_u32_e32 v123, 8, v123
	s_cmp_lg_u32 s18, s0
	s_waitcnt lgkmcnt(0)
	v_cmp_lt_f64_e64 vcc, |v[114:115]|, |v[124:125]|
	v_cndmask_b32_e32 v115, v115, v125, vcc
	v_cndmask_b32_e32 v114, v114, v124, vcc
	;; [unrolled: 1-line block ×3, first 2 shown]
	s_cbranch_scc1 .LBB108_830
.LBB108_831:
	s_waitcnt lgkmcnt(0)
	v_cmp_eq_f64_e32 vcc, 0, v[114:115]
	s_and_saveexec_b64 s[0:1], vcc
	s_xor_b64 s[0:1], exec, s[0:1]
; %bb.832:
	v_cmp_ne_u32_e32 vcc, 0, v122
	v_cndmask_b32_e32 v122, 50, v122, vcc
; %bb.833:
	s_andn2_saveexec_b64 s[0:1], s[0:1]
; %bb.834:
	v_div_scale_f64 v[124:125], s[2:3], v[114:115], v[114:115], 1.0
	v_rcp_f64_e32 v[126:127], v[124:125]
	v_div_scale_f64 v[128:129], vcc, 1.0, v[114:115], 1.0
	v_fma_f64 v[130:131], -v[124:125], v[126:127], 1.0
	v_fmac_f64_e32 v[126:127], v[126:127], v[130:131]
	v_fma_f64 v[130:131], -v[124:125], v[126:127], 1.0
	v_fmac_f64_e32 v[126:127], v[126:127], v[130:131]
	v_mul_f64 v[130:131], v[128:129], v[126:127]
	v_fma_f64 v[124:125], -v[124:125], v[130:131], v[128:129]
	v_div_fmas_f64 v[124:125], v[124:125], v[126:127], v[130:131]
	v_div_fixup_f64 v[114:115], v[124:125], v[114:115], 1.0
; %bb.835:
	s_or_b64 exec, exec, s[0:1]
	v_cmp_ne_u32_e32 vcc, v119, v116
	s_and_saveexec_b64 s[0:1], vcc
	s_xor_b64 s[0:1], exec, s[0:1]
	s_cbranch_execz .LBB108_841
; %bb.836:
	v_cmp_eq_u32_e32 vcc, 49, v119
	s_and_saveexec_b64 s[2:3], vcc
	s_cbranch_execz .LBB108_840
; %bb.837:
	v_cmp_ne_u32_e32 vcc, 49, v116
	s_xor_b64 s[14:15], s[6:7], -1
	s_and_b64 s[16:17], s[14:15], vcc
	s_and_saveexec_b64 s[14:15], s[16:17]
	s_cbranch_execz .LBB108_839
; %bb.838:
	v_ashrrev_i32_e32 v117, 31, v116
	v_lshlrev_b64 v[124:125], 2, v[116:117]
	v_add_co_u32_e32 v124, vcc, v4, v124
	v_addc_co_u32_e32 v125, vcc, v5, v125, vcc
	flat_load_dword v117, v[124:125]
	flat_load_dword v119, v[4:5] offset:196
	s_waitcnt vmcnt(0) lgkmcnt(0)
	flat_store_dword v[4:5], v117 offset:196
	flat_store_dword v[124:125], v119
.LBB108_839:
	s_or_b64 exec, exec, s[14:15]
	v_mov_b32_e32 v117, v116
	v_mov_b32_e32 v119, v116
.LBB108_840:
	s_or_b64 exec, exec, s[2:3]
.LBB108_841:
	s_andn2_saveexec_b64 s[0:1], s[0:1]
	s_cbranch_execz .LBB108_843
; %bb.842:
	v_mov_b32_e32 v124, v10
	v_mov_b32_e32 v125, v11
	;; [unrolled: 1-line block ×4, first 2 shown]
	ds_write2_b64 v118, v[124:125], v[126:127] offset0:50 offset1:51
	v_mov_b32_e32 v124, v6
	v_mov_b32_e32 v125, v7
	;; [unrolled: 1-line block ×5, first 2 shown]
	ds_write2_b64 v118, v[124:125], v[126:127] offset0:52 offset1:53
	ds_write_b64 v118, v[112:113] offset:432
.LBB108_843:
	s_or_b64 exec, exec, s[0:1]
	v_cmp_lt_i32_e32 vcc, 49, v119
	s_waitcnt lgkmcnt(0)
	s_barrier
	s_and_saveexec_b64 s[0:1], vcc
	s_cbranch_execz .LBB108_845
; %bb.844:
	ds_read2_b64 v[124:127], v118 offset0:50 offset1:51
	ds_read2_b64 v[128:131], v118 offset0:52 offset1:53
	v_mul_f64 v[12:13], v[114:115], v[12:13]
	ds_read_b64 v[114:115], v118 offset:432
	s_waitcnt lgkmcnt(0)
	v_fma_f64 v[10:11], -v[12:13], v[124:125], v[10:11]
	v_fma_f64 v[8:9], -v[12:13], v[126:127], v[8:9]
	;; [unrolled: 1-line block ×5, first 2 shown]
.LBB108_845:
	s_or_b64 exec, exec, s[0:1]
	v_lshl_add_u32 v114, v119, 3, v118
	s_barrier
	ds_write_b64 v114, v[10:11]
	s_waitcnt lgkmcnt(0)
	s_barrier
	ds_read_b64 v[114:115], v118 offset:400
	s_cmp_lt_i32 s18, 52
	v_mov_b32_e32 v116, 50
	s_cbranch_scc1 .LBB108_848
; %bb.846:
	v_add_u32_e32 v123, 0x198, v118
	s_mov_b32 s0, 51
	v_mov_b32_e32 v116, 50
.LBB108_847:                            ; =>This Inner Loop Header: Depth=1
	ds_read_b64 v[124:125], v123
	v_mov_b32_e32 v126, s0
	s_add_i32 s0, s0, 1
	v_add_u32_e32 v123, 8, v123
	s_cmp_lg_u32 s18, s0
	s_waitcnt lgkmcnt(0)
	v_cmp_lt_f64_e64 vcc, |v[114:115]|, |v[124:125]|
	v_cndmask_b32_e32 v115, v115, v125, vcc
	v_cndmask_b32_e32 v114, v114, v124, vcc
	;; [unrolled: 1-line block ×3, first 2 shown]
	s_cbranch_scc1 .LBB108_847
.LBB108_848:
	s_waitcnt lgkmcnt(0)
	v_cmp_eq_f64_e32 vcc, 0, v[114:115]
	s_and_saveexec_b64 s[0:1], vcc
	s_xor_b64 s[0:1], exec, s[0:1]
; %bb.849:
	v_cmp_ne_u32_e32 vcc, 0, v122
	v_cndmask_b32_e32 v122, 51, v122, vcc
; %bb.850:
	s_andn2_saveexec_b64 s[0:1], s[0:1]
; %bb.851:
	v_div_scale_f64 v[124:125], s[2:3], v[114:115], v[114:115], 1.0
	v_rcp_f64_e32 v[126:127], v[124:125]
	v_div_scale_f64 v[128:129], vcc, 1.0, v[114:115], 1.0
	v_fma_f64 v[130:131], -v[124:125], v[126:127], 1.0
	v_fmac_f64_e32 v[126:127], v[126:127], v[130:131]
	v_fma_f64 v[130:131], -v[124:125], v[126:127], 1.0
	v_fmac_f64_e32 v[126:127], v[126:127], v[130:131]
	v_mul_f64 v[130:131], v[128:129], v[126:127]
	v_fma_f64 v[124:125], -v[124:125], v[130:131], v[128:129]
	v_div_fmas_f64 v[124:125], v[124:125], v[126:127], v[130:131]
	v_div_fixup_f64 v[114:115], v[124:125], v[114:115], 1.0
; %bb.852:
	s_or_b64 exec, exec, s[0:1]
	v_cmp_ne_u32_e32 vcc, v119, v116
	s_and_saveexec_b64 s[0:1], vcc
	s_xor_b64 s[0:1], exec, s[0:1]
	s_cbranch_execz .LBB108_858
; %bb.853:
	v_cmp_eq_u32_e32 vcc, 50, v119
	s_and_saveexec_b64 s[2:3], vcc
	s_cbranch_execz .LBB108_857
; %bb.854:
	v_cmp_ne_u32_e32 vcc, 50, v116
	s_xor_b64 s[14:15], s[6:7], -1
	s_and_b64 s[16:17], s[14:15], vcc
	s_and_saveexec_b64 s[14:15], s[16:17]
	s_cbranch_execz .LBB108_856
; %bb.855:
	v_ashrrev_i32_e32 v117, 31, v116
	v_lshlrev_b64 v[124:125], 2, v[116:117]
	v_add_co_u32_e32 v124, vcc, v4, v124
	v_addc_co_u32_e32 v125, vcc, v5, v125, vcc
	flat_load_dword v117, v[124:125]
	flat_load_dword v119, v[4:5] offset:200
	s_waitcnt vmcnt(0) lgkmcnt(0)
	flat_store_dword v[4:5], v117 offset:200
	flat_store_dword v[124:125], v119
.LBB108_856:
	s_or_b64 exec, exec, s[14:15]
	v_mov_b32_e32 v117, v116
	v_mov_b32_e32 v119, v116
.LBB108_857:
	s_or_b64 exec, exec, s[2:3]
.LBB108_858:
	s_andn2_saveexec_b64 s[0:1], s[0:1]
	s_cbranch_execz .LBB108_860
; %bb.859:
	v_mov_b32_e32 v119, 50
	ds_write2_b64 v118, v[8:9], v[6:7] offset0:51 offset1:52
	ds_write2_b64 v118, v[0:1], v[112:113] offset0:53 offset1:54
.LBB108_860:
	s_or_b64 exec, exec, s[0:1]
	v_cmp_lt_i32_e32 vcc, 50, v119
	s_waitcnt lgkmcnt(0)
	s_barrier
	s_and_saveexec_b64 s[0:1], vcc
	s_cbranch_execz .LBB108_862
; %bb.861:
	ds_read2_b64 v[124:127], v118 offset0:51 offset1:52
	ds_read2_b64 v[128:131], v118 offset0:53 offset1:54
	v_mul_f64 v[10:11], v[114:115], v[10:11]
	s_waitcnt lgkmcnt(0)
	v_fma_f64 v[8:9], -v[10:11], v[124:125], v[8:9]
	v_fma_f64 v[6:7], -v[10:11], v[126:127], v[6:7]
	;; [unrolled: 1-line block ×4, first 2 shown]
.LBB108_862:
	s_or_b64 exec, exec, s[0:1]
	v_lshl_add_u32 v114, v119, 3, v118
	s_barrier
	ds_write_b64 v114, v[8:9]
	s_waitcnt lgkmcnt(0)
	s_barrier
	ds_read_b64 v[114:115], v118 offset:408
	s_cmp_lt_i32 s18, 53
	v_mov_b32_e32 v116, 51
	s_cbranch_scc1 .LBB108_865
; %bb.863:
	v_add_u32_e32 v123, 0x1a0, v118
	s_mov_b32 s0, 52
	v_mov_b32_e32 v116, 51
.LBB108_864:                            ; =>This Inner Loop Header: Depth=1
	ds_read_b64 v[124:125], v123
	v_mov_b32_e32 v126, s0
	s_add_i32 s0, s0, 1
	v_add_u32_e32 v123, 8, v123
	s_cmp_lg_u32 s18, s0
	s_waitcnt lgkmcnt(0)
	v_cmp_lt_f64_e64 vcc, |v[114:115]|, |v[124:125]|
	v_cndmask_b32_e32 v115, v115, v125, vcc
	v_cndmask_b32_e32 v114, v114, v124, vcc
	;; [unrolled: 1-line block ×3, first 2 shown]
	s_cbranch_scc1 .LBB108_864
.LBB108_865:
	s_waitcnt lgkmcnt(0)
	v_cmp_eq_f64_e32 vcc, 0, v[114:115]
	s_and_saveexec_b64 s[0:1], vcc
	s_xor_b64 s[0:1], exec, s[0:1]
; %bb.866:
	v_cmp_ne_u32_e32 vcc, 0, v122
	v_cndmask_b32_e32 v122, 52, v122, vcc
; %bb.867:
	s_andn2_saveexec_b64 s[0:1], s[0:1]
; %bb.868:
	v_div_scale_f64 v[124:125], s[2:3], v[114:115], v[114:115], 1.0
	v_rcp_f64_e32 v[126:127], v[124:125]
	v_div_scale_f64 v[128:129], vcc, 1.0, v[114:115], 1.0
	v_fma_f64 v[130:131], -v[124:125], v[126:127], 1.0
	v_fmac_f64_e32 v[126:127], v[126:127], v[130:131]
	v_fma_f64 v[130:131], -v[124:125], v[126:127], 1.0
	v_fmac_f64_e32 v[126:127], v[126:127], v[130:131]
	v_mul_f64 v[130:131], v[128:129], v[126:127]
	v_fma_f64 v[124:125], -v[124:125], v[130:131], v[128:129]
	v_div_fmas_f64 v[124:125], v[124:125], v[126:127], v[130:131]
	v_div_fixup_f64 v[114:115], v[124:125], v[114:115], 1.0
; %bb.869:
	s_or_b64 exec, exec, s[0:1]
	v_cmp_ne_u32_e32 vcc, v119, v116
	s_and_saveexec_b64 s[0:1], vcc
	s_xor_b64 s[0:1], exec, s[0:1]
	s_cbranch_execz .LBB108_875
; %bb.870:
	v_cmp_eq_u32_e32 vcc, 51, v119
	s_and_saveexec_b64 s[2:3], vcc
	s_cbranch_execz .LBB108_874
; %bb.871:
	v_cmp_ne_u32_e32 vcc, 51, v116
	s_xor_b64 s[14:15], s[6:7], -1
	s_and_b64 s[16:17], s[14:15], vcc
	s_and_saveexec_b64 s[14:15], s[16:17]
	s_cbranch_execz .LBB108_873
; %bb.872:
	v_ashrrev_i32_e32 v117, 31, v116
	v_lshlrev_b64 v[124:125], 2, v[116:117]
	v_add_co_u32_e32 v124, vcc, v4, v124
	v_addc_co_u32_e32 v125, vcc, v5, v125, vcc
	flat_load_dword v117, v[124:125]
	flat_load_dword v119, v[4:5] offset:204
	s_waitcnt vmcnt(0) lgkmcnt(0)
	flat_store_dword v[4:5], v117 offset:204
	flat_store_dword v[124:125], v119
.LBB108_873:
	s_or_b64 exec, exec, s[14:15]
	v_mov_b32_e32 v117, v116
	v_mov_b32_e32 v119, v116
.LBB108_874:
	s_or_b64 exec, exec, s[2:3]
.LBB108_875:
	s_andn2_saveexec_b64 s[0:1], s[0:1]
	s_cbranch_execz .LBB108_877
; %bb.876:
	v_mov_b32_e32 v124, v6
	v_mov_b32_e32 v125, v7
	;; [unrolled: 1-line block ×5, first 2 shown]
	ds_write2_b64 v118, v[124:125], v[126:127] offset0:52 offset1:53
	ds_write_b64 v118, v[112:113] offset:432
.LBB108_877:
	s_or_b64 exec, exec, s[0:1]
	v_cmp_lt_i32_e32 vcc, 51, v119
	s_waitcnt lgkmcnt(0)
	s_barrier
	s_and_saveexec_b64 s[0:1], vcc
	s_cbranch_execz .LBB108_879
; %bb.878:
	ds_read2_b64 v[124:127], v118 offset0:52 offset1:53
	ds_read_b64 v[128:129], v118 offset:432
	v_mul_f64 v[8:9], v[114:115], v[8:9]
	s_waitcnt lgkmcnt(0)
	v_fma_f64 v[6:7], -v[8:9], v[124:125], v[6:7]
	v_fma_f64 v[0:1], -v[8:9], v[126:127], v[0:1]
	;; [unrolled: 1-line block ×3, first 2 shown]
.LBB108_879:
	s_or_b64 exec, exec, s[0:1]
	v_lshl_add_u32 v114, v119, 3, v118
	s_barrier
	ds_write_b64 v114, v[6:7]
	s_waitcnt lgkmcnt(0)
	s_barrier
	ds_read_b64 v[114:115], v118 offset:416
	s_cmp_lt_i32 s18, 54
	v_mov_b32_e32 v116, 52
	s_cbranch_scc1 .LBB108_882
; %bb.880:
	v_add_u32_e32 v123, 0x1a8, v118
	s_mov_b32 s0, 53
	v_mov_b32_e32 v116, 52
.LBB108_881:                            ; =>This Inner Loop Header: Depth=1
	ds_read_b64 v[124:125], v123
	v_mov_b32_e32 v126, s0
	s_add_i32 s0, s0, 1
	v_add_u32_e32 v123, 8, v123
	s_cmp_lg_u32 s18, s0
	s_waitcnt lgkmcnt(0)
	v_cmp_lt_f64_e64 vcc, |v[114:115]|, |v[124:125]|
	v_cndmask_b32_e32 v115, v115, v125, vcc
	v_cndmask_b32_e32 v114, v114, v124, vcc
	;; [unrolled: 1-line block ×3, first 2 shown]
	s_cbranch_scc1 .LBB108_881
.LBB108_882:
	s_waitcnt lgkmcnt(0)
	v_cmp_eq_f64_e32 vcc, 0, v[114:115]
	s_and_saveexec_b64 s[0:1], vcc
	s_xor_b64 s[0:1], exec, s[0:1]
; %bb.883:
	v_cmp_ne_u32_e32 vcc, 0, v122
	v_cndmask_b32_e32 v122, 53, v122, vcc
; %bb.884:
	s_andn2_saveexec_b64 s[0:1], s[0:1]
; %bb.885:
	v_div_scale_f64 v[124:125], s[2:3], v[114:115], v[114:115], 1.0
	v_rcp_f64_e32 v[126:127], v[124:125]
	v_div_scale_f64 v[128:129], vcc, 1.0, v[114:115], 1.0
	v_fma_f64 v[130:131], -v[124:125], v[126:127], 1.0
	v_fmac_f64_e32 v[126:127], v[126:127], v[130:131]
	v_fma_f64 v[130:131], -v[124:125], v[126:127], 1.0
	v_fmac_f64_e32 v[126:127], v[126:127], v[130:131]
	v_mul_f64 v[130:131], v[128:129], v[126:127]
	v_fma_f64 v[124:125], -v[124:125], v[130:131], v[128:129]
	v_div_fmas_f64 v[124:125], v[124:125], v[126:127], v[130:131]
	v_div_fixup_f64 v[114:115], v[124:125], v[114:115], 1.0
; %bb.886:
	s_or_b64 exec, exec, s[0:1]
	v_cmp_ne_u32_e32 vcc, v119, v116
	s_and_saveexec_b64 s[0:1], vcc
	s_xor_b64 s[0:1], exec, s[0:1]
	s_cbranch_execz .LBB108_892
; %bb.887:
	v_cmp_eq_u32_e32 vcc, 52, v119
	s_and_saveexec_b64 s[2:3], vcc
	s_cbranch_execz .LBB108_891
; %bb.888:
	v_cmp_ne_u32_e32 vcc, 52, v116
	s_xor_b64 s[14:15], s[6:7], -1
	s_and_b64 s[16:17], s[14:15], vcc
	s_and_saveexec_b64 s[14:15], s[16:17]
	s_cbranch_execz .LBB108_890
; %bb.889:
	v_ashrrev_i32_e32 v117, 31, v116
	v_lshlrev_b64 v[124:125], 2, v[116:117]
	v_add_co_u32_e32 v124, vcc, v4, v124
	v_addc_co_u32_e32 v125, vcc, v5, v125, vcc
	flat_load_dword v117, v[124:125]
	flat_load_dword v119, v[4:5] offset:208
	s_waitcnt vmcnt(0) lgkmcnt(0)
	flat_store_dword v[4:5], v117 offset:208
	flat_store_dword v[124:125], v119
.LBB108_890:
	s_or_b64 exec, exec, s[14:15]
	v_mov_b32_e32 v117, v116
	v_mov_b32_e32 v119, v116
.LBB108_891:
	s_or_b64 exec, exec, s[2:3]
.LBB108_892:
	s_andn2_saveexec_b64 s[0:1], s[0:1]
	s_cbranch_execz .LBB108_894
; %bb.893:
	v_mov_b32_e32 v119, 52
	ds_write2_b64 v118, v[0:1], v[112:113] offset0:53 offset1:54
.LBB108_894:
	s_or_b64 exec, exec, s[0:1]
	v_cmp_lt_i32_e32 vcc, 52, v119
	s_waitcnt lgkmcnt(0)
	s_barrier
	s_and_saveexec_b64 s[0:1], vcc
	s_cbranch_execz .LBB108_896
; %bb.895:
	ds_read2_b64 v[124:127], v118 offset0:53 offset1:54
	v_mul_f64 v[6:7], v[114:115], v[6:7]
	s_waitcnt lgkmcnt(0)
	v_fma_f64 v[0:1], -v[6:7], v[124:125], v[0:1]
	v_fma_f64 v[112:113], -v[6:7], v[126:127], v[112:113]
.LBB108_896:
	s_or_b64 exec, exec, s[0:1]
	v_lshl_add_u32 v114, v119, 3, v118
	s_barrier
	ds_write_b64 v114, v[0:1]
	s_waitcnt lgkmcnt(0)
	s_barrier
	ds_read_b64 v[114:115], v118 offset:424
	s_cmp_lt_i32 s18, 55
	v_mov_b32_e32 v116, 53
	s_cbranch_scc1 .LBB108_899
; %bb.897:
	v_add_u32_e32 v123, 0x1b0, v118
	s_mov_b32 s0, 54
	v_mov_b32_e32 v116, 53
.LBB108_898:                            ; =>This Inner Loop Header: Depth=1
	ds_read_b64 v[124:125], v123
	v_mov_b32_e32 v126, s0
	s_add_i32 s0, s0, 1
	v_add_u32_e32 v123, 8, v123
	s_cmp_lg_u32 s18, s0
	s_waitcnt lgkmcnt(0)
	v_cmp_lt_f64_e64 vcc, |v[114:115]|, |v[124:125]|
	v_cndmask_b32_e32 v115, v115, v125, vcc
	v_cndmask_b32_e32 v114, v114, v124, vcc
	;; [unrolled: 1-line block ×3, first 2 shown]
	s_cbranch_scc1 .LBB108_898
.LBB108_899:
	s_waitcnt lgkmcnt(0)
	v_cmp_eq_f64_e32 vcc, 0, v[114:115]
	s_and_saveexec_b64 s[0:1], vcc
	s_xor_b64 s[0:1], exec, s[0:1]
; %bb.900:
	v_cmp_ne_u32_e32 vcc, 0, v122
	v_cndmask_b32_e32 v122, 54, v122, vcc
; %bb.901:
	s_andn2_saveexec_b64 s[0:1], s[0:1]
; %bb.902:
	v_div_scale_f64 v[124:125], s[2:3], v[114:115], v[114:115], 1.0
	v_rcp_f64_e32 v[126:127], v[124:125]
	v_div_scale_f64 v[128:129], vcc, 1.0, v[114:115], 1.0
	v_fma_f64 v[130:131], -v[124:125], v[126:127], 1.0
	v_fmac_f64_e32 v[126:127], v[126:127], v[130:131]
	v_fma_f64 v[130:131], -v[124:125], v[126:127], 1.0
	v_fmac_f64_e32 v[126:127], v[126:127], v[130:131]
	v_mul_f64 v[130:131], v[128:129], v[126:127]
	v_fma_f64 v[124:125], -v[124:125], v[130:131], v[128:129]
	v_div_fmas_f64 v[124:125], v[124:125], v[126:127], v[130:131]
	v_div_fixup_f64 v[114:115], v[124:125], v[114:115], 1.0
; %bb.903:
	s_or_b64 exec, exec, s[0:1]
	v_cmp_ne_u32_e32 vcc, v119, v116
	s_and_saveexec_b64 s[0:1], vcc
	s_xor_b64 s[0:1], exec, s[0:1]
	s_cbranch_execz .LBB108_909
; %bb.904:
	v_cmp_eq_u32_e32 vcc, 53, v119
	s_and_saveexec_b64 s[2:3], vcc
	s_cbranch_execz .LBB108_908
; %bb.905:
	v_cmp_ne_u32_e32 vcc, 53, v116
	s_xor_b64 s[14:15], s[6:7], -1
	s_and_b64 s[16:17], s[14:15], vcc
	s_and_saveexec_b64 s[14:15], s[16:17]
	s_cbranch_execz .LBB108_907
; %bb.906:
	v_ashrrev_i32_e32 v117, 31, v116
	v_lshlrev_b64 v[124:125], 2, v[116:117]
	v_add_co_u32_e32 v124, vcc, v4, v124
	v_addc_co_u32_e32 v125, vcc, v5, v125, vcc
	flat_load_dword v117, v[124:125]
	flat_load_dword v119, v[4:5] offset:212
	s_waitcnt vmcnt(0) lgkmcnt(0)
	flat_store_dword v[4:5], v117 offset:212
	flat_store_dword v[124:125], v119
.LBB108_907:
	s_or_b64 exec, exec, s[14:15]
	v_mov_b32_e32 v117, v116
	v_mov_b32_e32 v119, v116
.LBB108_908:
	s_or_b64 exec, exec, s[2:3]
.LBB108_909:
	s_andn2_saveexec_b64 s[0:1], s[0:1]
	s_cbranch_execz .LBB108_911
; %bb.910:
	v_mov_b32_e32 v119, 53
	ds_write_b64 v118, v[112:113] offset:432
.LBB108_911:
	s_or_b64 exec, exec, s[0:1]
	v_cmp_lt_i32_e32 vcc, 53, v119
	s_waitcnt lgkmcnt(0)
	s_barrier
	s_and_saveexec_b64 s[0:1], vcc
	s_cbranch_execz .LBB108_913
; %bb.912:
	ds_read_b64 v[124:125], v118 offset:432
	v_mul_f64 v[0:1], v[114:115], v[0:1]
	s_waitcnt lgkmcnt(0)
	v_fma_f64 v[112:113], -v[0:1], v[124:125], v[112:113]
.LBB108_913:
	s_or_b64 exec, exec, s[0:1]
	v_lshl_add_u32 v114, v119, 3, v118
	s_barrier
	ds_write_b64 v114, v[112:113]
	s_waitcnt lgkmcnt(0)
	s_barrier
	ds_read_b64 v[114:115], v118 offset:432
	s_cmp_lt_i32 s18, 56
	v_mov_b32_e32 v116, 54
	s_cbranch_scc1 .LBB108_916
; %bb.914:
	v_add_u32_e32 v118, 0x1b8, v118
	s_mov_b32 s0, 55
	v_mov_b32_e32 v116, 54
.LBB108_915:                            ; =>This Inner Loop Header: Depth=1
	ds_read_b64 v[124:125], v118
	v_mov_b32_e32 v123, s0
	s_add_i32 s0, s0, 1
	v_add_u32_e32 v118, 8, v118
	s_cmp_lg_u32 s18, s0
	s_waitcnt lgkmcnt(0)
	v_cmp_lt_f64_e64 vcc, |v[114:115]|, |v[124:125]|
	v_cndmask_b32_e32 v115, v115, v125, vcc
	v_cndmask_b32_e32 v114, v114, v124, vcc
	;; [unrolled: 1-line block ×3, first 2 shown]
	s_cbranch_scc1 .LBB108_915
.LBB108_916:
	s_waitcnt lgkmcnt(0)
	v_cmp_eq_f64_e32 vcc, 0, v[114:115]
	s_and_saveexec_b64 s[0:1], vcc
	s_xor_b64 s[0:1], exec, s[0:1]
; %bb.917:
	v_cmp_ne_u32_e32 vcc, 0, v122
	v_cndmask_b32_e32 v122, 55, v122, vcc
; %bb.918:
	s_andn2_saveexec_b64 s[0:1], s[0:1]
; %bb.919:
	v_div_scale_f64 v[124:125], s[2:3], v[114:115], v[114:115], 1.0
	v_rcp_f64_e32 v[126:127], v[124:125]
	v_div_scale_f64 v[128:129], vcc, 1.0, v[114:115], 1.0
	v_fma_f64 v[130:131], -v[124:125], v[126:127], 1.0
	v_fmac_f64_e32 v[126:127], v[126:127], v[130:131]
	v_fma_f64 v[130:131], -v[124:125], v[126:127], 1.0
	v_fmac_f64_e32 v[126:127], v[126:127], v[130:131]
	v_mul_f64 v[130:131], v[128:129], v[126:127]
	v_fma_f64 v[124:125], -v[124:125], v[130:131], v[128:129]
	v_div_fmas_f64 v[124:125], v[124:125], v[126:127], v[130:131]
	v_div_fixup_f64 v[114:115], v[124:125], v[114:115], 1.0
; %bb.920:
	s_or_b64 exec, exec, s[0:1]
	v_cmp_ne_u32_e32 vcc, v119, v116
	v_mov_b32_e32 v118, 54
	s_and_saveexec_b64 s[0:1], vcc
	s_cbranch_execz .LBB108_926
; %bb.921:
	v_cmp_eq_u32_e32 vcc, 54, v119
	s_and_saveexec_b64 s[2:3], vcc
	s_cbranch_execz .LBB108_925
; %bb.922:
	v_cmp_ne_u32_e32 vcc, 54, v116
	s_xor_b64 s[6:7], s[6:7], -1
	s_and_b64 s[14:15], s[6:7], vcc
	s_and_saveexec_b64 s[6:7], s[14:15]
	s_cbranch_execz .LBB108_924
; %bb.923:
	v_ashrrev_i32_e32 v117, 31, v116
	v_lshlrev_b64 v[118:119], 2, v[116:117]
	v_add_co_u32_e32 v118, vcc, v4, v118
	v_addc_co_u32_e32 v119, vcc, v5, v119, vcc
	flat_load_dword v117, v[118:119]
	flat_load_dword v123, v[4:5] offset:216
	s_waitcnt vmcnt(0) lgkmcnt(0)
	flat_store_dword v[4:5], v117 offset:216
	flat_store_dword v[118:119], v123
.LBB108_924:
	s_or_b64 exec, exec, s[6:7]
	v_mov_b32_e32 v117, v116
	v_mov_b32_e32 v119, v116
.LBB108_925:
	s_or_b64 exec, exec, s[2:3]
	v_mov_b32_e32 v118, v119
.LBB108_926:
	s_or_b64 exec, exec, s[0:1]
	s_load_dwordx8 s[0:7], s[4:5], 0x28
	v_cmp_gt_i32_e32 vcc, 55, v118
	v_ashrrev_i32_e32 v119, 31, v118
	s_waitcnt lgkmcnt(0)
	s_barrier
	s_barrier
	s_and_saveexec_b64 s[14:15], vcc
	s_cbranch_execz .LBB108_928
; %bb.927:
	v_mul_lo_u32 v116, v3, s4
	v_mul_lo_u32 v123, v2, s5
	v_mad_u64_u32 v[4:5], s[4:5], v2, s4, 0
	s_lshl_b64 s[2:3], s[2:3], 2
	v_add3_u32 v5, v5, v123, v116
	s_add_u32 s0, s2, s0
	v_lshlrev_b64 v[4:5], 2, v[4:5]
	s_addc_u32 s1, s3, s1
	v_mov_b32_e32 v116, s1
	v_add_co_u32_e32 v123, vcc, s0, v4
	v_addc_co_u32_e32 v116, vcc, v116, v5, vcc
	v_lshlrev_b64 v[4:5], 2, v[118:119]
	v_add_co_u32_e32 v4, vcc, v123, v4
	v_addc_co_u32_e32 v5, vcc, v116, v5, vcc
	v_add3_u32 v116, v117, s13, 1
	global_store_dword v[4:5], v116, off
.LBB108_928:
	s_or_b64 exec, exec, s[14:15]
	v_cmp_eq_u32_e32 vcc, 0, v118
	s_and_saveexec_b64 s[2:3], vcc
	s_cbranch_execz .LBB108_931
; %bb.929:
	v_lshlrev_b64 v[2:3], 2, v[2:3]
	v_mov_b32_e32 v4, s7
	v_add_co_u32_e32 v2, vcc, s6, v2
	v_addc_co_u32_e32 v3, vcc, v4, v3, vcc
	global_load_dword v4, v[2:3], off
	v_cmp_lt_i32_e64 s[0:1], 0, v122
	s_waitcnt vmcnt(0)
	v_cmp_eq_u32_e32 vcc, 0, v4
	s_and_b64 s[0:1], vcc, s[0:1]
	s_and_b64 exec, exec, s[0:1]
	s_cbranch_execz .LBB108_931
; %bb.930:
	v_add_u32_e32 v4, s13, v122
	global_store_dword v[2:3], v4, off
.LBB108_931:
	s_or_b64 exec, exec, s[2:3]
	v_mul_f64 v[2:3], v[114:115], v[112:113]
	v_cmp_lt_i32_e32 vcc, 54, v118
	v_lshlrev_b64 v[4:5], 3, v[118:119]
	v_cndmask_b32_e32 v3, v113, v3, vcc
	v_cndmask_b32_e32 v2, v112, v2, vcc
	v_add_co_u32_e32 v4, vcc, v120, v4
	v_addc_co_u32_e32 v5, vcc, v121, v5, vcc
	global_store_dwordx2 v[4:5], v[110:111], off
	v_mov_b32_e32 v110, s11
	v_add_co_u32_e32 v4, vcc, s10, v4
	v_addc_co_u32_e32 v5, vcc, v5, v110, vcc
	global_store_dwordx2 v[4:5], v[108:109], off
	v_add_u32_e32 v4, s12, v118
	v_ashrrev_i32_e32 v5, 31, v4
	v_lshlrev_b64 v[108:109], 3, v[4:5]
	v_add_co_u32_e32 v108, vcc, v120, v108
	v_add_u32_e32 v4, s8, v4
	v_addc_co_u32_e32 v109, vcc, v121, v109, vcc
	v_ashrrev_i32_e32 v5, 31, v4
	global_store_dwordx2 v[108:109], v[106:107], off
	v_lshlrev_b64 v[106:107], 3, v[4:5]
	v_add_co_u32_e32 v106, vcc, v120, v106
	v_add_u32_e32 v4, s8, v4
	v_addc_co_u32_e32 v107, vcc, v121, v107, vcc
	v_ashrrev_i32_e32 v5, 31, v4
	global_store_dwordx2 v[106:107], v[102:103], off
	;; [unrolled: 6-line block ×51, first 2 shown]
	v_lshlrev_b64 v[6:7], 3, v[4:5]
	v_add_co_u32_e32 v6, vcc, v120, v6
	v_addc_co_u32_e32 v7, vcc, v121, v7, vcc
	global_store_dwordx2 v[6:7], v[0:1], off
	v_add_u32_e32 v0, s8, v4
	v_ashrrev_i32_e32 v1, 31, v0
	v_lshlrev_b64 v[0:1], 3, v[0:1]
	v_add_co_u32_e32 v0, vcc, v120, v0
	v_addc_co_u32_e32 v1, vcc, v121, v1, vcc
	global_store_dwordx2 v[0:1], v[2:3], off
.LBB108_932:
	s_endpgm
	.section	.rodata,"a",@progbits
	.p2align	6, 0x0
	.amdhsa_kernel _ZN9rocsolver6v33100L18getf2_small_kernelILi55EdiiPKPdEEvT1_T3_lS5_lPS5_llPT2_S5_S5_S7_l
		.amdhsa_group_segment_fixed_size 0
		.amdhsa_private_segment_fixed_size 0
		.amdhsa_kernarg_size 352
		.amdhsa_user_sgpr_count 6
		.amdhsa_user_sgpr_private_segment_buffer 1
		.amdhsa_user_sgpr_dispatch_ptr 0
		.amdhsa_user_sgpr_queue_ptr 0
		.amdhsa_user_sgpr_kernarg_segment_ptr 1
		.amdhsa_user_sgpr_dispatch_id 0
		.amdhsa_user_sgpr_flat_scratch_init 0
		.amdhsa_user_sgpr_kernarg_preload_length 0
		.amdhsa_user_sgpr_kernarg_preload_offset 0
		.amdhsa_user_sgpr_private_segment_size 0
		.amdhsa_uses_dynamic_stack 0
		.amdhsa_system_sgpr_private_segment_wavefront_offset 0
		.amdhsa_system_sgpr_workgroup_id_x 1
		.amdhsa_system_sgpr_workgroup_id_y 1
		.amdhsa_system_sgpr_workgroup_id_z 0
		.amdhsa_system_sgpr_workgroup_info 0
		.amdhsa_system_vgpr_workitem_id 1
		.amdhsa_next_free_vgpr 174
		.amdhsa_next_free_sgpr 22
		.amdhsa_accum_offset 176
		.amdhsa_reserve_vcc 1
		.amdhsa_reserve_flat_scratch 0
		.amdhsa_float_round_mode_32 0
		.amdhsa_float_round_mode_16_64 0
		.amdhsa_float_denorm_mode_32 3
		.amdhsa_float_denorm_mode_16_64 3
		.amdhsa_dx10_clamp 1
		.amdhsa_ieee_mode 1
		.amdhsa_fp16_overflow 0
		.amdhsa_tg_split 0
		.amdhsa_exception_fp_ieee_invalid_op 0
		.amdhsa_exception_fp_denorm_src 0
		.amdhsa_exception_fp_ieee_div_zero 0
		.amdhsa_exception_fp_ieee_overflow 0
		.amdhsa_exception_fp_ieee_underflow 0
		.amdhsa_exception_fp_ieee_inexact 0
		.amdhsa_exception_int_div_zero 0
	.end_amdhsa_kernel
	.section	.text._ZN9rocsolver6v33100L18getf2_small_kernelILi55EdiiPKPdEEvT1_T3_lS5_lPS5_llPT2_S5_S5_S7_l,"axG",@progbits,_ZN9rocsolver6v33100L18getf2_small_kernelILi55EdiiPKPdEEvT1_T3_lS5_lPS5_llPT2_S5_S5_S7_l,comdat
.Lfunc_end108:
	.size	_ZN9rocsolver6v33100L18getf2_small_kernelILi55EdiiPKPdEEvT1_T3_lS5_lPS5_llPT2_S5_S5_S7_l, .Lfunc_end108-_ZN9rocsolver6v33100L18getf2_small_kernelILi55EdiiPKPdEEvT1_T3_lS5_lPS5_llPT2_S5_S5_S7_l
                                        ; -- End function
	.section	.AMDGPU.csdata,"",@progbits
; Kernel info:
; codeLenInByte = 56236
; NumSgprs: 26
; NumVgprs: 174
; NumAgprs: 0
; TotalNumVgprs: 174
; ScratchSize: 0
; MemoryBound: 0
; FloatMode: 240
; IeeeMode: 1
; LDSByteSize: 0 bytes/workgroup (compile time only)
; SGPRBlocks: 3
; VGPRBlocks: 21
; NumSGPRsForWavesPerEU: 26
; NumVGPRsForWavesPerEU: 174
; AccumOffset: 176
; Occupancy: 2
; WaveLimiterHint : 1
; COMPUTE_PGM_RSRC2:SCRATCH_EN: 0
; COMPUTE_PGM_RSRC2:USER_SGPR: 6
; COMPUTE_PGM_RSRC2:TRAP_HANDLER: 0
; COMPUTE_PGM_RSRC2:TGID_X_EN: 1
; COMPUTE_PGM_RSRC2:TGID_Y_EN: 1
; COMPUTE_PGM_RSRC2:TGID_Z_EN: 0
; COMPUTE_PGM_RSRC2:TIDIG_COMP_CNT: 1
; COMPUTE_PGM_RSRC3_GFX90A:ACCUM_OFFSET: 43
; COMPUTE_PGM_RSRC3_GFX90A:TG_SPLIT: 0
	.section	.text._ZN9rocsolver6v33100L23getf2_npvt_small_kernelILi55EdiiPKPdEEvT1_T3_lS5_lPT2_S5_S5_,"axG",@progbits,_ZN9rocsolver6v33100L23getf2_npvt_small_kernelILi55EdiiPKPdEEvT1_T3_lS5_lPT2_S5_S5_,comdat
	.globl	_ZN9rocsolver6v33100L23getf2_npvt_small_kernelILi55EdiiPKPdEEvT1_T3_lS5_lPT2_S5_S5_ ; -- Begin function _ZN9rocsolver6v33100L23getf2_npvt_small_kernelILi55EdiiPKPdEEvT1_T3_lS5_lPT2_S5_S5_
	.p2align	8
	.type	_ZN9rocsolver6v33100L23getf2_npvt_small_kernelILi55EdiiPKPdEEvT1_T3_lS5_lPT2_S5_S5_,@function
_ZN9rocsolver6v33100L23getf2_npvt_small_kernelILi55EdiiPKPdEEvT1_T3_lS5_lPT2_S5_S5_: ; @_ZN9rocsolver6v33100L23getf2_npvt_small_kernelILi55EdiiPKPdEEvT1_T3_lS5_lPT2_S5_S5_
; %bb.0:
	s_mov_b64 s[18:19], s[2:3]
	s_mov_b64 s[16:17], s[0:1]
	s_add_u32 s16, s16, s8
	s_load_dword s0, s[4:5], 0x44
	s_load_dwordx2 s[8:9], s[4:5], 0x30
	s_addc_u32 s17, s17, 0
	v_bfe_u32 v1, v0, 10, 10
	s_waitcnt lgkmcnt(0)
	s_lshr_b32 s6, s0, 16
	s_mul_i32 s7, s7, s6
	v_add_u32_e32 v40, s7, v1
	v_cmp_gt_i32_e32 vcc, s8, v40
	s_and_saveexec_b64 s[0:1], vcc
	s_cbranch_execz .LBB109_278
; %bb.1:
	s_load_dwordx4 s[12:15], s[4:5], 0x8
	s_load_dword s0, s[4:5], 0x18
	v_ashrrev_i32_e32 v41, 31, v40
	v_lshlrev_b64 v[2:3], 3, v[40:41]
	v_and_b32_e32 v32, 0x3ff, v0
	s_waitcnt lgkmcnt(0)
	v_mov_b32_e32 v4, s13
	v_add_co_u32_e32 v2, vcc, s12, v2
	v_addc_co_u32_e32 v3, vcc, v4, v3, vcc
	global_load_dwordx2 v[2:3], v[2:3], off
	s_add_i32 s1, s0, s0
	s_lshl_b64 s[2:3], s[14:15], 3
	v_add_u32_e32 v4, s1, v32
	v_mov_b32_e32 v0, s3
	v_ashrrev_i32_e32 v5, 31, v4
	v_add_u32_e32 v6, s0, v4
	v_lshlrev_b64 v[4:5], 3, v[4:5]
	v_ashrrev_i32_e32 v7, 31, v6
	v_add_u32_e32 v8, s0, v6
	v_lshlrev_b64 v[6:7], 3, v[6:7]
	;; [unrolled: 3-line block ×10, first 2 shown]
	v_ashrrev_i32_e32 v25, 31, v24
	s_ashr_i32 s1, s0, 31
	s_mulk_i32 s6, 0x1b8
	s_waitcnt vmcnt(0)
	v_add_co_u32_e32 v26, vcc, s2, v2
	v_addc_co_u32_e32 v0, vcc, v3, v0, vcc
	v_add_co_u32_e32 v42, vcc, v26, v4
	v_addc_co_u32_e32 v43, vcc, v0, v5, vcc
	;; [unrolled: 2-line block ×11, first 2 shown]
	v_lshlrev_b64 v[2:3], 3, v[24:25]
	v_add_co_u32_e32 v62, vcc, v26, v2
	v_add_u32_e32 v2, s0, v24
	v_addc_co_u32_e32 v63, vcc, v0, v3, vcc
	v_ashrrev_i32_e32 v3, 31, v2
	v_lshlrev_b64 v[4:5], 3, v[2:3]
	v_add_u32_e32 v2, s0, v2
	v_add_co_u32_e32 v64, vcc, v26, v4
	v_ashrrev_i32_e32 v3, 31, v2
	v_addc_co_u32_e32 v65, vcc, v0, v5, vcc
	v_lshlrev_b64 v[4:5], 3, v[2:3]
	v_add_u32_e32 v2, s0, v2
	v_add_co_u32_e32 v66, vcc, v26, v4
	v_ashrrev_i32_e32 v3, 31, v2
	v_addc_co_u32_e32 v67, vcc, v0, v5, vcc
	;; [unrolled: 5-line block ×41, first 2 shown]
	v_lshlrev_b64 v[2:3], 3, v[2:3]
	v_add_co_u32_e32 v230, vcc, v26, v2
	v_addc_co_u32_e32 v231, vcc, v0, v3, vcc
	v_lshlrev_b32_e32 v2, 3, v32
	v_add_co_u32_e32 v2, vcc, v26, v2
	v_addc_co_u32_e32 v3, vcc, 0, v0, vcc
	s_lshl_b64 s[0:1], s[0:1], 3
	v_mov_b32_e32 v0, s1
	v_add_co_u32_e32 v4, vcc, s0, v2
	v_addc_co_u32_e32 v5, vcc, v3, v0, vcc
	buffer_store_dword v2, off, s[16:19], 0 ; 4-byte Folded Spill
	s_nop 0
	buffer_store_dword v3, off, s[16:19], 0 offset:4 ; 4-byte Folded Spill
	s_movk_i32 s0, 0x1b8
	s_add_i32 s1, s6, 0
	v_mad_u32_u24 v31, v1, s0, 0
	v_lshl_add_u32 v30, v1, 3, s1
	v_cmp_ne_u32_e64 s[2:3], 0, v32
	v_cmp_eq_u32_e64 s[0:1], 0, v32
	global_load_dwordx2 v[112:113], v[2:3], off
	s_nop 0
	buffer_store_dword v4, off, s[16:19], 0 offset:8 ; 4-byte Folded Spill
	s_nop 0
	buffer_store_dword v5, off, s[16:19], 0 offset:12 ; 4-byte Folded Spill
	global_load_dwordx2 v[166:167], v[4:5], off
	global_load_dwordx2 v[218:219], v[42:43], off
	global_load_dwordx2 v[164:165], v[44:45], off
	global_load_dwordx2 v[216:217], v[46:47], off
	global_load_dwordx2 v[162:163], v[48:49], off
	global_load_dwordx2 v[214:215], v[50:51], off
	global_load_dwordx2 v[160:161], v[52:53], off
	global_load_dwordx2 v[212:213], v[54:55], off
	global_load_dwordx2 v[158:159], v[56:57], off
	global_load_dwordx2 v[210:211], v[58:59], off
	global_load_dwordx2 v[156:157], v[60:61], off
	global_load_dwordx2 v[208:209], v[62:63], off
	global_load_dwordx2 v[154:155], v[64:65], off
	global_load_dwordx2 v[206:207], v[66:67], off
	global_load_dwordx2 v[152:153], v[68:69], off
	global_load_dwordx2 v[204:205], v[70:71], off
	global_load_dwordx2 v[150:151], v[72:73], off
	global_load_dwordx2 v[202:203], v[74:75], off
	global_load_dwordx2 v[148:149], v[76:77], off
	global_load_dwordx2 v[200:201], v[78:79], off
	global_load_dwordx2 v[146:147], v[80:81], off
	global_load_dwordx2 v[198:199], v[82:83], off
	global_load_dwordx2 v[144:145], v[84:85], off
	global_load_dwordx2 v[196:197], v[86:87], off
	global_load_dwordx2 v[142:143], v[88:89], off
	global_load_dwordx2 v[194:195], v[90:91], off
	global_load_dwordx2 v[140:141], v[92:93], off
	global_load_dwordx2 v[192:193], v[94:95], off
	global_load_dwordx2 v[138:139], v[96:97], off
	global_load_dwordx2 v[190:191], v[98:99], off
	global_load_dwordx2 v[136:137], v[100:101], off
	global_load_dwordx2 v[188:189], v[102:103], off
	global_load_dwordx2 v[134:135], v[232:233], off
	global_load_dwordx2 v[186:187], v[104:105], off
	global_load_dwordx2 v[132:133], v[106:107], off
	global_load_dwordx2 v[184:185], v[110:111], off
	global_load_dwordx2 v[130:131], v[234:235], off
	global_load_dwordx2 v[182:183], v[236:237], off
	global_load_dwordx2 v[128:129], v[238:239], off
	global_load_dwordx2 v[180:181], v[240:241], off
	global_load_dwordx2 v[126:127], v[242:243], off
	global_load_dwordx2 v[178:179], v[108:109], off
	global_load_dwordx2 v[124:125], v[244:245], off
	global_load_dwordx2 v[176:177], v[246:247], off
	global_load_dwordx2 v[122:123], v[248:249], off
	global_load_dwordx2 v[174:175], v[250:251], off
	global_load_dwordx2 v[120:121], v[252:253], off
	global_load_dwordx2 v[172:173], v[254:255], off
	global_load_dwordx2 v[118:119], v[38:39], off
	global_load_dwordx2 v[170:171], v[222:223], off
	global_load_dwordx2 v[116:117], v[224:225], off
	global_load_dwordx2 v[168:169], v[226:227], off
	global_load_dwordx2 v[114:115], v[228:229], off
	global_load_dwordx2 v[220:221], v[230:231], off
	s_and_saveexec_b64 s[6:7], s[0:1]
	s_cbranch_execz .LBB109_4
; %bb.2:
	s_waitcnt vmcnt(56)
	ds_write_b64 v30, v[112:113]
	s_waitcnt vmcnt(52)
	ds_write2_b64 v31, v[166:167], v[218:219] offset0:1 offset1:2
	s_waitcnt vmcnt(50)
	ds_write2_b64 v31, v[164:165], v[216:217] offset0:3 offset1:4
	;; [unrolled: 2-line block ×27, first 2 shown]
	ds_read_b64 v[0:1], v30
	s_waitcnt lgkmcnt(0)
	v_cmp_neq_f64_e32 vcc, 0, v[0:1]
	s_and_b64 exec, exec, vcc
	s_cbranch_execz .LBB109_4
; %bb.3:
	v_div_scale_f64 v[2:3], s[10:11], v[0:1], v[0:1], 1.0
	v_rcp_f64_e32 v[4:5], v[2:3]
	v_div_scale_f64 v[6:7], vcc, 1.0, v[0:1], 1.0
	v_fma_f64 v[8:9], -v[2:3], v[4:5], 1.0
	v_fmac_f64_e32 v[4:5], v[4:5], v[8:9]
	v_fma_f64 v[8:9], -v[2:3], v[4:5], 1.0
	v_fmac_f64_e32 v[4:5], v[4:5], v[8:9]
	v_mul_f64 v[8:9], v[6:7], v[4:5]
	v_fma_f64 v[2:3], -v[2:3], v[8:9], v[6:7]
	v_div_fmas_f64 v[2:3], v[2:3], v[4:5], v[8:9]
	v_div_fixup_f64 v[0:1], v[2:3], v[0:1], 1.0
	ds_write_b64 v30, v[0:1]
.LBB109_4:
	s_or_b64 exec, exec, s[6:7]
	s_waitcnt lgkmcnt(0)
	s_barrier
	ds_read_b64 v[0:1], v30
	s_waitcnt lgkmcnt(0)
	buffer_store_dword v0, off, s[16:19], 0 offset:16 ; 4-byte Folded Spill
	s_nop 0
	buffer_store_dword v1, off, s[16:19], 0 offset:20 ; 4-byte Folded Spill
	s_and_saveexec_b64 s[6:7], s[2:3]
	s_cbranch_execz .LBB109_6
; %bb.5:
	ds_read2_b64 v[0:3], v31 offset0:1 offset1:2
	ds_read2_b64 v[4:7], v31 offset0:3 offset1:4
	buffer_load_dword v8, off, s[16:19], 0 offset:16 ; 4-byte Folded Reload
	buffer_load_dword v9, off, s[16:19], 0 offset:20 ; 4-byte Folded Reload
	s_waitcnt vmcnt(0)
	v_mul_f64 v[112:113], v[8:9], v[112:113]
	ds_read2_b64 v[8:11], v31 offset0:5 offset1:6
	s_waitcnt lgkmcnt(2)
	v_fma_f64 v[166:167], -v[112:113], v[0:1], v[166:167]
	v_fma_f64 v[218:219], -v[112:113], v[2:3], v[218:219]
	ds_read2_b64 v[0:3], v31 offset0:7 offset1:8
	s_waitcnt lgkmcnt(2)
	v_fma_f64 v[164:165], -v[112:113], v[4:5], v[164:165]
	v_fma_f64 v[216:217], -v[112:113], v[6:7], v[216:217]
	s_waitcnt lgkmcnt(1)
	v_fma_f64 v[162:163], -v[112:113], v[8:9], v[162:163]
	ds_read2_b64 v[4:7], v31 offset0:9 offset1:10
	v_fma_f64 v[214:215], -v[112:113], v[10:11], v[214:215]
	ds_read2_b64 v[8:11], v31 offset0:11 offset1:12
	s_waitcnt lgkmcnt(2)
	v_fma_f64 v[160:161], -v[112:113], v[0:1], v[160:161]
	v_fma_f64 v[212:213], -v[112:113], v[2:3], v[212:213]
	s_waitcnt lgkmcnt(1)
	v_fma_f64 v[158:159], -v[112:113], v[4:5], v[158:159]
	ds_read2_b64 v[0:3], v31 offset0:13 offset1:14
	v_fma_f64 v[210:211], -v[112:113], v[6:7], v[210:211]
	ds_read2_b64 v[4:7], v31 offset0:15 offset1:16
	s_waitcnt lgkmcnt(2)
	v_fma_f64 v[156:157], -v[112:113], v[8:9], v[156:157]
	v_fma_f64 v[208:209], -v[112:113], v[10:11], v[208:209]
	ds_read2_b64 v[8:11], v31 offset0:17 offset1:18
	s_waitcnt lgkmcnt(2)
	v_fma_f64 v[154:155], -v[112:113], v[0:1], v[154:155]
	v_fma_f64 v[206:207], -v[112:113], v[2:3], v[206:207]
	ds_read2_b64 v[0:3], v31 offset0:19 offset1:20
	s_waitcnt lgkmcnt(2)
	v_fma_f64 v[152:153], -v[112:113], v[4:5], v[152:153]
	v_fma_f64 v[204:205], -v[112:113], v[6:7], v[204:205]
	s_waitcnt lgkmcnt(1)
	v_fma_f64 v[150:151], -v[112:113], v[8:9], v[150:151]
	ds_read2_b64 v[4:7], v31 offset0:21 offset1:22
	v_fma_f64 v[202:203], -v[112:113], v[10:11], v[202:203]
	ds_read2_b64 v[8:11], v31 offset0:23 offset1:24
	s_waitcnt lgkmcnt(2)
	v_fma_f64 v[148:149], -v[112:113], v[0:1], v[148:149]
	v_fma_f64 v[200:201], -v[112:113], v[2:3], v[200:201]
	s_waitcnt lgkmcnt(1)
	v_fma_f64 v[146:147], -v[112:113], v[4:5], v[146:147]
	ds_read2_b64 v[0:3], v31 offset0:25 offset1:26
	v_fma_f64 v[198:199], -v[112:113], v[6:7], v[198:199]
	ds_read2_b64 v[4:7], v31 offset0:27 offset1:28
	s_waitcnt lgkmcnt(2)
	v_fma_f64 v[144:145], -v[112:113], v[8:9], v[144:145]
	v_fma_f64 v[196:197], -v[112:113], v[10:11], v[196:197]
	;; [unrolled: 24-line block ×3, first 2 shown]
	ds_read2_b64 v[8:11], v31 offset0:41 offset1:42
	s_waitcnt lgkmcnt(2)
	v_fma_f64 v[130:131], -v[112:113], v[0:1], v[130:131]
	v_fma_f64 v[182:183], -v[112:113], v[2:3], v[182:183]
	ds_read2_b64 v[0:3], v31 offset0:43 offset1:44
	s_waitcnt lgkmcnt(2)
	v_fma_f64 v[128:129], -v[112:113], v[4:5], v[128:129]
	v_fma_f64 v[180:181], -v[112:113], v[6:7], v[180:181]
	s_waitcnt lgkmcnt(1)
	v_fma_f64 v[126:127], -v[112:113], v[8:9], v[126:127]
	ds_read2_b64 v[4:7], v31 offset0:45 offset1:46
	v_fma_f64 v[178:179], -v[112:113], v[10:11], v[178:179]
	ds_read2_b64 v[8:11], v31 offset0:47 offset1:48
	s_waitcnt lgkmcnt(2)
	v_fma_f64 v[124:125], -v[112:113], v[0:1], v[124:125]
	v_fma_f64 v[176:177], -v[112:113], v[2:3], v[176:177]
	s_waitcnt lgkmcnt(1)
	v_fma_f64 v[122:123], -v[112:113], v[4:5], v[122:123]
	v_fma_f64 v[174:175], -v[112:113], v[6:7], v[174:175]
	ds_read2_b64 v[0:3], v31 offset0:49 offset1:50
	ds_read2_b64 v[4:7], v31 offset0:51 offset1:52
	s_waitcnt lgkmcnt(2)
	v_fma_f64 v[120:121], -v[112:113], v[8:9], v[120:121]
	v_fma_f64 v[172:173], -v[112:113], v[10:11], v[172:173]
	ds_read2_b64 v[8:11], v31 offset0:53 offset1:54
	s_waitcnt lgkmcnt(2)
	v_fma_f64 v[118:119], -v[112:113], v[0:1], v[118:119]
	v_fma_f64 v[170:171], -v[112:113], v[2:3], v[170:171]
	s_waitcnt lgkmcnt(1)
	v_fma_f64 v[116:117], -v[112:113], v[4:5], v[116:117]
	v_fma_f64 v[168:169], -v[112:113], v[6:7], v[168:169]
	;; [unrolled: 3-line block ×3, first 2 shown]
.LBB109_6:
	s_or_b64 exec, exec, s[6:7]
	v_cmp_eq_u32_e32 vcc, 1, v32
	s_barrier
	s_and_saveexec_b64 s[2:3], vcc
	s_cbranch_execz .LBB109_9
; %bb.7:
	s_waitcnt vmcnt(54)
	v_mov_b32_e32 v0, v218
	v_mov_b32_e32 v1, v219
	s_waitcnt vmcnt(53)
	v_mov_b32_e32 v2, v164
	v_mov_b32_e32 v3, v165
	ds_write_b64 v30, v[166:167]
	ds_write2_b64 v31, v[0:1], v[2:3] offset0:2 offset1:3
	s_waitcnt vmcnt(52)
	v_mov_b32_e32 v0, v216
	v_mov_b32_e32 v1, v217
	s_waitcnt vmcnt(51)
	v_mov_b32_e32 v2, v162
	v_mov_b32_e32 v3, v163
	ds_write2_b64 v31, v[0:1], v[2:3] offset0:4 offset1:5
	s_waitcnt vmcnt(50)
	v_mov_b32_e32 v0, v214
	v_mov_b32_e32 v1, v215
	s_waitcnt vmcnt(49)
	v_mov_b32_e32 v2, v160
	v_mov_b32_e32 v3, v161
	;; [unrolled: 7-line block ×25, first 2 shown]
	ds_write2_b64 v31, v[0:1], v[2:3] offset0:52 offset1:53
	s_waitcnt vmcnt(2)
	ds_write_b64 v31, v[220:221] offset:432
	ds_read_b64 v[0:1], v30
	s_waitcnt lgkmcnt(0)
	v_cmp_neq_f64_e32 vcc, 0, v[0:1]
	s_and_b64 exec, exec, vcc
	s_cbranch_execz .LBB109_9
; %bb.8:
	v_div_scale_f64 v[2:3], s[6:7], v[0:1], v[0:1], 1.0
	v_rcp_f64_e32 v[4:5], v[2:3]
	v_div_scale_f64 v[6:7], vcc, 1.0, v[0:1], 1.0
	v_fma_f64 v[8:9], -v[2:3], v[4:5], 1.0
	v_fmac_f64_e32 v[4:5], v[4:5], v[8:9]
	v_fma_f64 v[8:9], -v[2:3], v[4:5], 1.0
	v_fmac_f64_e32 v[4:5], v[4:5], v[8:9]
	v_mul_f64 v[8:9], v[6:7], v[4:5]
	v_fma_f64 v[2:3], -v[2:3], v[8:9], v[6:7]
	v_div_fmas_f64 v[2:3], v[2:3], v[4:5], v[8:9]
	v_div_fixup_f64 v[0:1], v[2:3], v[0:1], 1.0
	ds_write_b64 v30, v[0:1]
.LBB109_9:
	s_or_b64 exec, exec, s[2:3]
	s_waitcnt lgkmcnt(0)
	s_barrier
	ds_read_b64 v[0:1], v30
	v_cmp_lt_u32_e32 vcc, 1, v32
	s_waitcnt lgkmcnt(0)
	buffer_store_dword v0, off, s[16:19], 0 offset:24 ; 4-byte Folded Spill
	s_nop 0
	buffer_store_dword v1, off, s[16:19], 0 offset:28 ; 4-byte Folded Spill
	s_and_saveexec_b64 s[2:3], vcc
	s_cbranch_execz .LBB109_11
; %bb.10:
	ds_read2_b64 v[0:3], v31 offset0:2 offset1:3
	ds_read2_b64 v[4:7], v31 offset0:4 offset1:5
	buffer_load_dword v8, off, s[16:19], 0 offset:24 ; 4-byte Folded Reload
	buffer_load_dword v9, off, s[16:19], 0 offset:28 ; 4-byte Folded Reload
	s_waitcnt vmcnt(0)
	v_mul_f64 v[166:167], v[8:9], v[166:167]
	ds_read2_b64 v[8:11], v31 offset0:6 offset1:7
	s_waitcnt lgkmcnt(2)
	v_fma_f64 v[218:219], -v[166:167], v[0:1], v[218:219]
	v_fma_f64 v[164:165], -v[166:167], v[2:3], v[164:165]
	ds_read2_b64 v[0:3], v31 offset0:8 offset1:9
	s_waitcnt lgkmcnt(2)
	v_fma_f64 v[216:217], -v[166:167], v[4:5], v[216:217]
	v_fma_f64 v[162:163], -v[166:167], v[6:7], v[162:163]
	s_waitcnt lgkmcnt(1)
	v_fma_f64 v[214:215], -v[166:167], v[8:9], v[214:215]
	ds_read2_b64 v[4:7], v31 offset0:10 offset1:11
	v_fma_f64 v[160:161], -v[166:167], v[10:11], v[160:161]
	ds_read2_b64 v[8:11], v31 offset0:12 offset1:13
	s_waitcnt lgkmcnt(2)
	v_fma_f64 v[212:213], -v[166:167], v[0:1], v[212:213]
	v_fma_f64 v[158:159], -v[166:167], v[2:3], v[158:159]
	s_waitcnt lgkmcnt(1)
	v_fma_f64 v[210:211], -v[166:167], v[4:5], v[210:211]
	ds_read2_b64 v[0:3], v31 offset0:14 offset1:15
	v_fma_f64 v[156:157], -v[166:167], v[6:7], v[156:157]
	ds_read2_b64 v[4:7], v31 offset0:16 offset1:17
	s_waitcnt lgkmcnt(2)
	v_fma_f64 v[208:209], -v[166:167], v[8:9], v[208:209]
	v_fma_f64 v[154:155], -v[166:167], v[10:11], v[154:155]
	ds_read2_b64 v[8:11], v31 offset0:18 offset1:19
	s_waitcnt lgkmcnt(2)
	v_fma_f64 v[206:207], -v[166:167], v[0:1], v[206:207]
	v_fma_f64 v[152:153], -v[166:167], v[2:3], v[152:153]
	ds_read2_b64 v[0:3], v31 offset0:20 offset1:21
	s_waitcnt lgkmcnt(2)
	v_fma_f64 v[204:205], -v[166:167], v[4:5], v[204:205]
	v_fma_f64 v[150:151], -v[166:167], v[6:7], v[150:151]
	s_waitcnt lgkmcnt(1)
	v_fma_f64 v[202:203], -v[166:167], v[8:9], v[202:203]
	ds_read2_b64 v[4:7], v31 offset0:22 offset1:23
	v_fma_f64 v[148:149], -v[166:167], v[10:11], v[148:149]
	ds_read2_b64 v[8:11], v31 offset0:24 offset1:25
	s_waitcnt lgkmcnt(2)
	v_fma_f64 v[200:201], -v[166:167], v[0:1], v[200:201]
	v_fma_f64 v[146:147], -v[166:167], v[2:3], v[146:147]
	s_waitcnt lgkmcnt(1)
	v_fma_f64 v[198:199], -v[166:167], v[4:5], v[198:199]
	ds_read2_b64 v[0:3], v31 offset0:26 offset1:27
	v_fma_f64 v[144:145], -v[166:167], v[6:7], v[144:145]
	ds_read2_b64 v[4:7], v31 offset0:28 offset1:29
	s_waitcnt lgkmcnt(2)
	v_fma_f64 v[196:197], -v[166:167], v[8:9], v[196:197]
	v_fma_f64 v[142:143], -v[166:167], v[10:11], v[142:143]
	;; [unrolled: 24-line block ×3, first 2 shown]
	ds_read2_b64 v[8:11], v31 offset0:42 offset1:43
	s_waitcnt lgkmcnt(2)
	v_fma_f64 v[182:183], -v[166:167], v[0:1], v[182:183]
	v_fma_f64 v[128:129], -v[166:167], v[2:3], v[128:129]
	ds_read2_b64 v[0:3], v31 offset0:44 offset1:45
	s_waitcnt lgkmcnt(2)
	v_fma_f64 v[180:181], -v[166:167], v[4:5], v[180:181]
	v_fma_f64 v[126:127], -v[166:167], v[6:7], v[126:127]
	s_waitcnt lgkmcnt(1)
	v_fma_f64 v[178:179], -v[166:167], v[8:9], v[178:179]
	ds_read2_b64 v[4:7], v31 offset0:46 offset1:47
	v_fma_f64 v[124:125], -v[166:167], v[10:11], v[124:125]
	ds_read2_b64 v[8:11], v31 offset0:48 offset1:49
	s_waitcnt lgkmcnt(2)
	v_fma_f64 v[176:177], -v[166:167], v[0:1], v[176:177]
	v_fma_f64 v[122:123], -v[166:167], v[2:3], v[122:123]
	s_waitcnt lgkmcnt(1)
	v_fma_f64 v[174:175], -v[166:167], v[4:5], v[174:175]
	v_fma_f64 v[120:121], -v[166:167], v[6:7], v[120:121]
	ds_read2_b64 v[0:3], v31 offset0:50 offset1:51
	ds_read2_b64 v[4:7], v31 offset0:52 offset1:53
	s_waitcnt lgkmcnt(2)
	v_fma_f64 v[172:173], -v[166:167], v[8:9], v[172:173]
	ds_read_b64 v[8:9], v31 offset:432
	v_fma_f64 v[118:119], -v[166:167], v[10:11], v[118:119]
	s_waitcnt lgkmcnt(2)
	v_fma_f64 v[170:171], -v[166:167], v[0:1], v[170:171]
	v_fma_f64 v[116:117], -v[166:167], v[2:3], v[116:117]
	s_waitcnt lgkmcnt(1)
	v_fma_f64 v[168:169], -v[166:167], v[4:5], v[168:169]
	v_fma_f64 v[114:115], -v[166:167], v[6:7], v[114:115]
	s_waitcnt lgkmcnt(0)
	v_fma_f64 v[220:221], -v[166:167], v[8:9], v[220:221]
.LBB109_11:
	s_or_b64 exec, exec, s[2:3]
	v_cmp_eq_u32_e32 vcc, 2, v32
	s_barrier
	s_and_saveexec_b64 s[2:3], vcc
	s_cbranch_execz .LBB109_14
; %bb.12:
	s_waitcnt vmcnt(56)
	ds_write_b64 v30, v[218:219]
	s_waitcnt vmcnt(54)
	ds_write2_b64 v31, v[164:165], v[216:217] offset0:3 offset1:4
	s_waitcnt vmcnt(52)
	ds_write2_b64 v31, v[162:163], v[214:215] offset0:5 offset1:6
	s_waitcnt vmcnt(50)
	ds_write2_b64 v31, v[160:161], v[212:213] offset0:7 offset1:8
	s_waitcnt vmcnt(48)
	ds_write2_b64 v31, v[158:159], v[210:211] offset0:9 offset1:10
	s_waitcnt vmcnt(46)
	ds_write2_b64 v31, v[156:157], v[208:209] offset0:11 offset1:12
	s_waitcnt vmcnt(44)
	ds_write2_b64 v31, v[154:155], v[206:207] offset0:13 offset1:14
	s_waitcnt vmcnt(42)
	ds_write2_b64 v31, v[152:153], v[204:205] offset0:15 offset1:16
	s_waitcnt vmcnt(40)
	ds_write2_b64 v31, v[150:151], v[202:203] offset0:17 offset1:18
	s_waitcnt vmcnt(38)
	ds_write2_b64 v31, v[148:149], v[200:201] offset0:19 offset1:20
	s_waitcnt vmcnt(36)
	ds_write2_b64 v31, v[146:147], v[198:199] offset0:21 offset1:22
	s_waitcnt vmcnt(34)
	ds_write2_b64 v31, v[144:145], v[196:197] offset0:23 offset1:24
	s_waitcnt vmcnt(32)
	ds_write2_b64 v31, v[142:143], v[194:195] offset0:25 offset1:26
	s_waitcnt vmcnt(30)
	ds_write2_b64 v31, v[140:141], v[192:193] offset0:27 offset1:28
	s_waitcnt vmcnt(28)
	ds_write2_b64 v31, v[138:139], v[190:191] offset0:29 offset1:30
	s_waitcnt vmcnt(26)
	ds_write2_b64 v31, v[136:137], v[188:189] offset0:31 offset1:32
	s_waitcnt vmcnt(24)
	ds_write2_b64 v31, v[134:135], v[186:187] offset0:33 offset1:34
	s_waitcnt vmcnt(22)
	ds_write2_b64 v31, v[132:133], v[184:185] offset0:35 offset1:36
	s_waitcnt vmcnt(20)
	ds_write2_b64 v31, v[130:131], v[182:183] offset0:37 offset1:38
	s_waitcnt vmcnt(18)
	ds_write2_b64 v31, v[128:129], v[180:181] offset0:39 offset1:40
	s_waitcnt vmcnt(16)
	ds_write2_b64 v31, v[126:127], v[178:179] offset0:41 offset1:42
	s_waitcnt vmcnt(14)
	ds_write2_b64 v31, v[124:125], v[176:177] offset0:43 offset1:44
	s_waitcnt vmcnt(12)
	ds_write2_b64 v31, v[122:123], v[174:175] offset0:45 offset1:46
	s_waitcnt vmcnt(10)
	ds_write2_b64 v31, v[120:121], v[172:173] offset0:47 offset1:48
	s_waitcnt vmcnt(8)
	ds_write2_b64 v31, v[118:119], v[170:171] offset0:49 offset1:50
	s_waitcnt vmcnt(6)
	ds_write2_b64 v31, v[116:117], v[168:169] offset0:51 offset1:52
	s_waitcnt vmcnt(4)
	ds_write2_b64 v31, v[114:115], v[220:221] offset0:53 offset1:54
	ds_read_b64 v[0:1], v30
	s_waitcnt lgkmcnt(0)
	v_cmp_neq_f64_e32 vcc, 0, v[0:1]
	s_and_b64 exec, exec, vcc
	s_cbranch_execz .LBB109_14
; %bb.13:
	v_div_scale_f64 v[2:3], s[6:7], v[0:1], v[0:1], 1.0
	v_rcp_f64_e32 v[4:5], v[2:3]
	v_div_scale_f64 v[6:7], vcc, 1.0, v[0:1], 1.0
	v_fma_f64 v[8:9], -v[2:3], v[4:5], 1.0
	v_fmac_f64_e32 v[4:5], v[4:5], v[8:9]
	v_fma_f64 v[8:9], -v[2:3], v[4:5], 1.0
	v_fmac_f64_e32 v[4:5], v[4:5], v[8:9]
	v_mul_f64 v[8:9], v[6:7], v[4:5]
	v_fma_f64 v[2:3], -v[2:3], v[8:9], v[6:7]
	v_div_fmas_f64 v[2:3], v[2:3], v[4:5], v[8:9]
	v_div_fixup_f64 v[0:1], v[2:3], v[0:1], 1.0
	ds_write_b64 v30, v[0:1]
.LBB109_14:
	s_or_b64 exec, exec, s[2:3]
	s_waitcnt lgkmcnt(0)
	s_barrier
	ds_read_b64 v[0:1], v30
	v_cmp_lt_u32_e32 vcc, 2, v32
	s_waitcnt lgkmcnt(0)
	buffer_store_dword v0, off, s[16:19], 0 offset:32 ; 4-byte Folded Spill
	s_nop 0
	buffer_store_dword v1, off, s[16:19], 0 offset:36 ; 4-byte Folded Spill
	s_and_saveexec_b64 s[2:3], vcc
	s_cbranch_execz .LBB109_16
; %bb.15:
	ds_read2_b64 v[0:3], v31 offset0:3 offset1:4
	ds_read2_b64 v[4:7], v31 offset0:5 offset1:6
	buffer_load_dword v8, off, s[16:19], 0 offset:32 ; 4-byte Folded Reload
	buffer_load_dword v9, off, s[16:19], 0 offset:36 ; 4-byte Folded Reload
	s_waitcnt vmcnt(0)
	v_mul_f64 v[218:219], v[8:9], v[218:219]
	s_waitcnt lgkmcnt(1)
	v_fma_f64 v[164:165], -v[218:219], v[0:1], v[164:165]
	ds_read2_b64 v[8:11], v31 offset0:7 offset1:8
	v_fma_f64 v[216:217], -v[218:219], v[2:3], v[216:217]
	ds_read2_b64 v[0:3], v31 offset0:9 offset1:10
	s_waitcnt lgkmcnt(2)
	v_fma_f64 v[162:163], -v[218:219], v[4:5], v[162:163]
	v_fma_f64 v[214:215], -v[218:219], v[6:7], v[214:215]
	ds_read2_b64 v[4:7], v31 offset0:11 offset1:12
	s_waitcnt lgkmcnt(2)
	v_fma_f64 v[160:161], -v[218:219], v[8:9], v[160:161]
	v_fma_f64 v[212:213], -v[218:219], v[10:11], v[212:213]
	ds_read2_b64 v[8:11], v31 offset0:13 offset1:14
	s_waitcnt lgkmcnt(2)
	v_fma_f64 v[158:159], -v[218:219], v[0:1], v[158:159]
	v_fma_f64 v[210:211], -v[218:219], v[2:3], v[210:211]
	s_waitcnt lgkmcnt(1)
	v_fma_f64 v[156:157], -v[218:219], v[4:5], v[156:157]
	ds_read2_b64 v[0:3], v31 offset0:15 offset1:16
	v_fma_f64 v[208:209], -v[218:219], v[6:7], v[208:209]
	ds_read2_b64 v[4:7], v31 offset0:17 offset1:18
	s_waitcnt lgkmcnt(2)
	v_fma_f64 v[154:155], -v[218:219], v[8:9], v[154:155]
	v_fma_f64 v[206:207], -v[218:219], v[10:11], v[206:207]
	s_waitcnt lgkmcnt(1)
	v_fma_f64 v[152:153], -v[218:219], v[0:1], v[152:153]
	ds_read2_b64 v[8:11], v31 offset0:19 offset1:20
	v_fma_f64 v[204:205], -v[218:219], v[2:3], v[204:205]
	ds_read2_b64 v[0:3], v31 offset0:21 offset1:22
	s_waitcnt lgkmcnt(2)
	v_fma_f64 v[150:151], -v[218:219], v[4:5], v[150:151]
	v_fma_f64 v[202:203], -v[218:219], v[6:7], v[202:203]
	ds_read2_b64 v[4:7], v31 offset0:23 offset1:24
	s_waitcnt lgkmcnt(2)
	v_fma_f64 v[148:149], -v[218:219], v[8:9], v[148:149]
	v_fma_f64 v[200:201], -v[218:219], v[10:11], v[200:201]
	ds_read2_b64 v[8:11], v31 offset0:25 offset1:26
	s_waitcnt lgkmcnt(2)
	v_fma_f64 v[146:147], -v[218:219], v[0:1], v[146:147]
	v_fma_f64 v[198:199], -v[218:219], v[2:3], v[198:199]
	s_waitcnt lgkmcnt(1)
	v_fma_f64 v[144:145], -v[218:219], v[4:5], v[144:145]
	ds_read2_b64 v[0:3], v31 offset0:27 offset1:28
	v_fma_f64 v[196:197], -v[218:219], v[6:7], v[196:197]
	ds_read2_b64 v[4:7], v31 offset0:29 offset1:30
	s_waitcnt lgkmcnt(2)
	v_fma_f64 v[142:143], -v[218:219], v[8:9], v[142:143]
	v_fma_f64 v[194:195], -v[218:219], v[10:11], v[194:195]
	;; [unrolled: 24-line block ×3, first 2 shown]
	s_waitcnt lgkmcnt(1)
	v_fma_f64 v[128:129], -v[218:219], v[0:1], v[128:129]
	ds_read2_b64 v[8:11], v31 offset0:43 offset1:44
	v_fma_f64 v[180:181], -v[218:219], v[2:3], v[180:181]
	ds_read2_b64 v[0:3], v31 offset0:45 offset1:46
	s_waitcnt lgkmcnt(2)
	v_fma_f64 v[126:127], -v[218:219], v[4:5], v[126:127]
	v_fma_f64 v[178:179], -v[218:219], v[6:7], v[178:179]
	ds_read2_b64 v[4:7], v31 offset0:47 offset1:48
	s_waitcnt lgkmcnt(2)
	v_fma_f64 v[124:125], -v[218:219], v[8:9], v[124:125]
	v_fma_f64 v[176:177], -v[218:219], v[10:11], v[176:177]
	s_waitcnt lgkmcnt(1)
	v_fma_f64 v[122:123], -v[218:219], v[0:1], v[122:123]
	v_fma_f64 v[174:175], -v[218:219], v[2:3], v[174:175]
	ds_read2_b64 v[0:3], v31 offset0:49 offset1:50
	s_waitcnt lgkmcnt(1)
	v_fma_f64 v[120:121], -v[218:219], v[4:5], v[120:121]
	ds_read2_b64 v[8:11], v31 offset0:51 offset1:52
	v_fma_f64 v[172:173], -v[218:219], v[6:7], v[172:173]
	ds_read2_b64 v[4:7], v31 offset0:53 offset1:54
	s_waitcnt lgkmcnt(2)
	v_fma_f64 v[118:119], -v[218:219], v[0:1], v[118:119]
	v_fma_f64 v[170:171], -v[218:219], v[2:3], v[170:171]
	s_waitcnt lgkmcnt(1)
	v_fma_f64 v[116:117], -v[218:219], v[8:9], v[116:117]
	v_fma_f64 v[168:169], -v[218:219], v[10:11], v[168:169]
	;; [unrolled: 3-line block ×3, first 2 shown]
.LBB109_16:
	s_or_b64 exec, exec, s[2:3]
	v_cmp_eq_u32_e32 vcc, 3, v32
	s_waitcnt vmcnt(63) expcnt(7) lgkmcnt(15)
	s_barrier
	s_and_saveexec_b64 s[2:3], vcc
	s_cbranch_execz .LBB109_19
; %bb.17:
	s_waitcnt vmcnt(56)
	v_mov_b32_e32 v0, v216
	v_mov_b32_e32 v1, v217
	s_waitcnt vmcnt(55)
	v_mov_b32_e32 v2, v162
	v_mov_b32_e32 v3, v163
	ds_write_b64 v30, v[164:165]
	ds_write2_b64 v31, v[0:1], v[2:3] offset0:4 offset1:5
	s_waitcnt vmcnt(54)
	v_mov_b32_e32 v0, v214
	v_mov_b32_e32 v1, v215
	s_waitcnt vmcnt(53)
	v_mov_b32_e32 v2, v160
	v_mov_b32_e32 v3, v161
	ds_write2_b64 v31, v[0:1], v[2:3] offset0:6 offset1:7
	s_waitcnt vmcnt(52)
	v_mov_b32_e32 v0, v212
	v_mov_b32_e32 v1, v213
	s_waitcnt vmcnt(51)
	v_mov_b32_e32 v2, v158
	v_mov_b32_e32 v3, v159
	;; [unrolled: 7-line block ×24, first 2 shown]
	ds_write2_b64 v31, v[0:1], v[2:3] offset0:52 offset1:53
	s_waitcnt vmcnt(6)
	ds_write_b64 v31, v[220:221] offset:432
	ds_read_b64 v[0:1], v30
	s_waitcnt lgkmcnt(0)
	v_cmp_neq_f64_e32 vcc, 0, v[0:1]
	s_and_b64 exec, exec, vcc
	s_cbranch_execz .LBB109_19
; %bb.18:
	v_div_scale_f64 v[2:3], s[6:7], v[0:1], v[0:1], 1.0
	v_rcp_f64_e32 v[4:5], v[2:3]
	v_div_scale_f64 v[6:7], vcc, 1.0, v[0:1], 1.0
	v_fma_f64 v[8:9], -v[2:3], v[4:5], 1.0
	v_fmac_f64_e32 v[4:5], v[4:5], v[8:9]
	v_fma_f64 v[8:9], -v[2:3], v[4:5], 1.0
	v_fmac_f64_e32 v[4:5], v[4:5], v[8:9]
	v_mul_f64 v[8:9], v[6:7], v[4:5]
	v_fma_f64 v[2:3], -v[2:3], v[8:9], v[6:7]
	v_div_fmas_f64 v[2:3], v[2:3], v[4:5], v[8:9]
	v_div_fixup_f64 v[0:1], v[2:3], v[0:1], 1.0
	ds_write_b64 v30, v[0:1]
.LBB109_19:
	s_or_b64 exec, exec, s[2:3]
	s_waitcnt lgkmcnt(0)
	s_barrier
	ds_read_b64 v[0:1], v30
	v_cmp_lt_u32_e32 vcc, 3, v32
	s_waitcnt lgkmcnt(0)
	buffer_store_dword v0, off, s[16:19], 0 offset:40 ; 4-byte Folded Spill
	s_nop 0
	buffer_store_dword v1, off, s[16:19], 0 offset:44 ; 4-byte Folded Spill
	s_and_saveexec_b64 s[2:3], vcc
	s_cbranch_execz .LBB109_21
; %bb.20:
	ds_read2_b64 v[0:3], v31 offset0:4 offset1:5
	ds_read2_b64 v[4:7], v31 offset0:6 offset1:7
	buffer_load_dword v8, off, s[16:19], 0 offset:40 ; 4-byte Folded Reload
	buffer_load_dword v9, off, s[16:19], 0 offset:44 ; 4-byte Folded Reload
	s_waitcnt vmcnt(0)
	v_mul_f64 v[164:165], v[8:9], v[164:165]
	s_waitcnt lgkmcnt(1)
	v_fma_f64 v[216:217], -v[164:165], v[0:1], v[216:217]
	ds_read2_b64 v[8:11], v31 offset0:8 offset1:9
	v_fma_f64 v[162:163], -v[164:165], v[2:3], v[162:163]
	ds_read2_b64 v[0:3], v31 offset0:10 offset1:11
	s_waitcnt lgkmcnt(2)
	v_fma_f64 v[214:215], -v[164:165], v[4:5], v[214:215]
	v_fma_f64 v[160:161], -v[164:165], v[6:7], v[160:161]
	ds_read2_b64 v[4:7], v31 offset0:12 offset1:13
	s_waitcnt lgkmcnt(2)
	v_fma_f64 v[212:213], -v[164:165], v[8:9], v[212:213]
	v_fma_f64 v[158:159], -v[164:165], v[10:11], v[158:159]
	ds_read2_b64 v[8:11], v31 offset0:14 offset1:15
	s_waitcnt lgkmcnt(2)
	v_fma_f64 v[210:211], -v[164:165], v[0:1], v[210:211]
	v_fma_f64 v[156:157], -v[164:165], v[2:3], v[156:157]
	s_waitcnt lgkmcnt(1)
	v_fma_f64 v[208:209], -v[164:165], v[4:5], v[208:209]
	ds_read2_b64 v[0:3], v31 offset0:16 offset1:17
	v_fma_f64 v[154:155], -v[164:165], v[6:7], v[154:155]
	ds_read2_b64 v[4:7], v31 offset0:18 offset1:19
	s_waitcnt lgkmcnt(2)
	v_fma_f64 v[206:207], -v[164:165], v[8:9], v[206:207]
	v_fma_f64 v[152:153], -v[164:165], v[10:11], v[152:153]
	s_waitcnt lgkmcnt(1)
	v_fma_f64 v[204:205], -v[164:165], v[0:1], v[204:205]
	ds_read2_b64 v[8:11], v31 offset0:20 offset1:21
	v_fma_f64 v[150:151], -v[164:165], v[2:3], v[150:151]
	ds_read2_b64 v[0:3], v31 offset0:22 offset1:23
	s_waitcnt lgkmcnt(2)
	v_fma_f64 v[202:203], -v[164:165], v[4:5], v[202:203]
	v_fma_f64 v[148:149], -v[164:165], v[6:7], v[148:149]
	ds_read2_b64 v[4:7], v31 offset0:24 offset1:25
	s_waitcnt lgkmcnt(2)
	v_fma_f64 v[200:201], -v[164:165], v[8:9], v[200:201]
	v_fma_f64 v[146:147], -v[164:165], v[10:11], v[146:147]
	ds_read2_b64 v[8:11], v31 offset0:26 offset1:27
	s_waitcnt lgkmcnt(2)
	v_fma_f64 v[198:199], -v[164:165], v[0:1], v[198:199]
	v_fma_f64 v[144:145], -v[164:165], v[2:3], v[144:145]
	s_waitcnt lgkmcnt(1)
	v_fma_f64 v[196:197], -v[164:165], v[4:5], v[196:197]
	ds_read2_b64 v[0:3], v31 offset0:28 offset1:29
	v_fma_f64 v[142:143], -v[164:165], v[6:7], v[142:143]
	ds_read2_b64 v[4:7], v31 offset0:30 offset1:31
	s_waitcnt lgkmcnt(2)
	v_fma_f64 v[194:195], -v[164:165], v[8:9], v[194:195]
	v_fma_f64 v[140:141], -v[164:165], v[10:11], v[140:141]
	;; [unrolled: 24-line block ×3, first 2 shown]
	s_waitcnt lgkmcnt(1)
	v_fma_f64 v[180:181], -v[164:165], v[0:1], v[180:181]
	ds_read2_b64 v[8:11], v31 offset0:44 offset1:45
	v_fma_f64 v[126:127], -v[164:165], v[2:3], v[126:127]
	ds_read2_b64 v[0:3], v31 offset0:46 offset1:47
	s_waitcnt lgkmcnt(2)
	v_fma_f64 v[178:179], -v[164:165], v[4:5], v[178:179]
	v_fma_f64 v[124:125], -v[164:165], v[6:7], v[124:125]
	ds_read2_b64 v[4:7], v31 offset0:48 offset1:49
	s_waitcnt lgkmcnt(2)
	v_fma_f64 v[176:177], -v[164:165], v[8:9], v[176:177]
	v_fma_f64 v[122:123], -v[164:165], v[10:11], v[122:123]
	s_waitcnt lgkmcnt(1)
	v_fma_f64 v[174:175], -v[164:165], v[0:1], v[174:175]
	v_fma_f64 v[120:121], -v[164:165], v[2:3], v[120:121]
	ds_read2_b64 v[0:3], v31 offset0:50 offset1:51
	s_waitcnt lgkmcnt(1)
	v_fma_f64 v[172:173], -v[164:165], v[4:5], v[172:173]
	ds_read2_b64 v[8:11], v31 offset0:52 offset1:53
	ds_read_b64 v[4:5], v31 offset:432
	v_fma_f64 v[118:119], -v[164:165], v[6:7], v[118:119]
	s_waitcnt lgkmcnt(2)
	v_fma_f64 v[170:171], -v[164:165], v[0:1], v[170:171]
	v_fma_f64 v[116:117], -v[164:165], v[2:3], v[116:117]
	s_waitcnt lgkmcnt(1)
	v_fma_f64 v[168:169], -v[164:165], v[8:9], v[168:169]
	;; [unrolled: 3-line block ×3, first 2 shown]
.LBB109_21:
	s_or_b64 exec, exec, s[2:3]
	v_cmp_eq_u32_e32 vcc, 4, v32
	s_waitcnt vmcnt(63) expcnt(7) lgkmcnt(15)
	s_barrier
	s_and_saveexec_b64 s[2:3], vcc
	s_cbranch_execz .LBB109_24
; %bb.22:
	s_waitcnt vmcnt(58)
	ds_write_b64 v30, v[216:217]
	s_waitcnt vmcnt(56)
	ds_write2_b64 v31, v[162:163], v[214:215] offset0:5 offset1:6
	s_waitcnt vmcnt(54)
	ds_write2_b64 v31, v[160:161], v[212:213] offset0:7 offset1:8
	;; [unrolled: 2-line block ×25, first 2 shown]
	ds_read_b64 v[0:1], v30
	s_waitcnt lgkmcnt(0)
	v_cmp_neq_f64_e32 vcc, 0, v[0:1]
	s_and_b64 exec, exec, vcc
	s_cbranch_execz .LBB109_24
; %bb.23:
	v_div_scale_f64 v[2:3], s[6:7], v[0:1], v[0:1], 1.0
	v_rcp_f64_e32 v[4:5], v[2:3]
	v_div_scale_f64 v[6:7], vcc, 1.0, v[0:1], 1.0
	v_fma_f64 v[8:9], -v[2:3], v[4:5], 1.0
	v_fmac_f64_e32 v[4:5], v[4:5], v[8:9]
	v_fma_f64 v[8:9], -v[2:3], v[4:5], 1.0
	v_fmac_f64_e32 v[4:5], v[4:5], v[8:9]
	v_mul_f64 v[8:9], v[6:7], v[4:5]
	v_fma_f64 v[2:3], -v[2:3], v[8:9], v[6:7]
	v_div_fmas_f64 v[2:3], v[2:3], v[4:5], v[8:9]
	v_div_fixup_f64 v[0:1], v[2:3], v[0:1], 1.0
	ds_write_b64 v30, v[0:1]
.LBB109_24:
	s_or_b64 exec, exec, s[2:3]
	s_waitcnt lgkmcnt(0)
	s_barrier
	ds_read_b64 v[0:1], v30
	v_cmp_lt_u32_e32 vcc, 4, v32
	s_waitcnt lgkmcnt(0)
	buffer_store_dword v0, off, s[16:19], 0 offset:48 ; 4-byte Folded Spill
	s_nop 0
	buffer_store_dword v1, off, s[16:19], 0 offset:52 ; 4-byte Folded Spill
	s_and_saveexec_b64 s[2:3], vcc
	s_cbranch_execz .LBB109_26
; %bb.25:
	ds_read2_b64 v[0:3], v31 offset0:5 offset1:6
	ds_read2_b64 v[4:7], v31 offset0:7 offset1:8
	buffer_load_dword v8, off, s[16:19], 0 offset:48 ; 4-byte Folded Reload
	buffer_load_dword v9, off, s[16:19], 0 offset:52 ; 4-byte Folded Reload
	s_waitcnt vmcnt(0)
	v_mul_f64 v[216:217], v[8:9], v[216:217]
	s_waitcnt lgkmcnt(1)
	v_fma_f64 v[162:163], -v[216:217], v[0:1], v[162:163]
	ds_read2_b64 v[8:11], v31 offset0:9 offset1:10
	v_fma_f64 v[214:215], -v[216:217], v[2:3], v[214:215]
	ds_read2_b64 v[0:3], v31 offset0:11 offset1:12
	s_waitcnt lgkmcnt(2)
	v_fma_f64 v[160:161], -v[216:217], v[4:5], v[160:161]
	v_fma_f64 v[212:213], -v[216:217], v[6:7], v[212:213]
	s_waitcnt lgkmcnt(1)
	v_fma_f64 v[158:159], -v[216:217], v[8:9], v[158:159]
	ds_read2_b64 v[4:7], v31 offset0:13 offset1:14
	v_fma_f64 v[210:211], -v[216:217], v[10:11], v[210:211]
	ds_read2_b64 v[8:11], v31 offset0:15 offset1:16
	s_waitcnt lgkmcnt(2)
	v_fma_f64 v[156:157], -v[216:217], v[0:1], v[156:157]
	v_fma_f64 v[208:209], -v[216:217], v[2:3], v[208:209]
	ds_read2_b64 v[0:3], v31 offset0:17 offset1:18
	s_waitcnt lgkmcnt(2)
	v_fma_f64 v[154:155], -v[216:217], v[4:5], v[154:155]
	v_fma_f64 v[206:207], -v[216:217], v[6:7], v[206:207]
	ds_read2_b64 v[4:7], v31 offset0:19 offset1:20
	s_waitcnt lgkmcnt(2)
	v_fma_f64 v[152:153], -v[216:217], v[8:9], v[152:153]
	v_fma_f64 v[204:205], -v[216:217], v[10:11], v[204:205]
	s_waitcnt lgkmcnt(1)
	v_fma_f64 v[150:151], -v[216:217], v[0:1], v[150:151]
	ds_read2_b64 v[8:11], v31 offset0:21 offset1:22
	v_fma_f64 v[202:203], -v[216:217], v[2:3], v[202:203]
	ds_read2_b64 v[0:3], v31 offset0:23 offset1:24
	s_waitcnt lgkmcnt(2)
	v_fma_f64 v[148:149], -v[216:217], v[4:5], v[148:149]
	v_fma_f64 v[200:201], -v[216:217], v[6:7], v[200:201]
	s_waitcnt lgkmcnt(1)
	v_fma_f64 v[146:147], -v[216:217], v[8:9], v[146:147]
	ds_read2_b64 v[4:7], v31 offset0:25 offset1:26
	v_fma_f64 v[198:199], -v[216:217], v[10:11], v[198:199]
	ds_read2_b64 v[8:11], v31 offset0:27 offset1:28
	s_waitcnt lgkmcnt(2)
	v_fma_f64 v[144:145], -v[216:217], v[0:1], v[144:145]
	v_fma_f64 v[196:197], -v[216:217], v[2:3], v[196:197]
	ds_read2_b64 v[0:3], v31 offset0:29 offset1:30
	s_waitcnt lgkmcnt(2)
	v_fma_f64 v[142:143], -v[216:217], v[4:5], v[142:143]
	v_fma_f64 v[194:195], -v[216:217], v[6:7], v[194:195]
	ds_read2_b64 v[4:7], v31 offset0:31 offset1:32
	s_waitcnt lgkmcnt(2)
	v_fma_f64 v[140:141], -v[216:217], v[8:9], v[140:141]
	v_fma_f64 v[192:193], -v[216:217], v[10:11], v[192:193]
	;; [unrolled: 24-line block ×3, first 2 shown]
	s_waitcnt lgkmcnt(1)
	v_fma_f64 v[126:127], -v[216:217], v[0:1], v[126:127]
	ds_read2_b64 v[8:11], v31 offset0:45 offset1:46
	v_fma_f64 v[178:179], -v[216:217], v[2:3], v[178:179]
	ds_read2_b64 v[0:3], v31 offset0:47 offset1:48
	s_waitcnt lgkmcnt(2)
	v_fma_f64 v[124:125], -v[216:217], v[4:5], v[124:125]
	v_fma_f64 v[176:177], -v[216:217], v[6:7], v[176:177]
	s_waitcnt lgkmcnt(1)
	v_fma_f64 v[122:123], -v[216:217], v[8:9], v[122:123]
	v_fma_f64 v[174:175], -v[216:217], v[10:11], v[174:175]
	ds_read2_b64 v[4:7], v31 offset0:49 offset1:50
	ds_read2_b64 v[8:11], v31 offset0:51 offset1:52
	s_waitcnt lgkmcnt(2)
	v_fma_f64 v[120:121], -v[216:217], v[0:1], v[120:121]
	v_fma_f64 v[172:173], -v[216:217], v[2:3], v[172:173]
	ds_read2_b64 v[0:3], v31 offset0:53 offset1:54
	s_waitcnt lgkmcnt(2)
	v_fma_f64 v[118:119], -v[216:217], v[4:5], v[118:119]
	v_fma_f64 v[170:171], -v[216:217], v[6:7], v[170:171]
	s_waitcnt lgkmcnt(1)
	v_fma_f64 v[116:117], -v[216:217], v[8:9], v[116:117]
	v_fma_f64 v[168:169], -v[216:217], v[10:11], v[168:169]
	;; [unrolled: 3-line block ×3, first 2 shown]
.LBB109_26:
	s_or_b64 exec, exec, s[2:3]
	v_cmp_eq_u32_e32 vcc, 5, v32
	s_waitcnt vmcnt(63) expcnt(7) lgkmcnt(15)
	s_barrier
	s_and_saveexec_b64 s[2:3], vcc
	s_cbranch_execz .LBB109_29
; %bb.27:
	s_waitcnt vmcnt(58)
	v_mov_b32_e32 v0, v214
	v_mov_b32_e32 v1, v215
	s_waitcnt vmcnt(57)
	v_mov_b32_e32 v2, v160
	v_mov_b32_e32 v3, v161
	ds_write_b64 v30, v[162:163]
	ds_write2_b64 v31, v[0:1], v[2:3] offset0:6 offset1:7
	s_waitcnt vmcnt(56)
	v_mov_b32_e32 v0, v212
	v_mov_b32_e32 v1, v213
	s_waitcnt vmcnt(55)
	v_mov_b32_e32 v2, v158
	v_mov_b32_e32 v3, v159
	ds_write2_b64 v31, v[0:1], v[2:3] offset0:8 offset1:9
	s_waitcnt vmcnt(54)
	v_mov_b32_e32 v0, v210
	v_mov_b32_e32 v1, v211
	s_waitcnt vmcnt(53)
	v_mov_b32_e32 v2, v156
	v_mov_b32_e32 v3, v157
	;; [unrolled: 7-line block ×23, first 2 shown]
	ds_write2_b64 v31, v[0:1], v[2:3] offset0:52 offset1:53
	s_waitcnt vmcnt(10)
	ds_write_b64 v31, v[220:221] offset:432
	ds_read_b64 v[0:1], v30
	s_waitcnt lgkmcnt(0)
	v_cmp_neq_f64_e32 vcc, 0, v[0:1]
	s_and_b64 exec, exec, vcc
	s_cbranch_execz .LBB109_29
; %bb.28:
	v_div_scale_f64 v[2:3], s[6:7], v[0:1], v[0:1], 1.0
	v_rcp_f64_e32 v[4:5], v[2:3]
	v_div_scale_f64 v[6:7], vcc, 1.0, v[0:1], 1.0
	v_fma_f64 v[8:9], -v[2:3], v[4:5], 1.0
	v_fmac_f64_e32 v[4:5], v[4:5], v[8:9]
	v_fma_f64 v[8:9], -v[2:3], v[4:5], 1.0
	v_fmac_f64_e32 v[4:5], v[4:5], v[8:9]
	v_mul_f64 v[8:9], v[6:7], v[4:5]
	v_fma_f64 v[2:3], -v[2:3], v[8:9], v[6:7]
	v_div_fmas_f64 v[2:3], v[2:3], v[4:5], v[8:9]
	v_div_fixup_f64 v[0:1], v[2:3], v[0:1], 1.0
	ds_write_b64 v30, v[0:1]
.LBB109_29:
	s_or_b64 exec, exec, s[2:3]
	s_waitcnt lgkmcnt(0)
	s_barrier
	ds_read_b64 v[0:1], v30
	v_cmp_lt_u32_e32 vcc, 5, v32
	s_waitcnt lgkmcnt(0)
	buffer_store_dword v0, off, s[16:19], 0 offset:56 ; 4-byte Folded Spill
	s_nop 0
	buffer_store_dword v1, off, s[16:19], 0 offset:60 ; 4-byte Folded Spill
	s_and_saveexec_b64 s[2:3], vcc
	s_cbranch_execz .LBB109_31
; %bb.30:
	ds_read2_b64 v[0:3], v31 offset0:6 offset1:7
	ds_read2_b64 v[4:7], v31 offset0:8 offset1:9
	buffer_load_dword v8, off, s[16:19], 0 offset:56 ; 4-byte Folded Reload
	buffer_load_dword v9, off, s[16:19], 0 offset:60 ; 4-byte Folded Reload
	s_waitcnt vmcnt(0)
	v_mul_f64 v[162:163], v[8:9], v[162:163]
	s_waitcnt lgkmcnt(1)
	v_fma_f64 v[214:215], -v[162:163], v[0:1], v[214:215]
	ds_read2_b64 v[8:11], v31 offset0:10 offset1:11
	v_fma_f64 v[160:161], -v[162:163], v[2:3], v[160:161]
	ds_read2_b64 v[0:3], v31 offset0:12 offset1:13
	s_waitcnt lgkmcnt(2)
	v_fma_f64 v[212:213], -v[162:163], v[4:5], v[212:213]
	v_fma_f64 v[158:159], -v[162:163], v[6:7], v[158:159]
	s_waitcnt lgkmcnt(1)
	v_fma_f64 v[210:211], -v[162:163], v[8:9], v[210:211]
	ds_read2_b64 v[4:7], v31 offset0:14 offset1:15
	v_fma_f64 v[156:157], -v[162:163], v[10:11], v[156:157]
	ds_read2_b64 v[8:11], v31 offset0:16 offset1:17
	s_waitcnt lgkmcnt(2)
	v_fma_f64 v[208:209], -v[162:163], v[0:1], v[208:209]
	v_fma_f64 v[154:155], -v[162:163], v[2:3], v[154:155]
	ds_read2_b64 v[0:3], v31 offset0:18 offset1:19
	s_waitcnt lgkmcnt(2)
	v_fma_f64 v[206:207], -v[162:163], v[4:5], v[206:207]
	v_fma_f64 v[152:153], -v[162:163], v[6:7], v[152:153]
	ds_read2_b64 v[4:7], v31 offset0:20 offset1:21
	s_waitcnt lgkmcnt(2)
	v_fma_f64 v[204:205], -v[162:163], v[8:9], v[204:205]
	v_fma_f64 v[150:151], -v[162:163], v[10:11], v[150:151]
	s_waitcnt lgkmcnt(1)
	v_fma_f64 v[202:203], -v[162:163], v[0:1], v[202:203]
	ds_read2_b64 v[8:11], v31 offset0:22 offset1:23
	v_fma_f64 v[148:149], -v[162:163], v[2:3], v[148:149]
	ds_read2_b64 v[0:3], v31 offset0:24 offset1:25
	s_waitcnt lgkmcnt(2)
	v_fma_f64 v[200:201], -v[162:163], v[4:5], v[200:201]
	v_fma_f64 v[146:147], -v[162:163], v[6:7], v[146:147]
	s_waitcnt lgkmcnt(1)
	v_fma_f64 v[198:199], -v[162:163], v[8:9], v[198:199]
	ds_read2_b64 v[4:7], v31 offset0:26 offset1:27
	v_fma_f64 v[144:145], -v[162:163], v[10:11], v[144:145]
	ds_read2_b64 v[8:11], v31 offset0:28 offset1:29
	s_waitcnt lgkmcnt(2)
	v_fma_f64 v[196:197], -v[162:163], v[0:1], v[196:197]
	v_fma_f64 v[142:143], -v[162:163], v[2:3], v[142:143]
	ds_read2_b64 v[0:3], v31 offset0:30 offset1:31
	s_waitcnt lgkmcnt(2)
	v_fma_f64 v[194:195], -v[162:163], v[4:5], v[194:195]
	v_fma_f64 v[140:141], -v[162:163], v[6:7], v[140:141]
	ds_read2_b64 v[4:7], v31 offset0:32 offset1:33
	s_waitcnt lgkmcnt(2)
	v_fma_f64 v[192:193], -v[162:163], v[8:9], v[192:193]
	v_fma_f64 v[138:139], -v[162:163], v[10:11], v[138:139]
	;; [unrolled: 24-line block ×3, first 2 shown]
	s_waitcnt lgkmcnt(1)
	v_fma_f64 v[178:179], -v[162:163], v[0:1], v[178:179]
	ds_read2_b64 v[8:11], v31 offset0:46 offset1:47
	v_fma_f64 v[124:125], -v[162:163], v[2:3], v[124:125]
	ds_read2_b64 v[0:3], v31 offset0:48 offset1:49
	s_waitcnt lgkmcnt(2)
	v_fma_f64 v[176:177], -v[162:163], v[4:5], v[176:177]
	v_fma_f64 v[122:123], -v[162:163], v[6:7], v[122:123]
	s_waitcnt lgkmcnt(1)
	v_fma_f64 v[174:175], -v[162:163], v[8:9], v[174:175]
	v_fma_f64 v[120:121], -v[162:163], v[10:11], v[120:121]
	ds_read2_b64 v[4:7], v31 offset0:50 offset1:51
	ds_read2_b64 v[8:11], v31 offset0:52 offset1:53
	s_waitcnt lgkmcnt(2)
	v_fma_f64 v[172:173], -v[162:163], v[0:1], v[172:173]
	ds_read_b64 v[0:1], v31 offset:432
	v_fma_f64 v[118:119], -v[162:163], v[2:3], v[118:119]
	s_waitcnt lgkmcnt(2)
	v_fma_f64 v[170:171], -v[162:163], v[4:5], v[170:171]
	v_fma_f64 v[116:117], -v[162:163], v[6:7], v[116:117]
	s_waitcnt lgkmcnt(1)
	v_fma_f64 v[168:169], -v[162:163], v[8:9], v[168:169]
	;; [unrolled: 3-line block ×3, first 2 shown]
.LBB109_31:
	s_or_b64 exec, exec, s[2:3]
	v_cmp_eq_u32_e32 vcc, 6, v32
	s_waitcnt vmcnt(63) expcnt(7) lgkmcnt(15)
	s_barrier
	s_and_saveexec_b64 s[2:3], vcc
	s_cbranch_execz .LBB109_34
; %bb.32:
	s_waitcnt vmcnt(60)
	ds_write_b64 v30, v[214:215]
	s_waitcnt vmcnt(58)
	ds_write2_b64 v31, v[160:161], v[212:213] offset0:7 offset1:8
	s_waitcnt vmcnt(56)
	ds_write2_b64 v31, v[158:159], v[210:211] offset0:9 offset1:10
	;; [unrolled: 2-line block ×24, first 2 shown]
	ds_read_b64 v[0:1], v30
	s_waitcnt lgkmcnt(0)
	v_cmp_neq_f64_e32 vcc, 0, v[0:1]
	s_and_b64 exec, exec, vcc
	s_cbranch_execz .LBB109_34
; %bb.33:
	v_div_scale_f64 v[2:3], s[6:7], v[0:1], v[0:1], 1.0
	v_rcp_f64_e32 v[4:5], v[2:3]
	v_div_scale_f64 v[6:7], vcc, 1.0, v[0:1], 1.0
	v_fma_f64 v[8:9], -v[2:3], v[4:5], 1.0
	v_fmac_f64_e32 v[4:5], v[4:5], v[8:9]
	v_fma_f64 v[8:9], -v[2:3], v[4:5], 1.0
	v_fmac_f64_e32 v[4:5], v[4:5], v[8:9]
	v_mul_f64 v[8:9], v[6:7], v[4:5]
	v_fma_f64 v[2:3], -v[2:3], v[8:9], v[6:7]
	v_div_fmas_f64 v[2:3], v[2:3], v[4:5], v[8:9]
	v_div_fixup_f64 v[0:1], v[2:3], v[0:1], 1.0
	ds_write_b64 v30, v[0:1]
.LBB109_34:
	s_or_b64 exec, exec, s[2:3]
	s_waitcnt lgkmcnt(0)
	s_barrier
	ds_read_b64 v[0:1], v30
	v_cmp_lt_u32_e32 vcc, 6, v32
	s_waitcnt lgkmcnt(0)
	buffer_store_dword v0, off, s[16:19], 0 offset:64 ; 4-byte Folded Spill
	s_nop 0
	buffer_store_dword v1, off, s[16:19], 0 offset:68 ; 4-byte Folded Spill
	s_and_saveexec_b64 s[2:3], vcc
	s_cbranch_execz .LBB109_36
; %bb.35:
	ds_read2_b64 v[0:3], v31 offset0:7 offset1:8
	ds_read2_b64 v[4:7], v31 offset0:9 offset1:10
	buffer_load_dword v8, off, s[16:19], 0 offset:64 ; 4-byte Folded Reload
	buffer_load_dword v9, off, s[16:19], 0 offset:68 ; 4-byte Folded Reload
	s_waitcnt vmcnt(0)
	v_mul_f64 v[214:215], v[8:9], v[214:215]
	ds_read2_b64 v[8:11], v31 offset0:11 offset1:12
	s_waitcnt lgkmcnt(2)
	v_fma_f64 v[160:161], -v[214:215], v[0:1], v[160:161]
	v_fma_f64 v[212:213], -v[214:215], v[2:3], v[212:213]
	ds_read2_b64 v[0:3], v31 offset0:13 offset1:14
	s_waitcnt lgkmcnt(2)
	v_fma_f64 v[158:159], -v[214:215], v[4:5], v[158:159]
	v_fma_f64 v[210:211], -v[214:215], v[6:7], v[210:211]
	s_waitcnt lgkmcnt(1)
	v_fma_f64 v[156:157], -v[214:215], v[8:9], v[156:157]
	ds_read2_b64 v[4:7], v31 offset0:15 offset1:16
	v_fma_f64 v[208:209], -v[214:215], v[10:11], v[208:209]
	ds_read2_b64 v[8:11], v31 offset0:17 offset1:18
	s_waitcnt lgkmcnt(2)
	v_fma_f64 v[154:155], -v[214:215], v[0:1], v[154:155]
	v_fma_f64 v[206:207], -v[214:215], v[2:3], v[206:207]
	s_waitcnt lgkmcnt(1)
	v_fma_f64 v[152:153], -v[214:215], v[4:5], v[152:153]
	ds_read2_b64 v[0:3], v31 offset0:19 offset1:20
	v_fma_f64 v[204:205], -v[214:215], v[6:7], v[204:205]
	ds_read2_b64 v[4:7], v31 offset0:21 offset1:22
	s_waitcnt lgkmcnt(2)
	v_fma_f64 v[150:151], -v[214:215], v[8:9], v[150:151]
	v_fma_f64 v[202:203], -v[214:215], v[10:11], v[202:203]
	ds_read2_b64 v[8:11], v31 offset0:23 offset1:24
	s_waitcnt lgkmcnt(2)
	v_fma_f64 v[148:149], -v[214:215], v[0:1], v[148:149]
	v_fma_f64 v[200:201], -v[214:215], v[2:3], v[200:201]
	ds_read2_b64 v[0:3], v31 offset0:25 offset1:26
	s_waitcnt lgkmcnt(2)
	v_fma_f64 v[146:147], -v[214:215], v[4:5], v[146:147]
	v_fma_f64 v[198:199], -v[214:215], v[6:7], v[198:199]
	s_waitcnt lgkmcnt(1)
	v_fma_f64 v[144:145], -v[214:215], v[8:9], v[144:145]
	ds_read2_b64 v[4:7], v31 offset0:27 offset1:28
	v_fma_f64 v[196:197], -v[214:215], v[10:11], v[196:197]
	ds_read2_b64 v[8:11], v31 offset0:29 offset1:30
	s_waitcnt lgkmcnt(2)
	v_fma_f64 v[142:143], -v[214:215], v[0:1], v[142:143]
	v_fma_f64 v[194:195], -v[214:215], v[2:3], v[194:195]
	s_waitcnt lgkmcnt(1)
	v_fma_f64 v[140:141], -v[214:215], v[4:5], v[140:141]
	ds_read2_b64 v[0:3], v31 offset0:31 offset1:32
	v_fma_f64 v[192:193], -v[214:215], v[6:7], v[192:193]
	ds_read2_b64 v[4:7], v31 offset0:33 offset1:34
	s_waitcnt lgkmcnt(2)
	v_fma_f64 v[138:139], -v[214:215], v[8:9], v[138:139]
	v_fma_f64 v[190:191], -v[214:215], v[10:11], v[190:191]
	;; [unrolled: 24-line block ×3, first 2 shown]
	ds_read2_b64 v[8:11], v31 offset0:47 offset1:48
	s_waitcnt lgkmcnt(2)
	v_fma_f64 v[124:125], -v[214:215], v[0:1], v[124:125]
	v_fma_f64 v[176:177], -v[214:215], v[2:3], v[176:177]
	ds_read2_b64 v[0:3], v31 offset0:49 offset1:50
	s_waitcnt lgkmcnt(2)
	v_fma_f64 v[122:123], -v[214:215], v[4:5], v[122:123]
	v_fma_f64 v[174:175], -v[214:215], v[6:7], v[174:175]
	s_waitcnt lgkmcnt(1)
	v_fma_f64 v[120:121], -v[214:215], v[8:9], v[120:121]
	ds_read2_b64 v[4:7], v31 offset0:51 offset1:52
	v_fma_f64 v[172:173], -v[214:215], v[10:11], v[172:173]
	ds_read2_b64 v[8:11], v31 offset0:53 offset1:54
	s_waitcnt lgkmcnt(2)
	v_fma_f64 v[118:119], -v[214:215], v[0:1], v[118:119]
	v_fma_f64 v[170:171], -v[214:215], v[2:3], v[170:171]
	s_waitcnt lgkmcnt(1)
	v_fma_f64 v[116:117], -v[214:215], v[4:5], v[116:117]
	v_fma_f64 v[168:169], -v[214:215], v[6:7], v[168:169]
	;; [unrolled: 3-line block ×3, first 2 shown]
.LBB109_36:
	s_or_b64 exec, exec, s[2:3]
	v_cmp_eq_u32_e32 vcc, 7, v32
	s_waitcnt vmcnt(63) expcnt(7) lgkmcnt(15)
	s_barrier
	s_and_saveexec_b64 s[2:3], vcc
	s_cbranch_execz .LBB109_39
; %bb.37:
	s_waitcnt vmcnt(60)
	v_mov_b32_e32 v0, v212
	v_mov_b32_e32 v1, v213
	s_waitcnt vmcnt(59)
	v_mov_b32_e32 v2, v158
	v_mov_b32_e32 v3, v159
	ds_write_b64 v30, v[160:161]
	ds_write2_b64 v31, v[0:1], v[2:3] offset0:8 offset1:9
	s_waitcnt vmcnt(58)
	v_mov_b32_e32 v0, v210
	v_mov_b32_e32 v1, v211
	s_waitcnt vmcnt(57)
	v_mov_b32_e32 v2, v156
	v_mov_b32_e32 v3, v157
	ds_write2_b64 v31, v[0:1], v[2:3] offset0:10 offset1:11
	s_waitcnt vmcnt(56)
	v_mov_b32_e32 v0, v208
	v_mov_b32_e32 v1, v209
	s_waitcnt vmcnt(55)
	v_mov_b32_e32 v2, v154
	v_mov_b32_e32 v3, v155
	;; [unrolled: 7-line block ×22, first 2 shown]
	ds_write2_b64 v31, v[0:1], v[2:3] offset0:52 offset1:53
	s_waitcnt vmcnt(14)
	ds_write_b64 v31, v[220:221] offset:432
	ds_read_b64 v[0:1], v30
	s_waitcnt lgkmcnt(0)
	v_cmp_neq_f64_e32 vcc, 0, v[0:1]
	s_and_b64 exec, exec, vcc
	s_cbranch_execz .LBB109_39
; %bb.38:
	v_div_scale_f64 v[2:3], s[6:7], v[0:1], v[0:1], 1.0
	v_rcp_f64_e32 v[4:5], v[2:3]
	v_div_scale_f64 v[6:7], vcc, 1.0, v[0:1], 1.0
	v_fma_f64 v[8:9], -v[2:3], v[4:5], 1.0
	v_fmac_f64_e32 v[4:5], v[4:5], v[8:9]
	v_fma_f64 v[8:9], -v[2:3], v[4:5], 1.0
	v_fmac_f64_e32 v[4:5], v[4:5], v[8:9]
	v_mul_f64 v[8:9], v[6:7], v[4:5]
	v_fma_f64 v[2:3], -v[2:3], v[8:9], v[6:7]
	v_div_fmas_f64 v[2:3], v[2:3], v[4:5], v[8:9]
	v_div_fixup_f64 v[0:1], v[2:3], v[0:1], 1.0
	ds_write_b64 v30, v[0:1]
.LBB109_39:
	s_or_b64 exec, exec, s[2:3]
	s_waitcnt lgkmcnt(0)
	s_barrier
	ds_read_b64 v[0:1], v30
	v_cmp_lt_u32_e32 vcc, 7, v32
	s_waitcnt lgkmcnt(0)
	buffer_store_dword v0, off, s[16:19], 0 offset:72 ; 4-byte Folded Spill
	s_nop 0
	buffer_store_dword v1, off, s[16:19], 0 offset:76 ; 4-byte Folded Spill
	s_and_saveexec_b64 s[2:3], vcc
	s_cbranch_execz .LBB109_41
; %bb.40:
	ds_read2_b64 v[0:3], v31 offset0:8 offset1:9
	ds_read2_b64 v[4:7], v31 offset0:10 offset1:11
	buffer_load_dword v8, off, s[16:19], 0 offset:72 ; 4-byte Folded Reload
	buffer_load_dword v9, off, s[16:19], 0 offset:76 ; 4-byte Folded Reload
	s_waitcnt vmcnt(0)
	v_mul_f64 v[160:161], v[8:9], v[160:161]
	ds_read2_b64 v[8:11], v31 offset0:12 offset1:13
	s_waitcnt lgkmcnt(2)
	v_fma_f64 v[212:213], -v[160:161], v[0:1], v[212:213]
	v_fma_f64 v[158:159], -v[160:161], v[2:3], v[158:159]
	ds_read2_b64 v[0:3], v31 offset0:14 offset1:15
	s_waitcnt lgkmcnt(2)
	v_fma_f64 v[210:211], -v[160:161], v[4:5], v[210:211]
	v_fma_f64 v[156:157], -v[160:161], v[6:7], v[156:157]
	s_waitcnt lgkmcnt(1)
	v_fma_f64 v[208:209], -v[160:161], v[8:9], v[208:209]
	ds_read2_b64 v[4:7], v31 offset0:16 offset1:17
	v_fma_f64 v[154:155], -v[160:161], v[10:11], v[154:155]
	ds_read2_b64 v[8:11], v31 offset0:18 offset1:19
	s_waitcnt lgkmcnt(2)
	v_fma_f64 v[206:207], -v[160:161], v[0:1], v[206:207]
	v_fma_f64 v[152:153], -v[160:161], v[2:3], v[152:153]
	s_waitcnt lgkmcnt(1)
	v_fma_f64 v[204:205], -v[160:161], v[4:5], v[204:205]
	ds_read2_b64 v[0:3], v31 offset0:20 offset1:21
	v_fma_f64 v[150:151], -v[160:161], v[6:7], v[150:151]
	ds_read2_b64 v[4:7], v31 offset0:22 offset1:23
	s_waitcnt lgkmcnt(2)
	v_fma_f64 v[202:203], -v[160:161], v[8:9], v[202:203]
	v_fma_f64 v[148:149], -v[160:161], v[10:11], v[148:149]
	ds_read2_b64 v[8:11], v31 offset0:24 offset1:25
	s_waitcnt lgkmcnt(2)
	v_fma_f64 v[200:201], -v[160:161], v[0:1], v[200:201]
	v_fma_f64 v[146:147], -v[160:161], v[2:3], v[146:147]
	ds_read2_b64 v[0:3], v31 offset0:26 offset1:27
	s_waitcnt lgkmcnt(2)
	v_fma_f64 v[198:199], -v[160:161], v[4:5], v[198:199]
	v_fma_f64 v[144:145], -v[160:161], v[6:7], v[144:145]
	s_waitcnt lgkmcnt(1)
	v_fma_f64 v[196:197], -v[160:161], v[8:9], v[196:197]
	ds_read2_b64 v[4:7], v31 offset0:28 offset1:29
	v_fma_f64 v[142:143], -v[160:161], v[10:11], v[142:143]
	ds_read2_b64 v[8:11], v31 offset0:30 offset1:31
	s_waitcnt lgkmcnt(2)
	v_fma_f64 v[194:195], -v[160:161], v[0:1], v[194:195]
	v_fma_f64 v[140:141], -v[160:161], v[2:3], v[140:141]
	s_waitcnt lgkmcnt(1)
	v_fma_f64 v[192:193], -v[160:161], v[4:5], v[192:193]
	ds_read2_b64 v[0:3], v31 offset0:32 offset1:33
	v_fma_f64 v[138:139], -v[160:161], v[6:7], v[138:139]
	ds_read2_b64 v[4:7], v31 offset0:34 offset1:35
	s_waitcnt lgkmcnt(2)
	v_fma_f64 v[190:191], -v[160:161], v[8:9], v[190:191]
	v_fma_f64 v[136:137], -v[160:161], v[10:11], v[136:137]
	;; [unrolled: 24-line block ×3, first 2 shown]
	ds_read2_b64 v[8:11], v31 offset0:48 offset1:49
	s_waitcnt lgkmcnt(2)
	v_fma_f64 v[176:177], -v[160:161], v[0:1], v[176:177]
	v_fma_f64 v[122:123], -v[160:161], v[2:3], v[122:123]
	ds_read2_b64 v[0:3], v31 offset0:50 offset1:51
	s_waitcnt lgkmcnt(2)
	v_fma_f64 v[174:175], -v[160:161], v[4:5], v[174:175]
	v_fma_f64 v[120:121], -v[160:161], v[6:7], v[120:121]
	s_waitcnt lgkmcnt(1)
	v_fma_f64 v[172:173], -v[160:161], v[8:9], v[172:173]
	ds_read2_b64 v[4:7], v31 offset0:52 offset1:53
	ds_read_b64 v[8:9], v31 offset:432
	v_fma_f64 v[118:119], -v[160:161], v[10:11], v[118:119]
	s_waitcnt lgkmcnt(2)
	v_fma_f64 v[170:171], -v[160:161], v[0:1], v[170:171]
	v_fma_f64 v[116:117], -v[160:161], v[2:3], v[116:117]
	s_waitcnt lgkmcnt(1)
	v_fma_f64 v[168:169], -v[160:161], v[4:5], v[168:169]
	;; [unrolled: 3-line block ×3, first 2 shown]
.LBB109_41:
	s_or_b64 exec, exec, s[2:3]
	v_cmp_eq_u32_e32 vcc, 8, v32
	s_waitcnt vmcnt(63) expcnt(7) lgkmcnt(15)
	s_barrier
	s_and_saveexec_b64 s[2:3], vcc
	s_cbranch_execz .LBB109_44
; %bb.42:
	s_waitcnt vmcnt(62)
	ds_write_b64 v30, v[212:213]
	s_waitcnt vmcnt(60)
	ds_write2_b64 v31, v[158:159], v[210:211] offset0:9 offset1:10
	s_waitcnt vmcnt(58)
	ds_write2_b64 v31, v[156:157], v[208:209] offset0:11 offset1:12
	;; [unrolled: 2-line block ×23, first 2 shown]
	ds_read_b64 v[0:1], v30
	s_waitcnt lgkmcnt(0)
	v_cmp_neq_f64_e32 vcc, 0, v[0:1]
	s_and_b64 exec, exec, vcc
	s_cbranch_execz .LBB109_44
; %bb.43:
	v_div_scale_f64 v[2:3], s[6:7], v[0:1], v[0:1], 1.0
	v_rcp_f64_e32 v[4:5], v[2:3]
	v_div_scale_f64 v[6:7], vcc, 1.0, v[0:1], 1.0
	v_fma_f64 v[8:9], -v[2:3], v[4:5], 1.0
	v_fmac_f64_e32 v[4:5], v[4:5], v[8:9]
	v_fma_f64 v[8:9], -v[2:3], v[4:5], 1.0
	v_fmac_f64_e32 v[4:5], v[4:5], v[8:9]
	v_mul_f64 v[8:9], v[6:7], v[4:5]
	v_fma_f64 v[2:3], -v[2:3], v[8:9], v[6:7]
	v_div_fmas_f64 v[2:3], v[2:3], v[4:5], v[8:9]
	v_div_fixup_f64 v[0:1], v[2:3], v[0:1], 1.0
	ds_write_b64 v30, v[0:1]
.LBB109_44:
	s_or_b64 exec, exec, s[2:3]
	s_waitcnt lgkmcnt(0)
	s_barrier
	ds_read_b64 v[0:1], v30
	v_cmp_lt_u32_e32 vcc, 8, v32
	s_waitcnt lgkmcnt(0)
	buffer_store_dword v0, off, s[16:19], 0 offset:80 ; 4-byte Folded Spill
	s_nop 0
	buffer_store_dword v1, off, s[16:19], 0 offset:84 ; 4-byte Folded Spill
	s_and_saveexec_b64 s[2:3], vcc
	s_cbranch_execz .LBB109_46
; %bb.45:
	ds_read2_b64 v[0:3], v31 offset0:9 offset1:10
	ds_read2_b64 v[4:7], v31 offset0:11 offset1:12
	buffer_load_dword v8, off, s[16:19], 0 offset:80 ; 4-byte Folded Reload
	buffer_load_dword v9, off, s[16:19], 0 offset:84 ; 4-byte Folded Reload
	s_waitcnt vmcnt(0)
	v_mul_f64 v[212:213], v[8:9], v[212:213]
	s_waitcnt lgkmcnt(1)
	v_fma_f64 v[158:159], -v[212:213], v[0:1], v[158:159]
	ds_read2_b64 v[8:11], v31 offset0:13 offset1:14
	v_fma_f64 v[210:211], -v[212:213], v[2:3], v[210:211]
	ds_read2_b64 v[0:3], v31 offset0:15 offset1:16
	s_waitcnt lgkmcnt(2)
	v_fma_f64 v[156:157], -v[212:213], v[4:5], v[156:157]
	v_fma_f64 v[208:209], -v[212:213], v[6:7], v[208:209]
	ds_read2_b64 v[4:7], v31 offset0:17 offset1:18
	s_waitcnt lgkmcnt(2)
	v_fma_f64 v[154:155], -v[212:213], v[8:9], v[154:155]
	v_fma_f64 v[206:207], -v[212:213], v[10:11], v[206:207]
	ds_read2_b64 v[8:11], v31 offset0:19 offset1:20
	s_waitcnt lgkmcnt(2)
	v_fma_f64 v[152:153], -v[212:213], v[0:1], v[152:153]
	v_fma_f64 v[204:205], -v[212:213], v[2:3], v[204:205]
	s_waitcnt lgkmcnt(1)
	v_fma_f64 v[150:151], -v[212:213], v[4:5], v[150:151]
	ds_read2_b64 v[0:3], v31 offset0:21 offset1:22
	v_fma_f64 v[202:203], -v[212:213], v[6:7], v[202:203]
	ds_read2_b64 v[4:7], v31 offset0:23 offset1:24
	s_waitcnt lgkmcnt(2)
	v_fma_f64 v[148:149], -v[212:213], v[8:9], v[148:149]
	v_fma_f64 v[200:201], -v[212:213], v[10:11], v[200:201]
	s_waitcnt lgkmcnt(1)
	v_fma_f64 v[146:147], -v[212:213], v[0:1], v[146:147]
	ds_read2_b64 v[8:11], v31 offset0:25 offset1:26
	v_fma_f64 v[198:199], -v[212:213], v[2:3], v[198:199]
	ds_read2_b64 v[0:3], v31 offset0:27 offset1:28
	s_waitcnt lgkmcnt(2)
	v_fma_f64 v[144:145], -v[212:213], v[4:5], v[144:145]
	v_fma_f64 v[196:197], -v[212:213], v[6:7], v[196:197]
	ds_read2_b64 v[4:7], v31 offset0:29 offset1:30
	s_waitcnt lgkmcnt(2)
	v_fma_f64 v[142:143], -v[212:213], v[8:9], v[142:143]
	v_fma_f64 v[194:195], -v[212:213], v[10:11], v[194:195]
	ds_read2_b64 v[8:11], v31 offset0:31 offset1:32
	s_waitcnt lgkmcnt(2)
	v_fma_f64 v[140:141], -v[212:213], v[0:1], v[140:141]
	v_fma_f64 v[192:193], -v[212:213], v[2:3], v[192:193]
	s_waitcnt lgkmcnt(1)
	v_fma_f64 v[138:139], -v[212:213], v[4:5], v[138:139]
	ds_read2_b64 v[0:3], v31 offset0:33 offset1:34
	v_fma_f64 v[190:191], -v[212:213], v[6:7], v[190:191]
	ds_read2_b64 v[4:7], v31 offset0:35 offset1:36
	s_waitcnt lgkmcnt(2)
	v_fma_f64 v[136:137], -v[212:213], v[8:9], v[136:137]
	v_fma_f64 v[188:189], -v[212:213], v[10:11], v[188:189]
	;; [unrolled: 24-line block ×3, first 2 shown]
	s_waitcnt lgkmcnt(1)
	v_fma_f64 v[122:123], -v[212:213], v[0:1], v[122:123]
	v_fma_f64 v[174:175], -v[212:213], v[2:3], v[174:175]
	ds_read2_b64 v[0:3], v31 offset0:49 offset1:50
	ds_read2_b64 v[8:11], v31 offset0:51 offset1:52
	s_waitcnt lgkmcnt(2)
	v_fma_f64 v[120:121], -v[212:213], v[4:5], v[120:121]
	v_fma_f64 v[172:173], -v[212:213], v[6:7], v[172:173]
	ds_read2_b64 v[4:7], v31 offset0:53 offset1:54
	s_waitcnt lgkmcnt(2)
	v_fma_f64 v[118:119], -v[212:213], v[0:1], v[118:119]
	v_fma_f64 v[170:171], -v[212:213], v[2:3], v[170:171]
	s_waitcnt lgkmcnt(1)
	v_fma_f64 v[116:117], -v[212:213], v[8:9], v[116:117]
	v_fma_f64 v[168:169], -v[212:213], v[10:11], v[168:169]
	;; [unrolled: 3-line block ×3, first 2 shown]
.LBB109_46:
	s_or_b64 exec, exec, s[2:3]
	v_cmp_eq_u32_e32 vcc, 9, v32
	s_waitcnt vmcnt(63) expcnt(7) lgkmcnt(15)
	s_barrier
	s_and_saveexec_b64 s[2:3], vcc
	s_cbranch_execz .LBB109_49
; %bb.47:
	s_waitcnt vmcnt(62)
	v_mov_b32_e32 v0, v210
	v_mov_b32_e32 v1, v211
	s_waitcnt vmcnt(61)
	v_mov_b32_e32 v2, v156
	v_mov_b32_e32 v3, v157
	ds_write_b64 v30, v[158:159]
	ds_write2_b64 v31, v[0:1], v[2:3] offset0:10 offset1:11
	s_waitcnt vmcnt(60)
	v_mov_b32_e32 v0, v208
	v_mov_b32_e32 v1, v209
	s_waitcnt vmcnt(59)
	v_mov_b32_e32 v2, v154
	v_mov_b32_e32 v3, v155
	ds_write2_b64 v31, v[0:1], v[2:3] offset0:12 offset1:13
	s_waitcnt vmcnt(58)
	v_mov_b32_e32 v0, v206
	v_mov_b32_e32 v1, v207
	s_waitcnt vmcnt(57)
	v_mov_b32_e32 v2, v152
	v_mov_b32_e32 v3, v153
	;; [unrolled: 7-line block ×21, first 2 shown]
	ds_write2_b64 v31, v[0:1], v[2:3] offset0:52 offset1:53
	s_waitcnt vmcnt(18)
	ds_write_b64 v31, v[220:221] offset:432
	ds_read_b64 v[0:1], v30
	s_waitcnt lgkmcnt(0)
	v_cmp_neq_f64_e32 vcc, 0, v[0:1]
	s_and_b64 exec, exec, vcc
	s_cbranch_execz .LBB109_49
; %bb.48:
	v_div_scale_f64 v[2:3], s[6:7], v[0:1], v[0:1], 1.0
	v_rcp_f64_e32 v[4:5], v[2:3]
	v_div_scale_f64 v[6:7], vcc, 1.0, v[0:1], 1.0
	v_fma_f64 v[8:9], -v[2:3], v[4:5], 1.0
	v_fmac_f64_e32 v[4:5], v[4:5], v[8:9]
	v_fma_f64 v[8:9], -v[2:3], v[4:5], 1.0
	v_fmac_f64_e32 v[4:5], v[4:5], v[8:9]
	v_mul_f64 v[8:9], v[6:7], v[4:5]
	v_fma_f64 v[2:3], -v[2:3], v[8:9], v[6:7]
	v_div_fmas_f64 v[2:3], v[2:3], v[4:5], v[8:9]
	v_div_fixup_f64 v[0:1], v[2:3], v[0:1], 1.0
	ds_write_b64 v30, v[0:1]
.LBB109_49:
	s_or_b64 exec, exec, s[2:3]
	s_waitcnt lgkmcnt(0)
	s_barrier
	ds_read_b64 v[0:1], v30
	v_cmp_lt_u32_e32 vcc, 9, v32
	s_waitcnt lgkmcnt(0)
	buffer_store_dword v0, off, s[16:19], 0 offset:88 ; 4-byte Folded Spill
	s_nop 0
	buffer_store_dword v1, off, s[16:19], 0 offset:92 ; 4-byte Folded Spill
	s_and_saveexec_b64 s[2:3], vcc
	s_cbranch_execz .LBB109_51
; %bb.50:
	ds_read2_b64 v[0:3], v31 offset0:10 offset1:11
	ds_read2_b64 v[4:7], v31 offset0:12 offset1:13
	buffer_load_dword v8, off, s[16:19], 0 offset:88 ; 4-byte Folded Reload
	buffer_load_dword v9, off, s[16:19], 0 offset:92 ; 4-byte Folded Reload
	s_waitcnt vmcnt(0)
	v_mul_f64 v[158:159], v[8:9], v[158:159]
	s_waitcnt lgkmcnt(1)
	v_fma_f64 v[210:211], -v[158:159], v[0:1], v[210:211]
	ds_read2_b64 v[8:11], v31 offset0:14 offset1:15
	v_fma_f64 v[156:157], -v[158:159], v[2:3], v[156:157]
	ds_read2_b64 v[0:3], v31 offset0:16 offset1:17
	s_waitcnt lgkmcnt(2)
	v_fma_f64 v[208:209], -v[158:159], v[4:5], v[208:209]
	v_fma_f64 v[154:155], -v[158:159], v[6:7], v[154:155]
	ds_read2_b64 v[4:7], v31 offset0:18 offset1:19
	s_waitcnt lgkmcnt(2)
	v_fma_f64 v[206:207], -v[158:159], v[8:9], v[206:207]
	v_fma_f64 v[152:153], -v[158:159], v[10:11], v[152:153]
	ds_read2_b64 v[8:11], v31 offset0:20 offset1:21
	s_waitcnt lgkmcnt(2)
	v_fma_f64 v[204:205], -v[158:159], v[0:1], v[204:205]
	v_fma_f64 v[150:151], -v[158:159], v[2:3], v[150:151]
	s_waitcnt lgkmcnt(1)
	v_fma_f64 v[202:203], -v[158:159], v[4:5], v[202:203]
	ds_read2_b64 v[0:3], v31 offset0:22 offset1:23
	v_fma_f64 v[148:149], -v[158:159], v[6:7], v[148:149]
	ds_read2_b64 v[4:7], v31 offset0:24 offset1:25
	s_waitcnt lgkmcnt(2)
	v_fma_f64 v[200:201], -v[158:159], v[8:9], v[200:201]
	v_fma_f64 v[146:147], -v[158:159], v[10:11], v[146:147]
	s_waitcnt lgkmcnt(1)
	v_fma_f64 v[198:199], -v[158:159], v[0:1], v[198:199]
	ds_read2_b64 v[8:11], v31 offset0:26 offset1:27
	v_fma_f64 v[144:145], -v[158:159], v[2:3], v[144:145]
	ds_read2_b64 v[0:3], v31 offset0:28 offset1:29
	s_waitcnt lgkmcnt(2)
	v_fma_f64 v[196:197], -v[158:159], v[4:5], v[196:197]
	v_fma_f64 v[142:143], -v[158:159], v[6:7], v[142:143]
	ds_read2_b64 v[4:7], v31 offset0:30 offset1:31
	s_waitcnt lgkmcnt(2)
	v_fma_f64 v[194:195], -v[158:159], v[8:9], v[194:195]
	v_fma_f64 v[140:141], -v[158:159], v[10:11], v[140:141]
	ds_read2_b64 v[8:11], v31 offset0:32 offset1:33
	s_waitcnt lgkmcnt(2)
	v_fma_f64 v[192:193], -v[158:159], v[0:1], v[192:193]
	v_fma_f64 v[138:139], -v[158:159], v[2:3], v[138:139]
	s_waitcnt lgkmcnt(1)
	v_fma_f64 v[190:191], -v[158:159], v[4:5], v[190:191]
	ds_read2_b64 v[0:3], v31 offset0:34 offset1:35
	v_fma_f64 v[136:137], -v[158:159], v[6:7], v[136:137]
	ds_read2_b64 v[4:7], v31 offset0:36 offset1:37
	s_waitcnt lgkmcnt(2)
	v_fma_f64 v[188:189], -v[158:159], v[8:9], v[188:189]
	v_fma_f64 v[134:135], -v[158:159], v[10:11], v[134:135]
	;; [unrolled: 24-line block ×3, first 2 shown]
	s_waitcnt lgkmcnt(1)
	v_fma_f64 v[174:175], -v[158:159], v[0:1], v[174:175]
	v_fma_f64 v[120:121], -v[158:159], v[2:3], v[120:121]
	ds_read2_b64 v[0:3], v31 offset0:50 offset1:51
	ds_read2_b64 v[8:11], v31 offset0:52 offset1:53
	s_waitcnt lgkmcnt(2)
	v_fma_f64 v[172:173], -v[158:159], v[4:5], v[172:173]
	ds_read_b64 v[4:5], v31 offset:432
	v_fma_f64 v[118:119], -v[158:159], v[6:7], v[118:119]
	s_waitcnt lgkmcnt(2)
	v_fma_f64 v[170:171], -v[158:159], v[0:1], v[170:171]
	v_fma_f64 v[116:117], -v[158:159], v[2:3], v[116:117]
	s_waitcnt lgkmcnt(1)
	v_fma_f64 v[168:169], -v[158:159], v[8:9], v[168:169]
	;; [unrolled: 3-line block ×3, first 2 shown]
.LBB109_51:
	s_or_b64 exec, exec, s[2:3]
	v_cmp_eq_u32_e32 vcc, 10, v32
	s_waitcnt vmcnt(63) expcnt(7) lgkmcnt(15)
	s_barrier
	s_and_saveexec_b64 s[2:3], vcc
	s_cbranch_execz .LBB109_54
; %bb.52:
	ds_write_b64 v30, v[210:211]
	s_waitcnt vmcnt(62)
	ds_write2_b64 v31, v[156:157], v[208:209] offset0:11 offset1:12
	s_waitcnt vmcnt(60)
	ds_write2_b64 v31, v[154:155], v[206:207] offset0:13 offset1:14
	;; [unrolled: 2-line block ×22, first 2 shown]
	ds_read_b64 v[0:1], v30
	s_waitcnt lgkmcnt(0)
	v_cmp_neq_f64_e32 vcc, 0, v[0:1]
	s_and_b64 exec, exec, vcc
	s_cbranch_execz .LBB109_54
; %bb.53:
	v_div_scale_f64 v[2:3], s[6:7], v[0:1], v[0:1], 1.0
	v_rcp_f64_e32 v[4:5], v[2:3]
	v_div_scale_f64 v[6:7], vcc, 1.0, v[0:1], 1.0
	v_fma_f64 v[8:9], -v[2:3], v[4:5], 1.0
	v_fmac_f64_e32 v[4:5], v[4:5], v[8:9]
	v_fma_f64 v[8:9], -v[2:3], v[4:5], 1.0
	v_fmac_f64_e32 v[4:5], v[4:5], v[8:9]
	v_mul_f64 v[8:9], v[6:7], v[4:5]
	v_fma_f64 v[2:3], -v[2:3], v[8:9], v[6:7]
	v_div_fmas_f64 v[2:3], v[2:3], v[4:5], v[8:9]
	v_div_fixup_f64 v[0:1], v[2:3], v[0:1], 1.0
	ds_write_b64 v30, v[0:1]
.LBB109_54:
	s_or_b64 exec, exec, s[2:3]
	s_waitcnt lgkmcnt(0)
	s_barrier
	ds_read_b64 v[0:1], v30
	v_cmp_lt_u32_e32 vcc, 10, v32
	s_waitcnt lgkmcnt(0)
	buffer_store_dword v0, off, s[16:19], 0 offset:96 ; 4-byte Folded Spill
	s_nop 0
	buffer_store_dword v1, off, s[16:19], 0 offset:100 ; 4-byte Folded Spill
	s_and_saveexec_b64 s[2:3], vcc
	s_cbranch_execz .LBB109_56
; %bb.55:
	buffer_load_dword v0, off, s[16:19], 0 offset:96 ; 4-byte Folded Reload
	buffer_load_dword v1, off, s[16:19], 0 offset:100 ; 4-byte Folded Reload
	s_waitcnt vmcnt(0)
	v_mul_f64 v[210:211], v[0:1], v[210:211]
	ds_read2_b64 v[0:3], v31 offset0:11 offset1:12
	s_waitcnt lgkmcnt(0)
	v_fma_f64 v[156:157], -v[210:211], v[0:1], v[156:157]
	v_fma_f64 v[208:209], -v[210:211], v[2:3], v[208:209]
	ds_read2_b64 v[0:3], v31 offset0:13 offset1:14
	s_waitcnt lgkmcnt(0)
	v_fma_f64 v[154:155], -v[210:211], v[0:1], v[154:155]
	v_fma_f64 v[206:207], -v[210:211], v[2:3], v[206:207]
	;; [unrolled: 4-line block ×22, first 2 shown]
.LBB109_56:
	s_or_b64 exec, exec, s[2:3]
	v_cmp_eq_u32_e32 vcc, 11, v32
	s_waitcnt vmcnt(63) expcnt(7) lgkmcnt(15)
	s_barrier
	s_and_saveexec_b64 s[2:3], vcc
	s_cbranch_execz .LBB109_59
; %bb.57:
	v_mov_b32_e32 v0, v208
	v_mov_b32_e32 v1, v209
	;; [unrolled: 1-line block ×4, first 2 shown]
	ds_write_b64 v30, v[156:157]
	ds_write2_b64 v31, v[0:1], v[2:3] offset0:12 offset1:13
	s_waitcnt vmcnt(62)
	v_mov_b32_e32 v0, v206
	v_mov_b32_e32 v1, v207
	s_waitcnt vmcnt(61)
	v_mov_b32_e32 v2, v152
	v_mov_b32_e32 v3, v153
	ds_write2_b64 v31, v[0:1], v[2:3] offset0:14 offset1:15
	s_waitcnt vmcnt(60)
	v_mov_b32_e32 v0, v204
	v_mov_b32_e32 v1, v205
	s_waitcnt vmcnt(59)
	v_mov_b32_e32 v2, v150
	v_mov_b32_e32 v3, v151
	;; [unrolled: 7-line block ×20, first 2 shown]
	ds_write2_b64 v31, v[0:1], v[2:3] offset0:52 offset1:53
	s_waitcnt vmcnt(22)
	ds_write_b64 v31, v[220:221] offset:432
	ds_read_b64 v[0:1], v30
	s_waitcnt lgkmcnt(0)
	v_cmp_neq_f64_e32 vcc, 0, v[0:1]
	s_and_b64 exec, exec, vcc
	s_cbranch_execz .LBB109_59
; %bb.58:
	v_div_scale_f64 v[2:3], s[6:7], v[0:1], v[0:1], 1.0
	v_rcp_f64_e32 v[4:5], v[2:3]
	v_div_scale_f64 v[6:7], vcc, 1.0, v[0:1], 1.0
	v_fma_f64 v[8:9], -v[2:3], v[4:5], 1.0
	v_fmac_f64_e32 v[4:5], v[4:5], v[8:9]
	v_fma_f64 v[8:9], -v[2:3], v[4:5], 1.0
	v_fmac_f64_e32 v[4:5], v[4:5], v[8:9]
	v_mul_f64 v[8:9], v[6:7], v[4:5]
	v_fma_f64 v[2:3], -v[2:3], v[8:9], v[6:7]
	v_div_fmas_f64 v[2:3], v[2:3], v[4:5], v[8:9]
	v_div_fixup_f64 v[0:1], v[2:3], v[0:1], 1.0
	ds_write_b64 v30, v[0:1]
.LBB109_59:
	s_or_b64 exec, exec, s[2:3]
	s_waitcnt lgkmcnt(0)
	s_barrier
	ds_read_b64 v[0:1], v30
	v_cmp_lt_u32_e32 vcc, 11, v32
	s_waitcnt lgkmcnt(0)
	buffer_store_dword v0, off, s[16:19], 0 offset:104 ; 4-byte Folded Spill
	s_nop 0
	buffer_store_dword v1, off, s[16:19], 0 offset:108 ; 4-byte Folded Spill
	s_and_saveexec_b64 s[2:3], vcc
	s_cbranch_execz .LBB109_61
; %bb.60:
	buffer_load_dword v0, off, s[16:19], 0 offset:104 ; 4-byte Folded Reload
	buffer_load_dword v1, off, s[16:19], 0 offset:108 ; 4-byte Folded Reload
	s_waitcnt vmcnt(0)
	v_mul_f64 v[156:157], v[0:1], v[156:157]
	ds_read2_b64 v[0:3], v31 offset0:12 offset1:13
	s_waitcnt lgkmcnt(0)
	v_fma_f64 v[208:209], -v[156:157], v[0:1], v[208:209]
	v_fma_f64 v[154:155], -v[156:157], v[2:3], v[154:155]
	ds_read2_b64 v[0:3], v31 offset0:14 offset1:15
	s_waitcnt lgkmcnt(0)
	v_fma_f64 v[206:207], -v[156:157], v[0:1], v[206:207]
	v_fma_f64 v[152:153], -v[156:157], v[2:3], v[152:153]
	;; [unrolled: 4-line block ×20, first 2 shown]
	ds_read2_b64 v[0:3], v31 offset0:52 offset1:53
	s_waitcnt lgkmcnt(0)
	v_fma_f64 v[168:169], -v[156:157], v[0:1], v[168:169]
	ds_read_b64 v[0:1], v31 offset:432
	v_fma_f64 v[114:115], -v[156:157], v[2:3], v[114:115]
	s_waitcnt lgkmcnt(0)
	v_fma_f64 v[220:221], -v[156:157], v[0:1], v[220:221]
.LBB109_61:
	s_or_b64 exec, exec, s[2:3]
	v_cmp_eq_u32_e32 vcc, 12, v32
	s_waitcnt vmcnt(63) expcnt(7) lgkmcnt(15)
	s_barrier
	s_and_saveexec_b64 s[2:3], vcc
	s_cbranch_execz .LBB109_64
; %bb.62:
	ds_write_b64 v30, v[208:209]
	ds_write2_b64 v31, v[154:155], v[206:207] offset0:13 offset1:14
	s_waitcnt vmcnt(62)
	ds_write2_b64 v31, v[152:153], v[204:205] offset0:15 offset1:16
	s_waitcnt vmcnt(60)
	;; [unrolled: 2-line block ×20, first 2 shown]
	ds_write2_b64 v31, v[114:115], v[220:221] offset0:53 offset1:54
	ds_read_b64 v[0:1], v30
	s_waitcnt lgkmcnt(0)
	v_cmp_neq_f64_e32 vcc, 0, v[0:1]
	s_and_b64 exec, exec, vcc
	s_cbranch_execz .LBB109_64
; %bb.63:
	v_div_scale_f64 v[2:3], s[6:7], v[0:1], v[0:1], 1.0
	v_rcp_f64_e32 v[4:5], v[2:3]
	v_div_scale_f64 v[6:7], vcc, 1.0, v[0:1], 1.0
	v_fma_f64 v[8:9], -v[2:3], v[4:5], 1.0
	v_fmac_f64_e32 v[4:5], v[4:5], v[8:9]
	v_fma_f64 v[8:9], -v[2:3], v[4:5], 1.0
	v_fmac_f64_e32 v[4:5], v[4:5], v[8:9]
	v_mul_f64 v[8:9], v[6:7], v[4:5]
	v_fma_f64 v[2:3], -v[2:3], v[8:9], v[6:7]
	v_div_fmas_f64 v[2:3], v[2:3], v[4:5], v[8:9]
	v_div_fixup_f64 v[0:1], v[2:3], v[0:1], 1.0
	ds_write_b64 v30, v[0:1]
.LBB109_64:
	s_or_b64 exec, exec, s[2:3]
	s_waitcnt lgkmcnt(0)
	s_barrier
	ds_read_b64 v[0:1], v30
	v_cmp_lt_u32_e32 vcc, 12, v32
	s_waitcnt lgkmcnt(0)
	buffer_store_dword v0, off, s[16:19], 0 offset:112 ; 4-byte Folded Spill
	s_nop 0
	buffer_store_dword v1, off, s[16:19], 0 offset:116 ; 4-byte Folded Spill
	s_and_saveexec_b64 s[2:3], vcc
	s_cbranch_execz .LBB109_66
; %bb.65:
	buffer_load_dword v0, off, s[16:19], 0 offset:112 ; 4-byte Folded Reload
	buffer_load_dword v1, off, s[16:19], 0 offset:116 ; 4-byte Folded Reload
	s_waitcnt vmcnt(0)
	v_mul_f64 v[208:209], v[0:1], v[208:209]
	ds_read2_b64 v[0:3], v31 offset0:13 offset1:14
	s_waitcnt lgkmcnt(0)
	v_fma_f64 v[154:155], -v[208:209], v[0:1], v[154:155]
	v_fma_f64 v[206:207], -v[208:209], v[2:3], v[206:207]
	ds_read2_b64 v[0:3], v31 offset0:15 offset1:16
	s_waitcnt lgkmcnt(0)
	v_fma_f64 v[152:153], -v[208:209], v[0:1], v[152:153]
	v_fma_f64 v[204:205], -v[208:209], v[2:3], v[204:205]
	ds_read2_b64 v[0:3], v31 offset0:17 offset1:18
	s_waitcnt lgkmcnt(0)
	v_fma_f64 v[150:151], -v[208:209], v[0:1], v[150:151]
	v_fma_f64 v[202:203], -v[208:209], v[2:3], v[202:203]
	ds_read2_b64 v[0:3], v31 offset0:19 offset1:20
	s_waitcnt lgkmcnt(0)
	v_fma_f64 v[148:149], -v[208:209], v[0:1], v[148:149]
	v_fma_f64 v[200:201], -v[208:209], v[2:3], v[200:201]
	ds_read2_b64 v[0:3], v31 offset0:21 offset1:22
	s_waitcnt lgkmcnt(0)
	v_fma_f64 v[146:147], -v[208:209], v[0:1], v[146:147]
	v_fma_f64 v[198:199], -v[208:209], v[2:3], v[198:199]
	ds_read2_b64 v[0:3], v31 offset0:23 offset1:24
	s_waitcnt lgkmcnt(0)
	v_fma_f64 v[144:145], -v[208:209], v[0:1], v[144:145]
	v_fma_f64 v[196:197], -v[208:209], v[2:3], v[196:197]
	ds_read2_b64 v[0:3], v31 offset0:25 offset1:26
	s_waitcnt lgkmcnt(0)
	v_fma_f64 v[142:143], -v[208:209], v[0:1], v[142:143]
	v_fma_f64 v[194:195], -v[208:209], v[2:3], v[194:195]
	ds_read2_b64 v[0:3], v31 offset0:27 offset1:28
	s_waitcnt lgkmcnt(0)
	v_fma_f64 v[140:141], -v[208:209], v[0:1], v[140:141]
	v_fma_f64 v[192:193], -v[208:209], v[2:3], v[192:193]
	ds_read2_b64 v[0:3], v31 offset0:29 offset1:30
	s_waitcnt lgkmcnt(0)
	v_fma_f64 v[138:139], -v[208:209], v[0:1], v[138:139]
	v_fma_f64 v[190:191], -v[208:209], v[2:3], v[190:191]
	ds_read2_b64 v[0:3], v31 offset0:31 offset1:32
	s_waitcnt lgkmcnt(0)
	v_fma_f64 v[136:137], -v[208:209], v[0:1], v[136:137]
	v_fma_f64 v[188:189], -v[208:209], v[2:3], v[188:189]
	ds_read2_b64 v[0:3], v31 offset0:33 offset1:34
	s_waitcnt lgkmcnt(0)
	v_fma_f64 v[134:135], -v[208:209], v[0:1], v[134:135]
	v_fma_f64 v[186:187], -v[208:209], v[2:3], v[186:187]
	ds_read2_b64 v[0:3], v31 offset0:35 offset1:36
	s_waitcnt lgkmcnt(0)
	v_fma_f64 v[132:133], -v[208:209], v[0:1], v[132:133]
	v_fma_f64 v[184:185], -v[208:209], v[2:3], v[184:185]
	ds_read2_b64 v[0:3], v31 offset0:37 offset1:38
	s_waitcnt lgkmcnt(0)
	v_fma_f64 v[130:131], -v[208:209], v[0:1], v[130:131]
	v_fma_f64 v[182:183], -v[208:209], v[2:3], v[182:183]
	ds_read2_b64 v[0:3], v31 offset0:39 offset1:40
	s_waitcnt lgkmcnt(0)
	v_fma_f64 v[128:129], -v[208:209], v[0:1], v[128:129]
	v_fma_f64 v[180:181], -v[208:209], v[2:3], v[180:181]
	ds_read2_b64 v[0:3], v31 offset0:41 offset1:42
	s_waitcnt lgkmcnt(0)
	v_fma_f64 v[126:127], -v[208:209], v[0:1], v[126:127]
	v_fma_f64 v[178:179], -v[208:209], v[2:3], v[178:179]
	ds_read2_b64 v[0:3], v31 offset0:43 offset1:44
	s_waitcnt lgkmcnt(0)
	v_fma_f64 v[124:125], -v[208:209], v[0:1], v[124:125]
	v_fma_f64 v[176:177], -v[208:209], v[2:3], v[176:177]
	ds_read2_b64 v[0:3], v31 offset0:45 offset1:46
	s_waitcnt lgkmcnt(0)
	v_fma_f64 v[122:123], -v[208:209], v[0:1], v[122:123]
	v_fma_f64 v[174:175], -v[208:209], v[2:3], v[174:175]
	ds_read2_b64 v[0:3], v31 offset0:47 offset1:48
	s_waitcnt lgkmcnt(0)
	v_fma_f64 v[120:121], -v[208:209], v[0:1], v[120:121]
	v_fma_f64 v[172:173], -v[208:209], v[2:3], v[172:173]
	ds_read2_b64 v[0:3], v31 offset0:49 offset1:50
	s_waitcnt lgkmcnt(0)
	v_fma_f64 v[118:119], -v[208:209], v[0:1], v[118:119]
	v_fma_f64 v[170:171], -v[208:209], v[2:3], v[170:171]
	ds_read2_b64 v[0:3], v31 offset0:51 offset1:52
	s_waitcnt lgkmcnt(0)
	v_fma_f64 v[116:117], -v[208:209], v[0:1], v[116:117]
	v_fma_f64 v[168:169], -v[208:209], v[2:3], v[168:169]
	ds_read2_b64 v[0:3], v31 offset0:53 offset1:54
	s_waitcnt lgkmcnt(0)
	v_fma_f64 v[114:115], -v[208:209], v[0:1], v[114:115]
	v_fma_f64 v[220:221], -v[208:209], v[2:3], v[220:221]
.LBB109_66:
	s_or_b64 exec, exec, s[2:3]
	v_cmp_eq_u32_e32 vcc, 13, v32
	s_waitcnt vmcnt(63) expcnt(7) lgkmcnt(15)
	s_barrier
	s_and_saveexec_b64 s[2:3], vcc
	s_cbranch_execz .LBB109_69
; %bb.67:
	v_mov_b32_e32 v0, v206
	v_mov_b32_e32 v1, v207
	;; [unrolled: 1-line block ×4, first 2 shown]
	ds_write_b64 v30, v[154:155]
	ds_write2_b64 v31, v[0:1], v[2:3] offset0:14 offset1:15
	v_mov_b32_e32 v0, v204
	v_mov_b32_e32 v1, v205
	;; [unrolled: 1-line block ×4, first 2 shown]
	ds_write2_b64 v31, v[0:1], v[2:3] offset0:16 offset1:17
	s_waitcnt vmcnt(62)
	v_mov_b32_e32 v0, v202
	v_mov_b32_e32 v1, v203
	s_waitcnt vmcnt(61)
	v_mov_b32_e32 v2, v148
	v_mov_b32_e32 v3, v149
	ds_write2_b64 v31, v[0:1], v[2:3] offset0:18 offset1:19
	s_waitcnt vmcnt(60)
	v_mov_b32_e32 v0, v200
	v_mov_b32_e32 v1, v201
	s_waitcnt vmcnt(59)
	v_mov_b32_e32 v2, v146
	v_mov_b32_e32 v3, v147
	;; [unrolled: 7-line block ×18, first 2 shown]
	ds_write2_b64 v31, v[0:1], v[2:3] offset0:52 offset1:53
	s_waitcnt vmcnt(26)
	ds_write_b64 v31, v[220:221] offset:432
	ds_read_b64 v[0:1], v30
	s_waitcnt lgkmcnt(0)
	v_cmp_neq_f64_e32 vcc, 0, v[0:1]
	s_and_b64 exec, exec, vcc
	s_cbranch_execz .LBB109_69
; %bb.68:
	v_div_scale_f64 v[2:3], s[6:7], v[0:1], v[0:1], 1.0
	v_rcp_f64_e32 v[4:5], v[2:3]
	v_div_scale_f64 v[6:7], vcc, 1.0, v[0:1], 1.0
	v_fma_f64 v[8:9], -v[2:3], v[4:5], 1.0
	v_fmac_f64_e32 v[4:5], v[4:5], v[8:9]
	v_fma_f64 v[8:9], -v[2:3], v[4:5], 1.0
	v_fmac_f64_e32 v[4:5], v[4:5], v[8:9]
	v_mul_f64 v[8:9], v[6:7], v[4:5]
	v_fma_f64 v[2:3], -v[2:3], v[8:9], v[6:7]
	v_div_fmas_f64 v[2:3], v[2:3], v[4:5], v[8:9]
	v_div_fixup_f64 v[0:1], v[2:3], v[0:1], 1.0
	ds_write_b64 v30, v[0:1]
.LBB109_69:
	s_or_b64 exec, exec, s[2:3]
	s_waitcnt lgkmcnt(0)
	s_barrier
	ds_read_b64 v[0:1], v30
	v_cmp_lt_u32_e32 vcc, 13, v32
	s_waitcnt lgkmcnt(0)
	buffer_store_dword v0, off, s[16:19], 0 offset:120 ; 4-byte Folded Spill
	s_nop 0
	buffer_store_dword v1, off, s[16:19], 0 offset:124 ; 4-byte Folded Spill
	s_and_saveexec_b64 s[2:3], vcc
	s_cbranch_execz .LBB109_71
; %bb.70:
	buffer_load_dword v0, off, s[16:19], 0 offset:120 ; 4-byte Folded Reload
	buffer_load_dword v1, off, s[16:19], 0 offset:124 ; 4-byte Folded Reload
	s_waitcnt vmcnt(0)
	v_mul_f64 v[154:155], v[0:1], v[154:155]
	ds_read2_b64 v[0:3], v31 offset0:14 offset1:15
	s_waitcnt lgkmcnt(0)
	v_fma_f64 v[206:207], -v[154:155], v[0:1], v[206:207]
	v_fma_f64 v[152:153], -v[154:155], v[2:3], v[152:153]
	ds_read2_b64 v[0:3], v31 offset0:16 offset1:17
	s_waitcnt lgkmcnt(0)
	v_fma_f64 v[204:205], -v[154:155], v[0:1], v[204:205]
	v_fma_f64 v[150:151], -v[154:155], v[2:3], v[150:151]
	;; [unrolled: 4-line block ×19, first 2 shown]
	ds_read2_b64 v[0:3], v31 offset0:52 offset1:53
	s_waitcnt lgkmcnt(0)
	v_fma_f64 v[168:169], -v[154:155], v[0:1], v[168:169]
	ds_read_b64 v[0:1], v31 offset:432
	v_fma_f64 v[114:115], -v[154:155], v[2:3], v[114:115]
	s_waitcnt lgkmcnt(0)
	v_fma_f64 v[220:221], -v[154:155], v[0:1], v[220:221]
.LBB109_71:
	s_or_b64 exec, exec, s[2:3]
	v_cmp_eq_u32_e32 vcc, 14, v32
	s_waitcnt vmcnt(63) expcnt(7) lgkmcnt(15)
	s_barrier
	s_and_saveexec_b64 s[2:3], vcc
	s_cbranch_execz .LBB109_74
; %bb.72:
	ds_write_b64 v30, v[206:207]
	ds_write2_b64 v31, v[152:153], v[204:205] offset0:15 offset1:16
	ds_write2_b64 v31, v[150:151], v[202:203] offset0:17 offset1:18
	s_waitcnt vmcnt(62)
	ds_write2_b64 v31, v[148:149], v[200:201] offset0:19 offset1:20
	s_waitcnt vmcnt(60)
	;; [unrolled: 2-line block ×18, first 2 shown]
	ds_write2_b64 v31, v[114:115], v[220:221] offset0:53 offset1:54
	ds_read_b64 v[0:1], v30
	s_waitcnt lgkmcnt(0)
	v_cmp_neq_f64_e32 vcc, 0, v[0:1]
	s_and_b64 exec, exec, vcc
	s_cbranch_execz .LBB109_74
; %bb.73:
	v_div_scale_f64 v[2:3], s[6:7], v[0:1], v[0:1], 1.0
	v_rcp_f64_e32 v[4:5], v[2:3]
	v_div_scale_f64 v[6:7], vcc, 1.0, v[0:1], 1.0
	v_fma_f64 v[8:9], -v[2:3], v[4:5], 1.0
	v_fmac_f64_e32 v[4:5], v[4:5], v[8:9]
	v_fma_f64 v[8:9], -v[2:3], v[4:5], 1.0
	v_fmac_f64_e32 v[4:5], v[4:5], v[8:9]
	v_mul_f64 v[8:9], v[6:7], v[4:5]
	v_fma_f64 v[2:3], -v[2:3], v[8:9], v[6:7]
	v_div_fmas_f64 v[2:3], v[2:3], v[4:5], v[8:9]
	v_div_fixup_f64 v[0:1], v[2:3], v[0:1], 1.0
	ds_write_b64 v30, v[0:1]
.LBB109_74:
	s_or_b64 exec, exec, s[2:3]
	s_waitcnt lgkmcnt(0)
	s_barrier
	ds_read_b64 v[0:1], v30
	v_cmp_lt_u32_e32 vcc, 14, v32
	s_waitcnt lgkmcnt(0)
	buffer_store_dword v0, off, s[16:19], 0 offset:128 ; 4-byte Folded Spill
	s_nop 0
	buffer_store_dword v1, off, s[16:19], 0 offset:132 ; 4-byte Folded Spill
	s_and_saveexec_b64 s[2:3], vcc
	s_cbranch_execz .LBB109_76
; %bb.75:
	buffer_load_dword v0, off, s[16:19], 0 offset:128 ; 4-byte Folded Reload
	buffer_load_dword v1, off, s[16:19], 0 offset:132 ; 4-byte Folded Reload
	s_waitcnt vmcnt(0)
	v_mul_f64 v[206:207], v[0:1], v[206:207]
	ds_read2_b64 v[0:3], v31 offset0:15 offset1:16
	s_waitcnt lgkmcnt(0)
	v_fma_f64 v[152:153], -v[206:207], v[0:1], v[152:153]
	v_fma_f64 v[204:205], -v[206:207], v[2:3], v[204:205]
	ds_read2_b64 v[0:3], v31 offset0:17 offset1:18
	s_waitcnt lgkmcnt(0)
	v_fma_f64 v[150:151], -v[206:207], v[0:1], v[150:151]
	v_fma_f64 v[202:203], -v[206:207], v[2:3], v[202:203]
	;; [unrolled: 4-line block ×20, first 2 shown]
.LBB109_76:
	s_or_b64 exec, exec, s[2:3]
	v_cmp_eq_u32_e32 vcc, 15, v32
	s_waitcnt vmcnt(63) expcnt(7) lgkmcnt(15)
	s_barrier
	s_and_saveexec_b64 s[2:3], vcc
	s_cbranch_execz .LBB109_79
; %bb.77:
	v_mov_b32_e32 v0, v204
	v_mov_b32_e32 v1, v205
	v_mov_b32_e32 v2, v150
	v_mov_b32_e32 v3, v151
	ds_write_b64 v30, v[152:153]
	ds_write2_b64 v31, v[0:1], v[2:3] offset0:16 offset1:17
	v_mov_b32_e32 v0, v202
	v_mov_b32_e32 v1, v203
	;; [unrolled: 1-line block ×4, first 2 shown]
	ds_write2_b64 v31, v[0:1], v[2:3] offset0:18 offset1:19
	v_mov_b32_e32 v0, v200
	v_mov_b32_e32 v1, v201
	;; [unrolled: 1-line block ×4, first 2 shown]
	ds_write2_b64 v31, v[0:1], v[2:3] offset0:20 offset1:21
	s_waitcnt vmcnt(62)
	v_mov_b32_e32 v0, v198
	v_mov_b32_e32 v1, v199
	s_waitcnt vmcnt(61)
	v_mov_b32_e32 v2, v144
	v_mov_b32_e32 v3, v145
	ds_write2_b64 v31, v[0:1], v[2:3] offset0:22 offset1:23
	s_waitcnt vmcnt(60)
	v_mov_b32_e32 v0, v196
	v_mov_b32_e32 v1, v197
	s_waitcnt vmcnt(59)
	v_mov_b32_e32 v2, v142
	v_mov_b32_e32 v3, v143
	;; [unrolled: 7-line block ×16, first 2 shown]
	ds_write2_b64 v31, v[0:1], v[2:3] offset0:52 offset1:53
	s_waitcnt vmcnt(30)
	ds_write_b64 v31, v[220:221] offset:432
	ds_read_b64 v[0:1], v30
	s_waitcnt lgkmcnt(0)
	v_cmp_neq_f64_e32 vcc, 0, v[0:1]
	s_and_b64 exec, exec, vcc
	s_cbranch_execz .LBB109_79
; %bb.78:
	v_div_scale_f64 v[2:3], s[6:7], v[0:1], v[0:1], 1.0
	v_rcp_f64_e32 v[4:5], v[2:3]
	v_div_scale_f64 v[6:7], vcc, 1.0, v[0:1], 1.0
	v_fma_f64 v[8:9], -v[2:3], v[4:5], 1.0
	v_fmac_f64_e32 v[4:5], v[4:5], v[8:9]
	v_fma_f64 v[8:9], -v[2:3], v[4:5], 1.0
	v_fmac_f64_e32 v[4:5], v[4:5], v[8:9]
	v_mul_f64 v[8:9], v[6:7], v[4:5]
	v_fma_f64 v[2:3], -v[2:3], v[8:9], v[6:7]
	v_div_fmas_f64 v[2:3], v[2:3], v[4:5], v[8:9]
	v_div_fixup_f64 v[0:1], v[2:3], v[0:1], 1.0
	ds_write_b64 v30, v[0:1]
.LBB109_79:
	s_or_b64 exec, exec, s[2:3]
	s_waitcnt lgkmcnt(0)
	s_barrier
	ds_read_b64 v[0:1], v30
	v_cmp_lt_u32_e32 vcc, 15, v32
	s_waitcnt lgkmcnt(0)
	buffer_store_dword v0, off, s[16:19], 0 offset:136 ; 4-byte Folded Spill
	s_nop 0
	buffer_store_dword v1, off, s[16:19], 0 offset:140 ; 4-byte Folded Spill
	s_and_saveexec_b64 s[2:3], vcc
	s_cbranch_execz .LBB109_81
; %bb.80:
	buffer_load_dword v0, off, s[16:19], 0 offset:136 ; 4-byte Folded Reload
	buffer_load_dword v1, off, s[16:19], 0 offset:140 ; 4-byte Folded Reload
	s_waitcnt vmcnt(0)
	v_mul_f64 v[152:153], v[0:1], v[152:153]
	ds_read2_b64 v[0:3], v31 offset0:16 offset1:17
	s_waitcnt lgkmcnt(0)
	v_fma_f64 v[204:205], -v[152:153], v[0:1], v[204:205]
	v_fma_f64 v[150:151], -v[152:153], v[2:3], v[150:151]
	ds_read2_b64 v[0:3], v31 offset0:18 offset1:19
	s_waitcnt lgkmcnt(0)
	v_fma_f64 v[202:203], -v[152:153], v[0:1], v[202:203]
	v_fma_f64 v[148:149], -v[152:153], v[2:3], v[148:149]
	;; [unrolled: 4-line block ×18, first 2 shown]
	ds_read2_b64 v[0:3], v31 offset0:52 offset1:53
	s_waitcnt lgkmcnt(0)
	v_fma_f64 v[168:169], -v[152:153], v[0:1], v[168:169]
	ds_read_b64 v[0:1], v31 offset:432
	v_fma_f64 v[114:115], -v[152:153], v[2:3], v[114:115]
	s_waitcnt lgkmcnt(0)
	v_fma_f64 v[220:221], -v[152:153], v[0:1], v[220:221]
.LBB109_81:
	s_or_b64 exec, exec, s[2:3]
	v_cmp_eq_u32_e32 vcc, 16, v32
	s_waitcnt vmcnt(63) expcnt(7) lgkmcnt(15)
	s_barrier
	s_and_saveexec_b64 s[2:3], vcc
	s_cbranch_execz .LBB109_84
; %bb.82:
	ds_write_b64 v30, v[204:205]
	ds_write2_b64 v31, v[150:151], v[202:203] offset0:17 offset1:18
	ds_write2_b64 v31, v[148:149], v[200:201] offset0:19 offset1:20
	;; [unrolled: 1-line block ×3, first 2 shown]
	s_waitcnt vmcnt(62)
	ds_write2_b64 v31, v[144:145], v[196:197] offset0:23 offset1:24
	s_waitcnt vmcnt(60)
	ds_write2_b64 v31, v[142:143], v[194:195] offset0:25 offset1:26
	;; [unrolled: 2-line block ×16, first 2 shown]
	ds_read_b64 v[0:1], v30
	s_waitcnt lgkmcnt(0)
	v_cmp_neq_f64_e32 vcc, 0, v[0:1]
	s_and_b64 exec, exec, vcc
	s_cbranch_execz .LBB109_84
; %bb.83:
	v_div_scale_f64 v[2:3], s[6:7], v[0:1], v[0:1], 1.0
	v_rcp_f64_e32 v[4:5], v[2:3]
	v_div_scale_f64 v[6:7], vcc, 1.0, v[0:1], 1.0
	v_fma_f64 v[8:9], -v[2:3], v[4:5], 1.0
	v_fmac_f64_e32 v[4:5], v[4:5], v[8:9]
	v_fma_f64 v[8:9], -v[2:3], v[4:5], 1.0
	v_fmac_f64_e32 v[4:5], v[4:5], v[8:9]
	v_mul_f64 v[8:9], v[6:7], v[4:5]
	v_fma_f64 v[2:3], -v[2:3], v[8:9], v[6:7]
	v_div_fmas_f64 v[2:3], v[2:3], v[4:5], v[8:9]
	v_div_fixup_f64 v[0:1], v[2:3], v[0:1], 1.0
	ds_write_b64 v30, v[0:1]
.LBB109_84:
	s_or_b64 exec, exec, s[2:3]
	s_waitcnt lgkmcnt(0)
	s_barrier
	ds_read_b64 v[0:1], v30
	v_cmp_lt_u32_e32 vcc, 16, v32
	s_waitcnt lgkmcnt(0)
	buffer_store_dword v0, off, s[16:19], 0 offset:144 ; 4-byte Folded Spill
	s_nop 0
	buffer_store_dword v1, off, s[16:19], 0 offset:148 ; 4-byte Folded Spill
	s_and_saveexec_b64 s[2:3], vcc
	s_cbranch_execz .LBB109_86
; %bb.85:
	buffer_load_dword v0, off, s[16:19], 0 offset:144 ; 4-byte Folded Reload
	buffer_load_dword v1, off, s[16:19], 0 offset:148 ; 4-byte Folded Reload
	s_waitcnt vmcnt(0)
	v_mul_f64 v[204:205], v[0:1], v[204:205]
	ds_read2_b64 v[0:3], v31 offset0:17 offset1:18
	s_waitcnt lgkmcnt(0)
	v_fma_f64 v[150:151], -v[204:205], v[0:1], v[150:151]
	v_fma_f64 v[202:203], -v[204:205], v[2:3], v[202:203]
	ds_read2_b64 v[0:3], v31 offset0:19 offset1:20
	s_waitcnt lgkmcnt(0)
	v_fma_f64 v[148:149], -v[204:205], v[0:1], v[148:149]
	v_fma_f64 v[200:201], -v[204:205], v[2:3], v[200:201]
	;; [unrolled: 4-line block ×19, first 2 shown]
.LBB109_86:
	s_or_b64 exec, exec, s[2:3]
	v_cmp_eq_u32_e32 vcc, 17, v32
	s_waitcnt vmcnt(63) expcnt(7) lgkmcnt(15)
	s_barrier
	s_and_saveexec_b64 s[2:3], vcc
	s_cbranch_execz .LBB109_89
; %bb.87:
	v_mov_b32_e32 v0, v202
	v_mov_b32_e32 v1, v203
	;; [unrolled: 1-line block ×4, first 2 shown]
	ds_write_b64 v30, v[150:151]
	ds_write2_b64 v31, v[0:1], v[2:3] offset0:18 offset1:19
	v_mov_b32_e32 v0, v200
	v_mov_b32_e32 v1, v201
	v_mov_b32_e32 v2, v146
	v_mov_b32_e32 v3, v147
	ds_write2_b64 v31, v[0:1], v[2:3] offset0:20 offset1:21
	v_mov_b32_e32 v0, v198
	v_mov_b32_e32 v1, v199
	v_mov_b32_e32 v2, v144
	v_mov_b32_e32 v3, v145
	;; [unrolled: 5-line block ×3, first 2 shown]
	ds_write2_b64 v31, v[0:1], v[2:3] offset0:24 offset1:25
	s_waitcnt vmcnt(62)
	v_mov_b32_e32 v0, v194
	v_mov_b32_e32 v1, v195
	s_waitcnt vmcnt(61)
	v_mov_b32_e32 v2, v140
	v_mov_b32_e32 v3, v141
	ds_write2_b64 v31, v[0:1], v[2:3] offset0:26 offset1:27
	s_waitcnt vmcnt(60)
	v_mov_b32_e32 v0, v192
	v_mov_b32_e32 v1, v193
	s_waitcnt vmcnt(59)
	v_mov_b32_e32 v2, v138
	v_mov_b32_e32 v3, v139
	;; [unrolled: 7-line block ×14, first 2 shown]
	ds_write2_b64 v31, v[0:1], v[2:3] offset0:52 offset1:53
	s_waitcnt vmcnt(34)
	ds_write_b64 v31, v[220:221] offset:432
	ds_read_b64 v[0:1], v30
	s_waitcnt lgkmcnt(0)
	v_cmp_neq_f64_e32 vcc, 0, v[0:1]
	s_and_b64 exec, exec, vcc
	s_cbranch_execz .LBB109_89
; %bb.88:
	v_div_scale_f64 v[2:3], s[6:7], v[0:1], v[0:1], 1.0
	v_rcp_f64_e32 v[4:5], v[2:3]
	v_div_scale_f64 v[6:7], vcc, 1.0, v[0:1], 1.0
	v_fma_f64 v[8:9], -v[2:3], v[4:5], 1.0
	v_fmac_f64_e32 v[4:5], v[4:5], v[8:9]
	v_fma_f64 v[8:9], -v[2:3], v[4:5], 1.0
	v_fmac_f64_e32 v[4:5], v[4:5], v[8:9]
	v_mul_f64 v[8:9], v[6:7], v[4:5]
	v_fma_f64 v[2:3], -v[2:3], v[8:9], v[6:7]
	v_div_fmas_f64 v[2:3], v[2:3], v[4:5], v[8:9]
	v_div_fixup_f64 v[0:1], v[2:3], v[0:1], 1.0
	ds_write_b64 v30, v[0:1]
.LBB109_89:
	s_or_b64 exec, exec, s[2:3]
	s_waitcnt lgkmcnt(0)
	s_barrier
	ds_read_b64 v[0:1], v30
	v_cmp_lt_u32_e32 vcc, 17, v32
	s_waitcnt lgkmcnt(0)
	buffer_store_dword v0, off, s[16:19], 0 offset:152 ; 4-byte Folded Spill
	s_nop 0
	buffer_store_dword v1, off, s[16:19], 0 offset:156 ; 4-byte Folded Spill
	s_and_saveexec_b64 s[2:3], vcc
	s_cbranch_execz .LBB109_91
; %bb.90:
	buffer_load_dword v0, off, s[16:19], 0 offset:152 ; 4-byte Folded Reload
	buffer_load_dword v1, off, s[16:19], 0 offset:156 ; 4-byte Folded Reload
	s_waitcnt vmcnt(0)
	v_mul_f64 v[150:151], v[0:1], v[150:151]
	ds_read2_b64 v[0:3], v31 offset0:18 offset1:19
	s_waitcnt lgkmcnt(0)
	v_fma_f64 v[202:203], -v[150:151], v[0:1], v[202:203]
	v_fma_f64 v[148:149], -v[150:151], v[2:3], v[148:149]
	ds_read2_b64 v[0:3], v31 offset0:20 offset1:21
	s_waitcnt lgkmcnt(0)
	v_fma_f64 v[200:201], -v[150:151], v[0:1], v[200:201]
	v_fma_f64 v[146:147], -v[150:151], v[2:3], v[146:147]
	;; [unrolled: 4-line block ×17, first 2 shown]
	ds_read2_b64 v[0:3], v31 offset0:52 offset1:53
	s_waitcnt lgkmcnt(0)
	v_fma_f64 v[168:169], -v[150:151], v[0:1], v[168:169]
	ds_read_b64 v[0:1], v31 offset:432
	v_fma_f64 v[114:115], -v[150:151], v[2:3], v[114:115]
	s_waitcnt lgkmcnt(0)
	v_fma_f64 v[220:221], -v[150:151], v[0:1], v[220:221]
.LBB109_91:
	s_or_b64 exec, exec, s[2:3]
	v_cmp_eq_u32_e32 vcc, 18, v32
	s_waitcnt vmcnt(63) expcnt(7) lgkmcnt(15)
	s_barrier
	s_and_saveexec_b64 s[2:3], vcc
	s_cbranch_execz .LBB109_94
; %bb.92:
	ds_write_b64 v30, v[202:203]
	ds_write2_b64 v31, v[148:149], v[200:201] offset0:19 offset1:20
	ds_write2_b64 v31, v[146:147], v[198:199] offset0:21 offset1:22
	;; [unrolled: 1-line block ×4, first 2 shown]
	s_waitcnt vmcnt(62)
	ds_write2_b64 v31, v[140:141], v[192:193] offset0:27 offset1:28
	s_waitcnt vmcnt(60)
	ds_write2_b64 v31, v[138:139], v[190:191] offset0:29 offset1:30
	;; [unrolled: 2-line block ×14, first 2 shown]
	ds_read_b64 v[0:1], v30
	s_waitcnt lgkmcnt(0)
	v_cmp_neq_f64_e32 vcc, 0, v[0:1]
	s_and_b64 exec, exec, vcc
	s_cbranch_execz .LBB109_94
; %bb.93:
	v_div_scale_f64 v[2:3], s[6:7], v[0:1], v[0:1], 1.0
	v_rcp_f64_e32 v[4:5], v[2:3]
	v_div_scale_f64 v[6:7], vcc, 1.0, v[0:1], 1.0
	v_fma_f64 v[8:9], -v[2:3], v[4:5], 1.0
	v_fmac_f64_e32 v[4:5], v[4:5], v[8:9]
	v_fma_f64 v[8:9], -v[2:3], v[4:5], 1.0
	v_fmac_f64_e32 v[4:5], v[4:5], v[8:9]
	v_mul_f64 v[8:9], v[6:7], v[4:5]
	v_fma_f64 v[2:3], -v[2:3], v[8:9], v[6:7]
	v_div_fmas_f64 v[2:3], v[2:3], v[4:5], v[8:9]
	v_div_fixup_f64 v[0:1], v[2:3], v[0:1], 1.0
	ds_write_b64 v30, v[0:1]
.LBB109_94:
	s_or_b64 exec, exec, s[2:3]
	s_waitcnt lgkmcnt(0)
	s_barrier
	ds_read_b64 v[0:1], v30
	v_cmp_lt_u32_e32 vcc, 18, v32
	s_waitcnt lgkmcnt(0)
	buffer_store_dword v0, off, s[16:19], 0 offset:160 ; 4-byte Folded Spill
	s_nop 0
	buffer_store_dword v1, off, s[16:19], 0 offset:164 ; 4-byte Folded Spill
	s_and_saveexec_b64 s[2:3], vcc
	s_cbranch_execz .LBB109_96
; %bb.95:
	buffer_load_dword v0, off, s[16:19], 0 offset:160 ; 4-byte Folded Reload
	buffer_load_dword v1, off, s[16:19], 0 offset:164 ; 4-byte Folded Reload
	s_waitcnt vmcnt(0)
	v_mul_f64 v[202:203], v[0:1], v[202:203]
	ds_read2_b64 v[0:3], v31 offset0:19 offset1:20
	s_waitcnt lgkmcnt(0)
	v_fma_f64 v[148:149], -v[202:203], v[0:1], v[148:149]
	v_fma_f64 v[200:201], -v[202:203], v[2:3], v[200:201]
	ds_read2_b64 v[0:3], v31 offset0:21 offset1:22
	s_waitcnt lgkmcnt(0)
	v_fma_f64 v[146:147], -v[202:203], v[0:1], v[146:147]
	v_fma_f64 v[198:199], -v[202:203], v[2:3], v[198:199]
	;; [unrolled: 4-line block ×18, first 2 shown]
.LBB109_96:
	s_or_b64 exec, exec, s[2:3]
	v_cmp_eq_u32_e32 vcc, 19, v32
	s_waitcnt vmcnt(63) expcnt(7) lgkmcnt(15)
	s_barrier
	s_and_saveexec_b64 s[2:3], vcc
	s_cbranch_execz .LBB109_99
; %bb.97:
	v_mov_b32_e32 v0, v200
	v_mov_b32_e32 v1, v201
	;; [unrolled: 1-line block ×4, first 2 shown]
	ds_write_b64 v30, v[148:149]
	ds_write2_b64 v31, v[0:1], v[2:3] offset0:20 offset1:21
	v_mov_b32_e32 v0, v198
	v_mov_b32_e32 v1, v199
	v_mov_b32_e32 v2, v144
	v_mov_b32_e32 v3, v145
	ds_write2_b64 v31, v[0:1], v[2:3] offset0:22 offset1:23
	v_mov_b32_e32 v0, v196
	v_mov_b32_e32 v1, v197
	v_mov_b32_e32 v2, v142
	v_mov_b32_e32 v3, v143
	;; [unrolled: 5-line block ×4, first 2 shown]
	ds_write2_b64 v31, v[0:1], v[2:3] offset0:28 offset1:29
	s_waitcnt vmcnt(62)
	v_mov_b32_e32 v0, v190
	v_mov_b32_e32 v1, v191
	s_waitcnt vmcnt(61)
	v_mov_b32_e32 v2, v136
	v_mov_b32_e32 v3, v137
	ds_write2_b64 v31, v[0:1], v[2:3] offset0:30 offset1:31
	s_waitcnt vmcnt(60)
	v_mov_b32_e32 v0, v188
	v_mov_b32_e32 v1, v189
	s_waitcnt vmcnt(59)
	v_mov_b32_e32 v2, v134
	v_mov_b32_e32 v3, v135
	;; [unrolled: 7-line block ×12, first 2 shown]
	ds_write2_b64 v31, v[0:1], v[2:3] offset0:52 offset1:53
	s_waitcnt vmcnt(38)
	ds_write_b64 v31, v[220:221] offset:432
	ds_read_b64 v[0:1], v30
	s_waitcnt lgkmcnt(0)
	v_cmp_neq_f64_e32 vcc, 0, v[0:1]
	s_and_b64 exec, exec, vcc
	s_cbranch_execz .LBB109_99
; %bb.98:
	v_div_scale_f64 v[2:3], s[6:7], v[0:1], v[0:1], 1.0
	v_rcp_f64_e32 v[4:5], v[2:3]
	v_div_scale_f64 v[6:7], vcc, 1.0, v[0:1], 1.0
	v_fma_f64 v[8:9], -v[2:3], v[4:5], 1.0
	v_fmac_f64_e32 v[4:5], v[4:5], v[8:9]
	v_fma_f64 v[8:9], -v[2:3], v[4:5], 1.0
	v_fmac_f64_e32 v[4:5], v[4:5], v[8:9]
	v_mul_f64 v[8:9], v[6:7], v[4:5]
	v_fma_f64 v[2:3], -v[2:3], v[8:9], v[6:7]
	v_div_fmas_f64 v[2:3], v[2:3], v[4:5], v[8:9]
	v_div_fixup_f64 v[0:1], v[2:3], v[0:1], 1.0
	ds_write_b64 v30, v[0:1]
.LBB109_99:
	s_or_b64 exec, exec, s[2:3]
	s_waitcnt lgkmcnt(0)
	s_barrier
	ds_read_b64 v[0:1], v30
	v_cmp_lt_u32_e32 vcc, 19, v32
	s_waitcnt lgkmcnt(0)
	buffer_store_dword v0, off, s[16:19], 0 offset:168 ; 4-byte Folded Spill
	s_nop 0
	buffer_store_dword v1, off, s[16:19], 0 offset:172 ; 4-byte Folded Spill
	s_and_saveexec_b64 s[2:3], vcc
	s_cbranch_execz .LBB109_101
; %bb.100:
	buffer_load_dword v0, off, s[16:19], 0 offset:168 ; 4-byte Folded Reload
	buffer_load_dword v1, off, s[16:19], 0 offset:172 ; 4-byte Folded Reload
	s_waitcnt vmcnt(0)
	v_mul_f64 v[148:149], v[0:1], v[148:149]
	ds_read2_b64 v[0:3], v31 offset0:20 offset1:21
	s_waitcnt lgkmcnt(0)
	v_fma_f64 v[200:201], -v[148:149], v[0:1], v[200:201]
	v_fma_f64 v[146:147], -v[148:149], v[2:3], v[146:147]
	ds_read2_b64 v[0:3], v31 offset0:22 offset1:23
	s_waitcnt lgkmcnt(0)
	v_fma_f64 v[198:199], -v[148:149], v[0:1], v[198:199]
	v_fma_f64 v[144:145], -v[148:149], v[2:3], v[144:145]
	;; [unrolled: 4-line block ×16, first 2 shown]
	ds_read2_b64 v[0:3], v31 offset0:52 offset1:53
	s_waitcnt lgkmcnt(0)
	v_fma_f64 v[168:169], -v[148:149], v[0:1], v[168:169]
	ds_read_b64 v[0:1], v31 offset:432
	v_fma_f64 v[114:115], -v[148:149], v[2:3], v[114:115]
	s_waitcnt lgkmcnt(0)
	v_fma_f64 v[220:221], -v[148:149], v[0:1], v[220:221]
.LBB109_101:
	s_or_b64 exec, exec, s[2:3]
	v_cmp_eq_u32_e32 vcc, 20, v32
	s_waitcnt vmcnt(63) expcnt(7) lgkmcnt(15)
	s_barrier
	s_and_saveexec_b64 s[2:3], vcc
	s_cbranch_execz .LBB109_104
; %bb.102:
	ds_write_b64 v30, v[200:201]
	ds_write2_b64 v31, v[146:147], v[198:199] offset0:21 offset1:22
	ds_write2_b64 v31, v[144:145], v[196:197] offset0:23 offset1:24
	;; [unrolled: 1-line block ×5, first 2 shown]
	s_waitcnt vmcnt(62)
	ds_write2_b64 v31, v[136:137], v[188:189] offset0:31 offset1:32
	s_waitcnt vmcnt(60)
	ds_write2_b64 v31, v[134:135], v[186:187] offset0:33 offset1:34
	;; [unrolled: 2-line block ×12, first 2 shown]
	ds_read_b64 v[0:1], v30
	s_waitcnt lgkmcnt(0)
	v_cmp_neq_f64_e32 vcc, 0, v[0:1]
	s_and_b64 exec, exec, vcc
	s_cbranch_execz .LBB109_104
; %bb.103:
	v_div_scale_f64 v[2:3], s[6:7], v[0:1], v[0:1], 1.0
	v_rcp_f64_e32 v[4:5], v[2:3]
	v_div_scale_f64 v[6:7], vcc, 1.0, v[0:1], 1.0
	v_fma_f64 v[8:9], -v[2:3], v[4:5], 1.0
	v_fmac_f64_e32 v[4:5], v[4:5], v[8:9]
	v_fma_f64 v[8:9], -v[2:3], v[4:5], 1.0
	v_fmac_f64_e32 v[4:5], v[4:5], v[8:9]
	v_mul_f64 v[8:9], v[6:7], v[4:5]
	v_fma_f64 v[2:3], -v[2:3], v[8:9], v[6:7]
	v_div_fmas_f64 v[2:3], v[2:3], v[4:5], v[8:9]
	v_div_fixup_f64 v[0:1], v[2:3], v[0:1], 1.0
	ds_write_b64 v30, v[0:1]
.LBB109_104:
	s_or_b64 exec, exec, s[2:3]
	s_waitcnt lgkmcnt(0)
	s_barrier
	ds_read_b64 v[0:1], v30
	v_cmp_lt_u32_e32 vcc, 20, v32
	s_waitcnt lgkmcnt(0)
	buffer_store_dword v0, off, s[16:19], 0 offset:176 ; 4-byte Folded Spill
	s_nop 0
	buffer_store_dword v1, off, s[16:19], 0 offset:180 ; 4-byte Folded Spill
	s_and_saveexec_b64 s[2:3], vcc
	s_cbranch_execz .LBB109_106
; %bb.105:
	buffer_load_dword v0, off, s[16:19], 0 offset:176 ; 4-byte Folded Reload
	buffer_load_dword v1, off, s[16:19], 0 offset:180 ; 4-byte Folded Reload
	s_waitcnt vmcnt(0)
	v_mul_f64 v[200:201], v[0:1], v[200:201]
	ds_read2_b64 v[0:3], v31 offset0:21 offset1:22
	s_waitcnt lgkmcnt(0)
	v_fma_f64 v[146:147], -v[200:201], v[0:1], v[146:147]
	v_fma_f64 v[198:199], -v[200:201], v[2:3], v[198:199]
	ds_read2_b64 v[0:3], v31 offset0:23 offset1:24
	s_waitcnt lgkmcnt(0)
	v_fma_f64 v[144:145], -v[200:201], v[0:1], v[144:145]
	v_fma_f64 v[196:197], -v[200:201], v[2:3], v[196:197]
	;; [unrolled: 4-line block ×17, first 2 shown]
.LBB109_106:
	s_or_b64 exec, exec, s[2:3]
	v_cmp_eq_u32_e32 vcc, 21, v32
	s_waitcnt vmcnt(63) expcnt(7) lgkmcnt(15)
	s_barrier
	s_and_saveexec_b64 s[2:3], vcc
	s_cbranch_execz .LBB109_109
; %bb.107:
	v_mov_b32_e32 v0, v198
	v_mov_b32_e32 v1, v199
	v_mov_b32_e32 v2, v144
	v_mov_b32_e32 v3, v145
	ds_write_b64 v30, v[146:147]
	ds_write2_b64 v31, v[0:1], v[2:3] offset0:22 offset1:23
	v_mov_b32_e32 v0, v196
	v_mov_b32_e32 v1, v197
	v_mov_b32_e32 v2, v142
	v_mov_b32_e32 v3, v143
	ds_write2_b64 v31, v[0:1], v[2:3] offset0:24 offset1:25
	v_mov_b32_e32 v0, v194
	v_mov_b32_e32 v1, v195
	v_mov_b32_e32 v2, v140
	v_mov_b32_e32 v3, v141
	;; [unrolled: 5-line block ×5, first 2 shown]
	ds_write2_b64 v31, v[0:1], v[2:3] offset0:32 offset1:33
	s_waitcnt vmcnt(62)
	v_mov_b32_e32 v0, v186
	v_mov_b32_e32 v1, v187
	s_waitcnt vmcnt(61)
	v_mov_b32_e32 v2, v132
	v_mov_b32_e32 v3, v133
	ds_write2_b64 v31, v[0:1], v[2:3] offset0:34 offset1:35
	s_waitcnt vmcnt(60)
	v_mov_b32_e32 v0, v184
	v_mov_b32_e32 v1, v185
	s_waitcnt vmcnt(59)
	v_mov_b32_e32 v2, v130
	v_mov_b32_e32 v3, v131
	;; [unrolled: 7-line block ×10, first 2 shown]
	ds_write2_b64 v31, v[0:1], v[2:3] offset0:52 offset1:53
	s_waitcnt vmcnt(42)
	ds_write_b64 v31, v[220:221] offset:432
	ds_read_b64 v[0:1], v30
	s_waitcnt lgkmcnt(0)
	v_cmp_neq_f64_e32 vcc, 0, v[0:1]
	s_and_b64 exec, exec, vcc
	s_cbranch_execz .LBB109_109
; %bb.108:
	v_div_scale_f64 v[2:3], s[6:7], v[0:1], v[0:1], 1.0
	v_rcp_f64_e32 v[4:5], v[2:3]
	v_div_scale_f64 v[6:7], vcc, 1.0, v[0:1], 1.0
	v_fma_f64 v[8:9], -v[2:3], v[4:5], 1.0
	v_fmac_f64_e32 v[4:5], v[4:5], v[8:9]
	v_fma_f64 v[8:9], -v[2:3], v[4:5], 1.0
	v_fmac_f64_e32 v[4:5], v[4:5], v[8:9]
	v_mul_f64 v[8:9], v[6:7], v[4:5]
	v_fma_f64 v[2:3], -v[2:3], v[8:9], v[6:7]
	v_div_fmas_f64 v[2:3], v[2:3], v[4:5], v[8:9]
	v_div_fixup_f64 v[0:1], v[2:3], v[0:1], 1.0
	ds_write_b64 v30, v[0:1]
.LBB109_109:
	s_or_b64 exec, exec, s[2:3]
	s_waitcnt lgkmcnt(0)
	s_barrier
	ds_read_b64 v[0:1], v30
	v_cmp_lt_u32_e32 vcc, 21, v32
	s_waitcnt lgkmcnt(0)
	buffer_store_dword v0, off, s[16:19], 0 offset:184 ; 4-byte Folded Spill
	s_nop 0
	buffer_store_dword v1, off, s[16:19], 0 offset:188 ; 4-byte Folded Spill
	s_and_saveexec_b64 s[2:3], vcc
	s_cbranch_execz .LBB109_111
; %bb.110:
	buffer_load_dword v0, off, s[16:19], 0 offset:184 ; 4-byte Folded Reload
	buffer_load_dword v1, off, s[16:19], 0 offset:188 ; 4-byte Folded Reload
	s_waitcnt vmcnt(0)
	v_mul_f64 v[146:147], v[0:1], v[146:147]
	ds_read2_b64 v[0:3], v31 offset0:22 offset1:23
	s_waitcnt lgkmcnt(0)
	v_fma_f64 v[198:199], -v[146:147], v[0:1], v[198:199]
	v_fma_f64 v[144:145], -v[146:147], v[2:3], v[144:145]
	ds_read2_b64 v[0:3], v31 offset0:24 offset1:25
	s_waitcnt lgkmcnt(0)
	v_fma_f64 v[196:197], -v[146:147], v[0:1], v[196:197]
	v_fma_f64 v[142:143], -v[146:147], v[2:3], v[142:143]
	;; [unrolled: 4-line block ×15, first 2 shown]
	ds_read2_b64 v[0:3], v31 offset0:52 offset1:53
	s_waitcnt lgkmcnt(0)
	v_fma_f64 v[168:169], -v[146:147], v[0:1], v[168:169]
	ds_read_b64 v[0:1], v31 offset:432
	v_fma_f64 v[114:115], -v[146:147], v[2:3], v[114:115]
	s_waitcnt lgkmcnt(0)
	v_fma_f64 v[220:221], -v[146:147], v[0:1], v[220:221]
.LBB109_111:
	s_or_b64 exec, exec, s[2:3]
	v_cmp_eq_u32_e32 vcc, 22, v32
	s_waitcnt vmcnt(63) expcnt(7) lgkmcnt(15)
	s_barrier
	s_and_saveexec_b64 s[2:3], vcc
	s_cbranch_execz .LBB109_114
; %bb.112:
	ds_write_b64 v30, v[198:199]
	ds_write2_b64 v31, v[144:145], v[196:197] offset0:23 offset1:24
	ds_write2_b64 v31, v[142:143], v[194:195] offset0:25 offset1:26
	;; [unrolled: 1-line block ×6, first 2 shown]
	s_waitcnt vmcnt(62)
	ds_write2_b64 v31, v[132:133], v[184:185] offset0:35 offset1:36
	s_waitcnt vmcnt(60)
	ds_write2_b64 v31, v[130:131], v[182:183] offset0:37 offset1:38
	;; [unrolled: 2-line block ×10, first 2 shown]
	ds_read_b64 v[0:1], v30
	s_waitcnt lgkmcnt(0)
	v_cmp_neq_f64_e32 vcc, 0, v[0:1]
	s_and_b64 exec, exec, vcc
	s_cbranch_execz .LBB109_114
; %bb.113:
	v_div_scale_f64 v[2:3], s[6:7], v[0:1], v[0:1], 1.0
	v_rcp_f64_e32 v[4:5], v[2:3]
	v_div_scale_f64 v[6:7], vcc, 1.0, v[0:1], 1.0
	v_fma_f64 v[8:9], -v[2:3], v[4:5], 1.0
	v_fmac_f64_e32 v[4:5], v[4:5], v[8:9]
	v_fma_f64 v[8:9], -v[2:3], v[4:5], 1.0
	v_fmac_f64_e32 v[4:5], v[4:5], v[8:9]
	v_mul_f64 v[8:9], v[6:7], v[4:5]
	v_fma_f64 v[2:3], -v[2:3], v[8:9], v[6:7]
	v_div_fmas_f64 v[2:3], v[2:3], v[4:5], v[8:9]
	v_div_fixup_f64 v[0:1], v[2:3], v[0:1], 1.0
	ds_write_b64 v30, v[0:1]
.LBB109_114:
	s_or_b64 exec, exec, s[2:3]
	s_waitcnt lgkmcnt(0)
	s_barrier
	ds_read_b64 v[0:1], v30
	v_cmp_lt_u32_e32 vcc, 22, v32
	s_waitcnt lgkmcnt(0)
	buffer_store_dword v0, off, s[16:19], 0 offset:192 ; 4-byte Folded Spill
	s_nop 0
	buffer_store_dword v1, off, s[16:19], 0 offset:196 ; 4-byte Folded Spill
	s_and_saveexec_b64 s[2:3], vcc
	s_cbranch_execz .LBB109_116
; %bb.115:
	buffer_load_dword v0, off, s[16:19], 0 offset:192 ; 4-byte Folded Reload
	buffer_load_dword v1, off, s[16:19], 0 offset:196 ; 4-byte Folded Reload
	s_waitcnt vmcnt(0)
	v_mul_f64 v[198:199], v[0:1], v[198:199]
	ds_read2_b64 v[0:3], v31 offset0:23 offset1:24
	s_waitcnt lgkmcnt(0)
	v_fma_f64 v[144:145], -v[198:199], v[0:1], v[144:145]
	v_fma_f64 v[196:197], -v[198:199], v[2:3], v[196:197]
	ds_read2_b64 v[0:3], v31 offset0:25 offset1:26
	s_waitcnt lgkmcnt(0)
	v_fma_f64 v[142:143], -v[198:199], v[0:1], v[142:143]
	v_fma_f64 v[194:195], -v[198:199], v[2:3], v[194:195]
	;; [unrolled: 4-line block ×16, first 2 shown]
.LBB109_116:
	s_or_b64 exec, exec, s[2:3]
	v_cmp_eq_u32_e32 vcc, 23, v32
	s_waitcnt vmcnt(63) expcnt(7) lgkmcnt(15)
	s_barrier
	s_and_saveexec_b64 s[2:3], vcc
	s_cbranch_execz .LBB109_119
; %bb.117:
	v_mov_b32_e32 v0, v196
	v_mov_b32_e32 v1, v197
	;; [unrolled: 1-line block ×4, first 2 shown]
	ds_write_b64 v30, v[144:145]
	ds_write2_b64 v31, v[0:1], v[2:3] offset0:24 offset1:25
	v_mov_b32_e32 v0, v194
	v_mov_b32_e32 v1, v195
	v_mov_b32_e32 v2, v140
	v_mov_b32_e32 v3, v141
	ds_write2_b64 v31, v[0:1], v[2:3] offset0:26 offset1:27
	v_mov_b32_e32 v0, v192
	v_mov_b32_e32 v1, v193
	v_mov_b32_e32 v2, v138
	v_mov_b32_e32 v3, v139
	;; [unrolled: 5-line block ×6, first 2 shown]
	ds_write2_b64 v31, v[0:1], v[2:3] offset0:36 offset1:37
	s_waitcnt vmcnt(62)
	v_mov_b32_e32 v0, v182
	v_mov_b32_e32 v1, v183
	s_waitcnt vmcnt(61)
	v_mov_b32_e32 v2, v128
	v_mov_b32_e32 v3, v129
	ds_write2_b64 v31, v[0:1], v[2:3] offset0:38 offset1:39
	s_waitcnt vmcnt(60)
	v_mov_b32_e32 v0, v180
	v_mov_b32_e32 v1, v181
	s_waitcnt vmcnt(59)
	v_mov_b32_e32 v2, v126
	v_mov_b32_e32 v3, v127
	ds_write2_b64 v31, v[0:1], v[2:3] offset0:40 offset1:41
	s_waitcnt vmcnt(58)
	v_mov_b32_e32 v0, v178
	v_mov_b32_e32 v1, v179
	s_waitcnt vmcnt(57)
	v_mov_b32_e32 v2, v124
	v_mov_b32_e32 v3, v125
	ds_write2_b64 v31, v[0:1], v[2:3] offset0:42 offset1:43
	s_waitcnt vmcnt(56)
	v_mov_b32_e32 v0, v176
	v_mov_b32_e32 v1, v177
	s_waitcnt vmcnt(55)
	v_mov_b32_e32 v2, v122
	v_mov_b32_e32 v3, v123
	ds_write2_b64 v31, v[0:1], v[2:3] offset0:44 offset1:45
	s_waitcnt vmcnt(54)
	v_mov_b32_e32 v0, v174
	v_mov_b32_e32 v1, v175
	s_waitcnt vmcnt(53)
	v_mov_b32_e32 v2, v120
	v_mov_b32_e32 v3, v121
	ds_write2_b64 v31, v[0:1], v[2:3] offset0:46 offset1:47
	s_waitcnt vmcnt(52)
	v_mov_b32_e32 v0, v172
	v_mov_b32_e32 v1, v173
	s_waitcnt vmcnt(51)
	v_mov_b32_e32 v2, v118
	v_mov_b32_e32 v3, v119
	ds_write2_b64 v31, v[0:1], v[2:3] offset0:48 offset1:49
	s_waitcnt vmcnt(50)
	v_mov_b32_e32 v0, v170
	v_mov_b32_e32 v1, v171
	s_waitcnt vmcnt(49)
	v_mov_b32_e32 v2, v116
	v_mov_b32_e32 v3, v117
	ds_write2_b64 v31, v[0:1], v[2:3] offset0:50 offset1:51
	s_waitcnt vmcnt(48)
	v_mov_b32_e32 v0, v168
	v_mov_b32_e32 v1, v169
	s_waitcnt vmcnt(47)
	v_mov_b32_e32 v2, v114
	v_mov_b32_e32 v3, v115
	ds_write2_b64 v31, v[0:1], v[2:3] offset0:52 offset1:53
	s_waitcnt vmcnt(46)
	ds_write_b64 v31, v[220:221] offset:432
	ds_read_b64 v[0:1], v30
	s_waitcnt lgkmcnt(0)
	v_cmp_neq_f64_e32 vcc, 0, v[0:1]
	s_and_b64 exec, exec, vcc
	s_cbranch_execz .LBB109_119
; %bb.118:
	v_div_scale_f64 v[2:3], s[6:7], v[0:1], v[0:1], 1.0
	v_rcp_f64_e32 v[4:5], v[2:3]
	v_div_scale_f64 v[6:7], vcc, 1.0, v[0:1], 1.0
	v_fma_f64 v[8:9], -v[2:3], v[4:5], 1.0
	v_fmac_f64_e32 v[4:5], v[4:5], v[8:9]
	v_fma_f64 v[8:9], -v[2:3], v[4:5], 1.0
	v_fmac_f64_e32 v[4:5], v[4:5], v[8:9]
	v_mul_f64 v[8:9], v[6:7], v[4:5]
	v_fma_f64 v[2:3], -v[2:3], v[8:9], v[6:7]
	v_div_fmas_f64 v[2:3], v[2:3], v[4:5], v[8:9]
	v_div_fixup_f64 v[0:1], v[2:3], v[0:1], 1.0
	ds_write_b64 v30, v[0:1]
.LBB109_119:
	s_or_b64 exec, exec, s[2:3]
	s_waitcnt lgkmcnt(0)
	s_barrier
	ds_read_b64 v[0:1], v30
	v_cmp_lt_u32_e32 vcc, 23, v32
	s_waitcnt lgkmcnt(0)
	buffer_store_dword v0, off, s[16:19], 0 offset:200 ; 4-byte Folded Spill
	s_nop 0
	buffer_store_dword v1, off, s[16:19], 0 offset:204 ; 4-byte Folded Spill
	s_and_saveexec_b64 s[2:3], vcc
	s_cbranch_execz .LBB109_121
; %bb.120:
	buffer_load_dword v0, off, s[16:19], 0 offset:200 ; 4-byte Folded Reload
	buffer_load_dword v1, off, s[16:19], 0 offset:204 ; 4-byte Folded Reload
	s_waitcnt vmcnt(0)
	v_mul_f64 v[144:145], v[0:1], v[144:145]
	ds_read2_b64 v[0:3], v31 offset0:24 offset1:25
	s_waitcnt lgkmcnt(0)
	v_fma_f64 v[196:197], -v[144:145], v[0:1], v[196:197]
	v_fma_f64 v[142:143], -v[144:145], v[2:3], v[142:143]
	ds_read2_b64 v[0:3], v31 offset0:26 offset1:27
	s_waitcnt lgkmcnt(0)
	v_fma_f64 v[194:195], -v[144:145], v[0:1], v[194:195]
	v_fma_f64 v[140:141], -v[144:145], v[2:3], v[140:141]
	;; [unrolled: 4-line block ×14, first 2 shown]
	ds_read2_b64 v[0:3], v31 offset0:52 offset1:53
	s_waitcnt lgkmcnt(0)
	v_fma_f64 v[168:169], -v[144:145], v[0:1], v[168:169]
	ds_read_b64 v[0:1], v31 offset:432
	v_fma_f64 v[114:115], -v[144:145], v[2:3], v[114:115]
	s_waitcnt lgkmcnt(0)
	v_fma_f64 v[220:221], -v[144:145], v[0:1], v[220:221]
.LBB109_121:
	s_or_b64 exec, exec, s[2:3]
	v_cmp_eq_u32_e32 vcc, 24, v32
	s_waitcnt vmcnt(63) expcnt(7) lgkmcnt(15)
	s_barrier
	s_and_saveexec_b64 s[2:3], vcc
	s_cbranch_execz .LBB109_124
; %bb.122:
	ds_write_b64 v30, v[196:197]
	ds_write2_b64 v31, v[142:143], v[194:195] offset0:25 offset1:26
	ds_write2_b64 v31, v[140:141], v[192:193] offset0:27 offset1:28
	;; [unrolled: 1-line block ×7, first 2 shown]
	s_waitcnt vmcnt(62)
	ds_write2_b64 v31, v[128:129], v[180:181] offset0:39 offset1:40
	s_waitcnt vmcnt(60)
	ds_write2_b64 v31, v[126:127], v[178:179] offset0:41 offset1:42
	s_waitcnt vmcnt(58)
	ds_write2_b64 v31, v[124:125], v[176:177] offset0:43 offset1:44
	s_waitcnt vmcnt(56)
	ds_write2_b64 v31, v[122:123], v[174:175] offset0:45 offset1:46
	s_waitcnt vmcnt(54)
	ds_write2_b64 v31, v[120:121], v[172:173] offset0:47 offset1:48
	s_waitcnt vmcnt(52)
	ds_write2_b64 v31, v[118:119], v[170:171] offset0:49 offset1:50
	s_waitcnt vmcnt(50)
	ds_write2_b64 v31, v[116:117], v[168:169] offset0:51 offset1:52
	s_waitcnt vmcnt(48)
	ds_write2_b64 v31, v[114:115], v[220:221] offset0:53 offset1:54
	ds_read_b64 v[0:1], v30
	s_waitcnt lgkmcnt(0)
	v_cmp_neq_f64_e32 vcc, 0, v[0:1]
	s_and_b64 exec, exec, vcc
	s_cbranch_execz .LBB109_124
; %bb.123:
	v_div_scale_f64 v[2:3], s[6:7], v[0:1], v[0:1], 1.0
	v_rcp_f64_e32 v[4:5], v[2:3]
	v_div_scale_f64 v[6:7], vcc, 1.0, v[0:1], 1.0
	v_fma_f64 v[8:9], -v[2:3], v[4:5], 1.0
	v_fmac_f64_e32 v[4:5], v[4:5], v[8:9]
	v_fma_f64 v[8:9], -v[2:3], v[4:5], 1.0
	v_fmac_f64_e32 v[4:5], v[4:5], v[8:9]
	v_mul_f64 v[8:9], v[6:7], v[4:5]
	v_fma_f64 v[2:3], -v[2:3], v[8:9], v[6:7]
	v_div_fmas_f64 v[2:3], v[2:3], v[4:5], v[8:9]
	v_div_fixup_f64 v[0:1], v[2:3], v[0:1], 1.0
	ds_write_b64 v30, v[0:1]
.LBB109_124:
	s_or_b64 exec, exec, s[2:3]
	s_waitcnt lgkmcnt(0)
	s_barrier
	ds_read_b64 v[0:1], v30
	v_cmp_lt_u32_e32 vcc, 24, v32
	s_waitcnt lgkmcnt(0)
	buffer_store_dword v0, off, s[16:19], 0 offset:208 ; 4-byte Folded Spill
	s_nop 0
	buffer_store_dword v1, off, s[16:19], 0 offset:212 ; 4-byte Folded Spill
	s_and_saveexec_b64 s[2:3], vcc
	s_cbranch_execz .LBB109_126
; %bb.125:
	buffer_load_dword v0, off, s[16:19], 0 offset:208 ; 4-byte Folded Reload
	buffer_load_dword v1, off, s[16:19], 0 offset:212 ; 4-byte Folded Reload
	s_waitcnt vmcnt(0)
	v_mul_f64 v[196:197], v[0:1], v[196:197]
	ds_read2_b64 v[0:3], v31 offset0:25 offset1:26
	s_waitcnt lgkmcnt(0)
	v_fma_f64 v[142:143], -v[196:197], v[0:1], v[142:143]
	v_fma_f64 v[194:195], -v[196:197], v[2:3], v[194:195]
	ds_read2_b64 v[0:3], v31 offset0:27 offset1:28
	s_waitcnt lgkmcnt(0)
	v_fma_f64 v[140:141], -v[196:197], v[0:1], v[140:141]
	v_fma_f64 v[192:193], -v[196:197], v[2:3], v[192:193]
	;; [unrolled: 4-line block ×15, first 2 shown]
.LBB109_126:
	s_or_b64 exec, exec, s[2:3]
	v_cmp_eq_u32_e32 vcc, 25, v32
	s_waitcnt vmcnt(63) expcnt(7) lgkmcnt(15)
	s_barrier
	s_and_saveexec_b64 s[2:3], vcc
	s_cbranch_execz .LBB109_129
; %bb.127:
	v_mov_b32_e32 v0, v194
	v_mov_b32_e32 v1, v195
	;; [unrolled: 1-line block ×4, first 2 shown]
	ds_write_b64 v30, v[142:143]
	ds_write2_b64 v31, v[0:1], v[2:3] offset0:26 offset1:27
	v_mov_b32_e32 v0, v192
	v_mov_b32_e32 v1, v193
	v_mov_b32_e32 v2, v138
	v_mov_b32_e32 v3, v139
	ds_write2_b64 v31, v[0:1], v[2:3] offset0:28 offset1:29
	v_mov_b32_e32 v0, v190
	v_mov_b32_e32 v1, v191
	v_mov_b32_e32 v2, v136
	v_mov_b32_e32 v3, v137
	;; [unrolled: 5-line block ×7, first 2 shown]
	ds_write2_b64 v31, v[0:1], v[2:3] offset0:40 offset1:41
	s_waitcnt vmcnt(62)
	v_mov_b32_e32 v0, v178
	v_mov_b32_e32 v1, v179
	s_waitcnt vmcnt(61)
	v_mov_b32_e32 v2, v124
	v_mov_b32_e32 v3, v125
	ds_write2_b64 v31, v[0:1], v[2:3] offset0:42 offset1:43
	s_waitcnt vmcnt(60)
	v_mov_b32_e32 v0, v176
	v_mov_b32_e32 v1, v177
	s_waitcnt vmcnt(59)
	v_mov_b32_e32 v2, v122
	v_mov_b32_e32 v3, v123
	;; [unrolled: 7-line block ×6, first 2 shown]
	ds_write2_b64 v31, v[0:1], v[2:3] offset0:52 offset1:53
	s_waitcnt vmcnt(50)
	ds_write_b64 v31, v[220:221] offset:432
	ds_read_b64 v[0:1], v30
	s_waitcnt lgkmcnt(0)
	v_cmp_neq_f64_e32 vcc, 0, v[0:1]
	s_and_b64 exec, exec, vcc
	s_cbranch_execz .LBB109_129
; %bb.128:
	v_div_scale_f64 v[2:3], s[6:7], v[0:1], v[0:1], 1.0
	v_rcp_f64_e32 v[4:5], v[2:3]
	v_div_scale_f64 v[6:7], vcc, 1.0, v[0:1], 1.0
	v_fma_f64 v[8:9], -v[2:3], v[4:5], 1.0
	v_fmac_f64_e32 v[4:5], v[4:5], v[8:9]
	v_fma_f64 v[8:9], -v[2:3], v[4:5], 1.0
	v_fmac_f64_e32 v[4:5], v[4:5], v[8:9]
	v_mul_f64 v[8:9], v[6:7], v[4:5]
	v_fma_f64 v[2:3], -v[2:3], v[8:9], v[6:7]
	v_div_fmas_f64 v[2:3], v[2:3], v[4:5], v[8:9]
	v_div_fixup_f64 v[0:1], v[2:3], v[0:1], 1.0
	ds_write_b64 v30, v[0:1]
.LBB109_129:
	s_or_b64 exec, exec, s[2:3]
	s_waitcnt lgkmcnt(0)
	s_barrier
	ds_read_b64 v[0:1], v30
	v_cmp_lt_u32_e32 vcc, 25, v32
	s_waitcnt lgkmcnt(0)
	buffer_store_dword v0, off, s[16:19], 0 offset:216 ; 4-byte Folded Spill
	s_nop 0
	buffer_store_dword v1, off, s[16:19], 0 offset:220 ; 4-byte Folded Spill
	s_and_saveexec_b64 s[2:3], vcc
	s_cbranch_execz .LBB109_131
; %bb.130:
	buffer_load_dword v0, off, s[16:19], 0 offset:216 ; 4-byte Folded Reload
	buffer_load_dword v1, off, s[16:19], 0 offset:220 ; 4-byte Folded Reload
	s_waitcnt vmcnt(0)
	v_mul_f64 v[142:143], v[0:1], v[142:143]
	ds_read2_b64 v[0:3], v31 offset0:26 offset1:27
	s_waitcnt lgkmcnt(0)
	v_fma_f64 v[194:195], -v[142:143], v[0:1], v[194:195]
	v_fma_f64 v[140:141], -v[142:143], v[2:3], v[140:141]
	ds_read2_b64 v[0:3], v31 offset0:28 offset1:29
	s_waitcnt lgkmcnt(0)
	v_fma_f64 v[192:193], -v[142:143], v[0:1], v[192:193]
	v_fma_f64 v[138:139], -v[142:143], v[2:3], v[138:139]
	;; [unrolled: 4-line block ×13, first 2 shown]
	ds_read2_b64 v[0:3], v31 offset0:52 offset1:53
	s_waitcnt lgkmcnt(0)
	v_fma_f64 v[168:169], -v[142:143], v[0:1], v[168:169]
	ds_read_b64 v[0:1], v31 offset:432
	v_fma_f64 v[114:115], -v[142:143], v[2:3], v[114:115]
	s_waitcnt lgkmcnt(0)
	v_fma_f64 v[220:221], -v[142:143], v[0:1], v[220:221]
.LBB109_131:
	s_or_b64 exec, exec, s[2:3]
	v_cmp_eq_u32_e32 vcc, 26, v32
	s_waitcnt vmcnt(63) expcnt(7) lgkmcnt(15)
	s_barrier
	s_and_saveexec_b64 s[2:3], vcc
	s_cbranch_execz .LBB109_134
; %bb.132:
	ds_write_b64 v30, v[194:195]
	ds_write2_b64 v31, v[140:141], v[192:193] offset0:27 offset1:28
	ds_write2_b64 v31, v[138:139], v[190:191] offset0:29 offset1:30
	;; [unrolled: 1-line block ×8, first 2 shown]
	s_waitcnt vmcnt(62)
	ds_write2_b64 v31, v[124:125], v[176:177] offset0:43 offset1:44
	s_waitcnt vmcnt(60)
	ds_write2_b64 v31, v[122:123], v[174:175] offset0:45 offset1:46
	;; [unrolled: 2-line block ×6, first 2 shown]
	ds_read_b64 v[0:1], v30
	s_waitcnt lgkmcnt(0)
	v_cmp_neq_f64_e32 vcc, 0, v[0:1]
	s_and_b64 exec, exec, vcc
	s_cbranch_execz .LBB109_134
; %bb.133:
	v_div_scale_f64 v[2:3], s[6:7], v[0:1], v[0:1], 1.0
	v_rcp_f64_e32 v[4:5], v[2:3]
	v_div_scale_f64 v[6:7], vcc, 1.0, v[0:1], 1.0
	v_fma_f64 v[8:9], -v[2:3], v[4:5], 1.0
	v_fmac_f64_e32 v[4:5], v[4:5], v[8:9]
	v_fma_f64 v[8:9], -v[2:3], v[4:5], 1.0
	v_fmac_f64_e32 v[4:5], v[4:5], v[8:9]
	v_mul_f64 v[8:9], v[6:7], v[4:5]
	v_fma_f64 v[2:3], -v[2:3], v[8:9], v[6:7]
	v_div_fmas_f64 v[2:3], v[2:3], v[4:5], v[8:9]
	v_div_fixup_f64 v[0:1], v[2:3], v[0:1], 1.0
	ds_write_b64 v30, v[0:1]
.LBB109_134:
	s_or_b64 exec, exec, s[2:3]
	s_waitcnt lgkmcnt(0)
	s_barrier
	ds_read_b64 v[0:1], v30
	v_cmp_lt_u32_e32 vcc, 26, v32
	s_waitcnt lgkmcnt(0)
	buffer_store_dword v0, off, s[16:19], 0 offset:224 ; 4-byte Folded Spill
	s_nop 0
	buffer_store_dword v1, off, s[16:19], 0 offset:228 ; 4-byte Folded Spill
	s_and_saveexec_b64 s[2:3], vcc
	s_cbranch_execz .LBB109_136
; %bb.135:
	buffer_load_dword v0, off, s[16:19], 0 offset:224 ; 4-byte Folded Reload
	buffer_load_dword v1, off, s[16:19], 0 offset:228 ; 4-byte Folded Reload
	s_waitcnt vmcnt(0)
	v_mul_f64 v[194:195], v[0:1], v[194:195]
	ds_read2_b64 v[0:3], v31 offset0:27 offset1:28
	s_waitcnt lgkmcnt(0)
	v_fma_f64 v[140:141], -v[194:195], v[0:1], v[140:141]
	v_fma_f64 v[192:193], -v[194:195], v[2:3], v[192:193]
	ds_read2_b64 v[0:3], v31 offset0:29 offset1:30
	s_waitcnt lgkmcnt(0)
	v_fma_f64 v[138:139], -v[194:195], v[0:1], v[138:139]
	v_fma_f64 v[190:191], -v[194:195], v[2:3], v[190:191]
	;; [unrolled: 4-line block ×14, first 2 shown]
.LBB109_136:
	s_or_b64 exec, exec, s[2:3]
	v_cmp_eq_u32_e32 vcc, 27, v32
	s_waitcnt vmcnt(63) expcnt(7) lgkmcnt(15)
	s_barrier
	s_and_saveexec_b64 s[2:3], vcc
	s_cbranch_execz .LBB109_139
; %bb.137:
	v_mov_b32_e32 v0, v192
	v_mov_b32_e32 v1, v193
	;; [unrolled: 1-line block ×4, first 2 shown]
	ds_write_b64 v30, v[140:141]
	ds_write2_b64 v31, v[0:1], v[2:3] offset0:28 offset1:29
	v_mov_b32_e32 v0, v190
	v_mov_b32_e32 v1, v191
	v_mov_b32_e32 v2, v136
	v_mov_b32_e32 v3, v137
	ds_write2_b64 v31, v[0:1], v[2:3] offset0:30 offset1:31
	v_mov_b32_e32 v0, v188
	v_mov_b32_e32 v1, v189
	v_mov_b32_e32 v2, v134
	v_mov_b32_e32 v3, v135
	;; [unrolled: 5-line block ×8, first 2 shown]
	ds_write2_b64 v31, v[0:1], v[2:3] offset0:44 offset1:45
	s_waitcnt vmcnt(62)
	v_mov_b32_e32 v0, v174
	v_mov_b32_e32 v1, v175
	s_waitcnt vmcnt(61)
	v_mov_b32_e32 v2, v120
	v_mov_b32_e32 v3, v121
	ds_write2_b64 v31, v[0:1], v[2:3] offset0:46 offset1:47
	s_waitcnt vmcnt(60)
	v_mov_b32_e32 v0, v172
	v_mov_b32_e32 v1, v173
	s_waitcnt vmcnt(59)
	v_mov_b32_e32 v2, v118
	v_mov_b32_e32 v3, v119
	ds_write2_b64 v31, v[0:1], v[2:3] offset0:48 offset1:49
	s_waitcnt vmcnt(58)
	v_mov_b32_e32 v0, v170
	v_mov_b32_e32 v1, v171
	s_waitcnt vmcnt(57)
	v_mov_b32_e32 v2, v116
	v_mov_b32_e32 v3, v117
	ds_write2_b64 v31, v[0:1], v[2:3] offset0:50 offset1:51
	s_waitcnt vmcnt(56)
	v_mov_b32_e32 v0, v168
	v_mov_b32_e32 v1, v169
	s_waitcnt vmcnt(55)
	v_mov_b32_e32 v2, v114
	v_mov_b32_e32 v3, v115
	ds_write2_b64 v31, v[0:1], v[2:3] offset0:52 offset1:53
	s_waitcnt vmcnt(54)
	ds_write_b64 v31, v[220:221] offset:432
	ds_read_b64 v[0:1], v30
	s_waitcnt lgkmcnt(0)
	v_cmp_neq_f64_e32 vcc, 0, v[0:1]
	s_and_b64 exec, exec, vcc
	s_cbranch_execz .LBB109_139
; %bb.138:
	v_div_scale_f64 v[2:3], s[6:7], v[0:1], v[0:1], 1.0
	v_rcp_f64_e32 v[4:5], v[2:3]
	v_div_scale_f64 v[6:7], vcc, 1.0, v[0:1], 1.0
	v_fma_f64 v[8:9], -v[2:3], v[4:5], 1.0
	v_fmac_f64_e32 v[4:5], v[4:5], v[8:9]
	v_fma_f64 v[8:9], -v[2:3], v[4:5], 1.0
	v_fmac_f64_e32 v[4:5], v[4:5], v[8:9]
	v_mul_f64 v[8:9], v[6:7], v[4:5]
	v_fma_f64 v[2:3], -v[2:3], v[8:9], v[6:7]
	v_div_fmas_f64 v[2:3], v[2:3], v[4:5], v[8:9]
	v_div_fixup_f64 v[0:1], v[2:3], v[0:1], 1.0
	ds_write_b64 v30, v[0:1]
.LBB109_139:
	s_or_b64 exec, exec, s[2:3]
	s_waitcnt lgkmcnt(0)
	s_barrier
	ds_read_b64 v[0:1], v30
	v_cmp_lt_u32_e32 vcc, 27, v32
	s_waitcnt lgkmcnt(0)
	buffer_store_dword v0, off, s[16:19], 0 offset:232 ; 4-byte Folded Spill
	s_nop 0
	buffer_store_dword v1, off, s[16:19], 0 offset:236 ; 4-byte Folded Spill
	s_and_saveexec_b64 s[2:3], vcc
	s_cbranch_execz .LBB109_141
; %bb.140:
	buffer_load_dword v0, off, s[16:19], 0 offset:232 ; 4-byte Folded Reload
	buffer_load_dword v1, off, s[16:19], 0 offset:236 ; 4-byte Folded Reload
	s_waitcnt vmcnt(0)
	v_mul_f64 v[140:141], v[0:1], v[140:141]
	ds_read2_b64 v[0:3], v31 offset0:28 offset1:29
	s_waitcnt lgkmcnt(0)
	v_fma_f64 v[192:193], -v[140:141], v[0:1], v[192:193]
	v_fma_f64 v[138:139], -v[140:141], v[2:3], v[138:139]
	ds_read2_b64 v[0:3], v31 offset0:30 offset1:31
	s_waitcnt lgkmcnt(0)
	v_fma_f64 v[190:191], -v[140:141], v[0:1], v[190:191]
	v_fma_f64 v[136:137], -v[140:141], v[2:3], v[136:137]
	;; [unrolled: 4-line block ×12, first 2 shown]
	ds_read2_b64 v[0:3], v31 offset0:52 offset1:53
	s_waitcnt lgkmcnt(0)
	v_fma_f64 v[168:169], -v[140:141], v[0:1], v[168:169]
	ds_read_b64 v[0:1], v31 offset:432
	v_fma_f64 v[114:115], -v[140:141], v[2:3], v[114:115]
	s_waitcnt lgkmcnt(0)
	v_fma_f64 v[220:221], -v[140:141], v[0:1], v[220:221]
.LBB109_141:
	s_or_b64 exec, exec, s[2:3]
	v_cmp_eq_u32_e32 vcc, 28, v32
	s_waitcnt vmcnt(63) expcnt(7) lgkmcnt(15)
	s_barrier
	s_and_saveexec_b64 s[2:3], vcc
	s_cbranch_execz .LBB109_144
; %bb.142:
	ds_write_b64 v30, v[192:193]
	ds_write2_b64 v31, v[138:139], v[190:191] offset0:29 offset1:30
	ds_write2_b64 v31, v[136:137], v[188:189] offset0:31 offset1:32
	;; [unrolled: 1-line block ×9, first 2 shown]
	s_waitcnt vmcnt(62)
	ds_write2_b64 v31, v[120:121], v[172:173] offset0:47 offset1:48
	s_waitcnt vmcnt(60)
	ds_write2_b64 v31, v[118:119], v[170:171] offset0:49 offset1:50
	;; [unrolled: 2-line block ×4, first 2 shown]
	ds_read_b64 v[0:1], v30
	s_waitcnt lgkmcnt(0)
	v_cmp_neq_f64_e32 vcc, 0, v[0:1]
	s_and_b64 exec, exec, vcc
	s_cbranch_execz .LBB109_144
; %bb.143:
	v_div_scale_f64 v[2:3], s[6:7], v[0:1], v[0:1], 1.0
	v_rcp_f64_e32 v[4:5], v[2:3]
	v_div_scale_f64 v[6:7], vcc, 1.0, v[0:1], 1.0
	v_fma_f64 v[8:9], -v[2:3], v[4:5], 1.0
	v_fmac_f64_e32 v[4:5], v[4:5], v[8:9]
	v_fma_f64 v[8:9], -v[2:3], v[4:5], 1.0
	v_fmac_f64_e32 v[4:5], v[4:5], v[8:9]
	v_mul_f64 v[8:9], v[6:7], v[4:5]
	v_fma_f64 v[2:3], -v[2:3], v[8:9], v[6:7]
	v_div_fmas_f64 v[2:3], v[2:3], v[4:5], v[8:9]
	v_div_fixup_f64 v[0:1], v[2:3], v[0:1], 1.0
	ds_write_b64 v30, v[0:1]
.LBB109_144:
	s_or_b64 exec, exec, s[2:3]
	s_waitcnt lgkmcnt(0)
	s_barrier
	ds_read_b64 v[0:1], v30
	v_cmp_lt_u32_e32 vcc, 28, v32
	s_waitcnt lgkmcnt(0)
	buffer_store_dword v0, off, s[16:19], 0 offset:240 ; 4-byte Folded Spill
	s_nop 0
	buffer_store_dword v1, off, s[16:19], 0 offset:244 ; 4-byte Folded Spill
	s_and_saveexec_b64 s[2:3], vcc
	s_cbranch_execz .LBB109_146
; %bb.145:
	buffer_load_dword v0, off, s[16:19], 0 offset:240 ; 4-byte Folded Reload
	buffer_load_dword v1, off, s[16:19], 0 offset:244 ; 4-byte Folded Reload
	s_waitcnt vmcnt(0)
	v_mul_f64 v[192:193], v[0:1], v[192:193]
	ds_read2_b64 v[0:3], v31 offset0:29 offset1:30
	s_waitcnt lgkmcnt(0)
	v_fma_f64 v[138:139], -v[192:193], v[0:1], v[138:139]
	v_fma_f64 v[190:191], -v[192:193], v[2:3], v[190:191]
	ds_read2_b64 v[0:3], v31 offset0:31 offset1:32
	s_waitcnt lgkmcnt(0)
	v_fma_f64 v[136:137], -v[192:193], v[0:1], v[136:137]
	v_fma_f64 v[188:189], -v[192:193], v[2:3], v[188:189]
	;; [unrolled: 4-line block ×13, first 2 shown]
.LBB109_146:
	s_or_b64 exec, exec, s[2:3]
	v_cmp_eq_u32_e32 vcc, 29, v32
	s_waitcnt vmcnt(63) expcnt(7) lgkmcnt(15)
	s_barrier
	s_and_saveexec_b64 s[2:3], vcc
	s_cbranch_execz .LBB109_149
; %bb.147:
	v_mov_b32_e32 v0, v190
	v_mov_b32_e32 v1, v191
	;; [unrolled: 1-line block ×4, first 2 shown]
	ds_write_b64 v30, v[138:139]
	ds_write2_b64 v31, v[0:1], v[2:3] offset0:30 offset1:31
	v_mov_b32_e32 v0, v188
	v_mov_b32_e32 v1, v189
	v_mov_b32_e32 v2, v134
	v_mov_b32_e32 v3, v135
	ds_write2_b64 v31, v[0:1], v[2:3] offset0:32 offset1:33
	v_mov_b32_e32 v0, v186
	v_mov_b32_e32 v1, v187
	v_mov_b32_e32 v2, v132
	v_mov_b32_e32 v3, v133
	;; [unrolled: 5-line block ×9, first 2 shown]
	ds_write2_b64 v31, v[0:1], v[2:3] offset0:48 offset1:49
	s_waitcnt vmcnt(62)
	v_mov_b32_e32 v0, v170
	v_mov_b32_e32 v1, v171
	s_waitcnt vmcnt(61)
	v_mov_b32_e32 v2, v116
	v_mov_b32_e32 v3, v117
	ds_write2_b64 v31, v[0:1], v[2:3] offset0:50 offset1:51
	s_waitcnt vmcnt(60)
	v_mov_b32_e32 v0, v168
	v_mov_b32_e32 v1, v169
	s_waitcnt vmcnt(59)
	v_mov_b32_e32 v2, v114
	v_mov_b32_e32 v3, v115
	ds_write2_b64 v31, v[0:1], v[2:3] offset0:52 offset1:53
	s_waitcnt vmcnt(58)
	ds_write_b64 v31, v[220:221] offset:432
	ds_read_b64 v[0:1], v30
	s_waitcnt lgkmcnt(0)
	v_cmp_neq_f64_e32 vcc, 0, v[0:1]
	s_and_b64 exec, exec, vcc
	s_cbranch_execz .LBB109_149
; %bb.148:
	v_div_scale_f64 v[2:3], s[6:7], v[0:1], v[0:1], 1.0
	v_rcp_f64_e32 v[4:5], v[2:3]
	v_div_scale_f64 v[6:7], vcc, 1.0, v[0:1], 1.0
	v_fma_f64 v[8:9], -v[2:3], v[4:5], 1.0
	v_fmac_f64_e32 v[4:5], v[4:5], v[8:9]
	v_fma_f64 v[8:9], -v[2:3], v[4:5], 1.0
	v_fmac_f64_e32 v[4:5], v[4:5], v[8:9]
	v_mul_f64 v[8:9], v[6:7], v[4:5]
	v_fma_f64 v[2:3], -v[2:3], v[8:9], v[6:7]
	v_div_fmas_f64 v[2:3], v[2:3], v[4:5], v[8:9]
	v_div_fixup_f64 v[0:1], v[2:3], v[0:1], 1.0
	ds_write_b64 v30, v[0:1]
.LBB109_149:
	s_or_b64 exec, exec, s[2:3]
	s_waitcnt lgkmcnt(0)
	s_barrier
	ds_read_b64 v[0:1], v30
	v_cmp_lt_u32_e32 vcc, 29, v32
	s_waitcnt lgkmcnt(0)
	buffer_store_dword v0, off, s[16:19], 0 offset:248 ; 4-byte Folded Spill
	s_nop 0
	buffer_store_dword v1, off, s[16:19], 0 offset:252 ; 4-byte Folded Spill
	s_and_saveexec_b64 s[2:3], vcc
	s_cbranch_execz .LBB109_151
; %bb.150:
	buffer_load_dword v0, off, s[16:19], 0 offset:248 ; 4-byte Folded Reload
	buffer_load_dword v1, off, s[16:19], 0 offset:252 ; 4-byte Folded Reload
	s_waitcnt vmcnt(0)
	v_mul_f64 v[138:139], v[0:1], v[138:139]
	ds_read2_b64 v[0:3], v31 offset0:30 offset1:31
	s_waitcnt lgkmcnt(0)
	v_fma_f64 v[190:191], -v[138:139], v[0:1], v[190:191]
	v_fma_f64 v[136:137], -v[138:139], v[2:3], v[136:137]
	ds_read2_b64 v[0:3], v31 offset0:32 offset1:33
	s_waitcnt lgkmcnt(0)
	v_fma_f64 v[188:189], -v[138:139], v[0:1], v[188:189]
	v_fma_f64 v[134:135], -v[138:139], v[2:3], v[134:135]
	ds_read2_b64 v[0:3], v31 offset0:34 offset1:35
	s_waitcnt lgkmcnt(0)
	v_fma_f64 v[186:187], -v[138:139], v[0:1], v[186:187]
	v_fma_f64 v[132:133], -v[138:139], v[2:3], v[132:133]
	ds_read2_b64 v[0:3], v31 offset0:36 offset1:37
	s_waitcnt lgkmcnt(0)
	v_fma_f64 v[184:185], -v[138:139], v[0:1], v[184:185]
	v_fma_f64 v[130:131], -v[138:139], v[2:3], v[130:131]
	ds_read2_b64 v[0:3], v31 offset0:38 offset1:39
	s_waitcnt lgkmcnt(0)
	v_fma_f64 v[182:183], -v[138:139], v[0:1], v[182:183]
	v_fma_f64 v[128:129], -v[138:139], v[2:3], v[128:129]
	ds_read2_b64 v[0:3], v31 offset0:40 offset1:41
	s_waitcnt lgkmcnt(0)
	v_fma_f64 v[180:181], -v[138:139], v[0:1], v[180:181]
	v_fma_f64 v[126:127], -v[138:139], v[2:3], v[126:127]
	ds_read2_b64 v[0:3], v31 offset0:42 offset1:43
	s_waitcnt lgkmcnt(0)
	v_fma_f64 v[178:179], -v[138:139], v[0:1], v[178:179]
	v_fma_f64 v[124:125], -v[138:139], v[2:3], v[124:125]
	ds_read2_b64 v[0:3], v31 offset0:44 offset1:45
	s_waitcnt lgkmcnt(0)
	v_fma_f64 v[176:177], -v[138:139], v[0:1], v[176:177]
	v_fma_f64 v[122:123], -v[138:139], v[2:3], v[122:123]
	ds_read2_b64 v[0:3], v31 offset0:46 offset1:47
	s_waitcnt lgkmcnt(0)
	v_fma_f64 v[174:175], -v[138:139], v[0:1], v[174:175]
	v_fma_f64 v[120:121], -v[138:139], v[2:3], v[120:121]
	ds_read2_b64 v[0:3], v31 offset0:48 offset1:49
	s_waitcnt lgkmcnt(0)
	v_fma_f64 v[172:173], -v[138:139], v[0:1], v[172:173]
	v_fma_f64 v[118:119], -v[138:139], v[2:3], v[118:119]
	ds_read2_b64 v[0:3], v31 offset0:50 offset1:51
	s_waitcnt lgkmcnt(0)
	v_fma_f64 v[170:171], -v[138:139], v[0:1], v[170:171]
	v_fma_f64 v[116:117], -v[138:139], v[2:3], v[116:117]
	ds_read2_b64 v[0:3], v31 offset0:52 offset1:53
	s_waitcnt lgkmcnt(0)
	v_fma_f64 v[168:169], -v[138:139], v[0:1], v[168:169]
	ds_read_b64 v[0:1], v31 offset:432
	v_fma_f64 v[114:115], -v[138:139], v[2:3], v[114:115]
	s_waitcnt lgkmcnt(0)
	v_fma_f64 v[220:221], -v[138:139], v[0:1], v[220:221]
.LBB109_151:
	s_or_b64 exec, exec, s[2:3]
	v_cmp_eq_u32_e32 vcc, 30, v32
	s_waitcnt vmcnt(63) expcnt(7) lgkmcnt(15)
	s_barrier
	s_and_saveexec_b64 s[2:3], vcc
	s_cbranch_execz .LBB109_154
; %bb.152:
	ds_write_b64 v30, v[190:191]
	ds_write2_b64 v31, v[136:137], v[188:189] offset0:31 offset1:32
	ds_write2_b64 v31, v[134:135], v[186:187] offset0:33 offset1:34
	;; [unrolled: 1-line block ×10, first 2 shown]
	s_waitcnt vmcnt(62)
	ds_write2_b64 v31, v[116:117], v[168:169] offset0:51 offset1:52
	s_waitcnt vmcnt(60)
	ds_write2_b64 v31, v[114:115], v[220:221] offset0:53 offset1:54
	ds_read_b64 v[0:1], v30
	s_waitcnt lgkmcnt(0)
	v_cmp_neq_f64_e32 vcc, 0, v[0:1]
	s_and_b64 exec, exec, vcc
	s_cbranch_execz .LBB109_154
; %bb.153:
	v_div_scale_f64 v[2:3], s[6:7], v[0:1], v[0:1], 1.0
	v_rcp_f64_e32 v[4:5], v[2:3]
	v_div_scale_f64 v[6:7], vcc, 1.0, v[0:1], 1.0
	v_fma_f64 v[8:9], -v[2:3], v[4:5], 1.0
	v_fmac_f64_e32 v[4:5], v[4:5], v[8:9]
	v_fma_f64 v[8:9], -v[2:3], v[4:5], 1.0
	v_fmac_f64_e32 v[4:5], v[4:5], v[8:9]
	v_mul_f64 v[8:9], v[6:7], v[4:5]
	v_fma_f64 v[2:3], -v[2:3], v[8:9], v[6:7]
	v_div_fmas_f64 v[2:3], v[2:3], v[4:5], v[8:9]
	v_div_fixup_f64 v[0:1], v[2:3], v[0:1], 1.0
	ds_write_b64 v30, v[0:1]
.LBB109_154:
	s_or_b64 exec, exec, s[2:3]
	s_waitcnt lgkmcnt(0)
	s_barrier
	ds_read_b64 v[0:1], v30
	v_cmp_lt_u32_e32 vcc, 30, v32
	s_waitcnt lgkmcnt(0)
	buffer_store_dword v0, off, s[16:19], 0 offset:256 ; 4-byte Folded Spill
	s_nop 0
	buffer_store_dword v1, off, s[16:19], 0 offset:260 ; 4-byte Folded Spill
	s_and_saveexec_b64 s[2:3], vcc
	s_cbranch_execz .LBB109_156
; %bb.155:
	buffer_load_dword v0, off, s[16:19], 0 offset:256 ; 4-byte Folded Reload
	buffer_load_dword v1, off, s[16:19], 0 offset:260 ; 4-byte Folded Reload
	s_waitcnt vmcnt(0)
	v_mul_f64 v[190:191], v[0:1], v[190:191]
	ds_read2_b64 v[0:3], v31 offset0:31 offset1:32
	s_waitcnt lgkmcnt(0)
	v_fma_f64 v[136:137], -v[190:191], v[0:1], v[136:137]
	v_fma_f64 v[188:189], -v[190:191], v[2:3], v[188:189]
	ds_read2_b64 v[0:3], v31 offset0:33 offset1:34
	s_waitcnt lgkmcnt(0)
	v_fma_f64 v[134:135], -v[190:191], v[0:1], v[134:135]
	v_fma_f64 v[186:187], -v[190:191], v[2:3], v[186:187]
	;; [unrolled: 4-line block ×12, first 2 shown]
.LBB109_156:
	s_or_b64 exec, exec, s[2:3]
	v_cmp_eq_u32_e32 vcc, 31, v32
	s_waitcnt vmcnt(63) expcnt(7) lgkmcnt(15)
	s_barrier
	s_and_saveexec_b64 s[2:3], vcc
	s_cbranch_execz .LBB109_159
; %bb.157:
	v_mov_b32_e32 v0, v188
	v_mov_b32_e32 v1, v189
	;; [unrolled: 1-line block ×4, first 2 shown]
	ds_write_b64 v30, v[136:137]
	ds_write2_b64 v31, v[0:1], v[2:3] offset0:32 offset1:33
	v_mov_b32_e32 v0, v186
	v_mov_b32_e32 v1, v187
	v_mov_b32_e32 v2, v132
	v_mov_b32_e32 v3, v133
	ds_write2_b64 v31, v[0:1], v[2:3] offset0:34 offset1:35
	v_mov_b32_e32 v0, v184
	v_mov_b32_e32 v1, v185
	v_mov_b32_e32 v2, v130
	v_mov_b32_e32 v3, v131
	;; [unrolled: 5-line block ×10, first 2 shown]
	ds_write2_b64 v31, v[0:1], v[2:3] offset0:52 offset1:53
	s_waitcnt vmcnt(62)
	ds_write_b64 v31, v[220:221] offset:432
	ds_read_b64 v[0:1], v30
	s_waitcnt lgkmcnt(0)
	v_cmp_neq_f64_e32 vcc, 0, v[0:1]
	s_and_b64 exec, exec, vcc
	s_cbranch_execz .LBB109_159
; %bb.158:
	v_div_scale_f64 v[2:3], s[6:7], v[0:1], v[0:1], 1.0
	v_rcp_f64_e32 v[4:5], v[2:3]
	v_div_scale_f64 v[6:7], vcc, 1.0, v[0:1], 1.0
	v_fma_f64 v[8:9], -v[2:3], v[4:5], 1.0
	v_fmac_f64_e32 v[4:5], v[4:5], v[8:9]
	v_fma_f64 v[8:9], -v[2:3], v[4:5], 1.0
	v_fmac_f64_e32 v[4:5], v[4:5], v[8:9]
	v_mul_f64 v[8:9], v[6:7], v[4:5]
	v_fma_f64 v[2:3], -v[2:3], v[8:9], v[6:7]
	v_div_fmas_f64 v[2:3], v[2:3], v[4:5], v[8:9]
	v_div_fixup_f64 v[0:1], v[2:3], v[0:1], 1.0
	ds_write_b64 v30, v[0:1]
.LBB109_159:
	s_or_b64 exec, exec, s[2:3]
	s_waitcnt lgkmcnt(0)
	s_barrier
	ds_read_b64 v[0:1], v30
	v_cmp_lt_u32_e32 vcc, 31, v32
	s_waitcnt lgkmcnt(0)
	buffer_store_dword v0, off, s[16:19], 0 offset:264 ; 4-byte Folded Spill
	s_nop 0
	buffer_store_dword v1, off, s[16:19], 0 offset:268 ; 4-byte Folded Spill
	s_and_saveexec_b64 s[2:3], vcc
	s_cbranch_execz .LBB109_161
; %bb.160:
	buffer_load_dword v0, off, s[16:19], 0 offset:264 ; 4-byte Folded Reload
	buffer_load_dword v1, off, s[16:19], 0 offset:268 ; 4-byte Folded Reload
	s_waitcnt vmcnt(0)
	v_mul_f64 v[136:137], v[0:1], v[136:137]
	ds_read2_b64 v[0:3], v31 offset0:32 offset1:33
	s_waitcnt lgkmcnt(0)
	v_fma_f64 v[188:189], -v[136:137], v[0:1], v[188:189]
	v_fma_f64 v[134:135], -v[136:137], v[2:3], v[134:135]
	ds_read2_b64 v[0:3], v31 offset0:34 offset1:35
	s_waitcnt lgkmcnt(0)
	v_fma_f64 v[186:187], -v[136:137], v[0:1], v[186:187]
	v_fma_f64 v[132:133], -v[136:137], v[2:3], v[132:133]
	;; [unrolled: 4-line block ×10, first 2 shown]
	ds_read2_b64 v[0:3], v31 offset0:52 offset1:53
	s_waitcnt lgkmcnt(0)
	v_fma_f64 v[168:169], -v[136:137], v[0:1], v[168:169]
	ds_read_b64 v[0:1], v31 offset:432
	v_fma_f64 v[114:115], -v[136:137], v[2:3], v[114:115]
	s_waitcnt lgkmcnt(0)
	v_fma_f64 v[220:221], -v[136:137], v[0:1], v[220:221]
.LBB109_161:
	s_or_b64 exec, exec, s[2:3]
	v_cmp_eq_u32_e32 vcc, 32, v32
	s_waitcnt vmcnt(63) expcnt(7) lgkmcnt(15)
	s_barrier
	s_and_saveexec_b64 s[2:3], vcc
	s_cbranch_execz .LBB109_164
; %bb.162:
	ds_write_b64 v30, v[188:189]
	ds_write2_b64 v31, v[134:135], v[186:187] offset0:33 offset1:34
	ds_write2_b64 v31, v[132:133], v[184:185] offset0:35 offset1:36
	;; [unrolled: 1-line block ×11, first 2 shown]
	ds_read_b64 v[0:1], v30
	s_waitcnt lgkmcnt(0)
	v_cmp_neq_f64_e32 vcc, 0, v[0:1]
	s_and_b64 exec, exec, vcc
	s_cbranch_execz .LBB109_164
; %bb.163:
	v_div_scale_f64 v[2:3], s[6:7], v[0:1], v[0:1], 1.0
	v_rcp_f64_e32 v[4:5], v[2:3]
	v_div_scale_f64 v[6:7], vcc, 1.0, v[0:1], 1.0
	v_fma_f64 v[8:9], -v[2:3], v[4:5], 1.0
	v_fmac_f64_e32 v[4:5], v[4:5], v[8:9]
	v_fma_f64 v[8:9], -v[2:3], v[4:5], 1.0
	v_fmac_f64_e32 v[4:5], v[4:5], v[8:9]
	v_mul_f64 v[8:9], v[6:7], v[4:5]
	v_fma_f64 v[2:3], -v[2:3], v[8:9], v[6:7]
	v_div_fmas_f64 v[2:3], v[2:3], v[4:5], v[8:9]
	v_div_fixup_f64 v[0:1], v[2:3], v[0:1], 1.0
	ds_write_b64 v30, v[0:1]
.LBB109_164:
	s_or_b64 exec, exec, s[2:3]
	s_waitcnt lgkmcnt(0)
	s_barrier
	ds_read_b64 v[0:1], v30
	v_cmp_lt_u32_e32 vcc, 32, v32
	s_waitcnt lgkmcnt(0)
	buffer_store_dword v0, off, s[16:19], 0 offset:272 ; 4-byte Folded Spill
	s_nop 0
	buffer_store_dword v1, off, s[16:19], 0 offset:276 ; 4-byte Folded Spill
	s_and_saveexec_b64 s[2:3], vcc
	s_cbranch_execz .LBB109_166
; %bb.165:
	buffer_load_dword v0, off, s[16:19], 0 offset:272 ; 4-byte Folded Reload
	buffer_load_dword v1, off, s[16:19], 0 offset:276 ; 4-byte Folded Reload
	s_waitcnt vmcnt(0)
	v_mul_f64 v[188:189], v[0:1], v[188:189]
	ds_read2_b64 v[0:3], v31 offset0:33 offset1:34
	s_waitcnt lgkmcnt(0)
	v_fma_f64 v[134:135], -v[188:189], v[0:1], v[134:135]
	v_fma_f64 v[186:187], -v[188:189], v[2:3], v[186:187]
	ds_read2_b64 v[0:3], v31 offset0:35 offset1:36
	s_waitcnt lgkmcnt(0)
	v_fma_f64 v[132:133], -v[188:189], v[0:1], v[132:133]
	v_fma_f64 v[184:185], -v[188:189], v[2:3], v[184:185]
	;; [unrolled: 4-line block ×11, first 2 shown]
.LBB109_166:
	s_or_b64 exec, exec, s[2:3]
	v_cmp_eq_u32_e32 vcc, 33, v32
	s_waitcnt vmcnt(63) expcnt(7) lgkmcnt(15)
	s_barrier
	s_and_saveexec_b64 s[2:3], vcc
	s_cbranch_execz .LBB109_169
; %bb.167:
	v_mov_b32_e32 v0, v186
	v_mov_b32_e32 v1, v187
	v_mov_b32_e32 v2, v132
	v_mov_b32_e32 v3, v133
	ds_write_b64 v30, v[134:135]
	ds_write2_b64 v31, v[0:1], v[2:3] offset0:34 offset1:35
	v_mov_b32_e32 v0, v184
	v_mov_b32_e32 v1, v185
	v_mov_b32_e32 v2, v130
	v_mov_b32_e32 v3, v131
	ds_write2_b64 v31, v[0:1], v[2:3] offset0:36 offset1:37
	v_mov_b32_e32 v0, v182
	v_mov_b32_e32 v1, v183
	v_mov_b32_e32 v2, v128
	v_mov_b32_e32 v3, v129
	;; [unrolled: 5-line block ×9, first 2 shown]
	ds_write2_b64 v31, v[0:1], v[2:3] offset0:52 offset1:53
	ds_write_b64 v31, v[220:221] offset:432
	ds_read_b64 v[0:1], v30
	s_waitcnt lgkmcnt(0)
	v_cmp_neq_f64_e32 vcc, 0, v[0:1]
	s_and_b64 exec, exec, vcc
	s_cbranch_execz .LBB109_169
; %bb.168:
	v_div_scale_f64 v[2:3], s[6:7], v[0:1], v[0:1], 1.0
	v_rcp_f64_e32 v[4:5], v[2:3]
	v_div_scale_f64 v[6:7], vcc, 1.0, v[0:1], 1.0
	v_fma_f64 v[8:9], -v[2:3], v[4:5], 1.0
	v_fmac_f64_e32 v[4:5], v[4:5], v[8:9]
	v_fma_f64 v[8:9], -v[2:3], v[4:5], 1.0
	v_fmac_f64_e32 v[4:5], v[4:5], v[8:9]
	v_mul_f64 v[8:9], v[6:7], v[4:5]
	v_fma_f64 v[2:3], -v[2:3], v[8:9], v[6:7]
	v_div_fmas_f64 v[2:3], v[2:3], v[4:5], v[8:9]
	v_div_fixup_f64 v[0:1], v[2:3], v[0:1], 1.0
	ds_write_b64 v30, v[0:1]
.LBB109_169:
	s_or_b64 exec, exec, s[2:3]
	s_waitcnt lgkmcnt(0)
	s_barrier
	ds_read_b64 v[0:1], v30
	v_cmp_lt_u32_e32 vcc, 33, v32
	s_waitcnt lgkmcnt(0)
	buffer_store_dword v0, off, s[16:19], 0 offset:280 ; 4-byte Folded Spill
	s_nop 0
	buffer_store_dword v1, off, s[16:19], 0 offset:284 ; 4-byte Folded Spill
	s_and_saveexec_b64 s[2:3], vcc
	s_cbranch_execz .LBB109_171
; %bb.170:
	buffer_load_dword v0, off, s[16:19], 0 offset:280 ; 4-byte Folded Reload
	buffer_load_dword v1, off, s[16:19], 0 offset:284 ; 4-byte Folded Reload
	s_waitcnt vmcnt(0)
	v_mul_f64 v[134:135], v[0:1], v[134:135]
	ds_read2_b64 v[0:3], v31 offset0:34 offset1:35
	s_waitcnt lgkmcnt(0)
	v_fma_f64 v[186:187], -v[134:135], v[0:1], v[186:187]
	v_fma_f64 v[132:133], -v[134:135], v[2:3], v[132:133]
	ds_read2_b64 v[0:3], v31 offset0:36 offset1:37
	s_waitcnt lgkmcnt(0)
	v_fma_f64 v[184:185], -v[134:135], v[0:1], v[184:185]
	v_fma_f64 v[130:131], -v[134:135], v[2:3], v[130:131]
	;; [unrolled: 4-line block ×9, first 2 shown]
	ds_read2_b64 v[0:3], v31 offset0:52 offset1:53
	s_waitcnt lgkmcnt(0)
	v_fma_f64 v[168:169], -v[134:135], v[0:1], v[168:169]
	ds_read_b64 v[0:1], v31 offset:432
	v_fma_f64 v[114:115], -v[134:135], v[2:3], v[114:115]
	s_waitcnt lgkmcnt(0)
	v_fma_f64 v[220:221], -v[134:135], v[0:1], v[220:221]
.LBB109_171:
	s_or_b64 exec, exec, s[2:3]
	v_cmp_eq_u32_e32 vcc, 34, v32
	s_waitcnt vmcnt(63) expcnt(7) lgkmcnt(15)
	s_barrier
	s_and_saveexec_b64 s[2:3], vcc
	s_cbranch_execz .LBB109_174
; %bb.172:
	ds_write_b64 v30, v[186:187]
	ds_write2_b64 v31, v[132:133], v[184:185] offset0:35 offset1:36
	ds_write2_b64 v31, v[130:131], v[182:183] offset0:37 offset1:38
	;; [unrolled: 1-line block ×10, first 2 shown]
	ds_read_b64 v[0:1], v30
	s_waitcnt lgkmcnt(0)
	v_cmp_neq_f64_e32 vcc, 0, v[0:1]
	s_and_b64 exec, exec, vcc
	s_cbranch_execz .LBB109_174
; %bb.173:
	v_div_scale_f64 v[2:3], s[6:7], v[0:1], v[0:1], 1.0
	v_rcp_f64_e32 v[4:5], v[2:3]
	v_div_scale_f64 v[6:7], vcc, 1.0, v[0:1], 1.0
	v_fma_f64 v[8:9], -v[2:3], v[4:5], 1.0
	v_fmac_f64_e32 v[4:5], v[4:5], v[8:9]
	v_fma_f64 v[8:9], -v[2:3], v[4:5], 1.0
	v_fmac_f64_e32 v[4:5], v[4:5], v[8:9]
	v_mul_f64 v[8:9], v[6:7], v[4:5]
	v_fma_f64 v[2:3], -v[2:3], v[8:9], v[6:7]
	v_div_fmas_f64 v[2:3], v[2:3], v[4:5], v[8:9]
	v_div_fixup_f64 v[0:1], v[2:3], v[0:1], 1.0
	ds_write_b64 v30, v[0:1]
.LBB109_174:
	s_or_b64 exec, exec, s[2:3]
	s_waitcnt lgkmcnt(0)
	s_barrier
	ds_read_b64 v[0:1], v30
	v_cmp_lt_u32_e32 vcc, 34, v32
	s_and_saveexec_b64 s[2:3], vcc
	s_cbranch_execz .LBB109_176
; %bb.175:
	ds_read2_b64 v[4:7], v31 offset0:35 offset1:36
	s_waitcnt lgkmcnt(1)
	v_mul_f64 v[186:187], v[0:1], v[186:187]
	s_waitcnt lgkmcnt(0)
	v_fma_f64 v[132:133], -v[186:187], v[4:5], v[132:133]
	v_fma_f64 v[184:185], -v[186:187], v[6:7], v[184:185]
	ds_read2_b64 v[4:7], v31 offset0:37 offset1:38
	s_waitcnt lgkmcnt(0)
	v_fma_f64 v[130:131], -v[186:187], v[4:5], v[130:131]
	v_fma_f64 v[182:183], -v[186:187], v[6:7], v[182:183]
	ds_read2_b64 v[4:7], v31 offset0:39 offset1:40
	;; [unrolled: 4-line block ×9, first 2 shown]
	s_waitcnt lgkmcnt(0)
	v_fma_f64 v[114:115], -v[186:187], v[4:5], v[114:115]
	v_fma_f64 v[220:221], -v[186:187], v[6:7], v[220:221]
.LBB109_176:
	s_or_b64 exec, exec, s[2:3]
	v_cmp_eq_u32_e32 vcc, 35, v32
	s_waitcnt lgkmcnt(0)
	buffer_store_dword v0, off, s[16:19], 0 offset:312 ; 4-byte Folded Spill
	s_nop 0
	buffer_store_dword v1, off, s[16:19], 0 offset:316 ; 4-byte Folded Spill
	s_waitcnt vmcnt(63) expcnt(7) lgkmcnt(15)
	s_barrier
	s_and_saveexec_b64 s[2:3], vcc
	s_cbranch_execz .LBB109_179
; %bb.177:
	v_mov_b32_e32 v0, v184
	v_mov_b32_e32 v1, v185
	;; [unrolled: 1-line block ×4, first 2 shown]
	ds_write_b64 v30, v[132:133]
	ds_write2_b64 v31, v[0:1], v[4:5] offset0:36 offset1:37
	v_mov_b32_e32 v0, v182
	v_mov_b32_e32 v1, v183
	v_mov_b32_e32 v4, v128
	v_mov_b32_e32 v5, v129
	ds_write2_b64 v31, v[0:1], v[4:5] offset0:38 offset1:39
	v_mov_b32_e32 v0, v180
	v_mov_b32_e32 v1, v181
	v_mov_b32_e32 v4, v126
	v_mov_b32_e32 v5, v127
	;; [unrolled: 5-line block ×8, first 2 shown]
	ds_write2_b64 v31, v[0:1], v[4:5] offset0:52 offset1:53
	ds_write_b64 v31, v[220:221] offset:432
	ds_read_b64 v[0:1], v30
	s_waitcnt lgkmcnt(0)
	v_cmp_neq_f64_e32 vcc, 0, v[0:1]
	s_and_b64 exec, exec, vcc
	s_cbranch_execz .LBB109_179
; %bb.178:
	v_div_scale_f64 v[4:5], s[6:7], v[0:1], v[0:1], 1.0
	v_rcp_f64_e32 v[6:7], v[4:5]
	v_div_scale_f64 v[8:9], vcc, 1.0, v[0:1], 1.0
	v_fma_f64 v[10:11], -v[4:5], v[6:7], 1.0
	v_fmac_f64_e32 v[6:7], v[6:7], v[10:11]
	v_fma_f64 v[10:11], -v[4:5], v[6:7], 1.0
	v_fmac_f64_e32 v[6:7], v[6:7], v[10:11]
	v_mul_f64 v[10:11], v[8:9], v[6:7]
	v_fma_f64 v[4:5], -v[4:5], v[10:11], v[8:9]
	v_div_fmas_f64 v[4:5], v[4:5], v[6:7], v[10:11]
	v_div_fixup_f64 v[0:1], v[4:5], v[0:1], 1.0
	ds_write_b64 v30, v[0:1]
.LBB109_179:
	s_or_b64 exec, exec, s[2:3]
	s_waitcnt lgkmcnt(0)
	s_barrier
	ds_read_b64 v[2:3], v30
	v_cmp_lt_u32_e32 vcc, 35, v32
	s_and_saveexec_b64 s[2:3], vcc
	s_cbranch_execz .LBB109_181
; %bb.180:
	ds_read2_b64 v[4:7], v31 offset0:36 offset1:37
	ds_read_b64 v[0:1], v31 offset:432
	s_waitcnt lgkmcnt(2)
	v_mul_f64 v[132:133], v[2:3], v[132:133]
	s_waitcnt lgkmcnt(1)
	v_fma_f64 v[184:185], -v[132:133], v[4:5], v[184:185]
	v_fma_f64 v[130:131], -v[132:133], v[6:7], v[130:131]
	ds_read2_b64 v[4:7], v31 offset0:38 offset1:39
	s_waitcnt lgkmcnt(1)
	v_fma_f64 v[220:221], -v[132:133], v[0:1], v[220:221]
	s_waitcnt lgkmcnt(0)
	v_fma_f64 v[182:183], -v[132:133], v[4:5], v[182:183]
	v_fma_f64 v[128:129], -v[132:133], v[6:7], v[128:129]
	ds_read2_b64 v[4:7], v31 offset0:40 offset1:41
	s_waitcnt lgkmcnt(0)
	v_fma_f64 v[180:181], -v[132:133], v[4:5], v[180:181]
	v_fma_f64 v[126:127], -v[132:133], v[6:7], v[126:127]
	ds_read2_b64 v[4:7], v31 offset0:42 offset1:43
	;; [unrolled: 4-line block ×7, first 2 shown]
	s_waitcnt lgkmcnt(0)
	v_fma_f64 v[168:169], -v[132:133], v[4:5], v[168:169]
	v_fma_f64 v[114:115], -v[132:133], v[6:7], v[114:115]
.LBB109_181:
	s_or_b64 exec, exec, s[2:3]
	v_cmp_eq_u32_e32 vcc, 36, v32
	s_waitcnt lgkmcnt(0)
	s_barrier
	s_and_saveexec_b64 s[2:3], vcc
	s_cbranch_execz .LBB109_184
; %bb.182:
	ds_write_b64 v30, v[184:185]
	ds_write2_b64 v31, v[130:131], v[182:183] offset0:37 offset1:38
	ds_write2_b64 v31, v[128:129], v[180:181] offset0:39 offset1:40
	;; [unrolled: 1-line block ×9, first 2 shown]
	ds_read_b64 v[0:1], v30
	s_waitcnt lgkmcnt(0)
	v_cmp_neq_f64_e32 vcc, 0, v[0:1]
	s_and_b64 exec, exec, vcc
	s_cbranch_execz .LBB109_184
; %bb.183:
	v_div_scale_f64 v[4:5], s[6:7], v[0:1], v[0:1], 1.0
	v_rcp_f64_e32 v[6:7], v[4:5]
	v_div_scale_f64 v[8:9], vcc, 1.0, v[0:1], 1.0
	v_fma_f64 v[10:11], -v[4:5], v[6:7], 1.0
	v_fmac_f64_e32 v[6:7], v[6:7], v[10:11]
	v_fma_f64 v[10:11], -v[4:5], v[6:7], 1.0
	v_fmac_f64_e32 v[6:7], v[6:7], v[10:11]
	v_mul_f64 v[10:11], v[8:9], v[6:7]
	v_fma_f64 v[4:5], -v[4:5], v[10:11], v[8:9]
	v_div_fmas_f64 v[4:5], v[4:5], v[6:7], v[10:11]
	v_div_fixup_f64 v[0:1], v[4:5], v[0:1], 1.0
	ds_write_b64 v30, v[0:1]
.LBB109_184:
	s_or_b64 exec, exec, s[2:3]
	s_waitcnt lgkmcnt(0)
	s_barrier
	ds_read_b64 v[0:1], v30
	v_cmp_lt_u32_e32 vcc, 36, v32
	s_and_saveexec_b64 s[2:3], vcc
	s_cbranch_execz .LBB109_186
; %bb.185:
	ds_read2_b64 v[4:7], v31 offset0:37 offset1:38
	s_waitcnt lgkmcnt(1)
	v_mul_f64 v[184:185], v[0:1], v[184:185]
	s_waitcnt lgkmcnt(0)
	v_fma_f64 v[130:131], -v[184:185], v[4:5], v[130:131]
	v_fma_f64 v[182:183], -v[184:185], v[6:7], v[182:183]
	ds_read2_b64 v[4:7], v31 offset0:39 offset1:40
	s_waitcnt lgkmcnt(0)
	v_fma_f64 v[128:129], -v[184:185], v[4:5], v[128:129]
	v_fma_f64 v[180:181], -v[184:185], v[6:7], v[180:181]
	ds_read2_b64 v[4:7], v31 offset0:41 offset1:42
	;; [unrolled: 4-line block ×8, first 2 shown]
	s_waitcnt lgkmcnt(0)
	v_fma_f64 v[114:115], -v[184:185], v[4:5], v[114:115]
	v_fma_f64 v[220:221], -v[184:185], v[6:7], v[220:221]
.LBB109_186:
	s_or_b64 exec, exec, s[2:3]
	v_cmp_eq_u32_e32 vcc, 37, v32
	s_waitcnt lgkmcnt(0)
	buffer_store_dword v0, off, s[16:19], 0 offset:320 ; 4-byte Folded Spill
	s_nop 0
	buffer_store_dword v1, off, s[16:19], 0 offset:324 ; 4-byte Folded Spill
	s_waitcnt vmcnt(63) expcnt(7) lgkmcnt(15)
	s_barrier
	s_and_saveexec_b64 s[2:3], vcc
	s_cbranch_execz .LBB109_189
; %bb.187:
	v_mov_b32_e32 v0, v182
	v_mov_b32_e32 v1, v183
	;; [unrolled: 1-line block ×4, first 2 shown]
	ds_write_b64 v30, v[130:131]
	ds_write2_b64 v31, v[0:1], v[4:5] offset0:38 offset1:39
	v_mov_b32_e32 v0, v180
	v_mov_b32_e32 v1, v181
	v_mov_b32_e32 v4, v126
	v_mov_b32_e32 v5, v127
	ds_write2_b64 v31, v[0:1], v[4:5] offset0:40 offset1:41
	v_mov_b32_e32 v0, v178
	v_mov_b32_e32 v1, v179
	v_mov_b32_e32 v4, v124
	v_mov_b32_e32 v5, v125
	;; [unrolled: 5-line block ×7, first 2 shown]
	ds_write2_b64 v31, v[0:1], v[4:5] offset0:52 offset1:53
	ds_write_b64 v31, v[220:221] offset:432
	ds_read_b64 v[0:1], v30
	s_waitcnt lgkmcnt(0)
	v_cmp_neq_f64_e32 vcc, 0, v[0:1]
	s_and_b64 exec, exec, vcc
	s_cbranch_execz .LBB109_189
; %bb.188:
	v_div_scale_f64 v[4:5], s[6:7], v[0:1], v[0:1], 1.0
	v_rcp_f64_e32 v[6:7], v[4:5]
	v_div_scale_f64 v[8:9], vcc, 1.0, v[0:1], 1.0
	v_fma_f64 v[10:11], -v[4:5], v[6:7], 1.0
	v_fmac_f64_e32 v[6:7], v[6:7], v[10:11]
	v_fma_f64 v[10:11], -v[4:5], v[6:7], 1.0
	v_fmac_f64_e32 v[6:7], v[6:7], v[10:11]
	v_mul_f64 v[10:11], v[8:9], v[6:7]
	v_fma_f64 v[4:5], -v[4:5], v[10:11], v[8:9]
	v_div_fmas_f64 v[4:5], v[4:5], v[6:7], v[10:11]
	v_div_fixup_f64 v[0:1], v[4:5], v[0:1], 1.0
	ds_write_b64 v30, v[0:1]
.LBB109_189:
	s_or_b64 exec, exec, s[2:3]
	s_waitcnt lgkmcnt(0)
	s_barrier
	ds_read_b64 v[0:1], v30
	v_cmp_lt_u32_e32 vcc, 37, v32
	s_waitcnt lgkmcnt(0)
	buffer_store_dword v0, off, s[16:19], 0 offset:288 ; 4-byte Folded Spill
	s_nop 0
	buffer_store_dword v1, off, s[16:19], 0 offset:292 ; 4-byte Folded Spill
	s_and_saveexec_b64 s[2:3], vcc
	s_cbranch_execz .LBB109_191
; %bb.190:
	buffer_load_dword v0, off, s[16:19], 0 offset:288 ; 4-byte Folded Reload
	buffer_load_dword v1, off, s[16:19], 0 offset:292 ; 4-byte Folded Reload
	ds_read2_b64 v[4:7], v31 offset0:38 offset1:39
	s_waitcnt vmcnt(0)
	v_mul_f64 v[130:131], v[0:1], v[130:131]
	ds_read_b64 v[0:1], v31 offset:432
	s_waitcnt lgkmcnt(1)
	v_fma_f64 v[182:183], -v[130:131], v[4:5], v[182:183]
	v_fma_f64 v[128:129], -v[130:131], v[6:7], v[128:129]
	ds_read2_b64 v[4:7], v31 offset0:40 offset1:41
	s_waitcnt lgkmcnt(1)
	v_fma_f64 v[220:221], -v[130:131], v[0:1], v[220:221]
	s_waitcnt lgkmcnt(0)
	v_fma_f64 v[180:181], -v[130:131], v[4:5], v[180:181]
	v_fma_f64 v[126:127], -v[130:131], v[6:7], v[126:127]
	ds_read2_b64 v[4:7], v31 offset0:42 offset1:43
	s_waitcnt lgkmcnt(0)
	v_fma_f64 v[178:179], -v[130:131], v[4:5], v[178:179]
	v_fma_f64 v[124:125], -v[130:131], v[6:7], v[124:125]
	ds_read2_b64 v[4:7], v31 offset0:44 offset1:45
	;; [unrolled: 4-line block ×6, first 2 shown]
	s_waitcnt lgkmcnt(0)
	v_fma_f64 v[168:169], -v[130:131], v[4:5], v[168:169]
	v_fma_f64 v[114:115], -v[130:131], v[6:7], v[114:115]
.LBB109_191:
	s_or_b64 exec, exec, s[2:3]
	v_cmp_eq_u32_e32 vcc, 38, v32
	s_waitcnt vmcnt(63) expcnt(7) lgkmcnt(15)
	s_barrier
	s_and_saveexec_b64 s[2:3], vcc
	s_cbranch_execz .LBB109_194
; %bb.192:
	ds_write_b64 v30, v[182:183]
	ds_write2_b64 v31, v[128:129], v[180:181] offset0:39 offset1:40
	ds_write2_b64 v31, v[126:127], v[178:179] offset0:41 offset1:42
	;; [unrolled: 1-line block ×8, first 2 shown]
	ds_read_b64 v[0:1], v30
	s_waitcnt lgkmcnt(0)
	v_cmp_neq_f64_e32 vcc, 0, v[0:1]
	s_and_b64 exec, exec, vcc
	s_cbranch_execz .LBB109_194
; %bb.193:
	v_div_scale_f64 v[4:5], s[6:7], v[0:1], v[0:1], 1.0
	v_rcp_f64_e32 v[6:7], v[4:5]
	v_div_scale_f64 v[8:9], vcc, 1.0, v[0:1], 1.0
	v_fma_f64 v[10:11], -v[4:5], v[6:7], 1.0
	v_fmac_f64_e32 v[6:7], v[6:7], v[10:11]
	v_fma_f64 v[10:11], -v[4:5], v[6:7], 1.0
	v_fmac_f64_e32 v[6:7], v[6:7], v[10:11]
	v_mul_f64 v[10:11], v[8:9], v[6:7]
	v_fma_f64 v[4:5], -v[4:5], v[10:11], v[8:9]
	v_div_fmas_f64 v[4:5], v[4:5], v[6:7], v[10:11]
	v_div_fixup_f64 v[0:1], v[4:5], v[0:1], 1.0
	ds_write_b64 v30, v[0:1]
.LBB109_194:
	s_or_b64 exec, exec, s[2:3]
	s_waitcnt lgkmcnt(0)
	s_barrier
	ds_read_b64 v[0:1], v30
	v_cmp_lt_u32_e32 vcc, 38, v32
	s_and_saveexec_b64 s[2:3], vcc
	s_cbranch_execz .LBB109_196
; %bb.195:
	ds_read2_b64 v[4:7], v31 offset0:39 offset1:40
	s_waitcnt lgkmcnt(1)
	v_mul_f64 v[182:183], v[0:1], v[182:183]
	s_waitcnt lgkmcnt(0)
	v_fma_f64 v[128:129], -v[182:183], v[4:5], v[128:129]
	v_fma_f64 v[180:181], -v[182:183], v[6:7], v[180:181]
	ds_read2_b64 v[4:7], v31 offset0:41 offset1:42
	s_waitcnt lgkmcnt(0)
	v_fma_f64 v[126:127], -v[182:183], v[4:5], v[126:127]
	v_fma_f64 v[178:179], -v[182:183], v[6:7], v[178:179]
	ds_read2_b64 v[4:7], v31 offset0:43 offset1:44
	;; [unrolled: 4-line block ×7, first 2 shown]
	s_waitcnt lgkmcnt(0)
	v_fma_f64 v[114:115], -v[182:183], v[4:5], v[114:115]
	v_fma_f64 v[220:221], -v[182:183], v[6:7], v[220:221]
.LBB109_196:
	s_or_b64 exec, exec, s[2:3]
	v_cmp_eq_u32_e32 vcc, 39, v32
	s_waitcnt lgkmcnt(0)
	buffer_store_dword v0, off, s[16:19], 0 offset:328 ; 4-byte Folded Spill
	s_nop 0
	buffer_store_dword v1, off, s[16:19], 0 offset:332 ; 4-byte Folded Spill
	s_waitcnt vmcnt(63) expcnt(7) lgkmcnt(15)
	s_barrier
	s_and_saveexec_b64 s[2:3], vcc
	s_cbranch_execz .LBB109_199
; %bb.197:
	v_mov_b32_e32 v0, v180
	v_mov_b32_e32 v1, v181
	;; [unrolled: 1-line block ×4, first 2 shown]
	ds_write_b64 v30, v[128:129]
	ds_write2_b64 v31, v[0:1], v[4:5] offset0:40 offset1:41
	v_mov_b32_e32 v0, v178
	v_mov_b32_e32 v1, v179
	v_mov_b32_e32 v4, v124
	v_mov_b32_e32 v5, v125
	ds_write2_b64 v31, v[0:1], v[4:5] offset0:42 offset1:43
	v_mov_b32_e32 v0, v176
	v_mov_b32_e32 v1, v177
	v_mov_b32_e32 v4, v122
	v_mov_b32_e32 v5, v123
	;; [unrolled: 5-line block ×6, first 2 shown]
	ds_write2_b64 v31, v[0:1], v[4:5] offset0:52 offset1:53
	ds_write_b64 v31, v[220:221] offset:432
	ds_read_b64 v[0:1], v30
	s_waitcnt lgkmcnt(0)
	v_cmp_neq_f64_e32 vcc, 0, v[0:1]
	s_and_b64 exec, exec, vcc
	s_cbranch_execz .LBB109_199
; %bb.198:
	v_div_scale_f64 v[4:5], s[6:7], v[0:1], v[0:1], 1.0
	v_rcp_f64_e32 v[6:7], v[4:5]
	v_div_scale_f64 v[8:9], vcc, 1.0, v[0:1], 1.0
	v_fma_f64 v[10:11], -v[4:5], v[6:7], 1.0
	v_fmac_f64_e32 v[6:7], v[6:7], v[10:11]
	v_fma_f64 v[10:11], -v[4:5], v[6:7], 1.0
	v_fmac_f64_e32 v[6:7], v[6:7], v[10:11]
	v_mul_f64 v[10:11], v[8:9], v[6:7]
	v_fma_f64 v[4:5], -v[4:5], v[10:11], v[8:9]
	v_div_fmas_f64 v[4:5], v[4:5], v[6:7], v[10:11]
	v_div_fixup_f64 v[0:1], v[4:5], v[0:1], 1.0
	ds_write_b64 v30, v[0:1]
.LBB109_199:
	s_or_b64 exec, exec, s[2:3]
	s_waitcnt lgkmcnt(0)
	s_barrier
	ds_read_b64 v[0:1], v30
	v_cmp_lt_u32_e32 vcc, 39, v32
	s_waitcnt lgkmcnt(0)
	buffer_store_dword v0, off, s[16:19], 0 offset:296 ; 4-byte Folded Spill
	s_nop 0
	buffer_store_dword v1, off, s[16:19], 0 offset:300 ; 4-byte Folded Spill
	s_and_saveexec_b64 s[2:3], vcc
	s_cbranch_execz .LBB109_201
; %bb.200:
	buffer_load_dword v0, off, s[16:19], 0 offset:296 ; 4-byte Folded Reload
	buffer_load_dword v1, off, s[16:19], 0 offset:300 ; 4-byte Folded Reload
	ds_read2_b64 v[4:7], v31 offset0:40 offset1:41
	s_waitcnt vmcnt(0)
	v_mul_f64 v[128:129], v[0:1], v[128:129]
	ds_read_b64 v[0:1], v31 offset:432
	s_waitcnt lgkmcnt(1)
	v_fma_f64 v[180:181], -v[128:129], v[4:5], v[180:181]
	v_fma_f64 v[126:127], -v[128:129], v[6:7], v[126:127]
	ds_read2_b64 v[4:7], v31 offset0:42 offset1:43
	s_waitcnt lgkmcnt(1)
	v_fma_f64 v[220:221], -v[128:129], v[0:1], v[220:221]
	s_waitcnt lgkmcnt(0)
	v_fma_f64 v[178:179], -v[128:129], v[4:5], v[178:179]
	v_fma_f64 v[124:125], -v[128:129], v[6:7], v[124:125]
	ds_read2_b64 v[4:7], v31 offset0:44 offset1:45
	s_waitcnt lgkmcnt(0)
	v_fma_f64 v[176:177], -v[128:129], v[4:5], v[176:177]
	v_fma_f64 v[122:123], -v[128:129], v[6:7], v[122:123]
	ds_read2_b64 v[4:7], v31 offset0:46 offset1:47
	;; [unrolled: 4-line block ×5, first 2 shown]
	s_waitcnt lgkmcnt(0)
	v_fma_f64 v[168:169], -v[128:129], v[4:5], v[168:169]
	v_fma_f64 v[114:115], -v[128:129], v[6:7], v[114:115]
.LBB109_201:
	s_or_b64 exec, exec, s[2:3]
	v_cmp_eq_u32_e32 vcc, 40, v32
	s_waitcnt vmcnt(63) expcnt(7) lgkmcnt(15)
	s_barrier
	s_and_saveexec_b64 s[2:3], vcc
	s_cbranch_execz .LBB109_204
; %bb.202:
	ds_write_b64 v30, v[180:181]
	ds_write2_b64 v31, v[126:127], v[178:179] offset0:41 offset1:42
	ds_write2_b64 v31, v[124:125], v[176:177] offset0:43 offset1:44
	;; [unrolled: 1-line block ×7, first 2 shown]
	ds_read_b64 v[0:1], v30
	s_waitcnt lgkmcnt(0)
	v_cmp_neq_f64_e32 vcc, 0, v[0:1]
	s_and_b64 exec, exec, vcc
	s_cbranch_execz .LBB109_204
; %bb.203:
	v_div_scale_f64 v[4:5], s[6:7], v[0:1], v[0:1], 1.0
	v_rcp_f64_e32 v[6:7], v[4:5]
	v_div_scale_f64 v[8:9], vcc, 1.0, v[0:1], 1.0
	v_fma_f64 v[10:11], -v[4:5], v[6:7], 1.0
	v_fmac_f64_e32 v[6:7], v[6:7], v[10:11]
	v_fma_f64 v[10:11], -v[4:5], v[6:7], 1.0
	v_fmac_f64_e32 v[6:7], v[6:7], v[10:11]
	v_mul_f64 v[10:11], v[8:9], v[6:7]
	v_fma_f64 v[4:5], -v[4:5], v[10:11], v[8:9]
	v_div_fmas_f64 v[4:5], v[4:5], v[6:7], v[10:11]
	v_div_fixup_f64 v[0:1], v[4:5], v[0:1], 1.0
	ds_write_b64 v30, v[0:1]
.LBB109_204:
	s_or_b64 exec, exec, s[2:3]
	s_waitcnt lgkmcnt(0)
	s_barrier
	ds_read_b64 v[0:1], v30
	v_cmp_lt_u32_e32 vcc, 40, v32
	s_waitcnt lgkmcnt(0)
	buffer_store_dword v0, off, s[16:19], 0 offset:304 ; 4-byte Folded Spill
	s_nop 0
	buffer_store_dword v1, off, s[16:19], 0 offset:308 ; 4-byte Folded Spill
	s_and_saveexec_b64 s[2:3], vcc
	s_cbranch_execz .LBB109_206
; %bb.205:
	buffer_load_dword v0, off, s[16:19], 0 offset:304 ; 4-byte Folded Reload
	buffer_load_dword v1, off, s[16:19], 0 offset:308 ; 4-byte Folded Reload
	ds_read2_b64 v[4:7], v31 offset0:41 offset1:42
	s_waitcnt vmcnt(0)
	v_mul_f64 v[180:181], v[0:1], v[180:181]
	s_waitcnt lgkmcnt(0)
	v_fma_f64 v[126:127], -v[180:181], v[4:5], v[126:127]
	v_fma_f64 v[178:179], -v[180:181], v[6:7], v[178:179]
	ds_read2_b64 v[4:7], v31 offset0:43 offset1:44
	s_waitcnt lgkmcnt(0)
	v_fma_f64 v[124:125], -v[180:181], v[4:5], v[124:125]
	v_fma_f64 v[176:177], -v[180:181], v[6:7], v[176:177]
	ds_read2_b64 v[4:7], v31 offset0:45 offset1:46
	;; [unrolled: 4-line block ×6, first 2 shown]
	s_waitcnt lgkmcnt(0)
	v_fma_f64 v[114:115], -v[180:181], v[4:5], v[114:115]
	v_fma_f64 v[220:221], -v[180:181], v[6:7], v[220:221]
.LBB109_206:
	s_or_b64 exec, exec, s[2:3]
	v_cmp_eq_u32_e32 vcc, 41, v32
	s_waitcnt vmcnt(63) expcnt(7) lgkmcnt(15)
	s_barrier
	s_and_saveexec_b64 s[2:3], vcc
	s_cbranch_execz .LBB109_209
; %bb.207:
	v_mov_b32_e32 v4, v178
	v_mov_b32_e32 v5, v179
	;; [unrolled: 1-line block ×4, first 2 shown]
	ds_write_b64 v30, v[126:127]
	ds_write2_b64 v31, v[4:5], v[6:7] offset0:42 offset1:43
	v_mov_b32_e32 v4, v176
	v_mov_b32_e32 v5, v177
	v_mov_b32_e32 v6, v122
	v_mov_b32_e32 v7, v123
	ds_write2_b64 v31, v[4:5], v[6:7] offset0:44 offset1:45
	v_mov_b32_e32 v4, v174
	v_mov_b32_e32 v5, v175
	v_mov_b32_e32 v6, v120
	v_mov_b32_e32 v7, v121
	;; [unrolled: 5-line block ×5, first 2 shown]
	ds_write2_b64 v31, v[4:5], v[6:7] offset0:52 offset1:53
	ds_write_b64 v31, v[220:221] offset:432
	ds_read_b64 v[4:5], v30
	s_waitcnt lgkmcnt(0)
	v_cmp_neq_f64_e32 vcc, 0, v[4:5]
	s_and_b64 exec, exec, vcc
	s_cbranch_execz .LBB109_209
; %bb.208:
	v_div_scale_f64 v[6:7], s[6:7], v[4:5], v[4:5], 1.0
	v_rcp_f64_e32 v[8:9], v[6:7]
	v_div_scale_f64 v[10:11], vcc, 1.0, v[4:5], 1.0
	v_fma_f64 v[12:13], -v[6:7], v[8:9], 1.0
	v_fmac_f64_e32 v[8:9], v[8:9], v[12:13]
	v_fma_f64 v[12:13], -v[6:7], v[8:9], 1.0
	v_fmac_f64_e32 v[8:9], v[8:9], v[12:13]
	v_mul_f64 v[12:13], v[10:11], v[8:9]
	v_fma_f64 v[6:7], -v[6:7], v[12:13], v[10:11]
	v_div_fmas_f64 v[6:7], v[6:7], v[8:9], v[12:13]
	v_div_fixup_f64 v[4:5], v[6:7], v[4:5], 1.0
	ds_write_b64 v30, v[4:5]
.LBB109_209:
	s_or_b64 exec, exec, s[2:3]
	s_waitcnt lgkmcnt(0)
	s_barrier
	ds_read_b64 v[4:5], v30
	v_cmp_lt_u32_e32 vcc, 41, v32
	s_and_saveexec_b64 s[2:3], vcc
	s_cbranch_execz .LBB109_211
; %bb.210:
	ds_read2_b64 v[6:9], v31 offset0:42 offset1:43
	s_waitcnt lgkmcnt(1)
	v_mul_f64 v[126:127], v[4:5], v[126:127]
	s_waitcnt lgkmcnt(0)
	v_fma_f64 v[178:179], -v[126:127], v[6:7], v[178:179]
	v_fma_f64 v[124:125], -v[126:127], v[8:9], v[124:125]
	ds_read2_b64 v[6:9], v31 offset0:44 offset1:45
	s_waitcnt lgkmcnt(0)
	v_fma_f64 v[176:177], -v[126:127], v[6:7], v[176:177]
	v_fma_f64 v[122:123], -v[126:127], v[8:9], v[122:123]
	ds_read2_b64 v[6:9], v31 offset0:46 offset1:47
	;; [unrolled: 4-line block ×5, first 2 shown]
	s_waitcnt lgkmcnt(0)
	v_fma_f64 v[168:169], -v[126:127], v[6:7], v[168:169]
	ds_read_b64 v[6:7], v31 offset:432
	v_fma_f64 v[114:115], -v[126:127], v[8:9], v[114:115]
	s_waitcnt lgkmcnt(0)
	v_fma_f64 v[220:221], -v[126:127], v[6:7], v[220:221]
.LBB109_211:
	s_or_b64 exec, exec, s[2:3]
	v_cmp_eq_u32_e32 vcc, 42, v32
	s_waitcnt lgkmcnt(0)
	s_barrier
	s_and_saveexec_b64 s[2:3], vcc
	s_cbranch_execz .LBB109_214
; %bb.212:
	ds_write_b64 v30, v[178:179]
	ds_write2_b64 v31, v[124:125], v[176:177] offset0:43 offset1:44
	ds_write2_b64 v31, v[122:123], v[174:175] offset0:45 offset1:46
	;; [unrolled: 1-line block ×6, first 2 shown]
	ds_read_b64 v[6:7], v30
	s_waitcnt lgkmcnt(0)
	v_cmp_neq_f64_e32 vcc, 0, v[6:7]
	s_and_b64 exec, exec, vcc
	s_cbranch_execz .LBB109_214
; %bb.213:
	v_div_scale_f64 v[8:9], s[6:7], v[6:7], v[6:7], 1.0
	v_rcp_f64_e32 v[10:11], v[8:9]
	v_div_scale_f64 v[12:13], vcc, 1.0, v[6:7], 1.0
	v_fma_f64 v[14:15], -v[8:9], v[10:11], 1.0
	v_fmac_f64_e32 v[10:11], v[10:11], v[14:15]
	v_fma_f64 v[14:15], -v[8:9], v[10:11], 1.0
	v_fmac_f64_e32 v[10:11], v[10:11], v[14:15]
	v_mul_f64 v[14:15], v[12:13], v[10:11]
	v_fma_f64 v[8:9], -v[8:9], v[14:15], v[12:13]
	v_div_fmas_f64 v[8:9], v[8:9], v[10:11], v[14:15]
	v_div_fixup_f64 v[6:7], v[8:9], v[6:7], 1.0
	ds_write_b64 v30, v[6:7]
.LBB109_214:
	s_or_b64 exec, exec, s[2:3]
	s_waitcnt lgkmcnt(0)
	s_barrier
	ds_read_b64 v[6:7], v30
	v_cmp_lt_u32_e32 vcc, 42, v32
	s_and_saveexec_b64 s[2:3], vcc
	s_cbranch_execz .LBB109_216
; %bb.215:
	ds_read2_b64 v[8:11], v31 offset0:43 offset1:44
	s_waitcnt lgkmcnt(1)
	v_mul_f64 v[178:179], v[6:7], v[178:179]
	s_waitcnt lgkmcnt(0)
	v_fma_f64 v[124:125], -v[178:179], v[8:9], v[124:125]
	v_fma_f64 v[176:177], -v[178:179], v[10:11], v[176:177]
	ds_read2_b64 v[8:11], v31 offset0:45 offset1:46
	s_waitcnt lgkmcnt(0)
	v_fma_f64 v[122:123], -v[178:179], v[8:9], v[122:123]
	v_fma_f64 v[174:175], -v[178:179], v[10:11], v[174:175]
	ds_read2_b64 v[8:11], v31 offset0:47 offset1:48
	;; [unrolled: 4-line block ×5, first 2 shown]
	s_waitcnt lgkmcnt(0)
	v_fma_f64 v[114:115], -v[178:179], v[8:9], v[114:115]
	v_fma_f64 v[220:221], -v[178:179], v[10:11], v[220:221]
.LBB109_216:
	s_or_b64 exec, exec, s[2:3]
	v_cmp_eq_u32_e32 vcc, 43, v32
	s_waitcnt lgkmcnt(0)
	s_barrier
	s_and_saveexec_b64 s[2:3], vcc
	s_cbranch_execz .LBB109_219
; %bb.217:
	v_mov_b32_e32 v8, v176
	v_mov_b32_e32 v9, v177
	;; [unrolled: 1-line block ×4, first 2 shown]
	ds_write_b64 v30, v[124:125]
	ds_write2_b64 v31, v[8:9], v[10:11] offset0:44 offset1:45
	v_mov_b32_e32 v8, v174
	v_mov_b32_e32 v9, v175
	v_mov_b32_e32 v10, v120
	v_mov_b32_e32 v11, v121
	ds_write2_b64 v31, v[8:9], v[10:11] offset0:46 offset1:47
	v_mov_b32_e32 v8, v172
	v_mov_b32_e32 v9, v173
	v_mov_b32_e32 v10, v118
	v_mov_b32_e32 v11, v119
	;; [unrolled: 5-line block ×4, first 2 shown]
	ds_write2_b64 v31, v[8:9], v[10:11] offset0:52 offset1:53
	ds_write_b64 v31, v[220:221] offset:432
	ds_read_b64 v[8:9], v30
	s_waitcnt lgkmcnt(0)
	v_cmp_neq_f64_e32 vcc, 0, v[8:9]
	s_and_b64 exec, exec, vcc
	s_cbranch_execz .LBB109_219
; %bb.218:
	v_div_scale_f64 v[10:11], s[6:7], v[8:9], v[8:9], 1.0
	v_rcp_f64_e32 v[12:13], v[10:11]
	v_div_scale_f64 v[14:15], vcc, 1.0, v[8:9], 1.0
	v_fma_f64 v[16:17], -v[10:11], v[12:13], 1.0
	v_fmac_f64_e32 v[12:13], v[12:13], v[16:17]
	v_fma_f64 v[16:17], -v[10:11], v[12:13], 1.0
	v_fmac_f64_e32 v[12:13], v[12:13], v[16:17]
	v_mul_f64 v[16:17], v[14:15], v[12:13]
	v_fma_f64 v[10:11], -v[10:11], v[16:17], v[14:15]
	v_div_fmas_f64 v[10:11], v[10:11], v[12:13], v[16:17]
	v_div_fixup_f64 v[8:9], v[10:11], v[8:9], 1.0
	ds_write_b64 v30, v[8:9]
.LBB109_219:
	s_or_b64 exec, exec, s[2:3]
	s_waitcnt lgkmcnt(0)
	s_barrier
	ds_read_b64 v[8:9], v30
	v_cmp_lt_u32_e32 vcc, 43, v32
	s_and_saveexec_b64 s[2:3], vcc
	s_cbranch_execz .LBB109_221
; %bb.220:
	ds_read2_b64 v[10:13], v31 offset0:44 offset1:45
	s_waitcnt lgkmcnt(1)
	v_mul_f64 v[124:125], v[8:9], v[124:125]
	s_waitcnt lgkmcnt(0)
	v_fma_f64 v[176:177], -v[124:125], v[10:11], v[176:177]
	v_fma_f64 v[122:123], -v[124:125], v[12:13], v[122:123]
	ds_read2_b64 v[10:13], v31 offset0:46 offset1:47
	s_waitcnt lgkmcnt(0)
	v_fma_f64 v[174:175], -v[124:125], v[10:11], v[174:175]
	v_fma_f64 v[120:121], -v[124:125], v[12:13], v[120:121]
	ds_read2_b64 v[10:13], v31 offset0:48 offset1:49
	;; [unrolled: 4-line block ×4, first 2 shown]
	s_waitcnt lgkmcnt(0)
	v_fma_f64 v[168:169], -v[124:125], v[10:11], v[168:169]
	ds_read_b64 v[10:11], v31 offset:432
	v_fma_f64 v[114:115], -v[124:125], v[12:13], v[114:115]
	s_waitcnt lgkmcnt(0)
	v_fma_f64 v[220:221], -v[124:125], v[10:11], v[220:221]
.LBB109_221:
	s_or_b64 exec, exec, s[2:3]
	v_cmp_eq_u32_e32 vcc, 44, v32
	s_waitcnt lgkmcnt(0)
	s_barrier
	s_and_saveexec_b64 s[2:3], vcc
	s_cbranch_execz .LBB109_224
; %bb.222:
	ds_write_b64 v30, v[176:177]
	ds_write2_b64 v31, v[122:123], v[174:175] offset0:45 offset1:46
	ds_write2_b64 v31, v[120:121], v[172:173] offset0:47 offset1:48
	;; [unrolled: 1-line block ×5, first 2 shown]
	ds_read_b64 v[10:11], v30
	s_waitcnt lgkmcnt(0)
	v_cmp_neq_f64_e32 vcc, 0, v[10:11]
	s_and_b64 exec, exec, vcc
	s_cbranch_execz .LBB109_224
; %bb.223:
	v_div_scale_f64 v[12:13], s[6:7], v[10:11], v[10:11], 1.0
	v_rcp_f64_e32 v[14:15], v[12:13]
	v_div_scale_f64 v[16:17], vcc, 1.0, v[10:11], 1.0
	v_fma_f64 v[18:19], -v[12:13], v[14:15], 1.0
	v_fmac_f64_e32 v[14:15], v[14:15], v[18:19]
	v_fma_f64 v[18:19], -v[12:13], v[14:15], 1.0
	v_fmac_f64_e32 v[14:15], v[14:15], v[18:19]
	v_mul_f64 v[18:19], v[16:17], v[14:15]
	v_fma_f64 v[12:13], -v[12:13], v[18:19], v[16:17]
	v_div_fmas_f64 v[12:13], v[12:13], v[14:15], v[18:19]
	v_div_fixup_f64 v[10:11], v[12:13], v[10:11], 1.0
	ds_write_b64 v30, v[10:11]
.LBB109_224:
	s_or_b64 exec, exec, s[2:3]
	s_waitcnt lgkmcnt(0)
	s_barrier
	ds_read_b64 v[10:11], v30
	v_cmp_lt_u32_e32 vcc, 44, v32
	s_and_saveexec_b64 s[2:3], vcc
	s_cbranch_execz .LBB109_226
; %bb.225:
	ds_read2_b64 v[12:15], v31 offset0:45 offset1:46
	s_waitcnt lgkmcnt(1)
	v_mul_f64 v[176:177], v[10:11], v[176:177]
	s_waitcnt lgkmcnt(0)
	v_fma_f64 v[122:123], -v[176:177], v[12:13], v[122:123]
	v_fma_f64 v[174:175], -v[176:177], v[14:15], v[174:175]
	ds_read2_b64 v[12:15], v31 offset0:47 offset1:48
	s_waitcnt lgkmcnt(0)
	v_fma_f64 v[120:121], -v[176:177], v[12:13], v[120:121]
	v_fma_f64 v[172:173], -v[176:177], v[14:15], v[172:173]
	ds_read2_b64 v[12:15], v31 offset0:49 offset1:50
	;; [unrolled: 4-line block ×4, first 2 shown]
	s_waitcnt lgkmcnt(0)
	v_fma_f64 v[114:115], -v[176:177], v[12:13], v[114:115]
	v_fma_f64 v[220:221], -v[176:177], v[14:15], v[220:221]
.LBB109_226:
	s_or_b64 exec, exec, s[2:3]
	v_cmp_eq_u32_e32 vcc, 45, v32
	s_waitcnt lgkmcnt(0)
	s_barrier
	s_and_saveexec_b64 s[2:3], vcc
	s_cbranch_execz .LBB109_229
; %bb.227:
	v_mov_b32_e32 v12, v174
	v_mov_b32_e32 v13, v175
	;; [unrolled: 1-line block ×4, first 2 shown]
	ds_write_b64 v30, v[122:123]
	ds_write2_b64 v31, v[12:13], v[14:15] offset0:46 offset1:47
	v_mov_b32_e32 v12, v172
	v_mov_b32_e32 v13, v173
	v_mov_b32_e32 v14, v118
	v_mov_b32_e32 v15, v119
	ds_write2_b64 v31, v[12:13], v[14:15] offset0:48 offset1:49
	v_mov_b32_e32 v12, v170
	v_mov_b32_e32 v13, v171
	v_mov_b32_e32 v14, v116
	v_mov_b32_e32 v15, v117
	;; [unrolled: 5-line block ×3, first 2 shown]
	ds_write2_b64 v31, v[12:13], v[14:15] offset0:52 offset1:53
	ds_write_b64 v31, v[220:221] offset:432
	ds_read_b64 v[12:13], v30
	s_waitcnt lgkmcnt(0)
	v_cmp_neq_f64_e32 vcc, 0, v[12:13]
	s_and_b64 exec, exec, vcc
	s_cbranch_execz .LBB109_229
; %bb.228:
	v_div_scale_f64 v[14:15], s[6:7], v[12:13], v[12:13], 1.0
	v_rcp_f64_e32 v[16:17], v[14:15]
	v_div_scale_f64 v[18:19], vcc, 1.0, v[12:13], 1.0
	v_fma_f64 v[20:21], -v[14:15], v[16:17], 1.0
	v_fmac_f64_e32 v[16:17], v[16:17], v[20:21]
	v_fma_f64 v[20:21], -v[14:15], v[16:17], 1.0
	v_fmac_f64_e32 v[16:17], v[16:17], v[20:21]
	v_mul_f64 v[20:21], v[18:19], v[16:17]
	v_fma_f64 v[14:15], -v[14:15], v[20:21], v[18:19]
	v_div_fmas_f64 v[14:15], v[14:15], v[16:17], v[20:21]
	v_div_fixup_f64 v[12:13], v[14:15], v[12:13], 1.0
	ds_write_b64 v30, v[12:13]
.LBB109_229:
	s_or_b64 exec, exec, s[2:3]
	s_waitcnt lgkmcnt(0)
	s_barrier
	ds_read_b64 v[12:13], v30
	v_cmp_lt_u32_e32 vcc, 45, v32
	s_and_saveexec_b64 s[2:3], vcc
	s_cbranch_execz .LBB109_231
; %bb.230:
	ds_read2_b64 v[14:17], v31 offset0:46 offset1:47
	s_waitcnt lgkmcnt(1)
	v_mul_f64 v[122:123], v[12:13], v[122:123]
	s_waitcnt lgkmcnt(0)
	v_fma_f64 v[174:175], -v[122:123], v[14:15], v[174:175]
	v_fma_f64 v[120:121], -v[122:123], v[16:17], v[120:121]
	ds_read2_b64 v[14:17], v31 offset0:48 offset1:49
	s_waitcnt lgkmcnt(0)
	v_fma_f64 v[172:173], -v[122:123], v[14:15], v[172:173]
	v_fma_f64 v[118:119], -v[122:123], v[16:17], v[118:119]
	ds_read2_b64 v[14:17], v31 offset0:50 offset1:51
	;; [unrolled: 4-line block ×3, first 2 shown]
	s_waitcnt lgkmcnt(0)
	v_fma_f64 v[168:169], -v[122:123], v[14:15], v[168:169]
	ds_read_b64 v[14:15], v31 offset:432
	v_fma_f64 v[114:115], -v[122:123], v[16:17], v[114:115]
	s_waitcnt lgkmcnt(0)
	v_fma_f64 v[220:221], -v[122:123], v[14:15], v[220:221]
.LBB109_231:
	s_or_b64 exec, exec, s[2:3]
	v_cmp_eq_u32_e32 vcc, 46, v32
	s_waitcnt lgkmcnt(0)
	s_barrier
	s_and_saveexec_b64 s[2:3], vcc
	s_cbranch_execz .LBB109_234
; %bb.232:
	ds_write_b64 v30, v[174:175]
	ds_write2_b64 v31, v[120:121], v[172:173] offset0:47 offset1:48
	ds_write2_b64 v31, v[118:119], v[170:171] offset0:49 offset1:50
	;; [unrolled: 1-line block ×4, first 2 shown]
	ds_read_b64 v[14:15], v30
	s_waitcnt lgkmcnt(0)
	v_cmp_neq_f64_e32 vcc, 0, v[14:15]
	s_and_b64 exec, exec, vcc
	s_cbranch_execz .LBB109_234
; %bb.233:
	v_div_scale_f64 v[16:17], s[6:7], v[14:15], v[14:15], 1.0
	v_rcp_f64_e32 v[18:19], v[16:17]
	v_div_scale_f64 v[20:21], vcc, 1.0, v[14:15], 1.0
	v_fma_f64 v[22:23], -v[16:17], v[18:19], 1.0
	v_fmac_f64_e32 v[18:19], v[18:19], v[22:23]
	v_fma_f64 v[22:23], -v[16:17], v[18:19], 1.0
	v_fmac_f64_e32 v[18:19], v[18:19], v[22:23]
	v_mul_f64 v[22:23], v[20:21], v[18:19]
	v_fma_f64 v[16:17], -v[16:17], v[22:23], v[20:21]
	v_div_fmas_f64 v[16:17], v[16:17], v[18:19], v[22:23]
	v_div_fixup_f64 v[14:15], v[16:17], v[14:15], 1.0
	ds_write_b64 v30, v[14:15]
.LBB109_234:
	s_or_b64 exec, exec, s[2:3]
	s_waitcnt lgkmcnt(0)
	s_barrier
	ds_read_b64 v[14:15], v30
	v_cmp_lt_u32_e32 vcc, 46, v32
	s_and_saveexec_b64 s[2:3], vcc
	s_cbranch_execz .LBB109_236
; %bb.235:
	ds_read2_b64 v[16:19], v31 offset0:47 offset1:48
	s_waitcnt lgkmcnt(1)
	v_mul_f64 v[174:175], v[14:15], v[174:175]
	s_waitcnt lgkmcnt(0)
	v_fma_f64 v[120:121], -v[174:175], v[16:17], v[120:121]
	v_fma_f64 v[172:173], -v[174:175], v[18:19], v[172:173]
	ds_read2_b64 v[16:19], v31 offset0:49 offset1:50
	s_waitcnt lgkmcnt(0)
	v_fma_f64 v[118:119], -v[174:175], v[16:17], v[118:119]
	v_fma_f64 v[170:171], -v[174:175], v[18:19], v[170:171]
	ds_read2_b64 v[16:19], v31 offset0:51 offset1:52
	;; [unrolled: 4-line block ×3, first 2 shown]
	s_waitcnt lgkmcnt(0)
	v_fma_f64 v[114:115], -v[174:175], v[16:17], v[114:115]
	v_fma_f64 v[220:221], -v[174:175], v[18:19], v[220:221]
.LBB109_236:
	s_or_b64 exec, exec, s[2:3]
	v_cmp_eq_u32_e32 vcc, 47, v32
	s_waitcnt lgkmcnt(0)
	s_barrier
	s_and_saveexec_b64 s[2:3], vcc
	s_cbranch_execz .LBB109_239
; %bb.237:
	v_mov_b32_e32 v16, v172
	v_mov_b32_e32 v17, v173
	;; [unrolled: 1-line block ×4, first 2 shown]
	ds_write_b64 v30, v[120:121]
	ds_write2_b64 v31, v[16:17], v[18:19] offset0:48 offset1:49
	v_mov_b32_e32 v16, v170
	v_mov_b32_e32 v17, v171
	;; [unrolled: 1-line block ×4, first 2 shown]
	ds_write2_b64 v31, v[16:17], v[18:19] offset0:50 offset1:51
	v_mov_b32_e32 v16, v168
	v_mov_b32_e32 v17, v169
	;; [unrolled: 1-line block ×4, first 2 shown]
	ds_write2_b64 v31, v[16:17], v[18:19] offset0:52 offset1:53
	ds_write_b64 v31, v[220:221] offset:432
	ds_read_b64 v[16:17], v30
	s_waitcnt lgkmcnt(0)
	v_cmp_neq_f64_e32 vcc, 0, v[16:17]
	s_and_b64 exec, exec, vcc
	s_cbranch_execz .LBB109_239
; %bb.238:
	v_div_scale_f64 v[18:19], s[6:7], v[16:17], v[16:17], 1.0
	v_rcp_f64_e32 v[20:21], v[18:19]
	v_div_scale_f64 v[22:23], vcc, 1.0, v[16:17], 1.0
	v_fma_f64 v[24:25], -v[18:19], v[20:21], 1.0
	v_fmac_f64_e32 v[20:21], v[20:21], v[24:25]
	v_fma_f64 v[24:25], -v[18:19], v[20:21], 1.0
	v_fmac_f64_e32 v[20:21], v[20:21], v[24:25]
	v_mul_f64 v[24:25], v[22:23], v[20:21]
	v_fma_f64 v[18:19], -v[18:19], v[24:25], v[22:23]
	v_div_fmas_f64 v[18:19], v[18:19], v[20:21], v[24:25]
	v_div_fixup_f64 v[16:17], v[18:19], v[16:17], 1.0
	ds_write_b64 v30, v[16:17]
.LBB109_239:
	s_or_b64 exec, exec, s[2:3]
	s_waitcnt lgkmcnt(0)
	s_barrier
	ds_read_b64 v[16:17], v30
	v_cmp_lt_u32_e32 vcc, 47, v32
	s_and_saveexec_b64 s[2:3], vcc
	s_cbranch_execz .LBB109_241
; %bb.240:
	ds_read2_b64 v[18:21], v31 offset0:48 offset1:49
	s_waitcnt lgkmcnt(1)
	v_mul_f64 v[120:121], v[16:17], v[120:121]
	s_waitcnt lgkmcnt(0)
	v_fma_f64 v[172:173], -v[120:121], v[18:19], v[172:173]
	v_fma_f64 v[118:119], -v[120:121], v[20:21], v[118:119]
	ds_read2_b64 v[18:21], v31 offset0:50 offset1:51
	s_waitcnt lgkmcnt(0)
	v_fma_f64 v[170:171], -v[120:121], v[18:19], v[170:171]
	v_fma_f64 v[116:117], -v[120:121], v[20:21], v[116:117]
	ds_read2_b64 v[18:21], v31 offset0:52 offset1:53
	s_waitcnt lgkmcnt(0)
	v_fma_f64 v[168:169], -v[120:121], v[18:19], v[168:169]
	ds_read_b64 v[18:19], v31 offset:432
	v_fma_f64 v[114:115], -v[120:121], v[20:21], v[114:115]
	s_waitcnt lgkmcnt(0)
	v_fma_f64 v[220:221], -v[120:121], v[18:19], v[220:221]
.LBB109_241:
	s_or_b64 exec, exec, s[2:3]
	v_cmp_eq_u32_e32 vcc, 48, v32
	s_waitcnt lgkmcnt(0)
	s_barrier
	s_and_saveexec_b64 s[2:3], vcc
	s_cbranch_execz .LBB109_244
; %bb.242:
	ds_write_b64 v30, v[172:173]
	ds_write2_b64 v31, v[118:119], v[170:171] offset0:49 offset1:50
	ds_write2_b64 v31, v[116:117], v[168:169] offset0:51 offset1:52
	;; [unrolled: 1-line block ×3, first 2 shown]
	ds_read_b64 v[18:19], v30
	s_waitcnt lgkmcnt(0)
	v_cmp_neq_f64_e32 vcc, 0, v[18:19]
	s_and_b64 exec, exec, vcc
	s_cbranch_execz .LBB109_244
; %bb.243:
	v_div_scale_f64 v[20:21], s[6:7], v[18:19], v[18:19], 1.0
	v_rcp_f64_e32 v[22:23], v[20:21]
	v_div_scale_f64 v[24:25], vcc, 1.0, v[18:19], 1.0
	v_fma_f64 v[26:27], -v[20:21], v[22:23], 1.0
	v_fmac_f64_e32 v[22:23], v[22:23], v[26:27]
	v_fma_f64 v[26:27], -v[20:21], v[22:23], 1.0
	v_fmac_f64_e32 v[22:23], v[22:23], v[26:27]
	v_mul_f64 v[26:27], v[24:25], v[22:23]
	v_fma_f64 v[20:21], -v[20:21], v[26:27], v[24:25]
	v_div_fmas_f64 v[20:21], v[20:21], v[22:23], v[26:27]
	v_div_fixup_f64 v[18:19], v[20:21], v[18:19], 1.0
	ds_write_b64 v30, v[18:19]
.LBB109_244:
	s_or_b64 exec, exec, s[2:3]
	s_waitcnt lgkmcnt(0)
	s_barrier
	ds_read_b64 v[18:19], v30
	v_cmp_lt_u32_e32 vcc, 48, v32
	s_and_saveexec_b64 s[2:3], vcc
	s_cbranch_execz .LBB109_246
; %bb.245:
	ds_read2_b64 v[20:23], v31 offset0:49 offset1:50
	s_waitcnt lgkmcnt(1)
	v_mul_f64 v[172:173], v[18:19], v[172:173]
	s_waitcnt lgkmcnt(0)
	v_fma_f64 v[118:119], -v[172:173], v[20:21], v[118:119]
	v_fma_f64 v[170:171], -v[172:173], v[22:23], v[170:171]
	ds_read2_b64 v[20:23], v31 offset0:51 offset1:52
	s_waitcnt lgkmcnt(0)
	v_fma_f64 v[116:117], -v[172:173], v[20:21], v[116:117]
	v_fma_f64 v[168:169], -v[172:173], v[22:23], v[168:169]
	ds_read2_b64 v[20:23], v31 offset0:53 offset1:54
	s_waitcnt lgkmcnt(0)
	v_fma_f64 v[114:115], -v[172:173], v[20:21], v[114:115]
	v_fma_f64 v[220:221], -v[172:173], v[22:23], v[220:221]
.LBB109_246:
	s_or_b64 exec, exec, s[2:3]
	v_cmp_eq_u32_e32 vcc, 49, v32
	s_waitcnt lgkmcnt(0)
	s_barrier
	s_and_saveexec_b64 s[2:3], vcc
	s_cbranch_execz .LBB109_249
; %bb.247:
	v_mov_b32_e32 v20, v170
	v_mov_b32_e32 v21, v171
	;; [unrolled: 1-line block ×4, first 2 shown]
	ds_write_b64 v30, v[118:119]
	ds_write2_b64 v31, v[20:21], v[22:23] offset0:50 offset1:51
	v_mov_b32_e32 v20, v168
	v_mov_b32_e32 v21, v169
	;; [unrolled: 1-line block ×4, first 2 shown]
	ds_write2_b64 v31, v[20:21], v[22:23] offset0:52 offset1:53
	ds_write_b64 v31, v[220:221] offset:432
	ds_read_b64 v[20:21], v30
	s_waitcnt lgkmcnt(0)
	v_cmp_neq_f64_e32 vcc, 0, v[20:21]
	s_and_b64 exec, exec, vcc
	s_cbranch_execz .LBB109_249
; %bb.248:
	v_div_scale_f64 v[22:23], s[6:7], v[20:21], v[20:21], 1.0
	v_rcp_f64_e32 v[24:25], v[22:23]
	v_div_scale_f64 v[26:27], vcc, 1.0, v[20:21], 1.0
	v_fma_f64 v[28:29], -v[22:23], v[24:25], 1.0
	v_fmac_f64_e32 v[24:25], v[24:25], v[28:29]
	v_fma_f64 v[28:29], -v[22:23], v[24:25], 1.0
	v_fmac_f64_e32 v[24:25], v[24:25], v[28:29]
	v_mul_f64 v[28:29], v[26:27], v[24:25]
	v_fma_f64 v[22:23], -v[22:23], v[28:29], v[26:27]
	v_div_fmas_f64 v[22:23], v[22:23], v[24:25], v[28:29]
	v_div_fixup_f64 v[20:21], v[22:23], v[20:21], 1.0
	ds_write_b64 v30, v[20:21]
.LBB109_249:
	s_or_b64 exec, exec, s[2:3]
	s_waitcnt lgkmcnt(0)
	s_barrier
	ds_read_b64 v[20:21], v30
	v_cmp_lt_u32_e32 vcc, 49, v32
	s_and_saveexec_b64 s[2:3], vcc
	s_cbranch_execz .LBB109_251
; %bb.250:
	ds_read2_b64 v[22:25], v31 offset0:50 offset1:51
	s_waitcnt lgkmcnt(1)
	v_mul_f64 v[118:119], v[20:21], v[118:119]
	s_waitcnt lgkmcnt(0)
	v_fma_f64 v[170:171], -v[118:119], v[22:23], v[170:171]
	v_fma_f64 v[116:117], -v[118:119], v[24:25], v[116:117]
	ds_read2_b64 v[22:25], v31 offset0:52 offset1:53
	s_waitcnt lgkmcnt(0)
	v_fma_f64 v[168:169], -v[118:119], v[22:23], v[168:169]
	ds_read_b64 v[22:23], v31 offset:432
	v_fma_f64 v[114:115], -v[118:119], v[24:25], v[114:115]
	s_waitcnt lgkmcnt(0)
	v_fma_f64 v[220:221], -v[118:119], v[22:23], v[220:221]
.LBB109_251:
	s_or_b64 exec, exec, s[2:3]
	v_cmp_eq_u32_e32 vcc, 50, v32
	s_waitcnt lgkmcnt(0)
	s_barrier
	s_and_saveexec_b64 s[2:3], vcc
	s_cbranch_execz .LBB109_254
; %bb.252:
	ds_write_b64 v30, v[170:171]
	ds_write2_b64 v31, v[116:117], v[168:169] offset0:51 offset1:52
	ds_write2_b64 v31, v[114:115], v[220:221] offset0:53 offset1:54
	ds_read_b64 v[22:23], v30
	s_waitcnt lgkmcnt(0)
	v_cmp_neq_f64_e32 vcc, 0, v[22:23]
	s_and_b64 exec, exec, vcc
	s_cbranch_execz .LBB109_254
; %bb.253:
	v_div_scale_f64 v[24:25], s[6:7], v[22:23], v[22:23], 1.0
	v_rcp_f64_e32 v[26:27], v[24:25]
	v_div_scale_f64 v[28:29], vcc, 1.0, v[22:23], 1.0
	v_fma_f64 v[34:35], -v[24:25], v[26:27], 1.0
	v_fmac_f64_e32 v[26:27], v[26:27], v[34:35]
	v_fma_f64 v[34:35], -v[24:25], v[26:27], 1.0
	v_fmac_f64_e32 v[26:27], v[26:27], v[34:35]
	v_mul_f64 v[34:35], v[28:29], v[26:27]
	v_fma_f64 v[24:25], -v[24:25], v[34:35], v[28:29]
	v_div_fmas_f64 v[24:25], v[24:25], v[26:27], v[34:35]
	v_div_fixup_f64 v[22:23], v[24:25], v[22:23], 1.0
	ds_write_b64 v30, v[22:23]
.LBB109_254:
	s_or_b64 exec, exec, s[2:3]
	s_waitcnt lgkmcnt(0)
	s_barrier
	ds_read_b64 v[22:23], v30
	v_cmp_lt_u32_e32 vcc, 50, v32
	s_and_saveexec_b64 s[2:3], vcc
	s_cbranch_execz .LBB109_256
; %bb.255:
	ds_read2_b64 v[24:27], v31 offset0:51 offset1:52
	s_waitcnt lgkmcnt(1)
	v_mul_f64 v[170:171], v[22:23], v[170:171]
	s_waitcnt lgkmcnt(0)
	v_fma_f64 v[116:117], -v[170:171], v[24:25], v[116:117]
	v_fma_f64 v[168:169], -v[170:171], v[26:27], v[168:169]
	ds_read2_b64 v[24:27], v31 offset0:53 offset1:54
	s_waitcnt lgkmcnt(0)
	v_fma_f64 v[114:115], -v[170:171], v[24:25], v[114:115]
	v_fma_f64 v[220:221], -v[170:171], v[26:27], v[220:221]
.LBB109_256:
	s_or_b64 exec, exec, s[2:3]
	v_cmp_eq_u32_e32 vcc, 51, v32
	s_waitcnt lgkmcnt(0)
	s_barrier
	s_and_saveexec_b64 s[2:3], vcc
	s_cbranch_execz .LBB109_259
; %bb.257:
	v_mov_b32_e32 v24, v168
	v_mov_b32_e32 v25, v169
	;; [unrolled: 1-line block ×4, first 2 shown]
	ds_write_b64 v30, v[116:117]
	ds_write2_b64 v31, v[24:25], v[26:27] offset0:52 offset1:53
	ds_write_b64 v31, v[220:221] offset:432
	ds_read_b64 v[24:25], v30
	s_waitcnt lgkmcnt(0)
	v_cmp_neq_f64_e32 vcc, 0, v[24:25]
	s_and_b64 exec, exec, vcc
	s_cbranch_execz .LBB109_259
; %bb.258:
	v_div_scale_f64 v[26:27], s[6:7], v[24:25], v[24:25], 1.0
	v_rcp_f64_e32 v[28:29], v[26:27]
	v_div_scale_f64 v[34:35], vcc, 1.0, v[24:25], 1.0
	v_fma_f64 v[36:37], -v[26:27], v[28:29], 1.0
	v_fmac_f64_e32 v[28:29], v[28:29], v[36:37]
	v_fma_f64 v[36:37], -v[26:27], v[28:29], 1.0
	v_fmac_f64_e32 v[28:29], v[28:29], v[36:37]
	v_mul_f64 v[36:37], v[34:35], v[28:29]
	v_fma_f64 v[26:27], -v[26:27], v[36:37], v[34:35]
	v_div_fmas_f64 v[26:27], v[26:27], v[28:29], v[36:37]
	v_div_fixup_f64 v[24:25], v[26:27], v[24:25], 1.0
	ds_write_b64 v30, v[24:25]
.LBB109_259:
	s_or_b64 exec, exec, s[2:3]
	s_waitcnt lgkmcnt(0)
	s_barrier
	ds_read_b64 v[24:25], v30
	v_cmp_lt_u32_e32 vcc, 51, v32
	s_and_saveexec_b64 s[2:3], vcc
	s_cbranch_execz .LBB109_261
; %bb.260:
	ds_read2_b64 v[26:29], v31 offset0:52 offset1:53
	s_waitcnt lgkmcnt(1)
	v_mul_f64 v[116:117], v[24:25], v[116:117]
	s_waitcnt lgkmcnt(0)
	v_fma_f64 v[168:169], -v[116:117], v[26:27], v[168:169]
	ds_read_b64 v[26:27], v31 offset:432
	v_fma_f64 v[114:115], -v[116:117], v[28:29], v[114:115]
	s_waitcnt lgkmcnt(0)
	v_fma_f64 v[220:221], -v[116:117], v[26:27], v[220:221]
.LBB109_261:
	s_or_b64 exec, exec, s[2:3]
	v_cmp_eq_u32_e32 vcc, 52, v32
	s_waitcnt lgkmcnt(0)
	s_barrier
	s_and_saveexec_b64 s[2:3], vcc
	s_cbranch_execz .LBB109_264
; %bb.262:
	ds_write_b64 v30, v[168:169]
	ds_write2_b64 v31, v[114:115], v[220:221] offset0:53 offset1:54
	ds_read_b64 v[26:27], v30
	s_waitcnt lgkmcnt(0)
	v_cmp_neq_f64_e32 vcc, 0, v[26:27]
	s_and_b64 exec, exec, vcc
	s_cbranch_execz .LBB109_264
; %bb.263:
	v_div_scale_f64 v[28:29], s[6:7], v[26:27], v[26:27], 1.0
	v_rcp_f64_e32 v[34:35], v[28:29]
	v_pk_mov_b32 v[0:1], v[2:3], v[2:3] op_sel:[0,1]
	v_pk_mov_b32 v[2:3], v[38:39], v[38:39] op_sel:[0,1]
	v_div_scale_f64 v[36:37], vcc, 1.0, v[26:27], 1.0
	v_fma_f64 v[38:39], -v[28:29], v[34:35], 1.0
	v_fmac_f64_e32 v[34:35], v[34:35], v[38:39]
	v_fma_f64 v[38:39], -v[28:29], v[34:35], 1.0
	v_fmac_f64_e32 v[34:35], v[34:35], v[38:39]
	v_mul_f64 v[38:39], v[36:37], v[34:35]
	v_fma_f64 v[28:29], -v[28:29], v[38:39], v[36:37]
	v_div_fmas_f64 v[28:29], v[28:29], v[34:35], v[38:39]
	v_pk_mov_b32 v[38:39], v[2:3], v[2:3] op_sel:[0,1]
	v_pk_mov_b32 v[2:3], v[0:1], v[0:1] op_sel:[0,1]
	v_div_fixup_f64 v[26:27], v[28:29], v[26:27], 1.0
	ds_write_b64 v30, v[26:27]
.LBB109_264:
	s_or_b64 exec, exec, s[2:3]
	s_waitcnt lgkmcnt(0)
	s_barrier
	ds_read_b64 v[26:27], v30
	v_cmp_lt_u32_e32 vcc, 52, v32
	s_and_saveexec_b64 s[2:3], vcc
	s_cbranch_execz .LBB109_266
; %bb.265:
	ds_read2_b64 v[34:37], v31 offset0:53 offset1:54
	s_waitcnt lgkmcnt(1)
	v_mul_f64 v[168:169], v[26:27], v[168:169]
	s_waitcnt lgkmcnt(0)
	v_fma_f64 v[114:115], -v[168:169], v[34:35], v[114:115]
	v_fma_f64 v[220:221], -v[168:169], v[36:37], v[220:221]
.LBB109_266:
	s_or_b64 exec, exec, s[2:3]
	v_cmp_eq_u32_e32 vcc, 53, v32
	s_waitcnt lgkmcnt(0)
	s_barrier
	s_and_saveexec_b64 s[2:3], vcc
	s_cbranch_execz .LBB109_269
; %bb.267:
	ds_write_b64 v30, v[114:115]
	ds_write_b64 v31, v[220:221] offset:432
	ds_read_b64 v[28:29], v30
	s_waitcnt lgkmcnt(0)
	v_cmp_neq_f64_e32 vcc, 0, v[28:29]
	s_and_b64 exec, exec, vcc
	s_cbranch_execz .LBB109_269
; %bb.268:
	v_div_scale_f64 v[34:35], s[6:7], v[28:29], v[28:29], 1.0
	v_rcp_f64_e32 v[36:37], v[34:35]
	buffer_store_dword v30, off, s[16:19], 0 offset:336 ; 4-byte Folded Spill
	v_mov_b32_e32 v30, v32
	v_pk_mov_b32 v[32:33], v[148:149], v[148:149] op_sel:[0,1]
	v_pk_mov_b32 v[148:149], v[202:203], v[202:203] op_sel:[0,1]
	;; [unrolled: 1-line block ×75, first 2 shown]
	v_fma_f64 v[40:41], -v[34:35], v[36:37], 1.0
	v_fmac_f64_e32 v[36:37], v[36:37], v[40:41]
	v_fma_f64 v[40:41], -v[34:35], v[36:37], 1.0
	v_pk_mov_b32 v[0:1], v[230:231], v[230:231] op_sel:[0,1]
	v_pk_mov_b32 v[230:231], v[228:229], v[228:229] op_sel:[0,1]
	;; [unrolled: 1-line block ×6, first 2 shown]
	v_div_scale_f64 v[38:39], vcc, 1.0, v[28:29], 1.0
	v_fmac_f64_e32 v[36:37], v[36:37], v[40:41]
	v_mul_f64 v[40:41], v[38:39], v[36:37]
	v_fma_f64 v[34:35], -v[34:35], v[40:41], v[38:39]
	s_nop 0
	v_div_fmas_f64 v[34:35], v[34:35], v[36:37], v[40:41]
	v_pk_mov_b32 v[40:41], v[44:45], v[44:45] op_sel:[0,1]
	v_pk_mov_b32 v[44:45], v[46:47], v[46:47] op_sel:[0,1]
	;; [unrolled: 1-line block ×75, first 2 shown]
	v_mov_b32_e32 v32, v30
	buffer_load_dword v30, off, s[16:19], 0 offset:336 ; 4-byte Folded Reload
	v_pk_mov_b32 v[38:39], v[222:223], v[222:223] op_sel:[0,1]
	v_pk_mov_b32 v[222:223], v[224:225], v[224:225] op_sel:[0,1]
	;; [unrolled: 1-line block ×6, first 2 shown]
	v_div_fixup_f64 v[28:29], v[34:35], v[28:29], 1.0
	s_waitcnt vmcnt(0)
	ds_write_b64 v30, v[28:29]
.LBB109_269:
	s_or_b64 exec, exec, s[2:3]
	s_waitcnt lgkmcnt(0)
	s_barrier
	ds_read_b64 v[28:29], v30
	v_cmp_lt_u32_e32 vcc, 53, v32
	s_and_saveexec_b64 s[2:3], vcc
	s_cbranch_execz .LBB109_271
; %bb.270:
	ds_read_b64 v[34:35], v31 offset:432
	s_waitcnt lgkmcnt(1)
	v_mul_f64 v[114:115], v[28:29], v[114:115]
	s_waitcnt lgkmcnt(0)
	v_fma_f64 v[220:221], -v[114:115], v[34:35], v[220:221]
.LBB109_271:
	s_or_b64 exec, exec, s[2:3]
	v_cmp_eq_u32_e32 vcc, 54, v32
	s_waitcnt lgkmcnt(0)
	s_barrier
	s_and_saveexec_b64 s[2:3], vcc
	s_cbranch_execz .LBB109_274
; %bb.272:
	v_cmp_neq_f64_e32 vcc, 0, v[220:221]
	ds_write_b64 v30, v[220:221]
	s_and_b64 exec, exec, vcc
	s_cbranch_execz .LBB109_274
; %bb.273:
	v_div_scale_f64 v[34:35], s[6:7], v[220:221], v[220:221], 1.0
	v_rcp_f64_e32 v[36:37], v[34:35]
	v_mov_b32_e32 v31, v32
	v_pk_mov_b32 v[32:33], v[148:149], v[148:149] op_sel:[0,1]
	v_pk_mov_b32 v[148:149], v[202:203], v[202:203] op_sel:[0,1]
	;; [unrolled: 1-line block ×76, first 2 shown]
	v_fma_f64 v[40:41], -v[34:35], v[36:37], 1.0
	v_fmac_f64_e32 v[36:37], v[36:37], v[40:41]
	v_fma_f64 v[40:41], -v[34:35], v[36:37], 1.0
	v_pk_mov_b32 v[0:1], v[230:231], v[230:231] op_sel:[0,1]
	v_pk_mov_b32 v[230:231], v[228:229], v[228:229] op_sel:[0,1]
	;; [unrolled: 1-line block ×6, first 2 shown]
	v_div_scale_f64 v[38:39], vcc, 1.0, v[220:221], 1.0
	v_fmac_f64_e32 v[36:37], v[36:37], v[40:41]
	v_mul_f64 v[40:41], v[38:39], v[36:37]
	v_fma_f64 v[34:35], -v[34:35], v[40:41], v[38:39]
	s_nop 0
	v_div_fmas_f64 v[34:35], v[34:35], v[36:37], v[40:41]
	v_pk_mov_b32 v[38:39], v[222:223], v[222:223] op_sel:[0,1]
	v_pk_mov_b32 v[222:223], v[224:225], v[224:225] op_sel:[0,1]
	;; [unrolled: 1-line block ×82, first 2 shown]
	v_mov_b32_e32 v32, v31
	v_div_fixup_f64 v[34:35], v[34:35], v[220:221], 1.0
	ds_write_b64 v30, v[34:35]
.LBB109_274:
	s_or_b64 exec, exec, s[2:3]
	s_waitcnt lgkmcnt(0)
	s_barrier
	ds_read_b64 v[30:31], v30
	s_waitcnt lgkmcnt(0)
	s_barrier
	s_and_saveexec_b64 s[2:3], s[0:1]
	s_cbranch_execz .LBB109_277
; %bb.275:
	buffer_load_dword v0, off, s[16:19], 0 offset:16 ; 4-byte Folded Reload
	buffer_load_dword v1, off, s[16:19], 0 offset:20 ; 4-byte Folded Reload
	s_load_dwordx2 s[4:5], s[4:5], 0x28
	s_waitcnt lgkmcnt(0)
	v_mov_b32_e32 v34, s5
	s_waitcnt vmcnt(0)
	v_cmp_eq_f64_e32 vcc, 0, v[0:1]
	buffer_load_dword v0, off, s[16:19], 0 offset:24 ; 4-byte Folded Reload
	buffer_load_dword v1, off, s[16:19], 0 offset:28 ; 4-byte Folded Reload
	v_cndmask_b32_e64 v33, 0, 1, vcc
	s_waitcnt vmcnt(0)
	v_cmp_neq_f64_e64 s[0:1], 0, v[0:1]
	buffer_load_dword v0, off, s[16:19], 0 offset:32 ; 4-byte Folded Reload
	buffer_load_dword v1, off, s[16:19], 0 offset:36 ; 4-byte Folded Reload
	s_or_b64 vcc, s[0:1], vcc
	v_cndmask_b32_e32 v33, 2, v33, vcc
	v_cmp_eq_u32_e64 s[0:1], 0, v33
	s_waitcnt vmcnt(0)
	v_cmp_eq_f64_e32 vcc, 0, v[0:1]
	buffer_load_dword v0, off, s[16:19], 0 offset:40 ; 4-byte Folded Reload
	buffer_load_dword v1, off, s[16:19], 0 offset:44 ; 4-byte Folded Reload
	s_and_b64 s[0:1], vcc, s[0:1]
	v_cndmask_b32_e64 v33, v33, 3, s[0:1]
	v_cmp_eq_u32_e64 s[0:1], 0, v33
	s_waitcnt vmcnt(0)
	v_cmp_eq_f64_e32 vcc, 0, v[0:1]
	buffer_load_dword v0, off, s[16:19], 0 offset:48 ; 4-byte Folded Reload
	buffer_load_dword v1, off, s[16:19], 0 offset:52 ; 4-byte Folded Reload
	s_and_b64 s[0:1], vcc, s[0:1]
	v_cndmask_b32_e64 v33, v33, 4, s[0:1]
	;; [unrolled: 7-line block ×32, first 2 shown]
	v_cmp_eq_u32_e64 s[0:1], 0, v33
	s_waitcnt vmcnt(0)
	v_cmp_eq_f64_e32 vcc, 0, v[0:1]
	s_and_b64 s[0:1], vcc, s[0:1]
	v_cmp_eq_f64_e32 vcc, 0, v[2:3]
	v_lshlrev_b64 v[2:3], 2, v[40:41]
	v_cndmask_b32_e64 v33, v33, 35, s[0:1]
	v_add_co_u32_e64 v2, s[0:1], s4, v2
	v_addc_co_u32_e64 v3, s[0:1], v34, v3, s[0:1]
	global_load_dword v34, v[2:3], off
	buffer_load_dword v0, off, s[16:19], 0 offset:320 ; 4-byte Folded Reload
	buffer_load_dword v1, off, s[16:19], 0 offset:324 ; 4-byte Folded Reload
	v_cmp_eq_u32_e64 s[0:1], 0, v33
	s_and_b64 s[0:1], vcc, s[0:1]
	v_cndmask_b32_e64 v33, v33, 36, s[0:1]
	v_cmp_eq_u32_e64 s[0:1], 0, v33
	s_waitcnt vmcnt(0)
	v_cmp_eq_f64_e32 vcc, 0, v[0:1]
	buffer_load_dword v0, off, s[16:19], 0 offset:288 ; 4-byte Folded Reload
	buffer_load_dword v1, off, s[16:19], 0 offset:292 ; 4-byte Folded Reload
	s_and_b64 s[0:1], vcc, s[0:1]
	v_cndmask_b32_e64 v33, v33, 37, s[0:1]
	v_cmp_eq_u32_e64 s[0:1], 0, v33
	s_waitcnt vmcnt(0)
	v_cmp_eq_f64_e32 vcc, 0, v[0:1]
	buffer_load_dword v0, off, s[16:19], 0 offset:328 ; 4-byte Folded Reload
	buffer_load_dword v1, off, s[16:19], 0 offset:332 ; 4-byte Folded Reload
	;; [unrolled: 7-line block ×4, first 2 shown]
	s_and_b64 s[0:1], vcc, s[0:1]
	v_cndmask_b32_e64 v33, v33, 40, s[0:1]
	v_cmp_eq_u32_e64 s[0:1], 0, v33
	s_waitcnt vmcnt(0)
	v_cmp_eq_f64_e32 vcc, 0, v[0:1]
	s_and_b64 s[0:1], vcc, s[0:1]
	v_cndmask_b32_e64 v0, v33, 41, s[0:1]
	v_cmp_eq_f64_e32 vcc, 0, v[4:5]
	v_cmp_eq_u32_e64 s[0:1], 0, v0
	s_and_b64 s[0:1], vcc, s[0:1]
	v_cndmask_b32_e64 v0, v0, 42, s[0:1]
	v_cmp_eq_f64_e32 vcc, 0, v[6:7]
	v_cmp_eq_u32_e64 s[0:1], 0, v0
	s_and_b64 s[0:1], vcc, s[0:1]
	v_cndmask_b32_e64 v0, v0, 43, s[0:1]
	v_cmp_eq_f64_e32 vcc, 0, v[8:9]
	v_cmp_eq_u32_e64 s[0:1], 0, v0
	s_and_b64 s[0:1], vcc, s[0:1]
	v_cndmask_b32_e64 v0, v0, 44, s[0:1]
	v_cmp_eq_f64_e32 vcc, 0, v[10:11]
	v_cmp_eq_u32_e64 s[0:1], 0, v0
	s_and_b64 s[0:1], vcc, s[0:1]
	v_cndmask_b32_e64 v0, v0, 45, s[0:1]
	v_cmp_eq_f64_e32 vcc, 0, v[12:13]
	v_cmp_eq_u32_e64 s[0:1], 0, v0
	s_and_b64 s[0:1], vcc, s[0:1]
	v_cndmask_b32_e64 v0, v0, 46, s[0:1]
	v_cmp_eq_f64_e32 vcc, 0, v[14:15]
	v_cmp_eq_u32_e64 s[0:1], 0, v0
	s_and_b64 s[0:1], vcc, s[0:1]
	v_cndmask_b32_e64 v0, v0, 47, s[0:1]
	v_cmp_eq_f64_e32 vcc, 0, v[16:17]
	v_cmp_eq_u32_e64 s[0:1], 0, v0
	s_and_b64 s[0:1], vcc, s[0:1]
	v_cndmask_b32_e64 v0, v0, 48, s[0:1]
	v_cmp_eq_f64_e32 vcc, 0, v[18:19]
	v_cmp_eq_u32_e64 s[0:1], 0, v0
	s_and_b64 s[0:1], vcc, s[0:1]
	v_cndmask_b32_e64 v0, v0, 49, s[0:1]
	v_cmp_eq_f64_e32 vcc, 0, v[20:21]
	v_cmp_eq_u32_e64 s[0:1], 0, v0
	s_and_b64 s[0:1], vcc, s[0:1]
	v_cndmask_b32_e64 v0, v0, 50, s[0:1]
	v_cmp_eq_f64_e32 vcc, 0, v[22:23]
	v_cmp_eq_u32_e64 s[0:1], 0, v0
	s_and_b64 s[0:1], vcc, s[0:1]
	v_cndmask_b32_e64 v0, v0, 51, s[0:1]
	v_cmp_eq_f64_e32 vcc, 0, v[24:25]
	v_cmp_eq_u32_e64 s[0:1], 0, v0
	s_and_b64 s[0:1], vcc, s[0:1]
	v_cndmask_b32_e64 v0, v0, 52, s[0:1]
	v_cmp_eq_f64_e32 vcc, 0, v[26:27]
	v_cmp_eq_u32_e64 s[0:1], 0, v0
	s_and_b64 s[0:1], vcc, s[0:1]
	v_cndmask_b32_e64 v0, v0, 53, s[0:1]
	v_cmp_eq_f64_e32 vcc, 0, v[28:29]
	v_cmp_eq_u32_e64 s[0:1], 0, v0
	s_and_b64 s[0:1], vcc, s[0:1]
	v_cndmask_b32_e64 v0, v0, 54, s[0:1]
	v_cmp_eq_f64_e32 vcc, 0, v[30:31]
	v_cmp_eq_u32_e64 s[0:1], 0, v0
	s_and_b64 s[0:1], vcc, s[0:1]
	v_cndmask_b32_e64 v0, v0, 55, s[0:1]
	v_cmp_eq_u32_e32 vcc, 0, v34
	v_cmp_ne_u32_e64 s[0:1], 0, v0
	s_and_b64 s[0:1], vcc, s[0:1]
	s_and_b64 exec, exec, s[0:1]
	s_cbranch_execz .LBB109_277
; %bb.276:
	v_add_u32_e32 v0, s9, v0
	global_store_dword v[2:3], v0, off
.LBB109_277:
	s_or_b64 exec, exec, s[2:3]
	buffer_load_dword v2, off, s[16:19], 0  ; 4-byte Folded Reload
	buffer_load_dword v3, off, s[16:19], 0 offset:4 ; 4-byte Folded Reload
	v_mul_f64 v[0:1], v[30:31], v[220:221]
	v_cmp_lt_u32_e32 vcc, 54, v32
	v_cndmask_b32_e32 v1, v221, v1, vcc
	v_cndmask_b32_e32 v0, v220, v0, vcc
	s_waitcnt vmcnt(0)
	global_store_dwordx2 v[2:3], v[112:113], off
	buffer_load_dword v2, off, s[16:19], 0 offset:8 ; 4-byte Folded Reload
	s_nop 0
	buffer_load_dword v3, off, s[16:19], 0 offset:12 ; 4-byte Folded Reload
	s_waitcnt vmcnt(0)
	global_store_dwordx2 v[2:3], v[166:167], off
	global_store_dwordx2 v[42:43], v[218:219], off
	;; [unrolled: 1-line block ×54, first 2 shown]
.LBB109_278:
	s_endpgm
	.section	.rodata,"a",@progbits
	.p2align	6, 0x0
	.amdhsa_kernel _ZN9rocsolver6v33100L23getf2_npvt_small_kernelILi55EdiiPKPdEEvT1_T3_lS5_lPT2_S5_S5_
		.amdhsa_group_segment_fixed_size 0
		.amdhsa_private_segment_fixed_size 344
		.amdhsa_kernarg_size 312
		.amdhsa_user_sgpr_count 6
		.amdhsa_user_sgpr_private_segment_buffer 1
		.amdhsa_user_sgpr_dispatch_ptr 0
		.amdhsa_user_sgpr_queue_ptr 0
		.amdhsa_user_sgpr_kernarg_segment_ptr 1
		.amdhsa_user_sgpr_dispatch_id 0
		.amdhsa_user_sgpr_flat_scratch_init 0
		.amdhsa_user_sgpr_kernarg_preload_length 0
		.amdhsa_user_sgpr_kernarg_preload_offset 0
		.amdhsa_user_sgpr_private_segment_size 0
		.amdhsa_uses_dynamic_stack 0
		.amdhsa_system_sgpr_private_segment_wavefront_offset 1
		.amdhsa_system_sgpr_workgroup_id_x 1
		.amdhsa_system_sgpr_workgroup_id_y 1
		.amdhsa_system_sgpr_workgroup_id_z 0
		.amdhsa_system_sgpr_workgroup_info 0
		.amdhsa_system_vgpr_workitem_id 1
		.amdhsa_next_free_vgpr 256
		.amdhsa_next_free_sgpr 20
		.amdhsa_accum_offset 256
		.amdhsa_reserve_vcc 1
		.amdhsa_reserve_flat_scratch 0
		.amdhsa_float_round_mode_32 0
		.amdhsa_float_round_mode_16_64 0
		.amdhsa_float_denorm_mode_32 3
		.amdhsa_float_denorm_mode_16_64 3
		.amdhsa_dx10_clamp 1
		.amdhsa_ieee_mode 1
		.amdhsa_fp16_overflow 0
		.amdhsa_tg_split 0
		.amdhsa_exception_fp_ieee_invalid_op 0
		.amdhsa_exception_fp_denorm_src 0
		.amdhsa_exception_fp_ieee_div_zero 0
		.amdhsa_exception_fp_ieee_overflow 0
		.amdhsa_exception_fp_ieee_underflow 0
		.amdhsa_exception_fp_ieee_inexact 0
		.amdhsa_exception_int_div_zero 0
	.end_amdhsa_kernel
	.section	.text._ZN9rocsolver6v33100L23getf2_npvt_small_kernelILi55EdiiPKPdEEvT1_T3_lS5_lPT2_S5_S5_,"axG",@progbits,_ZN9rocsolver6v33100L23getf2_npvt_small_kernelILi55EdiiPKPdEEvT1_T3_lS5_lPT2_S5_S5_,comdat
.Lfunc_end109:
	.size	_ZN9rocsolver6v33100L23getf2_npvt_small_kernelILi55EdiiPKPdEEvT1_T3_lS5_lPT2_S5_S5_, .Lfunc_end109-_ZN9rocsolver6v33100L23getf2_npvt_small_kernelILi55EdiiPKPdEEvT1_T3_lS5_lPT2_S5_S5_
                                        ; -- End function
	.section	.AMDGPU.csdata,"",@progbits
; Kernel info:
; codeLenInByte = 54556
; NumSgprs: 24
; NumVgprs: 256
; NumAgprs: 0
; TotalNumVgprs: 256
; ScratchSize: 344
; MemoryBound: 0
; FloatMode: 240
; IeeeMode: 1
; LDSByteSize: 0 bytes/workgroup (compile time only)
; SGPRBlocks: 2
; VGPRBlocks: 31
; NumSGPRsForWavesPerEU: 24
; NumVGPRsForWavesPerEU: 256
; AccumOffset: 256
; Occupancy: 2
; WaveLimiterHint : 1
; COMPUTE_PGM_RSRC2:SCRATCH_EN: 1
; COMPUTE_PGM_RSRC2:USER_SGPR: 6
; COMPUTE_PGM_RSRC2:TRAP_HANDLER: 0
; COMPUTE_PGM_RSRC2:TGID_X_EN: 1
; COMPUTE_PGM_RSRC2:TGID_Y_EN: 1
; COMPUTE_PGM_RSRC2:TGID_Z_EN: 0
; COMPUTE_PGM_RSRC2:TIDIG_COMP_CNT: 1
; COMPUTE_PGM_RSRC3_GFX90A:ACCUM_OFFSET: 63
; COMPUTE_PGM_RSRC3_GFX90A:TG_SPLIT: 0
	.section	.text._ZN9rocsolver6v33100L18getf2_small_kernelILi56EdiiPKPdEEvT1_T3_lS5_lPS5_llPT2_S5_S5_S7_l,"axG",@progbits,_ZN9rocsolver6v33100L18getf2_small_kernelILi56EdiiPKPdEEvT1_T3_lS5_lPS5_llPT2_S5_S5_S7_l,comdat
	.globl	_ZN9rocsolver6v33100L18getf2_small_kernelILi56EdiiPKPdEEvT1_T3_lS5_lPS5_llPT2_S5_S5_S7_l ; -- Begin function _ZN9rocsolver6v33100L18getf2_small_kernelILi56EdiiPKPdEEvT1_T3_lS5_lPS5_llPT2_S5_S5_S7_l
	.p2align	8
	.type	_ZN9rocsolver6v33100L18getf2_small_kernelILi56EdiiPKPdEEvT1_T3_lS5_lPS5_llPT2_S5_S5_S7_l,@function
_ZN9rocsolver6v33100L18getf2_small_kernelILi56EdiiPKPdEEvT1_T3_lS5_lPS5_llPT2_S5_S5_S7_l: ; @_ZN9rocsolver6v33100L18getf2_small_kernelILi56EdiiPKPdEEvT1_T3_lS5_lPS5_llPT2_S5_S5_S7_l
; %bb.0:
	s_load_dword s0, s[4:5], 0x6c
	s_load_dwordx2 s[12:13], s[4:5], 0x48
	v_bfe_u32 v116, v0, 10, 10
	s_waitcnt lgkmcnt(0)
	s_lshr_b32 s0, s0, 16
	s_mul_i32 s7, s7, s0
	v_add_u32_e32 v2, s7, v116
	v_cmp_gt_i32_e32 vcc, s12, v2
	s_and_saveexec_b64 s[0:1], vcc
	s_cbranch_execz .LBB110_949
; %bb.1:
	s_load_dwordx4 s[0:3], s[4:5], 0x8
	s_load_dwordx4 s[8:11], s[4:5], 0x50
	v_ashrrev_i32_e32 v3, 31, v2
	v_lshlrev_b64 v[4:5], 3, v[2:3]
	s_waitcnt lgkmcnt(0)
	v_mov_b32_e32 v1, s1
	v_add_co_u32_e32 v4, vcc, s0, v4
	v_addc_co_u32_e32 v5, vcc, v1, v5, vcc
	global_load_dwordx2 v[6:7], v[4:5], off
	s_cmp_eq_u64 s[8:9], 0
	s_cselect_b64 s[6:7], -1, 0
	s_and_b64 vcc, exec, s[6:7]
	v_pk_mov_b32 v[4:5], 0, 0
	s_cbranch_vccnz .LBB110_3
; %bb.2:
	v_mul_lo_u32 v1, v3, s10
	v_mul_lo_u32 v8, v2, s11
	v_mad_u64_u32 v[4:5], s[0:1], v2, s10, 0
	v_add3_u32 v5, v5, v8, v1
	v_lshlrev_b64 v[4:5], 2, v[4:5]
	v_mov_b32_e32 v1, s9
	v_add_co_u32_e32 v4, vcc, s8, v4
	v_addc_co_u32_e32 v5, vcc, v1, v5, vcc
.LBB110_3:
	s_load_dword s8, s[4:5], 0x18
	s_load_dword s18, s[4:5], 0x0
	s_lshl_b64 s[0:1], s[2:3], 3
	v_and_b32_e32 v124, 0x3ff, v0
	v_mov_b32_e32 v1, s1
	s_waitcnt lgkmcnt(0)
	s_add_i32 s12, s8, s8
	s_waitcnt vmcnt(0)
	v_add_co_u32_e32 v122, vcc, s0, v6
	v_add_u32_e32 v0, s12, v124
	v_addc_co_u32_e32 v123, vcc, v7, v1, vcc
	v_ashrrev_i32_e32 v1, 31, v0
	v_lshlrev_b64 v[6:7], 3, v[0:1]
	v_add_co_u32_e32 v8, vcc, v122, v6
	v_add_u32_e32 v6, s8, v0
	v_addc_co_u32_e32 v9, vcc, v123, v7, vcc
	v_ashrrev_i32_e32 v7, 31, v6
	v_lshlrev_b64 v[0:1], 3, v[6:7]
	v_add_u32_e32 v10, s8, v6
	v_add_co_u32_e32 v0, vcc, v122, v0
	v_ashrrev_i32_e32 v11, 31, v10
	v_addc_co_u32_e32 v1, vcc, v123, v1, vcc
	v_lshlrev_b64 v[6:7], 3, v[10:11]
	v_add_u32_e32 v12, s8, v10
	v_add_co_u32_e32 v6, vcc, v122, v6
	v_ashrrev_i32_e32 v13, 31, v12
	v_addc_co_u32_e32 v7, vcc, v123, v7, vcc
	;; [unrolled: 5-line block ×52, first 2 shown]
	v_lshlrev_b64 v[28:29], 3, v[28:29]
	v_add_co_u32_e32 v176, vcc, v122, v28
	v_addc_co_u32_e32 v177, vcc, v123, v29, vcc
	v_lshlrev_b32_e32 v117, 3, v124
	v_add_co_u32_e32 v28, vcc, v122, v117
	s_ashr_i32 s9, s8, 31
	v_addc_co_u32_e32 v29, vcc, 0, v123, vcc
	s_lshl_b64 s[10:11], s[8:9], 3
	v_mov_b32_e32 v57, s11
	v_add_co_u32_e32 v56, vcc, s10, v28
	v_addc_co_u32_e32 v57, vcc, v29, v57, vcc
	s_max_i32 s0, s18, 56
	global_load_dwordx2 v[112:113], v[28:29], off
	global_load_dwordx2 v[110:111], v[56:57], off
	;; [unrolled: 1-line block ×3, first 2 shown]
                                        ; kill: killed $vgpr28 killed $vgpr29
                                        ; kill: killed $vgpr8 killed $vgpr9
                                        ; kill: killed $vgpr56 killed $vgpr57
	global_load_dwordx2 v[106:107], v[0:1], off
	global_load_dwordx2 v[104:105], v[6:7], off
	;; [unrolled: 1-line block ×3, first 2 shown]
                                        ; kill: killed $vgpr0 killed $vgpr1
                                        ; kill: killed $vgpr10 killed $vgpr11
                                        ; kill: killed $vgpr6 killed $vgpr7
	global_load_dwordx2 v[100:101], v[12:13], off
	global_load_dwordx2 v[98:99], v[14:15], off
	;; [unrolled: 1-line block ×3, first 2 shown]
                                        ; kill: killed $vgpr12 killed $vgpr13
                                        ; kill: killed $vgpr18 killed $vgpr19
                                        ; kill: killed $vgpr14 killed $vgpr15
	global_load_dwordx2 v[94:95], v[16:17], off
	global_load_dwordx2 v[92:93], v[20:21], off
	;; [unrolled: 1-line block ×3, first 2 shown]
                                        ; kill: killed $vgpr20 killed $vgpr21
                                        ; kill: killed $vgpr16 killed $vgpr17
                                        ; kill: killed $vgpr22 killed $vgpr23
	global_load_dwordx2 v[88:89], v[24:25], off
	global_load_dwordx2 v[86:87], v[26:27], off
	;; [unrolled: 1-line block ×3, first 2 shown]
                                        ; kill: killed $vgpr24 killed $vgpr25
                                        ; kill: killed $vgpr30 killed $vgpr31
                                        ; kill: killed $vgpr26 killed $vgpr27
	global_load_dwordx2 v[82:83], v[32:33], off
	global_load_dwordx2 v[80:81], v[34:35], off
	;; [unrolled: 1-line block ×3, first 2 shown]
                                        ; kill: killed $vgpr34 killed $vgpr35
                                        ; kill: killed $vgpr32 killed $vgpr33
                                        ; kill: killed $vgpr36 killed $vgpr37
	global_load_dwordx2 v[76:77], v[38:39], off
	global_load_dwordx2 v[74:75], v[40:41], off
	;; [unrolled: 1-line block ×3, first 2 shown]
                                        ; kill: killed $vgpr38 killed $vgpr39
                                        ; kill: killed $vgpr42 killed $vgpr43
                                        ; kill: killed $vgpr40 killed $vgpr41
	global_load_dwordx2 v[70:71], v[44:45], off
	global_load_dwordx2 v[68:69], v[46:47], off
	global_load_dwordx2 v[66:67], v[48:49], off
                                        ; kill: killed $vgpr44 killed $vgpr45
                                        ; kill: killed $vgpr48 killed $vgpr49
                                        ; kill: killed $vgpr46 killed $vgpr47
	global_load_dwordx2 v[64:65], v[50:51], off
	global_load_dwordx2 v[62:63], v[52:53], off
	;; [unrolled: 1-line block ×3, first 2 shown]
                                        ; kill: killed $vgpr52 killed $vgpr53
                                        ; kill: killed $vgpr50 killed $vgpr51
                                        ; kill: killed $vgpr54 killed $vgpr55
	global_load_dwordx2 v[58:59], v[114:115], off
	global_load_dwordx2 v[56:57], v[118:119], off
	s_nop 0
	global_load_dwordx2 v[54:55], v[120:121], off
                                        ; kill: killed $vgpr114 killed $vgpr115
                                        ; kill: killed $vgpr120 killed $vgpr121
                                        ; kill: killed $vgpr118 killed $vgpr119
	global_load_dwordx2 v[52:53], v[126:127], off
	global_load_dwordx2 v[50:51], v[128:129], off
	;; [unrolled: 1-line block ×3, first 2 shown]
                                        ; kill: killed $vgpr128 killed $vgpr129
                                        ; kill: killed $vgpr126 killed $vgpr127
                                        ; kill: killed $vgpr130 killed $vgpr131
	global_load_dwordx2 v[46:47], v[132:133], off
	global_load_dwordx2 v[44:45], v[134:135], off
	global_load_dwordx2 v[42:43], v[136:137], off
                                        ; kill: killed $vgpr132 killed $vgpr133
                                        ; kill: killed $vgpr136 killed $vgpr137
                                        ; kill: killed $vgpr134 killed $vgpr135
	global_load_dwordx2 v[40:41], v[138:139], off
	global_load_dwordx2 v[38:39], v[140:141], off
	;; [unrolled: 1-line block ×3, first 2 shown]
                                        ; kill: killed $vgpr142 killed $vgpr143
                                        ; kill: killed $vgpr140 killed $vgpr141
                                        ; kill: killed $vgpr138 killed $vgpr139
	global_load_dwordx2 v[34:35], v[144:145], off
	global_load_dwordx2 v[32:33], v[146:147], off
	global_load_dwordx2 v[30:31], v[148:149], off
                                        ; kill: killed $vgpr146 killed $vgpr147
                                        ; kill: killed $vgpr144 killed $vgpr145
                                        ; kill: killed $vgpr148 killed $vgpr149
	global_load_dwordx2 v[28:29], v[150:151], off
	global_load_dwordx2 v[26:27], v[152:153], off
	;; [unrolled: 1-line block ×3, first 2 shown]
                                        ; kill: killed $vgpr150 killed $vgpr151
                                        ; kill: killed $vgpr154 killed $vgpr155
                                        ; kill: killed $vgpr152 killed $vgpr153
	global_load_dwordx2 v[22:23], v[156:157], off
	global_load_dwordx2 v[20:21], v[158:159], off
	;; [unrolled: 1-line block ×3, first 2 shown]
                                        ; kill: killed $vgpr158 killed $vgpr159
                                        ; kill: killed $vgpr156 killed $vgpr157
                                        ; kill: killed $vgpr160 killed $vgpr161
	global_load_dwordx2 v[16:17], v[162:163], off
	global_load_dwordx2 v[14:15], v[164:165], off
	;; [unrolled: 1-line block ×3, first 2 shown]
                                        ; kill: killed $vgpr162 killed $vgpr163
                                        ; kill: killed $vgpr166 killed $vgpr167
                                        ; kill: killed $vgpr164 killed $vgpr165
	global_load_dwordx2 v[10:11], v[168:169], off
	global_load_dwordx2 v[8:9], v[170:171], off
	;; [unrolled: 1-line block ×3, first 2 shown]
                                        ; kill: killed $vgpr172 killed $vgpr173
                                        ; kill: killed $vgpr170 killed $vgpr171
                                        ; kill: killed $vgpr168 killed $vgpr169
	global_load_dwordx2 v[0:1], v[174:175], off
	global_load_dwordx2 v[114:115], v[176:177], off
	v_mul_lo_u32 v118, s0, v116
	v_lshl_add_u32 v120, v118, 3, 0
	v_add_u32_e32 v116, v120, v117
	s_waitcnt vmcnt(55)
	ds_write_b64 v116, v[112:113]
	s_waitcnt lgkmcnt(0)
	s_barrier
	ds_read_b64 v[116:117], v120
	s_cmp_lt_i32 s18, 2
	v_lshlrev_b32_e32 v125, 3, v118
	v_mov_b32_e32 v118, 0
	s_cbranch_scc1 .LBB110_6
; %bb.4:
	v_add3_u32 v119, v125, 0, 8
	s_mov_b32 s0, 1
	v_mov_b32_e32 v118, 0
.LBB110_5:                              ; =>This Inner Loop Header: Depth=1
	ds_read_b64 v[126:127], v119
	v_mov_b32_e32 v121, s0
	s_add_i32 s0, s0, 1
	v_add_u32_e32 v119, 8, v119
	s_cmp_eq_u32 s18, s0
	s_waitcnt lgkmcnt(0)
	v_cmp_lt_f64_e64 vcc, |v[116:117]|, |v[126:127]|
	v_cndmask_b32_e32 v117, v117, v127, vcc
	v_cndmask_b32_e32 v116, v116, v126, vcc
	;; [unrolled: 1-line block ×3, first 2 shown]
	s_cbranch_scc0 .LBB110_5
.LBB110_6:
	v_cmp_ne_u32_e32 vcc, v124, v118
                                        ; implicit-def: $vgpr121
	s_and_saveexec_b64 s[0:1], vcc
	s_xor_b64 s[0:1], exec, s[0:1]
	s_cbranch_execz .LBB110_12
; %bb.7:
	v_cmp_eq_u32_e32 vcc, 0, v124
	s_and_saveexec_b64 s[2:3], vcc
	s_cbranch_execz .LBB110_11
; %bb.8:
	v_cmp_ne_u32_e32 vcc, 0, v118
	s_xor_b64 s[14:15], s[6:7], -1
	s_and_b64 s[16:17], s[14:15], vcc
	s_and_saveexec_b64 s[14:15], s[16:17]
	s_cbranch_execz .LBB110_10
; %bb.9:
	v_ashrrev_i32_e32 v119, 31, v118
	v_lshlrev_b64 v[126:127], 2, v[118:119]
	v_add_co_u32_e32 v126, vcc, v4, v126
	v_addc_co_u32_e32 v127, vcc, v5, v127, vcc
	flat_load_dword v119, v[126:127]
	flat_load_dword v121, v[4:5]
	s_waitcnt vmcnt(0) lgkmcnt(0)
	flat_store_dword v[4:5], v119
	flat_store_dword v[126:127], v121
.LBB110_10:
	s_or_b64 exec, exec, s[14:15]
	v_mov_b32_e32 v124, v118
.LBB110_11:
	s_or_b64 exec, exec, s[2:3]
	v_mov_b32_e32 v121, v124
                                        ; implicit-def: $vgpr124
.LBB110_12:
	s_or_saveexec_b64 s[0:1], s[0:1]
	v_mov_b32_e32 v119, v121
	s_xor_b64 exec, exec, s[0:1]
	s_cbranch_execz .LBB110_14
; %bb.13:
	v_mov_b32_e32 v121, 0
	v_mov_b32_e32 v119, v124
	s_waitcnt vmcnt(0)
	ds_write2_b64 v120, v[110:111], v[108:109] offset0:1 offset1:2
	ds_write2_b64 v120, v[106:107], v[104:105] offset0:3 offset1:4
	;; [unrolled: 1-line block ×27, first 2 shown]
	ds_write_b64 v120, v[114:115] offset:440
.LBB110_14:
	s_or_b64 exec, exec, s[0:1]
	s_waitcnt lgkmcnt(0)
	v_cmp_eq_f64_e64 s[0:1], 0, v[116:117]
	v_cmp_lt_i32_e32 vcc, 0, v121
	s_barrier
	s_and_saveexec_b64 s[2:3], vcc
	s_cbranch_execz .LBB110_16
; %bb.15:
	v_div_scale_f64 v[126:127], s[14:15], v[116:117], v[116:117], 1.0
	v_rcp_f64_e32 v[128:129], v[126:127]
	v_div_scale_f64 v[130:131], vcc, 1.0, v[116:117], 1.0
	ds_read2_b64 v[134:137], v120 offset0:5 offset1:6
	v_fma_f64 v[132:133], -v[126:127], v[128:129], 1.0
	v_fmac_f64_e32 v[128:129], v[128:129], v[132:133]
	v_fma_f64 v[132:133], -v[126:127], v[128:129], 1.0
	v_fmac_f64_e32 v[128:129], v[128:129], v[132:133]
	v_mul_f64 v[132:133], v[130:131], v[128:129]
	v_fma_f64 v[126:127], -v[126:127], v[132:133], v[130:131]
	v_div_fmas_f64 v[126:127], v[126:127], v[128:129], v[132:133]
	v_div_fixup_f64 v[130:131], v[126:127], v[116:117], 1.0
	ds_read2_b64 v[126:129], v120 offset0:1 offset1:2
	v_cndmask_b32_e64 v117, v131, v117, s[0:1]
	v_cndmask_b32_e64 v116, v130, v116, s[0:1]
	ds_read2_b64 v[130:133], v120 offset0:3 offset1:4
	v_mul_f64 v[112:113], v[116:117], v[112:113]
	s_waitcnt vmcnt(0) lgkmcnt(0)
	v_fma_f64 v[110:111], -v[112:113], v[126:127], v[110:111]
	v_fma_f64 v[108:109], -v[112:113], v[128:129], v[108:109]
	ds_read2_b64 v[126:129], v120 offset0:7 offset1:8
	v_fma_f64 v[106:107], -v[112:113], v[130:131], v[106:107]
	v_fma_f64 v[104:105], -v[112:113], v[132:133], v[104:105]
	;; [unrolled: 1-line block ×3, first 2 shown]
	ds_read2_b64 v[130:133], v120 offset0:9 offset1:10
	v_fma_f64 v[100:101], -v[112:113], v[136:137], v[100:101]
	ds_read2_b64 v[134:137], v120 offset0:11 offset1:12
	s_waitcnt lgkmcnt(2)
	v_fma_f64 v[98:99], -v[112:113], v[126:127], v[98:99]
	v_fma_f64 v[96:97], -v[112:113], v[128:129], v[96:97]
	s_waitcnt lgkmcnt(1)
	v_fma_f64 v[94:95], -v[112:113], v[130:131], v[94:95]
	ds_read2_b64 v[126:129], v120 offset0:13 offset1:14
	v_fma_f64 v[92:93], -v[112:113], v[132:133], v[92:93]
	ds_read2_b64 v[130:133], v120 offset0:15 offset1:16
	s_waitcnt lgkmcnt(2)
	v_fma_f64 v[90:91], -v[112:113], v[134:135], v[90:91]
	v_fma_f64 v[88:89], -v[112:113], v[136:137], v[88:89]
	ds_read2_b64 v[134:137], v120 offset0:17 offset1:18
	s_waitcnt lgkmcnt(2)
	v_fma_f64 v[86:87], -v[112:113], v[126:127], v[86:87]
	v_fma_f64 v[84:85], -v[112:113], v[128:129], v[84:85]
	ds_read2_b64 v[126:129], v120 offset0:19 offset1:20
	s_waitcnt lgkmcnt(2)
	v_fma_f64 v[82:83], -v[112:113], v[130:131], v[82:83]
	v_fma_f64 v[80:81], -v[112:113], v[132:133], v[80:81]
	s_waitcnt lgkmcnt(1)
	v_fma_f64 v[78:79], -v[112:113], v[134:135], v[78:79]
	ds_read2_b64 v[130:133], v120 offset0:21 offset1:22
	v_fma_f64 v[76:77], -v[112:113], v[136:137], v[76:77]
	ds_read2_b64 v[134:137], v120 offset0:23 offset1:24
	s_waitcnt lgkmcnt(2)
	v_fma_f64 v[74:75], -v[112:113], v[126:127], v[74:75]
	v_fma_f64 v[72:73], -v[112:113], v[128:129], v[72:73]
	s_waitcnt lgkmcnt(1)
	v_fma_f64 v[70:71], -v[112:113], v[130:131], v[70:71]
	ds_read2_b64 v[126:129], v120 offset0:25 offset1:26
	v_fma_f64 v[68:69], -v[112:113], v[132:133], v[68:69]
	ds_read2_b64 v[130:133], v120 offset0:27 offset1:28
	s_waitcnt lgkmcnt(2)
	v_fma_f64 v[66:67], -v[112:113], v[134:135], v[66:67]
	v_fma_f64 v[64:65], -v[112:113], v[136:137], v[64:65]
	ds_read2_b64 v[134:137], v120 offset0:29 offset1:30
	s_waitcnt lgkmcnt(2)
	v_fma_f64 v[62:63], -v[112:113], v[126:127], v[62:63]
	v_fma_f64 v[60:61], -v[112:113], v[128:129], v[60:61]
	ds_read2_b64 v[126:129], v120 offset0:31 offset1:32
	s_waitcnt lgkmcnt(2)
	v_fma_f64 v[58:59], -v[112:113], v[130:131], v[58:59]
	v_fma_f64 v[56:57], -v[112:113], v[132:133], v[56:57]
	s_waitcnt lgkmcnt(1)
	v_fma_f64 v[54:55], -v[112:113], v[134:135], v[54:55]
	;; [unrolled: 24-line block ×3, first 2 shown]
	ds_read2_b64 v[130:133], v120 offset0:45 offset1:46
	v_fma_f64 v[28:29], -v[112:113], v[136:137], v[28:29]
	ds_read2_b64 v[134:137], v120 offset0:47 offset1:48
	s_waitcnt lgkmcnt(2)
	v_fma_f64 v[26:27], -v[112:113], v[126:127], v[26:27]
	v_fma_f64 v[24:25], -v[112:113], v[128:129], v[24:25]
	s_waitcnt lgkmcnt(1)
	v_fma_f64 v[22:23], -v[112:113], v[130:131], v[22:23]
	ds_read2_b64 v[126:129], v120 offset0:49 offset1:50
	v_fma_f64 v[20:21], -v[112:113], v[132:133], v[20:21]
	ds_read2_b64 v[130:133], v120 offset0:51 offset1:52
	s_waitcnt lgkmcnt(2)
	v_fma_f64 v[18:19], -v[112:113], v[134:135], v[18:19]
	v_fma_f64 v[16:17], -v[112:113], v[136:137], v[16:17]
	ds_read2_b64 v[134:137], v120 offset0:53 offset1:54
	ds_read_b64 v[116:117], v120 offset:440
	s_waitcnt lgkmcnt(3)
	v_fma_f64 v[14:15], -v[112:113], v[126:127], v[14:15]
	v_fma_f64 v[12:13], -v[112:113], v[128:129], v[12:13]
	s_waitcnt lgkmcnt(2)
	v_fma_f64 v[10:11], -v[112:113], v[130:131], v[10:11]
	v_fma_f64 v[8:9], -v[112:113], v[132:133], v[8:9]
	;; [unrolled: 3-line block ×3, first 2 shown]
	s_waitcnt lgkmcnt(0)
	v_fma_f64 v[114:115], -v[112:113], v[116:117], v[114:115]
.LBB110_16:
	s_or_b64 exec, exec, s[2:3]
	v_lshl_add_u32 v116, v121, 3, v120
	s_barrier
	s_waitcnt vmcnt(0)
	ds_write_b64 v116, v[110:111]
	s_waitcnt lgkmcnt(0)
	s_barrier
	ds_read_b64 v[116:117], v120 offset:8
	s_cmp_lt_i32 s18, 3
	v_mov_b32_e32 v118, 1
	s_cbranch_scc1 .LBB110_19
; %bb.17:
	v_add3_u32 v124, v125, 0, 16
	s_mov_b32 s2, 2
	v_mov_b32_e32 v118, 1
.LBB110_18:                             ; =>This Inner Loop Header: Depth=1
	ds_read_b64 v[126:127], v124
	v_mov_b32_e32 v128, s2
	s_add_i32 s2, s2, 1
	v_add_u32_e32 v124, 8, v124
	s_cmp_lg_u32 s18, s2
	s_waitcnt lgkmcnt(0)
	v_cmp_lt_f64_e64 vcc, |v[116:117]|, |v[126:127]|
	v_cndmask_b32_e32 v117, v117, v127, vcc
	v_cndmask_b32_e32 v116, v116, v126, vcc
	;; [unrolled: 1-line block ×3, first 2 shown]
	s_cbranch_scc1 .LBB110_18
.LBB110_19:
	v_cmp_ne_u32_e32 vcc, v121, v118
	s_and_saveexec_b64 s[2:3], vcc
	s_xor_b64 s[2:3], exec, s[2:3]
	s_cbranch_execz .LBB110_25
; %bb.20:
	v_cmp_eq_u32_e32 vcc, 1, v121
	s_and_saveexec_b64 s[14:15], vcc
	s_cbranch_execz .LBB110_24
; %bb.21:
	v_cmp_ne_u32_e32 vcc, 1, v118
	s_xor_b64 s[16:17], s[6:7], -1
	s_and_b64 s[20:21], s[16:17], vcc
	s_and_saveexec_b64 s[16:17], s[20:21]
	s_cbranch_execz .LBB110_23
; %bb.22:
	v_ashrrev_i32_e32 v119, 31, v118
	v_lshlrev_b64 v[126:127], 2, v[118:119]
	v_add_co_u32_e32 v126, vcc, v4, v126
	v_addc_co_u32_e32 v127, vcc, v5, v127, vcc
	flat_load_dword v119, v[126:127]
	flat_load_dword v121, v[4:5] offset:4
	s_waitcnt vmcnt(0) lgkmcnt(0)
	flat_store_dword v[4:5], v119 offset:4
	flat_store_dword v[126:127], v121
.LBB110_23:
	s_or_b64 exec, exec, s[16:17]
	v_mov_b32_e32 v119, v118
	v_mov_b32_e32 v121, v118
.LBB110_24:
	s_or_b64 exec, exec, s[14:15]
.LBB110_25:
	s_andn2_saveexec_b64 s[2:3], s[2:3]
	s_cbranch_execz .LBB110_27
; %bb.26:
	v_mov_b32_e32 v126, v108
	v_mov_b32_e32 v127, v109
	v_mov_b32_e32 v128, v106
	v_mov_b32_e32 v129, v107
	ds_write2_b64 v120, v[126:127], v[128:129] offset0:2 offset1:3
	v_mov_b32_e32 v126, v104
	v_mov_b32_e32 v127, v105
	v_mov_b32_e32 v128, v102
	v_mov_b32_e32 v129, v103
	ds_write2_b64 v120, v[126:127], v[128:129] offset0:4 offset1:5
	;; [unrolled: 5-line block ×26, first 2 shown]
	v_mov_b32_e32 v126, v0
	v_mov_b32_e32 v127, v1
	v_mov_b32_e32 v121, 1
	ds_write2_b64 v120, v[126:127], v[114:115] offset0:54 offset1:55
.LBB110_27:
	s_or_b64 exec, exec, s[2:3]
	s_waitcnt lgkmcnt(0)
	v_cmp_neq_f64_e64 s[2:3], 0, v[116:117]
	v_cmp_lt_i32_e32 vcc, 1, v121
	s_barrier
	s_and_saveexec_b64 s[14:15], vcc
	s_cbranch_execz .LBB110_29
; %bb.28:
	v_div_scale_f64 v[126:127], s[16:17], v[116:117], v[116:117], 1.0
	v_rcp_f64_e32 v[128:129], v[126:127]
	v_div_scale_f64 v[130:131], vcc, 1.0, v[116:117], 1.0
	ds_read2_b64 v[134:137], v120 offset0:6 offset1:7
	v_fma_f64 v[132:133], -v[126:127], v[128:129], 1.0
	v_fmac_f64_e32 v[128:129], v[128:129], v[132:133]
	v_fma_f64 v[132:133], -v[126:127], v[128:129], 1.0
	v_fmac_f64_e32 v[128:129], v[128:129], v[132:133]
	v_mul_f64 v[132:133], v[130:131], v[128:129]
	v_fma_f64 v[126:127], -v[126:127], v[132:133], v[130:131]
	v_div_fmas_f64 v[126:127], v[126:127], v[128:129], v[132:133]
	v_div_fixup_f64 v[130:131], v[126:127], v[116:117], 1.0
	ds_read2_b64 v[126:129], v120 offset0:2 offset1:3
	v_cndmask_b32_e64 v117, v117, v131, s[2:3]
	v_cndmask_b32_e64 v116, v116, v130, s[2:3]
	ds_read2_b64 v[130:133], v120 offset0:4 offset1:5
	v_mul_f64 v[110:111], v[116:117], v[110:111]
	s_waitcnt lgkmcnt(0)
	v_fma_f64 v[108:109], -v[110:111], v[126:127], v[108:109]
	v_fma_f64 v[106:107], -v[110:111], v[128:129], v[106:107]
	ds_read2_b64 v[126:129], v120 offset0:8 offset1:9
	v_fma_f64 v[104:105], -v[110:111], v[130:131], v[104:105]
	v_fma_f64 v[102:103], -v[110:111], v[132:133], v[102:103]
	v_fma_f64 v[100:101], -v[110:111], v[134:135], v[100:101]
	ds_read2_b64 v[130:133], v120 offset0:10 offset1:11
	v_fma_f64 v[98:99], -v[110:111], v[136:137], v[98:99]
	ds_read2_b64 v[134:137], v120 offset0:12 offset1:13
	s_waitcnt lgkmcnt(0)
	v_fma_f64 v[96:97], -v[110:111], v[126:127], v[96:97]
	v_fma_f64 v[94:95], -v[110:111], v[128:129], v[94:95]
	v_fma_f64 v[92:93], -v[110:111], v[130:131], v[92:93]
	ds_read2_b64 v[126:129], v120 offset0:14 offset1:15
	v_fma_f64 v[90:91], -v[110:111], v[132:133], v[90:91]
	ds_read2_b64 v[130:133], v120 offset0:16 offset1:17
	v_fma_f64 v[88:89], -v[110:111], v[134:135], v[88:89]
	v_fma_f64 v[86:87], -v[110:111], v[136:137], v[86:87]
	ds_read2_b64 v[134:137], v120 offset0:18 offset1:19
	s_waitcnt lgkmcnt(0)
	v_fma_f64 v[84:85], -v[110:111], v[126:127], v[84:85]
	v_fma_f64 v[82:83], -v[110:111], v[128:129], v[82:83]
	ds_read2_b64 v[126:129], v120 offset0:20 offset1:21
	v_fma_f64 v[80:81], -v[110:111], v[130:131], v[80:81]
	v_fma_f64 v[78:79], -v[110:111], v[132:133], v[78:79]
	v_fma_f64 v[76:77], -v[110:111], v[134:135], v[76:77]
	ds_read2_b64 v[130:133], v120 offset0:22 offset1:23
	v_fma_f64 v[74:75], -v[110:111], v[136:137], v[74:75]
	ds_read2_b64 v[134:137], v120 offset0:24 offset1:25
	s_waitcnt lgkmcnt(0)
	v_fma_f64 v[72:73], -v[110:111], v[126:127], v[72:73]
	v_fma_f64 v[70:71], -v[110:111], v[128:129], v[70:71]
	v_fma_f64 v[68:69], -v[110:111], v[130:131], v[68:69]
	ds_read2_b64 v[126:129], v120 offset0:26 offset1:27
	v_fma_f64 v[66:67], -v[110:111], v[132:133], v[66:67]
	ds_read2_b64 v[130:133], v120 offset0:28 offset1:29
	v_fma_f64 v[64:65], -v[110:111], v[134:135], v[64:65]
	v_fma_f64 v[62:63], -v[110:111], v[136:137], v[62:63]
	ds_read2_b64 v[134:137], v120 offset0:30 offset1:31
	;; [unrolled: 20-line block ×3, first 2 shown]
	s_waitcnt lgkmcnt(0)
	v_fma_f64 v[36:37], -v[110:111], v[126:127], v[36:37]
	v_fma_f64 v[34:35], -v[110:111], v[128:129], v[34:35]
	ds_read2_b64 v[126:129], v120 offset0:44 offset1:45
	v_fma_f64 v[32:33], -v[110:111], v[130:131], v[32:33]
	v_fma_f64 v[30:31], -v[110:111], v[132:133], v[30:31]
	;; [unrolled: 1-line block ×3, first 2 shown]
	ds_read2_b64 v[130:133], v120 offset0:46 offset1:47
	v_fma_f64 v[26:27], -v[110:111], v[136:137], v[26:27]
	ds_read2_b64 v[134:137], v120 offset0:48 offset1:49
	s_waitcnt lgkmcnt(0)
	v_fma_f64 v[24:25], -v[110:111], v[126:127], v[24:25]
	v_fma_f64 v[22:23], -v[110:111], v[128:129], v[22:23]
	;; [unrolled: 1-line block ×4, first 2 shown]
	ds_read2_b64 v[126:129], v120 offset0:50 offset1:51
	ds_read2_b64 v[130:133], v120 offset0:52 offset1:53
	v_fma_f64 v[16:17], -v[110:111], v[134:135], v[16:17]
	v_fma_f64 v[14:15], -v[110:111], v[136:137], v[14:15]
	ds_read2_b64 v[134:137], v120 offset0:54 offset1:55
	s_waitcnt lgkmcnt(0)
	v_fma_f64 v[12:13], -v[110:111], v[126:127], v[12:13]
	v_fma_f64 v[10:11], -v[110:111], v[128:129], v[10:11]
	;; [unrolled: 1-line block ×6, first 2 shown]
.LBB110_29:
	s_or_b64 exec, exec, s[14:15]
	v_lshl_add_u32 v116, v121, 3, v120
	s_barrier
	ds_write_b64 v116, v[108:109]
	s_waitcnt lgkmcnt(0)
	s_barrier
	ds_read_b64 v[116:117], v120 offset:16
	s_mov_b32 s9, 3
	s_cmp_lt_i32 s18, 4
	v_mov_b32_e32 v118, 2
	s_cbranch_scc1 .LBB110_32
; %bb.30:
	v_add3_u32 v124, v125, 0, 24
	v_mov_b32_e32 v118, 2
.LBB110_31:                             ; =>This Inner Loop Header: Depth=1
	ds_read_b64 v[126:127], v124
	v_mov_b32_e32 v128, s9
	s_add_i32 s9, s9, 1
	v_add_u32_e32 v124, 8, v124
	s_cmp_lg_u32 s18, s9
	s_waitcnt lgkmcnt(0)
	v_cmp_lt_f64_e64 vcc, |v[116:117]|, |v[126:127]|
	v_cndmask_b32_e32 v117, v117, v127, vcc
	v_cndmask_b32_e32 v116, v116, v126, vcc
	;; [unrolled: 1-line block ×3, first 2 shown]
	s_cbranch_scc1 .LBB110_31
.LBB110_32:
	v_cndmask_b32_e64 v124, 2, 1, s[0:1]
	v_cndmask_b32_e64 v126, 0, 1, s[0:1]
	;; [unrolled: 1-line block ×3, first 2 shown]
	s_waitcnt lgkmcnt(0)
	v_cmp_eq_f64_e32 vcc, 0, v[116:117]
	s_and_saveexec_b64 s[0:1], vcc
	s_xor_b64 s[0:1], exec, s[0:1]
; %bb.33:
	v_cmp_ne_u32_e32 vcc, 0, v124
	v_cndmask_b32_e32 v124, 3, v124, vcc
; %bb.34:
	s_andn2_saveexec_b64 s[0:1], s[0:1]
; %bb.35:
	v_div_scale_f64 v[126:127], s[2:3], v[116:117], v[116:117], 1.0
	v_rcp_f64_e32 v[128:129], v[126:127]
	v_div_scale_f64 v[130:131], vcc, 1.0, v[116:117], 1.0
	v_fma_f64 v[132:133], -v[126:127], v[128:129], 1.0
	v_fmac_f64_e32 v[128:129], v[128:129], v[132:133]
	v_fma_f64 v[132:133], -v[126:127], v[128:129], 1.0
	v_fmac_f64_e32 v[128:129], v[128:129], v[132:133]
	v_mul_f64 v[132:133], v[130:131], v[128:129]
	v_fma_f64 v[126:127], -v[126:127], v[132:133], v[130:131]
	v_div_fmas_f64 v[126:127], v[126:127], v[128:129], v[132:133]
	v_div_fixup_f64 v[116:117], v[126:127], v[116:117], 1.0
; %bb.36:
	s_or_b64 exec, exec, s[0:1]
	v_cmp_ne_u32_e32 vcc, v121, v118
	s_and_saveexec_b64 s[0:1], vcc
	s_xor_b64 s[0:1], exec, s[0:1]
	s_cbranch_execz .LBB110_42
; %bb.37:
	v_cmp_eq_u32_e32 vcc, 2, v121
	s_and_saveexec_b64 s[2:3], vcc
	s_cbranch_execz .LBB110_41
; %bb.38:
	v_cmp_ne_u32_e32 vcc, 2, v118
	s_xor_b64 s[14:15], s[6:7], -1
	s_and_b64 s[16:17], s[14:15], vcc
	s_and_saveexec_b64 s[14:15], s[16:17]
	s_cbranch_execz .LBB110_40
; %bb.39:
	v_ashrrev_i32_e32 v119, 31, v118
	v_lshlrev_b64 v[126:127], 2, v[118:119]
	v_add_co_u32_e32 v126, vcc, v4, v126
	v_addc_co_u32_e32 v127, vcc, v5, v127, vcc
	flat_load_dword v119, v[126:127]
	flat_load_dword v121, v[4:5] offset:8
	s_waitcnt vmcnt(0) lgkmcnt(0)
	flat_store_dword v[4:5], v119 offset:8
	flat_store_dword v[126:127], v121
.LBB110_40:
	s_or_b64 exec, exec, s[14:15]
	v_mov_b32_e32 v119, v118
	v_mov_b32_e32 v121, v118
.LBB110_41:
	s_or_b64 exec, exec, s[2:3]
.LBB110_42:
	s_andn2_saveexec_b64 s[0:1], s[0:1]
	s_cbranch_execz .LBB110_44
; %bb.43:
	v_mov_b32_e32 v121, 2
	ds_write2_b64 v120, v[106:107], v[104:105] offset0:3 offset1:4
	ds_write2_b64 v120, v[102:103], v[100:101] offset0:5 offset1:6
	;; [unrolled: 1-line block ×26, first 2 shown]
	ds_write_b64 v120, v[114:115] offset:440
.LBB110_44:
	s_or_b64 exec, exec, s[0:1]
	v_cmp_lt_i32_e32 vcc, 2, v121
	s_waitcnt lgkmcnt(0)
	s_barrier
	s_and_saveexec_b64 s[0:1], vcc
	s_cbranch_execz .LBB110_46
; %bb.45:
	ds_read2_b64 v[126:129], v120 offset0:3 offset1:4
	ds_read2_b64 v[130:133], v120 offset0:5 offset1:6
	v_mul_f64 v[108:109], v[116:117], v[108:109]
	ds_read2_b64 v[134:137], v120 offset0:7 offset1:8
	ds_read_b64 v[116:117], v120 offset:440
	s_waitcnt lgkmcnt(0)
	v_fma_f64 v[106:107], -v[108:109], v[126:127], v[106:107]
	v_fma_f64 v[104:105], -v[108:109], v[128:129], v[104:105]
	ds_read2_b64 v[126:129], v120 offset0:9 offset1:10
	v_fma_f64 v[102:103], -v[108:109], v[130:131], v[102:103]
	v_fma_f64 v[100:101], -v[108:109], v[132:133], v[100:101]
	ds_read2_b64 v[130:133], v120 offset0:11 offset1:12
	v_fma_f64 v[98:99], -v[108:109], v[134:135], v[98:99]
	v_fma_f64 v[96:97], -v[108:109], v[136:137], v[96:97]
	ds_read2_b64 v[134:137], v120 offset0:13 offset1:14
	s_waitcnt lgkmcnt(0)
	v_fma_f64 v[94:95], -v[108:109], v[126:127], v[94:95]
	v_fma_f64 v[92:93], -v[108:109], v[128:129], v[92:93]
	;; [unrolled: 1-line block ×3, first 2 shown]
	ds_read2_b64 v[126:129], v120 offset0:15 offset1:16
	v_fma_f64 v[88:89], -v[108:109], v[132:133], v[88:89]
	ds_read2_b64 v[130:133], v120 offset0:17 offset1:18
	v_fma_f64 v[86:87], -v[108:109], v[134:135], v[86:87]
	v_fma_f64 v[84:85], -v[108:109], v[136:137], v[84:85]
	s_waitcnt lgkmcnt(0)
	v_fma_f64 v[82:83], -v[108:109], v[126:127], v[82:83]
	ds_read2_b64 v[134:137], v120 offset0:19 offset1:20
	v_fma_f64 v[80:81], -v[108:109], v[128:129], v[80:81]
	ds_read2_b64 v[126:129], v120 offset0:21 offset1:22
	v_fma_f64 v[78:79], -v[108:109], v[130:131], v[78:79]
	v_fma_f64 v[76:77], -v[108:109], v[132:133], v[76:77]
	ds_read2_b64 v[130:133], v120 offset0:23 offset1:24
	s_waitcnt lgkmcnt(0)
	v_fma_f64 v[74:75], -v[108:109], v[134:135], v[74:75]
	v_fma_f64 v[72:73], -v[108:109], v[136:137], v[72:73]
	ds_read2_b64 v[134:137], v120 offset0:25 offset1:26
	v_fma_f64 v[70:71], -v[108:109], v[126:127], v[70:71]
	v_fma_f64 v[68:69], -v[108:109], v[128:129], v[68:69]
	;; [unrolled: 1-line block ×3, first 2 shown]
	ds_read2_b64 v[126:129], v120 offset0:27 offset1:28
	v_fma_f64 v[64:65], -v[108:109], v[132:133], v[64:65]
	ds_read2_b64 v[130:133], v120 offset0:29 offset1:30
	s_waitcnt lgkmcnt(0)
	v_fma_f64 v[62:63], -v[108:109], v[134:135], v[62:63]
	v_fma_f64 v[60:61], -v[108:109], v[136:137], v[60:61]
	;; [unrolled: 1-line block ×3, first 2 shown]
	ds_read2_b64 v[134:137], v120 offset0:31 offset1:32
	v_fma_f64 v[56:57], -v[108:109], v[128:129], v[56:57]
	ds_read2_b64 v[126:129], v120 offset0:33 offset1:34
	v_fma_f64 v[54:55], -v[108:109], v[130:131], v[54:55]
	v_fma_f64 v[52:53], -v[108:109], v[132:133], v[52:53]
	ds_read2_b64 v[130:133], v120 offset0:35 offset1:36
	s_waitcnt lgkmcnt(0)
	v_fma_f64 v[50:51], -v[108:109], v[134:135], v[50:51]
	v_fma_f64 v[48:49], -v[108:109], v[136:137], v[48:49]
	ds_read2_b64 v[134:137], v120 offset0:37 offset1:38
	v_fma_f64 v[46:47], -v[108:109], v[126:127], v[46:47]
	v_fma_f64 v[44:45], -v[108:109], v[128:129], v[44:45]
	;; [unrolled: 1-line block ×3, first 2 shown]
	ds_read2_b64 v[126:129], v120 offset0:39 offset1:40
	v_fma_f64 v[40:41], -v[108:109], v[132:133], v[40:41]
	ds_read2_b64 v[130:133], v120 offset0:41 offset1:42
	s_waitcnt lgkmcnt(0)
	v_fma_f64 v[38:39], -v[108:109], v[134:135], v[38:39]
	v_fma_f64 v[36:37], -v[108:109], v[136:137], v[36:37]
	;; [unrolled: 1-line block ×3, first 2 shown]
	ds_read2_b64 v[134:137], v120 offset0:43 offset1:44
	v_fma_f64 v[32:33], -v[108:109], v[128:129], v[32:33]
	ds_read2_b64 v[126:129], v120 offset0:45 offset1:46
	v_fma_f64 v[30:31], -v[108:109], v[130:131], v[30:31]
	v_fma_f64 v[28:29], -v[108:109], v[132:133], v[28:29]
	ds_read2_b64 v[130:133], v120 offset0:47 offset1:48
	s_waitcnt lgkmcnt(0)
	v_fma_f64 v[26:27], -v[108:109], v[134:135], v[26:27]
	v_fma_f64 v[24:25], -v[108:109], v[136:137], v[24:25]
	ds_read2_b64 v[134:137], v120 offset0:49 offset1:50
	v_fma_f64 v[22:23], -v[108:109], v[126:127], v[22:23]
	v_fma_f64 v[20:21], -v[108:109], v[128:129], v[20:21]
	v_fma_f64 v[18:19], -v[108:109], v[130:131], v[18:19]
	v_fma_f64 v[16:17], -v[108:109], v[132:133], v[16:17]
	ds_read2_b64 v[126:129], v120 offset0:51 offset1:52
	ds_read2_b64 v[130:133], v120 offset0:53 offset1:54
	s_waitcnt lgkmcnt(0)
	v_fma_f64 v[14:15], -v[108:109], v[134:135], v[14:15]
	v_fma_f64 v[12:13], -v[108:109], v[136:137], v[12:13]
	;; [unrolled: 1-line block ×7, first 2 shown]
.LBB110_46:
	s_or_b64 exec, exec, s[0:1]
	v_lshl_add_u32 v116, v121, 3, v120
	s_barrier
	ds_write_b64 v116, v[106:107]
	s_waitcnt lgkmcnt(0)
	s_barrier
	ds_read_b64 v[116:117], v120 offset:24
	s_cmp_lt_i32 s18, 5
	v_mov_b32_e32 v118, 3
	s_cbranch_scc1 .LBB110_49
; %bb.47:
	v_add3_u32 v126, v125, 0, 32
	s_mov_b32 s0, 4
	v_mov_b32_e32 v118, 3
.LBB110_48:                             ; =>This Inner Loop Header: Depth=1
	ds_read_b64 v[128:129], v126
	v_mov_b32_e32 v127, s0
	s_add_i32 s0, s0, 1
	v_add_u32_e32 v126, 8, v126
	s_cmp_lg_u32 s18, s0
	s_waitcnt lgkmcnt(0)
	v_cmp_lt_f64_e64 vcc, |v[116:117]|, |v[128:129]|
	v_cndmask_b32_e32 v117, v117, v129, vcc
	v_cndmask_b32_e32 v116, v116, v128, vcc
	;; [unrolled: 1-line block ×3, first 2 shown]
	s_cbranch_scc1 .LBB110_48
.LBB110_49:
	s_waitcnt lgkmcnt(0)
	v_cmp_eq_f64_e32 vcc, 0, v[116:117]
	s_and_saveexec_b64 s[0:1], vcc
	s_xor_b64 s[0:1], exec, s[0:1]
; %bb.50:
	v_cmp_ne_u32_e32 vcc, 0, v124
	v_cndmask_b32_e32 v124, 4, v124, vcc
; %bb.51:
	s_andn2_saveexec_b64 s[0:1], s[0:1]
; %bb.52:
	v_div_scale_f64 v[126:127], s[2:3], v[116:117], v[116:117], 1.0
	v_rcp_f64_e32 v[128:129], v[126:127]
	v_div_scale_f64 v[130:131], vcc, 1.0, v[116:117], 1.0
	v_fma_f64 v[132:133], -v[126:127], v[128:129], 1.0
	v_fmac_f64_e32 v[128:129], v[128:129], v[132:133]
	v_fma_f64 v[132:133], -v[126:127], v[128:129], 1.0
	v_fmac_f64_e32 v[128:129], v[128:129], v[132:133]
	v_mul_f64 v[132:133], v[130:131], v[128:129]
	v_fma_f64 v[126:127], -v[126:127], v[132:133], v[130:131]
	v_div_fmas_f64 v[126:127], v[126:127], v[128:129], v[132:133]
	v_div_fixup_f64 v[116:117], v[126:127], v[116:117], 1.0
; %bb.53:
	s_or_b64 exec, exec, s[0:1]
	v_cmp_ne_u32_e32 vcc, v121, v118
	s_and_saveexec_b64 s[0:1], vcc
	s_xor_b64 s[0:1], exec, s[0:1]
	s_cbranch_execz .LBB110_59
; %bb.54:
	v_cmp_eq_u32_e32 vcc, 3, v121
	s_and_saveexec_b64 s[2:3], vcc
	s_cbranch_execz .LBB110_58
; %bb.55:
	v_cmp_ne_u32_e32 vcc, 3, v118
	s_xor_b64 s[14:15], s[6:7], -1
	s_and_b64 s[16:17], s[14:15], vcc
	s_and_saveexec_b64 s[14:15], s[16:17]
	s_cbranch_execz .LBB110_57
; %bb.56:
	v_ashrrev_i32_e32 v119, 31, v118
	v_lshlrev_b64 v[126:127], 2, v[118:119]
	v_add_co_u32_e32 v126, vcc, v4, v126
	v_addc_co_u32_e32 v127, vcc, v5, v127, vcc
	flat_load_dword v119, v[126:127]
	flat_load_dword v121, v[4:5] offset:12
	s_waitcnt vmcnt(0) lgkmcnt(0)
	flat_store_dword v[4:5], v119 offset:12
	flat_store_dword v[126:127], v121
.LBB110_57:
	s_or_b64 exec, exec, s[14:15]
	v_mov_b32_e32 v119, v118
	v_mov_b32_e32 v121, v118
.LBB110_58:
	s_or_b64 exec, exec, s[2:3]
.LBB110_59:
	s_andn2_saveexec_b64 s[0:1], s[0:1]
	s_cbranch_execz .LBB110_61
; %bb.60:
	v_mov_b32_e32 v126, v104
	v_mov_b32_e32 v127, v105
	v_mov_b32_e32 v128, v102
	v_mov_b32_e32 v129, v103
	ds_write2_b64 v120, v[126:127], v[128:129] offset0:4 offset1:5
	v_mov_b32_e32 v126, v100
	v_mov_b32_e32 v127, v101
	v_mov_b32_e32 v128, v98
	v_mov_b32_e32 v129, v99
	ds_write2_b64 v120, v[126:127], v[128:129] offset0:6 offset1:7
	;; [unrolled: 5-line block ×25, first 2 shown]
	v_mov_b32_e32 v126, v0
	v_mov_b32_e32 v127, v1
	;; [unrolled: 1-line block ×3, first 2 shown]
	ds_write2_b64 v120, v[126:127], v[114:115] offset0:54 offset1:55
.LBB110_61:
	s_or_b64 exec, exec, s[0:1]
	v_cmp_lt_i32_e32 vcc, 3, v121
	s_waitcnt lgkmcnt(0)
	s_barrier
	s_and_saveexec_b64 s[0:1], vcc
	s_cbranch_execz .LBB110_63
; %bb.62:
	ds_read2_b64 v[126:129], v120 offset0:4 offset1:5
	ds_read2_b64 v[130:133], v120 offset0:6 offset1:7
	v_mul_f64 v[106:107], v[116:117], v[106:107]
	ds_read2_b64 v[134:137], v120 offset0:8 offset1:9
	s_waitcnt lgkmcnt(0)
	v_fma_f64 v[104:105], -v[106:107], v[126:127], v[104:105]
	v_fma_f64 v[102:103], -v[106:107], v[128:129], v[102:103]
	ds_read2_b64 v[126:129], v120 offset0:10 offset1:11
	v_fma_f64 v[100:101], -v[106:107], v[130:131], v[100:101]
	v_fma_f64 v[98:99], -v[106:107], v[132:133], v[98:99]
	ds_read2_b64 v[130:133], v120 offset0:12 offset1:13
	;; [unrolled: 3-line block ×3, first 2 shown]
	s_waitcnt lgkmcnt(0)
	v_fma_f64 v[92:93], -v[106:107], v[126:127], v[92:93]
	v_fma_f64 v[90:91], -v[106:107], v[128:129], v[90:91]
	;; [unrolled: 1-line block ×3, first 2 shown]
	ds_read2_b64 v[126:129], v120 offset0:16 offset1:17
	v_fma_f64 v[86:87], -v[106:107], v[132:133], v[86:87]
	ds_read2_b64 v[130:133], v120 offset0:18 offset1:19
	v_fma_f64 v[84:85], -v[106:107], v[134:135], v[84:85]
	v_fma_f64 v[82:83], -v[106:107], v[136:137], v[82:83]
	s_waitcnt lgkmcnt(0)
	v_fma_f64 v[80:81], -v[106:107], v[126:127], v[80:81]
	ds_read2_b64 v[134:137], v120 offset0:20 offset1:21
	v_fma_f64 v[78:79], -v[106:107], v[128:129], v[78:79]
	ds_read2_b64 v[126:129], v120 offset0:22 offset1:23
	v_fma_f64 v[76:77], -v[106:107], v[130:131], v[76:77]
	v_fma_f64 v[74:75], -v[106:107], v[132:133], v[74:75]
	ds_read2_b64 v[130:133], v120 offset0:24 offset1:25
	s_waitcnt lgkmcnt(0)
	v_fma_f64 v[72:73], -v[106:107], v[134:135], v[72:73]
	v_fma_f64 v[70:71], -v[106:107], v[136:137], v[70:71]
	ds_read2_b64 v[134:137], v120 offset0:26 offset1:27
	v_fma_f64 v[68:69], -v[106:107], v[126:127], v[68:69]
	v_fma_f64 v[66:67], -v[106:107], v[128:129], v[66:67]
	;; [unrolled: 1-line block ×3, first 2 shown]
	ds_read2_b64 v[126:129], v120 offset0:28 offset1:29
	v_fma_f64 v[62:63], -v[106:107], v[132:133], v[62:63]
	ds_read2_b64 v[130:133], v120 offset0:30 offset1:31
	s_waitcnt lgkmcnt(0)
	v_fma_f64 v[60:61], -v[106:107], v[134:135], v[60:61]
	v_fma_f64 v[58:59], -v[106:107], v[136:137], v[58:59]
	;; [unrolled: 1-line block ×3, first 2 shown]
	ds_read2_b64 v[134:137], v120 offset0:32 offset1:33
	v_fma_f64 v[54:55], -v[106:107], v[128:129], v[54:55]
	ds_read2_b64 v[126:129], v120 offset0:34 offset1:35
	v_fma_f64 v[52:53], -v[106:107], v[130:131], v[52:53]
	v_fma_f64 v[50:51], -v[106:107], v[132:133], v[50:51]
	ds_read2_b64 v[130:133], v120 offset0:36 offset1:37
	s_waitcnt lgkmcnt(0)
	v_fma_f64 v[48:49], -v[106:107], v[134:135], v[48:49]
	v_fma_f64 v[46:47], -v[106:107], v[136:137], v[46:47]
	ds_read2_b64 v[134:137], v120 offset0:38 offset1:39
	v_fma_f64 v[44:45], -v[106:107], v[126:127], v[44:45]
	v_fma_f64 v[42:43], -v[106:107], v[128:129], v[42:43]
	;; [unrolled: 1-line block ×3, first 2 shown]
	ds_read2_b64 v[126:129], v120 offset0:40 offset1:41
	v_fma_f64 v[38:39], -v[106:107], v[132:133], v[38:39]
	ds_read2_b64 v[130:133], v120 offset0:42 offset1:43
	s_waitcnt lgkmcnt(0)
	v_fma_f64 v[36:37], -v[106:107], v[134:135], v[36:37]
	v_fma_f64 v[34:35], -v[106:107], v[136:137], v[34:35]
	;; [unrolled: 1-line block ×3, first 2 shown]
	ds_read2_b64 v[134:137], v120 offset0:44 offset1:45
	v_fma_f64 v[30:31], -v[106:107], v[128:129], v[30:31]
	ds_read2_b64 v[126:129], v120 offset0:46 offset1:47
	v_fma_f64 v[28:29], -v[106:107], v[130:131], v[28:29]
	v_fma_f64 v[26:27], -v[106:107], v[132:133], v[26:27]
	ds_read2_b64 v[130:133], v120 offset0:48 offset1:49
	s_waitcnt lgkmcnt(0)
	v_fma_f64 v[24:25], -v[106:107], v[134:135], v[24:25]
	v_fma_f64 v[22:23], -v[106:107], v[136:137], v[22:23]
	;; [unrolled: 1-line block ×4, first 2 shown]
	ds_read2_b64 v[126:129], v120 offset0:50 offset1:51
	v_fma_f64 v[16:17], -v[106:107], v[130:131], v[16:17]
	ds_read2_b64 v[134:137], v120 offset0:52 offset1:53
	v_fma_f64 v[14:15], -v[106:107], v[132:133], v[14:15]
	ds_read2_b64 v[130:133], v120 offset0:54 offset1:55
	s_waitcnt lgkmcnt(0)
	v_fma_f64 v[12:13], -v[106:107], v[126:127], v[12:13]
	v_fma_f64 v[10:11], -v[106:107], v[128:129], v[10:11]
	;; [unrolled: 1-line block ×6, first 2 shown]
.LBB110_63:
	s_or_b64 exec, exec, s[0:1]
	v_lshl_add_u32 v116, v121, 3, v120
	s_barrier
	ds_write_b64 v116, v[104:105]
	s_waitcnt lgkmcnt(0)
	s_barrier
	ds_read_b64 v[116:117], v120 offset:32
	s_cmp_lt_i32 s18, 6
	v_mov_b32_e32 v118, 4
	s_cbranch_scc1 .LBB110_66
; %bb.64:
	v_add3_u32 v126, v125, 0, 40
	s_mov_b32 s0, 5
	v_mov_b32_e32 v118, 4
.LBB110_65:                             ; =>This Inner Loop Header: Depth=1
	ds_read_b64 v[128:129], v126
	v_mov_b32_e32 v127, s0
	s_add_i32 s0, s0, 1
	v_add_u32_e32 v126, 8, v126
	s_cmp_lg_u32 s18, s0
	s_waitcnt lgkmcnt(0)
	v_cmp_lt_f64_e64 vcc, |v[116:117]|, |v[128:129]|
	v_cndmask_b32_e32 v117, v117, v129, vcc
	v_cndmask_b32_e32 v116, v116, v128, vcc
	v_cndmask_b32_e32 v118, v118, v127, vcc
	s_cbranch_scc1 .LBB110_65
.LBB110_66:
	s_waitcnt lgkmcnt(0)
	v_cmp_eq_f64_e32 vcc, 0, v[116:117]
	s_and_saveexec_b64 s[0:1], vcc
	s_xor_b64 s[0:1], exec, s[0:1]
; %bb.67:
	v_cmp_ne_u32_e32 vcc, 0, v124
	v_cndmask_b32_e32 v124, 5, v124, vcc
; %bb.68:
	s_andn2_saveexec_b64 s[0:1], s[0:1]
; %bb.69:
	v_div_scale_f64 v[126:127], s[2:3], v[116:117], v[116:117], 1.0
	v_rcp_f64_e32 v[128:129], v[126:127]
	v_div_scale_f64 v[130:131], vcc, 1.0, v[116:117], 1.0
	v_fma_f64 v[132:133], -v[126:127], v[128:129], 1.0
	v_fmac_f64_e32 v[128:129], v[128:129], v[132:133]
	v_fma_f64 v[132:133], -v[126:127], v[128:129], 1.0
	v_fmac_f64_e32 v[128:129], v[128:129], v[132:133]
	v_mul_f64 v[132:133], v[130:131], v[128:129]
	v_fma_f64 v[126:127], -v[126:127], v[132:133], v[130:131]
	v_div_fmas_f64 v[126:127], v[126:127], v[128:129], v[132:133]
	v_div_fixup_f64 v[116:117], v[126:127], v[116:117], 1.0
; %bb.70:
	s_or_b64 exec, exec, s[0:1]
	v_cmp_ne_u32_e32 vcc, v121, v118
	s_and_saveexec_b64 s[0:1], vcc
	s_xor_b64 s[0:1], exec, s[0:1]
	s_cbranch_execz .LBB110_76
; %bb.71:
	v_cmp_eq_u32_e32 vcc, 4, v121
	s_and_saveexec_b64 s[2:3], vcc
	s_cbranch_execz .LBB110_75
; %bb.72:
	v_cmp_ne_u32_e32 vcc, 4, v118
	s_xor_b64 s[14:15], s[6:7], -1
	s_and_b64 s[16:17], s[14:15], vcc
	s_and_saveexec_b64 s[14:15], s[16:17]
	s_cbranch_execz .LBB110_74
; %bb.73:
	v_ashrrev_i32_e32 v119, 31, v118
	v_lshlrev_b64 v[126:127], 2, v[118:119]
	v_add_co_u32_e32 v126, vcc, v4, v126
	v_addc_co_u32_e32 v127, vcc, v5, v127, vcc
	flat_load_dword v119, v[126:127]
	flat_load_dword v121, v[4:5] offset:16
	s_waitcnt vmcnt(0) lgkmcnt(0)
	flat_store_dword v[4:5], v119 offset:16
	flat_store_dword v[126:127], v121
.LBB110_74:
	s_or_b64 exec, exec, s[14:15]
	v_mov_b32_e32 v119, v118
	v_mov_b32_e32 v121, v118
.LBB110_75:
	s_or_b64 exec, exec, s[2:3]
.LBB110_76:
	s_andn2_saveexec_b64 s[0:1], s[0:1]
	s_cbranch_execz .LBB110_78
; %bb.77:
	v_mov_b32_e32 v121, 4
	ds_write2_b64 v120, v[102:103], v[100:101] offset0:5 offset1:6
	ds_write2_b64 v120, v[98:99], v[96:97] offset0:7 offset1:8
	;; [unrolled: 1-line block ×25, first 2 shown]
	ds_write_b64 v120, v[114:115] offset:440
.LBB110_78:
	s_or_b64 exec, exec, s[0:1]
	v_cmp_lt_i32_e32 vcc, 4, v121
	s_waitcnt lgkmcnt(0)
	s_barrier
	s_and_saveexec_b64 s[0:1], vcc
	s_cbranch_execz .LBB110_80
; %bb.79:
	ds_read2_b64 v[126:129], v120 offset0:5 offset1:6
	ds_read2_b64 v[130:133], v120 offset0:7 offset1:8
	v_mul_f64 v[104:105], v[116:117], v[104:105]
	ds_read2_b64 v[134:137], v120 offset0:9 offset1:10
	ds_read_b64 v[116:117], v120 offset:440
	s_waitcnt lgkmcnt(0)
	v_fma_f64 v[102:103], -v[104:105], v[126:127], v[102:103]
	v_fma_f64 v[100:101], -v[104:105], v[128:129], v[100:101]
	ds_read2_b64 v[126:129], v120 offset0:11 offset1:12
	v_fma_f64 v[98:99], -v[104:105], v[130:131], v[98:99]
	v_fma_f64 v[96:97], -v[104:105], v[132:133], v[96:97]
	;; [unrolled: 1-line block ×3, first 2 shown]
	ds_read2_b64 v[130:133], v120 offset0:13 offset1:14
	v_fma_f64 v[92:93], -v[104:105], v[136:137], v[92:93]
	ds_read2_b64 v[134:137], v120 offset0:15 offset1:16
	s_waitcnt lgkmcnt(0)
	v_fma_f64 v[90:91], -v[104:105], v[126:127], v[90:91]
	v_fma_f64 v[88:89], -v[104:105], v[128:129], v[88:89]
	ds_read2_b64 v[126:129], v120 offset0:17 offset1:18
	v_fma_f64 v[86:87], -v[104:105], v[130:131], v[86:87]
	v_fma_f64 v[84:85], -v[104:105], v[132:133], v[84:85]
	ds_read2_b64 v[130:133], v120 offset0:19 offset1:20
	v_fma_f64 v[82:83], -v[104:105], v[134:135], v[82:83]
	v_fma_f64 v[80:81], -v[104:105], v[136:137], v[80:81]
	s_waitcnt lgkmcnt(0)
	v_fma_f64 v[78:79], -v[104:105], v[126:127], v[78:79]
	ds_read2_b64 v[134:137], v120 offset0:21 offset1:22
	v_fma_f64 v[76:77], -v[104:105], v[128:129], v[76:77]
	ds_read2_b64 v[126:129], v120 offset0:23 offset1:24
	v_fma_f64 v[74:75], -v[104:105], v[130:131], v[74:75]
	v_fma_f64 v[72:73], -v[104:105], v[132:133], v[72:73]
	s_waitcnt lgkmcnt(0)
	v_fma_f64 v[70:71], -v[104:105], v[134:135], v[70:71]
	ds_read2_b64 v[130:133], v120 offset0:25 offset1:26
	v_fma_f64 v[68:69], -v[104:105], v[136:137], v[68:69]
	ds_read2_b64 v[134:137], v120 offset0:27 offset1:28
	v_fma_f64 v[66:67], -v[104:105], v[126:127], v[66:67]
	v_fma_f64 v[64:65], -v[104:105], v[128:129], v[64:65]
	ds_read2_b64 v[126:129], v120 offset0:29 offset1:30
	s_waitcnt lgkmcnt(0)
	v_fma_f64 v[62:63], -v[104:105], v[130:131], v[62:63]
	v_fma_f64 v[60:61], -v[104:105], v[132:133], v[60:61]
	ds_read2_b64 v[130:133], v120 offset0:31 offset1:32
	v_fma_f64 v[58:59], -v[104:105], v[134:135], v[58:59]
	v_fma_f64 v[56:57], -v[104:105], v[136:137], v[56:57]
	;; [unrolled: 1-line block ×3, first 2 shown]
	ds_read2_b64 v[134:137], v120 offset0:33 offset1:34
	v_fma_f64 v[52:53], -v[104:105], v[128:129], v[52:53]
	ds_read2_b64 v[126:129], v120 offset0:35 offset1:36
	s_waitcnt lgkmcnt(0)
	v_fma_f64 v[50:51], -v[104:105], v[130:131], v[50:51]
	v_fma_f64 v[48:49], -v[104:105], v[132:133], v[48:49]
	;; [unrolled: 1-line block ×3, first 2 shown]
	ds_read2_b64 v[130:133], v120 offset0:37 offset1:38
	v_fma_f64 v[44:45], -v[104:105], v[136:137], v[44:45]
	ds_read2_b64 v[134:137], v120 offset0:39 offset1:40
	v_fma_f64 v[42:43], -v[104:105], v[126:127], v[42:43]
	v_fma_f64 v[40:41], -v[104:105], v[128:129], v[40:41]
	ds_read2_b64 v[126:129], v120 offset0:41 offset1:42
	s_waitcnt lgkmcnt(0)
	v_fma_f64 v[38:39], -v[104:105], v[130:131], v[38:39]
	v_fma_f64 v[36:37], -v[104:105], v[132:133], v[36:37]
	ds_read2_b64 v[130:133], v120 offset0:43 offset1:44
	v_fma_f64 v[34:35], -v[104:105], v[134:135], v[34:35]
	v_fma_f64 v[32:33], -v[104:105], v[136:137], v[32:33]
	;; [unrolled: 1-line block ×3, first 2 shown]
	ds_read2_b64 v[134:137], v120 offset0:45 offset1:46
	v_fma_f64 v[28:29], -v[104:105], v[128:129], v[28:29]
	ds_read2_b64 v[126:129], v120 offset0:47 offset1:48
	s_waitcnt lgkmcnt(0)
	v_fma_f64 v[26:27], -v[104:105], v[130:131], v[26:27]
	v_fma_f64 v[24:25], -v[104:105], v[132:133], v[24:25]
	;; [unrolled: 1-line block ×3, first 2 shown]
	ds_read2_b64 v[130:133], v120 offset0:49 offset1:50
	v_fma_f64 v[20:21], -v[104:105], v[136:137], v[20:21]
	v_fma_f64 v[18:19], -v[104:105], v[126:127], v[18:19]
	;; [unrolled: 1-line block ×3, first 2 shown]
	ds_read2_b64 v[126:129], v120 offset0:51 offset1:52
	ds_read2_b64 v[134:137], v120 offset0:53 offset1:54
	s_waitcnt lgkmcnt(0)
	v_fma_f64 v[14:15], -v[104:105], v[130:131], v[14:15]
	v_fma_f64 v[12:13], -v[104:105], v[132:133], v[12:13]
	;; [unrolled: 1-line block ×7, first 2 shown]
.LBB110_80:
	s_or_b64 exec, exec, s[0:1]
	v_lshl_add_u32 v116, v121, 3, v120
	s_barrier
	ds_write_b64 v116, v[102:103]
	s_waitcnt lgkmcnt(0)
	s_barrier
	ds_read_b64 v[116:117], v120 offset:40
	s_cmp_lt_i32 s18, 7
	v_mov_b32_e32 v118, 5
	s_cbranch_scc1 .LBB110_83
; %bb.81:
	v_add3_u32 v126, v125, 0, 48
	s_mov_b32 s0, 6
	v_mov_b32_e32 v118, 5
.LBB110_82:                             ; =>This Inner Loop Header: Depth=1
	ds_read_b64 v[128:129], v126
	v_mov_b32_e32 v127, s0
	s_add_i32 s0, s0, 1
	v_add_u32_e32 v126, 8, v126
	s_cmp_lg_u32 s18, s0
	s_waitcnt lgkmcnt(0)
	v_cmp_lt_f64_e64 vcc, |v[116:117]|, |v[128:129]|
	v_cndmask_b32_e32 v117, v117, v129, vcc
	v_cndmask_b32_e32 v116, v116, v128, vcc
	;; [unrolled: 1-line block ×3, first 2 shown]
	s_cbranch_scc1 .LBB110_82
.LBB110_83:
	s_waitcnt lgkmcnt(0)
	v_cmp_eq_f64_e32 vcc, 0, v[116:117]
	s_and_saveexec_b64 s[0:1], vcc
	s_xor_b64 s[0:1], exec, s[0:1]
; %bb.84:
	v_cmp_ne_u32_e32 vcc, 0, v124
	v_cndmask_b32_e32 v124, 6, v124, vcc
; %bb.85:
	s_andn2_saveexec_b64 s[0:1], s[0:1]
; %bb.86:
	v_div_scale_f64 v[126:127], s[2:3], v[116:117], v[116:117], 1.0
	v_rcp_f64_e32 v[128:129], v[126:127]
	v_div_scale_f64 v[130:131], vcc, 1.0, v[116:117], 1.0
	v_fma_f64 v[132:133], -v[126:127], v[128:129], 1.0
	v_fmac_f64_e32 v[128:129], v[128:129], v[132:133]
	v_fma_f64 v[132:133], -v[126:127], v[128:129], 1.0
	v_fmac_f64_e32 v[128:129], v[128:129], v[132:133]
	v_mul_f64 v[132:133], v[130:131], v[128:129]
	v_fma_f64 v[126:127], -v[126:127], v[132:133], v[130:131]
	v_div_fmas_f64 v[126:127], v[126:127], v[128:129], v[132:133]
	v_div_fixup_f64 v[116:117], v[126:127], v[116:117], 1.0
; %bb.87:
	s_or_b64 exec, exec, s[0:1]
	v_cmp_ne_u32_e32 vcc, v121, v118
	s_and_saveexec_b64 s[0:1], vcc
	s_xor_b64 s[0:1], exec, s[0:1]
	s_cbranch_execz .LBB110_93
; %bb.88:
	v_cmp_eq_u32_e32 vcc, 5, v121
	s_and_saveexec_b64 s[2:3], vcc
	s_cbranch_execz .LBB110_92
; %bb.89:
	v_cmp_ne_u32_e32 vcc, 5, v118
	s_xor_b64 s[14:15], s[6:7], -1
	s_and_b64 s[16:17], s[14:15], vcc
	s_and_saveexec_b64 s[14:15], s[16:17]
	s_cbranch_execz .LBB110_91
; %bb.90:
	v_ashrrev_i32_e32 v119, 31, v118
	v_lshlrev_b64 v[126:127], 2, v[118:119]
	v_add_co_u32_e32 v126, vcc, v4, v126
	v_addc_co_u32_e32 v127, vcc, v5, v127, vcc
	flat_load_dword v119, v[126:127]
	flat_load_dword v121, v[4:5] offset:20
	s_waitcnt vmcnt(0) lgkmcnt(0)
	flat_store_dword v[4:5], v119 offset:20
	flat_store_dword v[126:127], v121
.LBB110_91:
	s_or_b64 exec, exec, s[14:15]
	v_mov_b32_e32 v119, v118
	v_mov_b32_e32 v121, v118
.LBB110_92:
	s_or_b64 exec, exec, s[2:3]
.LBB110_93:
	s_andn2_saveexec_b64 s[0:1], s[0:1]
	s_cbranch_execz .LBB110_95
; %bb.94:
	v_mov_b32_e32 v126, v100
	v_mov_b32_e32 v127, v101
	v_mov_b32_e32 v128, v98
	v_mov_b32_e32 v129, v99
	ds_write2_b64 v120, v[126:127], v[128:129] offset0:6 offset1:7
	v_mov_b32_e32 v126, v96
	v_mov_b32_e32 v127, v97
	v_mov_b32_e32 v128, v94
	v_mov_b32_e32 v129, v95
	ds_write2_b64 v120, v[126:127], v[128:129] offset0:8 offset1:9
	v_mov_b32_e32 v126, v92
	v_mov_b32_e32 v127, v93
	v_mov_b32_e32 v128, v90
	v_mov_b32_e32 v129, v91
	ds_write2_b64 v120, v[126:127], v[128:129] offset0:10 offset1:11
	v_mov_b32_e32 v126, v88
	v_mov_b32_e32 v127, v89
	v_mov_b32_e32 v128, v86
	v_mov_b32_e32 v129, v87
	ds_write2_b64 v120, v[126:127], v[128:129] offset0:12 offset1:13
	v_mov_b32_e32 v126, v84
	v_mov_b32_e32 v127, v85
	v_mov_b32_e32 v128, v82
	v_mov_b32_e32 v129, v83
	ds_write2_b64 v120, v[126:127], v[128:129] offset0:14 offset1:15
	v_mov_b32_e32 v126, v80
	v_mov_b32_e32 v127, v81
	v_mov_b32_e32 v128, v78
	v_mov_b32_e32 v129, v79
	ds_write2_b64 v120, v[126:127], v[128:129] offset0:16 offset1:17
	v_mov_b32_e32 v126, v76
	v_mov_b32_e32 v127, v77
	v_mov_b32_e32 v128, v74
	v_mov_b32_e32 v129, v75
	ds_write2_b64 v120, v[126:127], v[128:129] offset0:18 offset1:19
	v_mov_b32_e32 v126, v72
	v_mov_b32_e32 v127, v73
	v_mov_b32_e32 v128, v70
	v_mov_b32_e32 v129, v71
	ds_write2_b64 v120, v[126:127], v[128:129] offset0:20 offset1:21
	v_mov_b32_e32 v126, v68
	v_mov_b32_e32 v127, v69
	v_mov_b32_e32 v128, v66
	v_mov_b32_e32 v129, v67
	ds_write2_b64 v120, v[126:127], v[128:129] offset0:22 offset1:23
	v_mov_b32_e32 v126, v64
	v_mov_b32_e32 v127, v65
	v_mov_b32_e32 v128, v62
	v_mov_b32_e32 v129, v63
	ds_write2_b64 v120, v[126:127], v[128:129] offset0:24 offset1:25
	v_mov_b32_e32 v126, v60
	v_mov_b32_e32 v127, v61
	v_mov_b32_e32 v128, v58
	v_mov_b32_e32 v129, v59
	ds_write2_b64 v120, v[126:127], v[128:129] offset0:26 offset1:27
	v_mov_b32_e32 v126, v56
	v_mov_b32_e32 v127, v57
	v_mov_b32_e32 v128, v54
	v_mov_b32_e32 v129, v55
	ds_write2_b64 v120, v[126:127], v[128:129] offset0:28 offset1:29
	v_mov_b32_e32 v126, v52
	v_mov_b32_e32 v127, v53
	v_mov_b32_e32 v128, v50
	v_mov_b32_e32 v129, v51
	ds_write2_b64 v120, v[126:127], v[128:129] offset0:30 offset1:31
	v_mov_b32_e32 v126, v48
	v_mov_b32_e32 v127, v49
	v_mov_b32_e32 v128, v46
	v_mov_b32_e32 v129, v47
	ds_write2_b64 v120, v[126:127], v[128:129] offset0:32 offset1:33
	v_mov_b32_e32 v126, v44
	v_mov_b32_e32 v127, v45
	v_mov_b32_e32 v128, v42
	v_mov_b32_e32 v129, v43
	ds_write2_b64 v120, v[126:127], v[128:129] offset0:34 offset1:35
	v_mov_b32_e32 v126, v40
	v_mov_b32_e32 v127, v41
	v_mov_b32_e32 v128, v38
	v_mov_b32_e32 v129, v39
	ds_write2_b64 v120, v[126:127], v[128:129] offset0:36 offset1:37
	v_mov_b32_e32 v126, v36
	v_mov_b32_e32 v127, v37
	v_mov_b32_e32 v128, v34
	v_mov_b32_e32 v129, v35
	ds_write2_b64 v120, v[126:127], v[128:129] offset0:38 offset1:39
	v_mov_b32_e32 v126, v32
	v_mov_b32_e32 v127, v33
	v_mov_b32_e32 v128, v30
	v_mov_b32_e32 v129, v31
	ds_write2_b64 v120, v[126:127], v[128:129] offset0:40 offset1:41
	v_mov_b32_e32 v126, v28
	v_mov_b32_e32 v127, v29
	v_mov_b32_e32 v128, v26
	v_mov_b32_e32 v129, v27
	ds_write2_b64 v120, v[126:127], v[128:129] offset0:42 offset1:43
	v_mov_b32_e32 v126, v24
	v_mov_b32_e32 v127, v25
	v_mov_b32_e32 v128, v22
	v_mov_b32_e32 v129, v23
	ds_write2_b64 v120, v[126:127], v[128:129] offset0:44 offset1:45
	v_mov_b32_e32 v126, v20
	v_mov_b32_e32 v127, v21
	v_mov_b32_e32 v128, v18
	v_mov_b32_e32 v129, v19
	ds_write2_b64 v120, v[126:127], v[128:129] offset0:46 offset1:47
	v_mov_b32_e32 v126, v16
	v_mov_b32_e32 v127, v17
	v_mov_b32_e32 v128, v14
	v_mov_b32_e32 v129, v15
	ds_write2_b64 v120, v[126:127], v[128:129] offset0:48 offset1:49
	v_mov_b32_e32 v126, v12
	v_mov_b32_e32 v127, v13
	v_mov_b32_e32 v128, v10
	v_mov_b32_e32 v129, v11
	ds_write2_b64 v120, v[126:127], v[128:129] offset0:50 offset1:51
	v_mov_b32_e32 v126, v8
	v_mov_b32_e32 v127, v9
	v_mov_b32_e32 v128, v6
	v_mov_b32_e32 v129, v7
	ds_write2_b64 v120, v[126:127], v[128:129] offset0:52 offset1:53
	v_mov_b32_e32 v126, v0
	v_mov_b32_e32 v127, v1
	;; [unrolled: 1-line block ×3, first 2 shown]
	ds_write2_b64 v120, v[126:127], v[114:115] offset0:54 offset1:55
.LBB110_95:
	s_or_b64 exec, exec, s[0:1]
	v_cmp_lt_i32_e32 vcc, 5, v121
	s_waitcnt lgkmcnt(0)
	s_barrier
	s_and_saveexec_b64 s[0:1], vcc
	s_cbranch_execz .LBB110_97
; %bb.96:
	ds_read2_b64 v[126:129], v120 offset0:6 offset1:7
	ds_read2_b64 v[130:133], v120 offset0:8 offset1:9
	v_mul_f64 v[102:103], v[116:117], v[102:103]
	ds_read2_b64 v[134:137], v120 offset0:10 offset1:11
	s_waitcnt lgkmcnt(0)
	v_fma_f64 v[100:101], -v[102:103], v[126:127], v[100:101]
	v_fma_f64 v[98:99], -v[102:103], v[128:129], v[98:99]
	ds_read2_b64 v[126:129], v120 offset0:12 offset1:13
	v_fma_f64 v[96:97], -v[102:103], v[130:131], v[96:97]
	v_fma_f64 v[94:95], -v[102:103], v[132:133], v[94:95]
	;; [unrolled: 1-line block ×3, first 2 shown]
	ds_read2_b64 v[130:133], v120 offset0:14 offset1:15
	v_fma_f64 v[90:91], -v[102:103], v[136:137], v[90:91]
	ds_read2_b64 v[134:137], v120 offset0:16 offset1:17
	s_waitcnt lgkmcnt(0)
	v_fma_f64 v[88:89], -v[102:103], v[126:127], v[88:89]
	v_fma_f64 v[86:87], -v[102:103], v[128:129], v[86:87]
	ds_read2_b64 v[126:129], v120 offset0:18 offset1:19
	v_fma_f64 v[84:85], -v[102:103], v[130:131], v[84:85]
	v_fma_f64 v[82:83], -v[102:103], v[132:133], v[82:83]
	ds_read2_b64 v[130:133], v120 offset0:20 offset1:21
	v_fma_f64 v[80:81], -v[102:103], v[134:135], v[80:81]
	v_fma_f64 v[78:79], -v[102:103], v[136:137], v[78:79]
	s_waitcnt lgkmcnt(0)
	v_fma_f64 v[76:77], -v[102:103], v[126:127], v[76:77]
	ds_read2_b64 v[134:137], v120 offset0:22 offset1:23
	v_fma_f64 v[74:75], -v[102:103], v[128:129], v[74:75]
	ds_read2_b64 v[126:129], v120 offset0:24 offset1:25
	v_fma_f64 v[72:73], -v[102:103], v[130:131], v[72:73]
	v_fma_f64 v[70:71], -v[102:103], v[132:133], v[70:71]
	s_waitcnt lgkmcnt(0)
	v_fma_f64 v[68:69], -v[102:103], v[134:135], v[68:69]
	ds_read2_b64 v[130:133], v120 offset0:26 offset1:27
	v_fma_f64 v[66:67], -v[102:103], v[136:137], v[66:67]
	ds_read2_b64 v[134:137], v120 offset0:28 offset1:29
	v_fma_f64 v[64:65], -v[102:103], v[126:127], v[64:65]
	v_fma_f64 v[62:63], -v[102:103], v[128:129], v[62:63]
	ds_read2_b64 v[126:129], v120 offset0:30 offset1:31
	s_waitcnt lgkmcnt(0)
	v_fma_f64 v[60:61], -v[102:103], v[130:131], v[60:61]
	v_fma_f64 v[58:59], -v[102:103], v[132:133], v[58:59]
	ds_read2_b64 v[130:133], v120 offset0:32 offset1:33
	v_fma_f64 v[56:57], -v[102:103], v[134:135], v[56:57]
	v_fma_f64 v[54:55], -v[102:103], v[136:137], v[54:55]
	;; [unrolled: 1-line block ×3, first 2 shown]
	ds_read2_b64 v[134:137], v120 offset0:34 offset1:35
	v_fma_f64 v[50:51], -v[102:103], v[128:129], v[50:51]
	ds_read2_b64 v[126:129], v120 offset0:36 offset1:37
	s_waitcnt lgkmcnt(0)
	v_fma_f64 v[48:49], -v[102:103], v[130:131], v[48:49]
	v_fma_f64 v[46:47], -v[102:103], v[132:133], v[46:47]
	;; [unrolled: 1-line block ×3, first 2 shown]
	ds_read2_b64 v[130:133], v120 offset0:38 offset1:39
	v_fma_f64 v[42:43], -v[102:103], v[136:137], v[42:43]
	ds_read2_b64 v[134:137], v120 offset0:40 offset1:41
	v_fma_f64 v[40:41], -v[102:103], v[126:127], v[40:41]
	v_fma_f64 v[38:39], -v[102:103], v[128:129], v[38:39]
	ds_read2_b64 v[126:129], v120 offset0:42 offset1:43
	s_waitcnt lgkmcnt(0)
	v_fma_f64 v[36:37], -v[102:103], v[130:131], v[36:37]
	v_fma_f64 v[34:35], -v[102:103], v[132:133], v[34:35]
	ds_read2_b64 v[130:133], v120 offset0:44 offset1:45
	v_fma_f64 v[32:33], -v[102:103], v[134:135], v[32:33]
	v_fma_f64 v[30:31], -v[102:103], v[136:137], v[30:31]
	;; [unrolled: 1-line block ×3, first 2 shown]
	ds_read2_b64 v[134:137], v120 offset0:46 offset1:47
	v_fma_f64 v[26:27], -v[102:103], v[128:129], v[26:27]
	ds_read2_b64 v[126:129], v120 offset0:48 offset1:49
	s_waitcnt lgkmcnt(0)
	v_fma_f64 v[24:25], -v[102:103], v[130:131], v[24:25]
	v_fma_f64 v[22:23], -v[102:103], v[132:133], v[22:23]
	v_fma_f64 v[20:21], -v[102:103], v[134:135], v[20:21]
	v_fma_f64 v[18:19], -v[102:103], v[136:137], v[18:19]
	ds_read2_b64 v[130:133], v120 offset0:50 offset1:51
	ds_read2_b64 v[134:137], v120 offset0:52 offset1:53
	v_fma_f64 v[16:17], -v[102:103], v[126:127], v[16:17]
	v_fma_f64 v[14:15], -v[102:103], v[128:129], v[14:15]
	ds_read2_b64 v[126:129], v120 offset0:54 offset1:55
	s_waitcnt lgkmcnt(0)
	v_fma_f64 v[12:13], -v[102:103], v[130:131], v[12:13]
	v_fma_f64 v[10:11], -v[102:103], v[132:133], v[10:11]
	;; [unrolled: 1-line block ×6, first 2 shown]
.LBB110_97:
	s_or_b64 exec, exec, s[0:1]
	v_lshl_add_u32 v116, v121, 3, v120
	s_barrier
	ds_write_b64 v116, v[100:101]
	s_waitcnt lgkmcnt(0)
	s_barrier
	ds_read_b64 v[116:117], v120 offset:48
	s_cmp_lt_i32 s18, 8
	v_mov_b32_e32 v118, 6
	s_cbranch_scc1 .LBB110_100
; %bb.98:
	v_add3_u32 v126, v125, 0, 56
	s_mov_b32 s0, 7
	v_mov_b32_e32 v118, 6
.LBB110_99:                             ; =>This Inner Loop Header: Depth=1
	ds_read_b64 v[128:129], v126
	v_mov_b32_e32 v127, s0
	s_add_i32 s0, s0, 1
	v_add_u32_e32 v126, 8, v126
	s_cmp_lg_u32 s18, s0
	s_waitcnt lgkmcnt(0)
	v_cmp_lt_f64_e64 vcc, |v[116:117]|, |v[128:129]|
	v_cndmask_b32_e32 v117, v117, v129, vcc
	v_cndmask_b32_e32 v116, v116, v128, vcc
	;; [unrolled: 1-line block ×3, first 2 shown]
	s_cbranch_scc1 .LBB110_99
.LBB110_100:
	s_waitcnt lgkmcnt(0)
	v_cmp_eq_f64_e32 vcc, 0, v[116:117]
	s_and_saveexec_b64 s[0:1], vcc
	s_xor_b64 s[0:1], exec, s[0:1]
; %bb.101:
	v_cmp_ne_u32_e32 vcc, 0, v124
	v_cndmask_b32_e32 v124, 7, v124, vcc
; %bb.102:
	s_andn2_saveexec_b64 s[0:1], s[0:1]
; %bb.103:
	v_div_scale_f64 v[126:127], s[2:3], v[116:117], v[116:117], 1.0
	v_rcp_f64_e32 v[128:129], v[126:127]
	v_div_scale_f64 v[130:131], vcc, 1.0, v[116:117], 1.0
	v_fma_f64 v[132:133], -v[126:127], v[128:129], 1.0
	v_fmac_f64_e32 v[128:129], v[128:129], v[132:133]
	v_fma_f64 v[132:133], -v[126:127], v[128:129], 1.0
	v_fmac_f64_e32 v[128:129], v[128:129], v[132:133]
	v_mul_f64 v[132:133], v[130:131], v[128:129]
	v_fma_f64 v[126:127], -v[126:127], v[132:133], v[130:131]
	v_div_fmas_f64 v[126:127], v[126:127], v[128:129], v[132:133]
	v_div_fixup_f64 v[116:117], v[126:127], v[116:117], 1.0
; %bb.104:
	s_or_b64 exec, exec, s[0:1]
	v_cmp_ne_u32_e32 vcc, v121, v118
	s_and_saveexec_b64 s[0:1], vcc
	s_xor_b64 s[0:1], exec, s[0:1]
	s_cbranch_execz .LBB110_110
; %bb.105:
	v_cmp_eq_u32_e32 vcc, 6, v121
	s_and_saveexec_b64 s[2:3], vcc
	s_cbranch_execz .LBB110_109
; %bb.106:
	v_cmp_ne_u32_e32 vcc, 6, v118
	s_xor_b64 s[14:15], s[6:7], -1
	s_and_b64 s[16:17], s[14:15], vcc
	s_and_saveexec_b64 s[14:15], s[16:17]
	s_cbranch_execz .LBB110_108
; %bb.107:
	v_ashrrev_i32_e32 v119, 31, v118
	v_lshlrev_b64 v[126:127], 2, v[118:119]
	v_add_co_u32_e32 v126, vcc, v4, v126
	v_addc_co_u32_e32 v127, vcc, v5, v127, vcc
	flat_load_dword v119, v[126:127]
	flat_load_dword v121, v[4:5] offset:24
	s_waitcnt vmcnt(0) lgkmcnt(0)
	flat_store_dword v[4:5], v119 offset:24
	flat_store_dword v[126:127], v121
.LBB110_108:
	s_or_b64 exec, exec, s[14:15]
	v_mov_b32_e32 v119, v118
	v_mov_b32_e32 v121, v118
.LBB110_109:
	s_or_b64 exec, exec, s[2:3]
.LBB110_110:
	s_andn2_saveexec_b64 s[0:1], s[0:1]
	s_cbranch_execz .LBB110_112
; %bb.111:
	v_mov_b32_e32 v121, 6
	ds_write2_b64 v120, v[98:99], v[96:97] offset0:7 offset1:8
	ds_write2_b64 v120, v[94:95], v[92:93] offset0:9 offset1:10
	;; [unrolled: 1-line block ×24, first 2 shown]
	ds_write_b64 v120, v[114:115] offset:440
.LBB110_112:
	s_or_b64 exec, exec, s[0:1]
	v_cmp_lt_i32_e32 vcc, 6, v121
	s_waitcnt lgkmcnt(0)
	s_barrier
	s_and_saveexec_b64 s[0:1], vcc
	s_cbranch_execz .LBB110_114
; %bb.113:
	ds_read2_b64 v[126:129], v120 offset0:7 offset1:8
	ds_read2_b64 v[130:133], v120 offset0:9 offset1:10
	ds_read2_b64 v[134:137], v120 offset0:11 offset1:12
	v_mul_f64 v[100:101], v[116:117], v[100:101]
	ds_read_b64 v[116:117], v120 offset:440
	s_waitcnt lgkmcnt(0)
	v_fma_f64 v[98:99], -v[100:101], v[126:127], v[98:99]
	v_fma_f64 v[96:97], -v[100:101], v[128:129], v[96:97]
	ds_read2_b64 v[126:129], v120 offset0:13 offset1:14
	v_fma_f64 v[94:95], -v[100:101], v[130:131], v[94:95]
	v_fma_f64 v[92:93], -v[100:101], v[132:133], v[92:93]
	v_fma_f64 v[90:91], -v[100:101], v[134:135], v[90:91]
	ds_read2_b64 v[130:133], v120 offset0:15 offset1:16
	v_fma_f64 v[88:89], -v[100:101], v[136:137], v[88:89]
	ds_read2_b64 v[134:137], v120 offset0:17 offset1:18
	s_waitcnt lgkmcnt(0)
	v_fma_f64 v[86:87], -v[100:101], v[126:127], v[86:87]
	v_fma_f64 v[84:85], -v[100:101], v[128:129], v[84:85]
	v_fma_f64 v[82:83], -v[100:101], v[130:131], v[82:83]
	ds_read2_b64 v[126:129], v120 offset0:19 offset1:20
	v_fma_f64 v[80:81], -v[100:101], v[132:133], v[80:81]
	ds_read2_b64 v[130:133], v120 offset0:21 offset1:22
	v_fma_f64 v[78:79], -v[100:101], v[134:135], v[78:79]
	v_fma_f64 v[76:77], -v[100:101], v[136:137], v[76:77]
	ds_read2_b64 v[134:137], v120 offset0:23 offset1:24
	s_waitcnt lgkmcnt(0)
	v_fma_f64 v[74:75], -v[100:101], v[126:127], v[74:75]
	v_fma_f64 v[72:73], -v[100:101], v[128:129], v[72:73]
	ds_read2_b64 v[126:129], v120 offset0:25 offset1:26
	v_fma_f64 v[70:71], -v[100:101], v[130:131], v[70:71]
	v_fma_f64 v[68:69], -v[100:101], v[132:133], v[68:69]
	v_fma_f64 v[66:67], -v[100:101], v[134:135], v[66:67]
	ds_read2_b64 v[130:133], v120 offset0:27 offset1:28
	v_fma_f64 v[64:65], -v[100:101], v[136:137], v[64:65]
	ds_read2_b64 v[134:137], v120 offset0:29 offset1:30
	s_waitcnt lgkmcnt(0)
	v_fma_f64 v[62:63], -v[100:101], v[126:127], v[62:63]
	v_fma_f64 v[60:61], -v[100:101], v[128:129], v[60:61]
	v_fma_f64 v[58:59], -v[100:101], v[130:131], v[58:59]
	ds_read2_b64 v[126:129], v120 offset0:31 offset1:32
	v_fma_f64 v[56:57], -v[100:101], v[132:133], v[56:57]
	ds_read2_b64 v[130:133], v120 offset0:33 offset1:34
	v_fma_f64 v[54:55], -v[100:101], v[134:135], v[54:55]
	v_fma_f64 v[52:53], -v[100:101], v[136:137], v[52:53]
	ds_read2_b64 v[134:137], v120 offset0:35 offset1:36
	;; [unrolled: 20-line block ×3, first 2 shown]
	s_waitcnt lgkmcnt(0)
	v_fma_f64 v[26:27], -v[100:101], v[126:127], v[26:27]
	v_fma_f64 v[24:25], -v[100:101], v[128:129], v[24:25]
	ds_read2_b64 v[126:129], v120 offset0:49 offset1:50
	v_fma_f64 v[22:23], -v[100:101], v[130:131], v[22:23]
	v_fma_f64 v[20:21], -v[100:101], v[132:133], v[20:21]
	;; [unrolled: 1-line block ×4, first 2 shown]
	ds_read2_b64 v[130:133], v120 offset0:51 offset1:52
	ds_read2_b64 v[134:137], v120 offset0:53 offset1:54
	s_waitcnt lgkmcnt(0)
	v_fma_f64 v[14:15], -v[100:101], v[126:127], v[14:15]
	v_fma_f64 v[12:13], -v[100:101], v[128:129], v[12:13]
	;; [unrolled: 1-line block ×7, first 2 shown]
.LBB110_114:
	s_or_b64 exec, exec, s[0:1]
	v_lshl_add_u32 v116, v121, 3, v120
	s_barrier
	ds_write_b64 v116, v[98:99]
	s_waitcnt lgkmcnt(0)
	s_barrier
	ds_read_b64 v[116:117], v120 offset:56
	s_cmp_lt_i32 s18, 9
	v_mov_b32_e32 v118, 7
	s_cbranch_scc1 .LBB110_117
; %bb.115:
	v_add3_u32 v125, v125, 0, 64
	s_mov_b32 s0, 8
	v_mov_b32_e32 v118, 7
.LBB110_116:                            ; =>This Inner Loop Header: Depth=1
	ds_read_b64 v[126:127], v125
	v_mov_b32_e32 v128, s0
	s_add_i32 s0, s0, 1
	v_add_u32_e32 v125, 8, v125
	s_cmp_lg_u32 s18, s0
	s_waitcnt lgkmcnt(0)
	v_cmp_lt_f64_e64 vcc, |v[116:117]|, |v[126:127]|
	v_cndmask_b32_e32 v117, v117, v127, vcc
	v_cndmask_b32_e32 v116, v116, v126, vcc
	v_cndmask_b32_e32 v118, v118, v128, vcc
	s_cbranch_scc1 .LBB110_116
.LBB110_117:
	s_waitcnt lgkmcnt(0)
	v_cmp_eq_f64_e32 vcc, 0, v[116:117]
	s_and_saveexec_b64 s[0:1], vcc
	s_xor_b64 s[0:1], exec, s[0:1]
; %bb.118:
	v_cmp_ne_u32_e32 vcc, 0, v124
	v_cndmask_b32_e32 v124, 8, v124, vcc
; %bb.119:
	s_andn2_saveexec_b64 s[0:1], s[0:1]
; %bb.120:
	v_div_scale_f64 v[126:127], s[2:3], v[116:117], v[116:117], 1.0
	v_rcp_f64_e32 v[128:129], v[126:127]
	v_div_scale_f64 v[130:131], vcc, 1.0, v[116:117], 1.0
	v_fma_f64 v[132:133], -v[126:127], v[128:129], 1.0
	v_fmac_f64_e32 v[128:129], v[128:129], v[132:133]
	v_fma_f64 v[132:133], -v[126:127], v[128:129], 1.0
	v_fmac_f64_e32 v[128:129], v[128:129], v[132:133]
	v_mul_f64 v[132:133], v[130:131], v[128:129]
	v_fma_f64 v[126:127], -v[126:127], v[132:133], v[130:131]
	v_div_fmas_f64 v[126:127], v[126:127], v[128:129], v[132:133]
	v_div_fixup_f64 v[116:117], v[126:127], v[116:117], 1.0
; %bb.121:
	s_or_b64 exec, exec, s[0:1]
	v_cmp_ne_u32_e32 vcc, v121, v118
	s_and_saveexec_b64 s[0:1], vcc
	s_xor_b64 s[0:1], exec, s[0:1]
	s_cbranch_execz .LBB110_127
; %bb.122:
	v_cmp_eq_u32_e32 vcc, 7, v121
	s_and_saveexec_b64 s[2:3], vcc
	s_cbranch_execz .LBB110_126
; %bb.123:
	v_cmp_ne_u32_e32 vcc, 7, v118
	s_xor_b64 s[14:15], s[6:7], -1
	s_and_b64 s[16:17], s[14:15], vcc
	s_and_saveexec_b64 s[14:15], s[16:17]
	s_cbranch_execz .LBB110_125
; %bb.124:
	v_ashrrev_i32_e32 v119, 31, v118
	v_lshlrev_b64 v[126:127], 2, v[118:119]
	v_add_co_u32_e32 v126, vcc, v4, v126
	v_addc_co_u32_e32 v127, vcc, v5, v127, vcc
	flat_load_dword v119, v[126:127]
	flat_load_dword v121, v[4:5] offset:28
	s_waitcnt vmcnt(0) lgkmcnt(0)
	flat_store_dword v[4:5], v119 offset:28
	flat_store_dword v[126:127], v121
.LBB110_125:
	s_or_b64 exec, exec, s[14:15]
	v_mov_b32_e32 v119, v118
	v_mov_b32_e32 v121, v118
.LBB110_126:
	s_or_b64 exec, exec, s[2:3]
.LBB110_127:
	s_andn2_saveexec_b64 s[0:1], s[0:1]
	s_cbranch_execz .LBB110_129
; %bb.128:
	v_mov_b32_e32 v126, v96
	v_mov_b32_e32 v127, v97
	v_mov_b32_e32 v128, v94
	v_mov_b32_e32 v129, v95
	ds_write2_b64 v120, v[126:127], v[128:129] offset0:8 offset1:9
	v_mov_b32_e32 v126, v92
	v_mov_b32_e32 v127, v93
	v_mov_b32_e32 v128, v90
	v_mov_b32_e32 v129, v91
	ds_write2_b64 v120, v[126:127], v[128:129] offset0:10 offset1:11
	;; [unrolled: 5-line block ×23, first 2 shown]
	v_mov_b32_e32 v126, v0
	v_mov_b32_e32 v127, v1
	;; [unrolled: 1-line block ×3, first 2 shown]
	ds_write2_b64 v120, v[126:127], v[114:115] offset0:54 offset1:55
.LBB110_129:
	s_or_b64 exec, exec, s[0:1]
	v_cmp_lt_i32_e32 vcc, 7, v121
	s_waitcnt lgkmcnt(0)
	s_barrier
	s_and_saveexec_b64 s[0:1], vcc
	s_cbranch_execz .LBB110_131
; %bb.130:
	ds_read2_b64 v[126:129], v120 offset0:8 offset1:9
	ds_read2_b64 v[130:133], v120 offset0:10 offset1:11
	;; [unrolled: 1-line block ×3, first 2 shown]
	v_mul_f64 v[98:99], v[116:117], v[98:99]
	s_waitcnt lgkmcnt(0)
	v_fma_f64 v[96:97], -v[98:99], v[126:127], v[96:97]
	v_fma_f64 v[94:95], -v[98:99], v[128:129], v[94:95]
	ds_read2_b64 v[126:129], v120 offset0:14 offset1:15
	v_fma_f64 v[92:93], -v[98:99], v[130:131], v[92:93]
	v_fma_f64 v[90:91], -v[98:99], v[132:133], v[90:91]
	v_fma_f64 v[88:89], -v[98:99], v[134:135], v[88:89]
	ds_read2_b64 v[130:133], v120 offset0:16 offset1:17
	v_fma_f64 v[86:87], -v[98:99], v[136:137], v[86:87]
	ds_read2_b64 v[134:137], v120 offset0:18 offset1:19
	s_waitcnt lgkmcnt(0)
	v_fma_f64 v[84:85], -v[98:99], v[126:127], v[84:85]
	v_fma_f64 v[82:83], -v[98:99], v[128:129], v[82:83]
	v_fma_f64 v[80:81], -v[98:99], v[130:131], v[80:81]
	ds_read2_b64 v[126:129], v120 offset0:20 offset1:21
	v_fma_f64 v[78:79], -v[98:99], v[132:133], v[78:79]
	ds_read2_b64 v[130:133], v120 offset0:22 offset1:23
	v_fma_f64 v[76:77], -v[98:99], v[134:135], v[76:77]
	v_fma_f64 v[74:75], -v[98:99], v[136:137], v[74:75]
	ds_read2_b64 v[134:137], v120 offset0:24 offset1:25
	s_waitcnt lgkmcnt(0)
	v_fma_f64 v[72:73], -v[98:99], v[126:127], v[72:73]
	v_fma_f64 v[70:71], -v[98:99], v[128:129], v[70:71]
	ds_read2_b64 v[126:129], v120 offset0:26 offset1:27
	v_fma_f64 v[68:69], -v[98:99], v[130:131], v[68:69]
	v_fma_f64 v[66:67], -v[98:99], v[132:133], v[66:67]
	v_fma_f64 v[64:65], -v[98:99], v[134:135], v[64:65]
	ds_read2_b64 v[130:133], v120 offset0:28 offset1:29
	v_fma_f64 v[62:63], -v[98:99], v[136:137], v[62:63]
	ds_read2_b64 v[134:137], v120 offset0:30 offset1:31
	s_waitcnt lgkmcnt(0)
	v_fma_f64 v[60:61], -v[98:99], v[126:127], v[60:61]
	v_fma_f64 v[58:59], -v[98:99], v[128:129], v[58:59]
	v_fma_f64 v[56:57], -v[98:99], v[130:131], v[56:57]
	ds_read2_b64 v[126:129], v120 offset0:32 offset1:33
	v_fma_f64 v[54:55], -v[98:99], v[132:133], v[54:55]
	ds_read2_b64 v[130:133], v120 offset0:34 offset1:35
	v_fma_f64 v[52:53], -v[98:99], v[134:135], v[52:53]
	v_fma_f64 v[50:51], -v[98:99], v[136:137], v[50:51]
	ds_read2_b64 v[134:137], v120 offset0:36 offset1:37
	;; [unrolled: 20-line block ×3, first 2 shown]
	s_waitcnt lgkmcnt(0)
	v_fma_f64 v[24:25], -v[98:99], v[126:127], v[24:25]
	v_fma_f64 v[22:23], -v[98:99], v[128:129], v[22:23]
	ds_read2_b64 v[126:129], v120 offset0:50 offset1:51
	v_fma_f64 v[20:21], -v[98:99], v[130:131], v[20:21]
	v_fma_f64 v[18:19], -v[98:99], v[132:133], v[18:19]
	;; [unrolled: 1-line block ×3, first 2 shown]
	ds_read2_b64 v[130:133], v120 offset0:52 offset1:53
	v_fma_f64 v[14:15], -v[98:99], v[136:137], v[14:15]
	ds_read2_b64 v[134:137], v120 offset0:54 offset1:55
	s_waitcnt lgkmcnt(0)
	v_fma_f64 v[12:13], -v[98:99], v[126:127], v[12:13]
	v_fma_f64 v[10:11], -v[98:99], v[128:129], v[10:11]
	;; [unrolled: 1-line block ×6, first 2 shown]
.LBB110_131:
	s_or_b64 exec, exec, s[0:1]
	v_lshl_add_u32 v116, v121, 3, v120
	s_barrier
	ds_write_b64 v116, v[96:97]
	s_waitcnt lgkmcnt(0)
	s_barrier
	ds_read_b64 v[116:117], v120 offset:64
	s_cmp_lt_i32 s18, 10
	v_mov_b32_e32 v118, 8
	s_cbranch_scc1 .LBB110_134
; %bb.132:
	v_add_u32_e32 v125, 0x48, v120
	s_mov_b32 s0, 9
	v_mov_b32_e32 v118, 8
.LBB110_133:                            ; =>This Inner Loop Header: Depth=1
	ds_read_b64 v[126:127], v125
	v_mov_b32_e32 v128, s0
	s_add_i32 s0, s0, 1
	v_add_u32_e32 v125, 8, v125
	s_cmp_lg_u32 s18, s0
	s_waitcnt lgkmcnt(0)
	v_cmp_lt_f64_e64 vcc, |v[116:117]|, |v[126:127]|
	v_cndmask_b32_e32 v117, v117, v127, vcc
	v_cndmask_b32_e32 v116, v116, v126, vcc
	;; [unrolled: 1-line block ×3, first 2 shown]
	s_cbranch_scc1 .LBB110_133
.LBB110_134:
	s_waitcnt lgkmcnt(0)
	v_cmp_eq_f64_e32 vcc, 0, v[116:117]
	s_and_saveexec_b64 s[0:1], vcc
	s_xor_b64 s[0:1], exec, s[0:1]
; %bb.135:
	v_cmp_ne_u32_e32 vcc, 0, v124
	v_cndmask_b32_e32 v124, 9, v124, vcc
; %bb.136:
	s_andn2_saveexec_b64 s[0:1], s[0:1]
; %bb.137:
	v_div_scale_f64 v[126:127], s[2:3], v[116:117], v[116:117], 1.0
	v_rcp_f64_e32 v[128:129], v[126:127]
	v_div_scale_f64 v[130:131], vcc, 1.0, v[116:117], 1.0
	v_fma_f64 v[132:133], -v[126:127], v[128:129], 1.0
	v_fmac_f64_e32 v[128:129], v[128:129], v[132:133]
	v_fma_f64 v[132:133], -v[126:127], v[128:129], 1.0
	v_fmac_f64_e32 v[128:129], v[128:129], v[132:133]
	v_mul_f64 v[132:133], v[130:131], v[128:129]
	v_fma_f64 v[126:127], -v[126:127], v[132:133], v[130:131]
	v_div_fmas_f64 v[126:127], v[126:127], v[128:129], v[132:133]
	v_div_fixup_f64 v[116:117], v[126:127], v[116:117], 1.0
; %bb.138:
	s_or_b64 exec, exec, s[0:1]
	v_cmp_ne_u32_e32 vcc, v121, v118
	s_and_saveexec_b64 s[0:1], vcc
	s_xor_b64 s[0:1], exec, s[0:1]
	s_cbranch_execz .LBB110_144
; %bb.139:
	v_cmp_eq_u32_e32 vcc, 8, v121
	s_and_saveexec_b64 s[2:3], vcc
	s_cbranch_execz .LBB110_143
; %bb.140:
	v_cmp_ne_u32_e32 vcc, 8, v118
	s_xor_b64 s[14:15], s[6:7], -1
	s_and_b64 s[16:17], s[14:15], vcc
	s_and_saveexec_b64 s[14:15], s[16:17]
	s_cbranch_execz .LBB110_142
; %bb.141:
	v_ashrrev_i32_e32 v119, 31, v118
	v_lshlrev_b64 v[126:127], 2, v[118:119]
	v_add_co_u32_e32 v126, vcc, v4, v126
	v_addc_co_u32_e32 v127, vcc, v5, v127, vcc
	flat_load_dword v119, v[126:127]
	flat_load_dword v121, v[4:5] offset:32
	s_waitcnt vmcnt(0) lgkmcnt(0)
	flat_store_dword v[4:5], v119 offset:32
	flat_store_dword v[126:127], v121
.LBB110_142:
	s_or_b64 exec, exec, s[14:15]
	v_mov_b32_e32 v119, v118
	v_mov_b32_e32 v121, v118
.LBB110_143:
	s_or_b64 exec, exec, s[2:3]
.LBB110_144:
	s_andn2_saveexec_b64 s[0:1], s[0:1]
	s_cbranch_execz .LBB110_146
; %bb.145:
	v_mov_b32_e32 v121, 8
	ds_write2_b64 v120, v[94:95], v[92:93] offset0:9 offset1:10
	ds_write2_b64 v120, v[90:91], v[88:89] offset0:11 offset1:12
	;; [unrolled: 1-line block ×23, first 2 shown]
	ds_write_b64 v120, v[114:115] offset:440
.LBB110_146:
	s_or_b64 exec, exec, s[0:1]
	v_cmp_lt_i32_e32 vcc, 8, v121
	s_waitcnt lgkmcnt(0)
	s_barrier
	s_and_saveexec_b64 s[0:1], vcc
	s_cbranch_execz .LBB110_148
; %bb.147:
	ds_read2_b64 v[126:129], v120 offset0:9 offset1:10
	ds_read2_b64 v[130:133], v120 offset0:11 offset1:12
	v_mul_f64 v[96:97], v[116:117], v[96:97]
	ds_read2_b64 v[134:137], v120 offset0:13 offset1:14
	ds_read_b64 v[116:117], v120 offset:440
	s_waitcnt lgkmcnt(0)
	v_fma_f64 v[94:95], -v[96:97], v[126:127], v[94:95]
	v_fma_f64 v[92:93], -v[96:97], v[128:129], v[92:93]
	ds_read2_b64 v[126:129], v120 offset0:15 offset1:16
	v_fma_f64 v[90:91], -v[96:97], v[130:131], v[90:91]
	v_fma_f64 v[88:89], -v[96:97], v[132:133], v[88:89]
	ds_read2_b64 v[130:133], v120 offset0:17 offset1:18
	;; [unrolled: 3-line block ×3, first 2 shown]
	s_waitcnt lgkmcnt(0)
	v_fma_f64 v[82:83], -v[96:97], v[126:127], v[82:83]
	v_fma_f64 v[80:81], -v[96:97], v[128:129], v[80:81]
	;; [unrolled: 1-line block ×3, first 2 shown]
	ds_read2_b64 v[126:129], v120 offset0:21 offset1:22
	v_fma_f64 v[76:77], -v[96:97], v[132:133], v[76:77]
	ds_read2_b64 v[130:133], v120 offset0:23 offset1:24
	v_fma_f64 v[74:75], -v[96:97], v[134:135], v[74:75]
	v_fma_f64 v[72:73], -v[96:97], v[136:137], v[72:73]
	s_waitcnt lgkmcnt(0)
	v_fma_f64 v[70:71], -v[96:97], v[126:127], v[70:71]
	ds_read2_b64 v[134:137], v120 offset0:25 offset1:26
	v_fma_f64 v[68:69], -v[96:97], v[128:129], v[68:69]
	ds_read2_b64 v[126:129], v120 offset0:27 offset1:28
	v_fma_f64 v[66:67], -v[96:97], v[130:131], v[66:67]
	v_fma_f64 v[64:65], -v[96:97], v[132:133], v[64:65]
	ds_read2_b64 v[130:133], v120 offset0:29 offset1:30
	s_waitcnt lgkmcnt(0)
	v_fma_f64 v[62:63], -v[96:97], v[134:135], v[62:63]
	v_fma_f64 v[60:61], -v[96:97], v[136:137], v[60:61]
	ds_read2_b64 v[134:137], v120 offset0:31 offset1:32
	v_fma_f64 v[58:59], -v[96:97], v[126:127], v[58:59]
	v_fma_f64 v[56:57], -v[96:97], v[128:129], v[56:57]
	;; [unrolled: 1-line block ×3, first 2 shown]
	ds_read2_b64 v[126:129], v120 offset0:33 offset1:34
	v_fma_f64 v[52:53], -v[96:97], v[132:133], v[52:53]
	ds_read2_b64 v[130:133], v120 offset0:35 offset1:36
	s_waitcnt lgkmcnt(0)
	v_fma_f64 v[50:51], -v[96:97], v[134:135], v[50:51]
	v_fma_f64 v[48:49], -v[96:97], v[136:137], v[48:49]
	v_fma_f64 v[46:47], -v[96:97], v[126:127], v[46:47]
	ds_read2_b64 v[134:137], v120 offset0:37 offset1:38
	v_fma_f64 v[44:45], -v[96:97], v[128:129], v[44:45]
	ds_read2_b64 v[126:129], v120 offset0:39 offset1:40
	v_fma_f64 v[42:43], -v[96:97], v[130:131], v[42:43]
	v_fma_f64 v[40:41], -v[96:97], v[132:133], v[40:41]
	ds_read2_b64 v[130:133], v120 offset0:41 offset1:42
	s_waitcnt lgkmcnt(0)
	v_fma_f64 v[38:39], -v[96:97], v[134:135], v[38:39]
	v_fma_f64 v[36:37], -v[96:97], v[136:137], v[36:37]
	ds_read2_b64 v[134:137], v120 offset0:43 offset1:44
	v_fma_f64 v[34:35], -v[96:97], v[126:127], v[34:35]
	v_fma_f64 v[32:33], -v[96:97], v[128:129], v[32:33]
	;; [unrolled: 1-line block ×3, first 2 shown]
	ds_read2_b64 v[126:129], v120 offset0:45 offset1:46
	v_fma_f64 v[28:29], -v[96:97], v[132:133], v[28:29]
	ds_read2_b64 v[130:133], v120 offset0:47 offset1:48
	s_waitcnt lgkmcnt(0)
	v_fma_f64 v[26:27], -v[96:97], v[134:135], v[26:27]
	v_fma_f64 v[24:25], -v[96:97], v[136:137], v[24:25]
	;; [unrolled: 1-line block ×3, first 2 shown]
	ds_read2_b64 v[134:137], v120 offset0:49 offset1:50
	v_fma_f64 v[20:21], -v[96:97], v[128:129], v[20:21]
	ds_read2_b64 v[126:129], v120 offset0:51 offset1:52
	v_fma_f64 v[18:19], -v[96:97], v[130:131], v[18:19]
	v_fma_f64 v[16:17], -v[96:97], v[132:133], v[16:17]
	ds_read2_b64 v[130:133], v120 offset0:53 offset1:54
	s_waitcnt lgkmcnt(0)
	v_fma_f64 v[14:15], -v[96:97], v[134:135], v[14:15]
	v_fma_f64 v[12:13], -v[96:97], v[136:137], v[12:13]
	;; [unrolled: 1-line block ×7, first 2 shown]
.LBB110_148:
	s_or_b64 exec, exec, s[0:1]
	v_lshl_add_u32 v116, v121, 3, v120
	s_barrier
	ds_write_b64 v116, v[94:95]
	s_waitcnt lgkmcnt(0)
	s_barrier
	ds_read_b64 v[116:117], v120 offset:72
	s_cmp_lt_i32 s18, 11
	v_mov_b32_e32 v118, 9
	s_cbranch_scc1 .LBB110_151
; %bb.149:
	v_add_u32_e32 v125, 0x50, v120
	s_mov_b32 s0, 10
	v_mov_b32_e32 v118, 9
.LBB110_150:                            ; =>This Inner Loop Header: Depth=1
	ds_read_b64 v[126:127], v125
	v_mov_b32_e32 v128, s0
	s_add_i32 s0, s0, 1
	v_add_u32_e32 v125, 8, v125
	s_cmp_lg_u32 s18, s0
	s_waitcnt lgkmcnt(0)
	v_cmp_lt_f64_e64 vcc, |v[116:117]|, |v[126:127]|
	v_cndmask_b32_e32 v117, v117, v127, vcc
	v_cndmask_b32_e32 v116, v116, v126, vcc
	;; [unrolled: 1-line block ×3, first 2 shown]
	s_cbranch_scc1 .LBB110_150
.LBB110_151:
	s_waitcnt lgkmcnt(0)
	v_cmp_eq_f64_e32 vcc, 0, v[116:117]
	s_and_saveexec_b64 s[0:1], vcc
	s_xor_b64 s[0:1], exec, s[0:1]
; %bb.152:
	v_cmp_ne_u32_e32 vcc, 0, v124
	v_cndmask_b32_e32 v124, 10, v124, vcc
; %bb.153:
	s_andn2_saveexec_b64 s[0:1], s[0:1]
; %bb.154:
	v_div_scale_f64 v[126:127], s[2:3], v[116:117], v[116:117], 1.0
	v_rcp_f64_e32 v[128:129], v[126:127]
	v_div_scale_f64 v[130:131], vcc, 1.0, v[116:117], 1.0
	v_fma_f64 v[132:133], -v[126:127], v[128:129], 1.0
	v_fmac_f64_e32 v[128:129], v[128:129], v[132:133]
	v_fma_f64 v[132:133], -v[126:127], v[128:129], 1.0
	v_fmac_f64_e32 v[128:129], v[128:129], v[132:133]
	v_mul_f64 v[132:133], v[130:131], v[128:129]
	v_fma_f64 v[126:127], -v[126:127], v[132:133], v[130:131]
	v_div_fmas_f64 v[126:127], v[126:127], v[128:129], v[132:133]
	v_div_fixup_f64 v[116:117], v[126:127], v[116:117], 1.0
; %bb.155:
	s_or_b64 exec, exec, s[0:1]
	v_cmp_ne_u32_e32 vcc, v121, v118
	s_and_saveexec_b64 s[0:1], vcc
	s_xor_b64 s[0:1], exec, s[0:1]
	s_cbranch_execz .LBB110_161
; %bb.156:
	v_cmp_eq_u32_e32 vcc, 9, v121
	s_and_saveexec_b64 s[2:3], vcc
	s_cbranch_execz .LBB110_160
; %bb.157:
	v_cmp_ne_u32_e32 vcc, 9, v118
	s_xor_b64 s[14:15], s[6:7], -1
	s_and_b64 s[16:17], s[14:15], vcc
	s_and_saveexec_b64 s[14:15], s[16:17]
	s_cbranch_execz .LBB110_159
; %bb.158:
	v_ashrrev_i32_e32 v119, 31, v118
	v_lshlrev_b64 v[126:127], 2, v[118:119]
	v_add_co_u32_e32 v126, vcc, v4, v126
	v_addc_co_u32_e32 v127, vcc, v5, v127, vcc
	flat_load_dword v119, v[126:127]
	flat_load_dword v121, v[4:5] offset:36
	s_waitcnt vmcnt(0) lgkmcnt(0)
	flat_store_dword v[4:5], v119 offset:36
	flat_store_dword v[126:127], v121
.LBB110_159:
	s_or_b64 exec, exec, s[14:15]
	v_mov_b32_e32 v119, v118
	v_mov_b32_e32 v121, v118
.LBB110_160:
	s_or_b64 exec, exec, s[2:3]
.LBB110_161:
	s_andn2_saveexec_b64 s[0:1], s[0:1]
	s_cbranch_execz .LBB110_163
; %bb.162:
	v_mov_b32_e32 v126, v92
	v_mov_b32_e32 v127, v93
	v_mov_b32_e32 v128, v90
	v_mov_b32_e32 v129, v91
	ds_write2_b64 v120, v[126:127], v[128:129] offset0:10 offset1:11
	v_mov_b32_e32 v126, v88
	v_mov_b32_e32 v127, v89
	v_mov_b32_e32 v128, v86
	v_mov_b32_e32 v129, v87
	ds_write2_b64 v120, v[126:127], v[128:129] offset0:12 offset1:13
	;; [unrolled: 5-line block ×22, first 2 shown]
	v_mov_b32_e32 v126, v0
	v_mov_b32_e32 v127, v1
	;; [unrolled: 1-line block ×3, first 2 shown]
	ds_write2_b64 v120, v[126:127], v[114:115] offset0:54 offset1:55
.LBB110_163:
	s_or_b64 exec, exec, s[0:1]
	v_cmp_lt_i32_e32 vcc, 9, v121
	s_waitcnt lgkmcnt(0)
	s_barrier
	s_and_saveexec_b64 s[0:1], vcc
	s_cbranch_execz .LBB110_165
; %bb.164:
	ds_read2_b64 v[126:129], v120 offset0:10 offset1:11
	ds_read2_b64 v[130:133], v120 offset0:12 offset1:13
	v_mul_f64 v[94:95], v[116:117], v[94:95]
	ds_read2_b64 v[134:137], v120 offset0:14 offset1:15
	s_waitcnt lgkmcnt(0)
	v_fma_f64 v[92:93], -v[94:95], v[126:127], v[92:93]
	v_fma_f64 v[90:91], -v[94:95], v[128:129], v[90:91]
	ds_read2_b64 v[126:129], v120 offset0:16 offset1:17
	v_fma_f64 v[88:89], -v[94:95], v[130:131], v[88:89]
	v_fma_f64 v[86:87], -v[94:95], v[132:133], v[86:87]
	ds_read2_b64 v[130:133], v120 offset0:18 offset1:19
	;; [unrolled: 3-line block ×3, first 2 shown]
	s_waitcnt lgkmcnt(0)
	v_fma_f64 v[80:81], -v[94:95], v[126:127], v[80:81]
	v_fma_f64 v[78:79], -v[94:95], v[128:129], v[78:79]
	;; [unrolled: 1-line block ×3, first 2 shown]
	ds_read2_b64 v[126:129], v120 offset0:22 offset1:23
	v_fma_f64 v[74:75], -v[94:95], v[132:133], v[74:75]
	ds_read2_b64 v[130:133], v120 offset0:24 offset1:25
	v_fma_f64 v[72:73], -v[94:95], v[134:135], v[72:73]
	v_fma_f64 v[70:71], -v[94:95], v[136:137], v[70:71]
	s_waitcnt lgkmcnt(0)
	v_fma_f64 v[68:69], -v[94:95], v[126:127], v[68:69]
	ds_read2_b64 v[134:137], v120 offset0:26 offset1:27
	v_fma_f64 v[66:67], -v[94:95], v[128:129], v[66:67]
	ds_read2_b64 v[126:129], v120 offset0:28 offset1:29
	v_fma_f64 v[64:65], -v[94:95], v[130:131], v[64:65]
	v_fma_f64 v[62:63], -v[94:95], v[132:133], v[62:63]
	ds_read2_b64 v[130:133], v120 offset0:30 offset1:31
	s_waitcnt lgkmcnt(0)
	v_fma_f64 v[60:61], -v[94:95], v[134:135], v[60:61]
	v_fma_f64 v[58:59], -v[94:95], v[136:137], v[58:59]
	ds_read2_b64 v[134:137], v120 offset0:32 offset1:33
	v_fma_f64 v[56:57], -v[94:95], v[126:127], v[56:57]
	v_fma_f64 v[54:55], -v[94:95], v[128:129], v[54:55]
	;; [unrolled: 1-line block ×3, first 2 shown]
	ds_read2_b64 v[126:129], v120 offset0:34 offset1:35
	v_fma_f64 v[50:51], -v[94:95], v[132:133], v[50:51]
	ds_read2_b64 v[130:133], v120 offset0:36 offset1:37
	s_waitcnt lgkmcnt(0)
	v_fma_f64 v[48:49], -v[94:95], v[134:135], v[48:49]
	v_fma_f64 v[46:47], -v[94:95], v[136:137], v[46:47]
	;; [unrolled: 1-line block ×3, first 2 shown]
	ds_read2_b64 v[134:137], v120 offset0:38 offset1:39
	v_fma_f64 v[42:43], -v[94:95], v[128:129], v[42:43]
	ds_read2_b64 v[126:129], v120 offset0:40 offset1:41
	v_fma_f64 v[40:41], -v[94:95], v[130:131], v[40:41]
	v_fma_f64 v[38:39], -v[94:95], v[132:133], v[38:39]
	ds_read2_b64 v[130:133], v120 offset0:42 offset1:43
	s_waitcnt lgkmcnt(0)
	v_fma_f64 v[36:37], -v[94:95], v[134:135], v[36:37]
	v_fma_f64 v[34:35], -v[94:95], v[136:137], v[34:35]
	ds_read2_b64 v[134:137], v120 offset0:44 offset1:45
	v_fma_f64 v[32:33], -v[94:95], v[126:127], v[32:33]
	v_fma_f64 v[30:31], -v[94:95], v[128:129], v[30:31]
	;; [unrolled: 1-line block ×3, first 2 shown]
	ds_read2_b64 v[126:129], v120 offset0:46 offset1:47
	v_fma_f64 v[26:27], -v[94:95], v[132:133], v[26:27]
	ds_read2_b64 v[130:133], v120 offset0:48 offset1:49
	s_waitcnt lgkmcnt(0)
	v_fma_f64 v[24:25], -v[94:95], v[134:135], v[24:25]
	v_fma_f64 v[22:23], -v[94:95], v[136:137], v[22:23]
	v_fma_f64 v[20:21], -v[94:95], v[126:127], v[20:21]
	v_fma_f64 v[18:19], -v[94:95], v[128:129], v[18:19]
	ds_read2_b64 v[126:129], v120 offset0:50 offset1:51
	ds_read2_b64 v[134:137], v120 offset0:52 offset1:53
	v_fma_f64 v[16:17], -v[94:95], v[130:131], v[16:17]
	v_fma_f64 v[14:15], -v[94:95], v[132:133], v[14:15]
	ds_read2_b64 v[130:133], v120 offset0:54 offset1:55
	s_waitcnt lgkmcnt(0)
	v_fma_f64 v[12:13], -v[94:95], v[126:127], v[12:13]
	v_fma_f64 v[10:11], -v[94:95], v[128:129], v[10:11]
	;; [unrolled: 1-line block ×6, first 2 shown]
.LBB110_165:
	s_or_b64 exec, exec, s[0:1]
	v_lshl_add_u32 v116, v121, 3, v120
	s_barrier
	ds_write_b64 v116, v[92:93]
	s_waitcnt lgkmcnt(0)
	s_barrier
	ds_read_b64 v[116:117], v120 offset:80
	s_cmp_lt_i32 s18, 12
	v_mov_b32_e32 v118, 10
	s_cbranch_scc1 .LBB110_168
; %bb.166:
	v_add_u32_e32 v125, 0x58, v120
	s_mov_b32 s0, 11
	v_mov_b32_e32 v118, 10
.LBB110_167:                            ; =>This Inner Loop Header: Depth=1
	ds_read_b64 v[126:127], v125
	v_mov_b32_e32 v128, s0
	s_add_i32 s0, s0, 1
	v_add_u32_e32 v125, 8, v125
	s_cmp_lg_u32 s18, s0
	s_waitcnt lgkmcnt(0)
	v_cmp_lt_f64_e64 vcc, |v[116:117]|, |v[126:127]|
	v_cndmask_b32_e32 v117, v117, v127, vcc
	v_cndmask_b32_e32 v116, v116, v126, vcc
	;; [unrolled: 1-line block ×3, first 2 shown]
	s_cbranch_scc1 .LBB110_167
.LBB110_168:
	s_waitcnt lgkmcnt(0)
	v_cmp_eq_f64_e32 vcc, 0, v[116:117]
	s_and_saveexec_b64 s[0:1], vcc
	s_xor_b64 s[0:1], exec, s[0:1]
; %bb.169:
	v_cmp_ne_u32_e32 vcc, 0, v124
	v_cndmask_b32_e32 v124, 11, v124, vcc
; %bb.170:
	s_andn2_saveexec_b64 s[0:1], s[0:1]
; %bb.171:
	v_div_scale_f64 v[126:127], s[2:3], v[116:117], v[116:117], 1.0
	v_rcp_f64_e32 v[128:129], v[126:127]
	v_div_scale_f64 v[130:131], vcc, 1.0, v[116:117], 1.0
	v_fma_f64 v[132:133], -v[126:127], v[128:129], 1.0
	v_fmac_f64_e32 v[128:129], v[128:129], v[132:133]
	v_fma_f64 v[132:133], -v[126:127], v[128:129], 1.0
	v_fmac_f64_e32 v[128:129], v[128:129], v[132:133]
	v_mul_f64 v[132:133], v[130:131], v[128:129]
	v_fma_f64 v[126:127], -v[126:127], v[132:133], v[130:131]
	v_div_fmas_f64 v[126:127], v[126:127], v[128:129], v[132:133]
	v_div_fixup_f64 v[116:117], v[126:127], v[116:117], 1.0
; %bb.172:
	s_or_b64 exec, exec, s[0:1]
	v_cmp_ne_u32_e32 vcc, v121, v118
	s_and_saveexec_b64 s[0:1], vcc
	s_xor_b64 s[0:1], exec, s[0:1]
	s_cbranch_execz .LBB110_178
; %bb.173:
	v_cmp_eq_u32_e32 vcc, 10, v121
	s_and_saveexec_b64 s[2:3], vcc
	s_cbranch_execz .LBB110_177
; %bb.174:
	v_cmp_ne_u32_e32 vcc, 10, v118
	s_xor_b64 s[14:15], s[6:7], -1
	s_and_b64 s[16:17], s[14:15], vcc
	s_and_saveexec_b64 s[14:15], s[16:17]
	s_cbranch_execz .LBB110_176
; %bb.175:
	v_ashrrev_i32_e32 v119, 31, v118
	v_lshlrev_b64 v[126:127], 2, v[118:119]
	v_add_co_u32_e32 v126, vcc, v4, v126
	v_addc_co_u32_e32 v127, vcc, v5, v127, vcc
	flat_load_dword v119, v[126:127]
	flat_load_dword v121, v[4:5] offset:40
	s_waitcnt vmcnt(0) lgkmcnt(0)
	flat_store_dword v[4:5], v119 offset:40
	flat_store_dword v[126:127], v121
.LBB110_176:
	s_or_b64 exec, exec, s[14:15]
	v_mov_b32_e32 v119, v118
	v_mov_b32_e32 v121, v118
.LBB110_177:
	s_or_b64 exec, exec, s[2:3]
.LBB110_178:
	s_andn2_saveexec_b64 s[0:1], s[0:1]
	s_cbranch_execz .LBB110_180
; %bb.179:
	v_mov_b32_e32 v121, 10
	ds_write2_b64 v120, v[90:91], v[88:89] offset0:11 offset1:12
	ds_write2_b64 v120, v[86:87], v[84:85] offset0:13 offset1:14
	;; [unrolled: 1-line block ×22, first 2 shown]
	ds_write_b64 v120, v[114:115] offset:440
.LBB110_180:
	s_or_b64 exec, exec, s[0:1]
	v_cmp_lt_i32_e32 vcc, 10, v121
	s_waitcnt lgkmcnt(0)
	s_barrier
	s_and_saveexec_b64 s[0:1], vcc
	s_cbranch_execz .LBB110_182
; %bb.181:
	ds_read2_b64 v[126:129], v120 offset0:11 offset1:12
	ds_read2_b64 v[130:133], v120 offset0:13 offset1:14
	v_mul_f64 v[92:93], v[116:117], v[92:93]
	ds_read2_b64 v[134:137], v120 offset0:15 offset1:16
	ds_read_b64 v[116:117], v120 offset:440
	s_waitcnt lgkmcnt(0)
	v_fma_f64 v[90:91], -v[92:93], v[126:127], v[90:91]
	v_fma_f64 v[88:89], -v[92:93], v[128:129], v[88:89]
	ds_read2_b64 v[126:129], v120 offset0:17 offset1:18
	v_fma_f64 v[86:87], -v[92:93], v[130:131], v[86:87]
	v_fma_f64 v[84:85], -v[92:93], v[132:133], v[84:85]
	;; [unrolled: 1-line block ×3, first 2 shown]
	ds_read2_b64 v[130:133], v120 offset0:19 offset1:20
	v_fma_f64 v[80:81], -v[92:93], v[136:137], v[80:81]
	ds_read2_b64 v[134:137], v120 offset0:21 offset1:22
	s_waitcnt lgkmcnt(0)
	v_fma_f64 v[78:79], -v[92:93], v[126:127], v[78:79]
	v_fma_f64 v[76:77], -v[92:93], v[128:129], v[76:77]
	ds_read2_b64 v[126:129], v120 offset0:23 offset1:24
	v_fma_f64 v[74:75], -v[92:93], v[130:131], v[74:75]
	v_fma_f64 v[72:73], -v[92:93], v[132:133], v[72:73]
	ds_read2_b64 v[130:133], v120 offset0:25 offset1:26
	v_fma_f64 v[70:71], -v[92:93], v[134:135], v[70:71]
	v_fma_f64 v[68:69], -v[92:93], v[136:137], v[68:69]
	s_waitcnt lgkmcnt(0)
	v_fma_f64 v[66:67], -v[92:93], v[126:127], v[66:67]
	ds_read2_b64 v[134:137], v120 offset0:27 offset1:28
	v_fma_f64 v[64:65], -v[92:93], v[128:129], v[64:65]
	ds_read2_b64 v[126:129], v120 offset0:29 offset1:30
	v_fma_f64 v[62:63], -v[92:93], v[130:131], v[62:63]
	v_fma_f64 v[60:61], -v[92:93], v[132:133], v[60:61]
	s_waitcnt lgkmcnt(0)
	v_fma_f64 v[58:59], -v[92:93], v[134:135], v[58:59]
	ds_read2_b64 v[130:133], v120 offset0:31 offset1:32
	v_fma_f64 v[56:57], -v[92:93], v[136:137], v[56:57]
	ds_read2_b64 v[134:137], v120 offset0:33 offset1:34
	v_fma_f64 v[54:55], -v[92:93], v[126:127], v[54:55]
	v_fma_f64 v[52:53], -v[92:93], v[128:129], v[52:53]
	ds_read2_b64 v[126:129], v120 offset0:35 offset1:36
	s_waitcnt lgkmcnt(0)
	v_fma_f64 v[50:51], -v[92:93], v[130:131], v[50:51]
	v_fma_f64 v[48:49], -v[92:93], v[132:133], v[48:49]
	ds_read2_b64 v[130:133], v120 offset0:37 offset1:38
	v_fma_f64 v[46:47], -v[92:93], v[134:135], v[46:47]
	v_fma_f64 v[44:45], -v[92:93], v[136:137], v[44:45]
	;; [unrolled: 1-line block ×3, first 2 shown]
	ds_read2_b64 v[134:137], v120 offset0:39 offset1:40
	v_fma_f64 v[40:41], -v[92:93], v[128:129], v[40:41]
	ds_read2_b64 v[126:129], v120 offset0:41 offset1:42
	s_waitcnt lgkmcnt(0)
	v_fma_f64 v[38:39], -v[92:93], v[130:131], v[38:39]
	v_fma_f64 v[36:37], -v[92:93], v[132:133], v[36:37]
	;; [unrolled: 1-line block ×3, first 2 shown]
	ds_read2_b64 v[130:133], v120 offset0:43 offset1:44
	v_fma_f64 v[32:33], -v[92:93], v[136:137], v[32:33]
	ds_read2_b64 v[134:137], v120 offset0:45 offset1:46
	v_fma_f64 v[30:31], -v[92:93], v[126:127], v[30:31]
	v_fma_f64 v[28:29], -v[92:93], v[128:129], v[28:29]
	ds_read2_b64 v[126:129], v120 offset0:47 offset1:48
	s_waitcnt lgkmcnt(0)
	v_fma_f64 v[26:27], -v[92:93], v[130:131], v[26:27]
	v_fma_f64 v[24:25], -v[92:93], v[132:133], v[24:25]
	ds_read2_b64 v[130:133], v120 offset0:49 offset1:50
	v_fma_f64 v[22:23], -v[92:93], v[134:135], v[22:23]
	v_fma_f64 v[20:21], -v[92:93], v[136:137], v[20:21]
	v_fma_f64 v[18:19], -v[92:93], v[126:127], v[18:19]
	v_fma_f64 v[16:17], -v[92:93], v[128:129], v[16:17]
	ds_read2_b64 v[126:129], v120 offset0:51 offset1:52
	ds_read2_b64 v[134:137], v120 offset0:53 offset1:54
	s_waitcnt lgkmcnt(0)
	v_fma_f64 v[14:15], -v[92:93], v[130:131], v[14:15]
	v_fma_f64 v[12:13], -v[92:93], v[132:133], v[12:13]
	;; [unrolled: 1-line block ×7, first 2 shown]
.LBB110_182:
	s_or_b64 exec, exec, s[0:1]
	v_lshl_add_u32 v116, v121, 3, v120
	s_barrier
	ds_write_b64 v116, v[90:91]
	s_waitcnt lgkmcnt(0)
	s_barrier
	ds_read_b64 v[116:117], v120 offset:88
	s_cmp_lt_i32 s18, 13
	v_mov_b32_e32 v118, 11
	s_cbranch_scc1 .LBB110_185
; %bb.183:
	v_add_u32_e32 v125, 0x60, v120
	s_mov_b32 s0, 12
	v_mov_b32_e32 v118, 11
.LBB110_184:                            ; =>This Inner Loop Header: Depth=1
	ds_read_b64 v[126:127], v125
	v_mov_b32_e32 v128, s0
	s_add_i32 s0, s0, 1
	v_add_u32_e32 v125, 8, v125
	s_cmp_lg_u32 s18, s0
	s_waitcnt lgkmcnt(0)
	v_cmp_lt_f64_e64 vcc, |v[116:117]|, |v[126:127]|
	v_cndmask_b32_e32 v117, v117, v127, vcc
	v_cndmask_b32_e32 v116, v116, v126, vcc
	;; [unrolled: 1-line block ×3, first 2 shown]
	s_cbranch_scc1 .LBB110_184
.LBB110_185:
	s_waitcnt lgkmcnt(0)
	v_cmp_eq_f64_e32 vcc, 0, v[116:117]
	s_and_saveexec_b64 s[0:1], vcc
	s_xor_b64 s[0:1], exec, s[0:1]
; %bb.186:
	v_cmp_ne_u32_e32 vcc, 0, v124
	v_cndmask_b32_e32 v124, 12, v124, vcc
; %bb.187:
	s_andn2_saveexec_b64 s[0:1], s[0:1]
; %bb.188:
	v_div_scale_f64 v[126:127], s[2:3], v[116:117], v[116:117], 1.0
	v_rcp_f64_e32 v[128:129], v[126:127]
	v_div_scale_f64 v[130:131], vcc, 1.0, v[116:117], 1.0
	v_fma_f64 v[132:133], -v[126:127], v[128:129], 1.0
	v_fmac_f64_e32 v[128:129], v[128:129], v[132:133]
	v_fma_f64 v[132:133], -v[126:127], v[128:129], 1.0
	v_fmac_f64_e32 v[128:129], v[128:129], v[132:133]
	v_mul_f64 v[132:133], v[130:131], v[128:129]
	v_fma_f64 v[126:127], -v[126:127], v[132:133], v[130:131]
	v_div_fmas_f64 v[126:127], v[126:127], v[128:129], v[132:133]
	v_div_fixup_f64 v[116:117], v[126:127], v[116:117], 1.0
; %bb.189:
	s_or_b64 exec, exec, s[0:1]
	v_cmp_ne_u32_e32 vcc, v121, v118
	s_and_saveexec_b64 s[0:1], vcc
	s_xor_b64 s[0:1], exec, s[0:1]
	s_cbranch_execz .LBB110_195
; %bb.190:
	v_cmp_eq_u32_e32 vcc, 11, v121
	s_and_saveexec_b64 s[2:3], vcc
	s_cbranch_execz .LBB110_194
; %bb.191:
	v_cmp_ne_u32_e32 vcc, 11, v118
	s_xor_b64 s[14:15], s[6:7], -1
	s_and_b64 s[16:17], s[14:15], vcc
	s_and_saveexec_b64 s[14:15], s[16:17]
	s_cbranch_execz .LBB110_193
; %bb.192:
	v_ashrrev_i32_e32 v119, 31, v118
	v_lshlrev_b64 v[126:127], 2, v[118:119]
	v_add_co_u32_e32 v126, vcc, v4, v126
	v_addc_co_u32_e32 v127, vcc, v5, v127, vcc
	flat_load_dword v119, v[126:127]
	flat_load_dword v121, v[4:5] offset:44
	s_waitcnt vmcnt(0) lgkmcnt(0)
	flat_store_dword v[4:5], v119 offset:44
	flat_store_dword v[126:127], v121
.LBB110_193:
	s_or_b64 exec, exec, s[14:15]
	v_mov_b32_e32 v119, v118
	v_mov_b32_e32 v121, v118
.LBB110_194:
	s_or_b64 exec, exec, s[2:3]
.LBB110_195:
	s_andn2_saveexec_b64 s[0:1], s[0:1]
	s_cbranch_execz .LBB110_197
; %bb.196:
	v_mov_b32_e32 v126, v88
	v_mov_b32_e32 v127, v89
	v_mov_b32_e32 v128, v86
	v_mov_b32_e32 v129, v87
	ds_write2_b64 v120, v[126:127], v[128:129] offset0:12 offset1:13
	v_mov_b32_e32 v126, v84
	v_mov_b32_e32 v127, v85
	v_mov_b32_e32 v128, v82
	v_mov_b32_e32 v129, v83
	ds_write2_b64 v120, v[126:127], v[128:129] offset0:14 offset1:15
	;; [unrolled: 5-line block ×21, first 2 shown]
	v_mov_b32_e32 v126, v0
	v_mov_b32_e32 v127, v1
	;; [unrolled: 1-line block ×3, first 2 shown]
	ds_write2_b64 v120, v[126:127], v[114:115] offset0:54 offset1:55
.LBB110_197:
	s_or_b64 exec, exec, s[0:1]
	v_cmp_lt_i32_e32 vcc, 11, v121
	s_waitcnt lgkmcnt(0)
	s_barrier
	s_and_saveexec_b64 s[0:1], vcc
	s_cbranch_execz .LBB110_199
; %bb.198:
	ds_read2_b64 v[126:129], v120 offset0:12 offset1:13
	ds_read2_b64 v[130:133], v120 offset0:14 offset1:15
	v_mul_f64 v[90:91], v[116:117], v[90:91]
	ds_read2_b64 v[134:137], v120 offset0:16 offset1:17
	s_waitcnt lgkmcnt(0)
	v_fma_f64 v[88:89], -v[90:91], v[126:127], v[88:89]
	v_fma_f64 v[86:87], -v[90:91], v[128:129], v[86:87]
	ds_read2_b64 v[126:129], v120 offset0:18 offset1:19
	v_fma_f64 v[84:85], -v[90:91], v[130:131], v[84:85]
	v_fma_f64 v[82:83], -v[90:91], v[132:133], v[82:83]
	;; [unrolled: 1-line block ×3, first 2 shown]
	ds_read2_b64 v[130:133], v120 offset0:20 offset1:21
	v_fma_f64 v[78:79], -v[90:91], v[136:137], v[78:79]
	ds_read2_b64 v[134:137], v120 offset0:22 offset1:23
	s_waitcnt lgkmcnt(0)
	v_fma_f64 v[76:77], -v[90:91], v[126:127], v[76:77]
	v_fma_f64 v[74:75], -v[90:91], v[128:129], v[74:75]
	ds_read2_b64 v[126:129], v120 offset0:24 offset1:25
	v_fma_f64 v[72:73], -v[90:91], v[130:131], v[72:73]
	v_fma_f64 v[70:71], -v[90:91], v[132:133], v[70:71]
	ds_read2_b64 v[130:133], v120 offset0:26 offset1:27
	v_fma_f64 v[68:69], -v[90:91], v[134:135], v[68:69]
	v_fma_f64 v[66:67], -v[90:91], v[136:137], v[66:67]
	s_waitcnt lgkmcnt(0)
	v_fma_f64 v[64:65], -v[90:91], v[126:127], v[64:65]
	ds_read2_b64 v[134:137], v120 offset0:28 offset1:29
	v_fma_f64 v[62:63], -v[90:91], v[128:129], v[62:63]
	ds_read2_b64 v[126:129], v120 offset0:30 offset1:31
	v_fma_f64 v[60:61], -v[90:91], v[130:131], v[60:61]
	v_fma_f64 v[58:59], -v[90:91], v[132:133], v[58:59]
	s_waitcnt lgkmcnt(0)
	v_fma_f64 v[56:57], -v[90:91], v[134:135], v[56:57]
	ds_read2_b64 v[130:133], v120 offset0:32 offset1:33
	v_fma_f64 v[54:55], -v[90:91], v[136:137], v[54:55]
	ds_read2_b64 v[134:137], v120 offset0:34 offset1:35
	v_fma_f64 v[52:53], -v[90:91], v[126:127], v[52:53]
	v_fma_f64 v[50:51], -v[90:91], v[128:129], v[50:51]
	ds_read2_b64 v[126:129], v120 offset0:36 offset1:37
	s_waitcnt lgkmcnt(0)
	v_fma_f64 v[48:49], -v[90:91], v[130:131], v[48:49]
	v_fma_f64 v[46:47], -v[90:91], v[132:133], v[46:47]
	ds_read2_b64 v[130:133], v120 offset0:38 offset1:39
	v_fma_f64 v[44:45], -v[90:91], v[134:135], v[44:45]
	v_fma_f64 v[42:43], -v[90:91], v[136:137], v[42:43]
	;; [unrolled: 1-line block ×3, first 2 shown]
	ds_read2_b64 v[134:137], v120 offset0:40 offset1:41
	v_fma_f64 v[38:39], -v[90:91], v[128:129], v[38:39]
	ds_read2_b64 v[126:129], v120 offset0:42 offset1:43
	s_waitcnt lgkmcnt(0)
	v_fma_f64 v[36:37], -v[90:91], v[130:131], v[36:37]
	v_fma_f64 v[34:35], -v[90:91], v[132:133], v[34:35]
	;; [unrolled: 1-line block ×3, first 2 shown]
	ds_read2_b64 v[130:133], v120 offset0:44 offset1:45
	v_fma_f64 v[30:31], -v[90:91], v[136:137], v[30:31]
	ds_read2_b64 v[134:137], v120 offset0:46 offset1:47
	v_fma_f64 v[28:29], -v[90:91], v[126:127], v[28:29]
	v_fma_f64 v[26:27], -v[90:91], v[128:129], v[26:27]
	ds_read2_b64 v[126:129], v120 offset0:48 offset1:49
	s_waitcnt lgkmcnt(0)
	v_fma_f64 v[24:25], -v[90:91], v[130:131], v[24:25]
	v_fma_f64 v[22:23], -v[90:91], v[132:133], v[22:23]
	ds_read2_b64 v[130:133], v120 offset0:50 offset1:51
	v_fma_f64 v[20:21], -v[90:91], v[134:135], v[20:21]
	v_fma_f64 v[18:19], -v[90:91], v[136:137], v[18:19]
	;; [unrolled: 1-line block ×3, first 2 shown]
	ds_read2_b64 v[134:137], v120 offset0:52 offset1:53
	v_fma_f64 v[14:15], -v[90:91], v[128:129], v[14:15]
	ds_read2_b64 v[126:129], v120 offset0:54 offset1:55
	s_waitcnt lgkmcnt(0)
	v_fma_f64 v[12:13], -v[90:91], v[130:131], v[12:13]
	v_fma_f64 v[10:11], -v[90:91], v[132:133], v[10:11]
	v_fma_f64 v[8:9], -v[90:91], v[134:135], v[8:9]
	v_fma_f64 v[6:7], -v[90:91], v[136:137], v[6:7]
	v_fma_f64 v[0:1], -v[90:91], v[126:127], v[0:1]
	v_fma_f64 v[114:115], -v[90:91], v[128:129], v[114:115]
.LBB110_199:
	s_or_b64 exec, exec, s[0:1]
	v_lshl_add_u32 v116, v121, 3, v120
	s_barrier
	ds_write_b64 v116, v[88:89]
	s_waitcnt lgkmcnt(0)
	s_barrier
	ds_read_b64 v[116:117], v120 offset:96
	s_cmp_lt_i32 s18, 14
	v_mov_b32_e32 v118, 12
	s_cbranch_scc1 .LBB110_202
; %bb.200:
	v_add_u32_e32 v125, 0x68, v120
	s_mov_b32 s0, 13
	v_mov_b32_e32 v118, 12
.LBB110_201:                            ; =>This Inner Loop Header: Depth=1
	ds_read_b64 v[126:127], v125
	v_mov_b32_e32 v128, s0
	s_add_i32 s0, s0, 1
	v_add_u32_e32 v125, 8, v125
	s_cmp_lg_u32 s18, s0
	s_waitcnt lgkmcnt(0)
	v_cmp_lt_f64_e64 vcc, |v[116:117]|, |v[126:127]|
	v_cndmask_b32_e32 v117, v117, v127, vcc
	v_cndmask_b32_e32 v116, v116, v126, vcc
	;; [unrolled: 1-line block ×3, first 2 shown]
	s_cbranch_scc1 .LBB110_201
.LBB110_202:
	s_waitcnt lgkmcnt(0)
	v_cmp_eq_f64_e32 vcc, 0, v[116:117]
	s_and_saveexec_b64 s[0:1], vcc
	s_xor_b64 s[0:1], exec, s[0:1]
; %bb.203:
	v_cmp_ne_u32_e32 vcc, 0, v124
	v_cndmask_b32_e32 v124, 13, v124, vcc
; %bb.204:
	s_andn2_saveexec_b64 s[0:1], s[0:1]
; %bb.205:
	v_div_scale_f64 v[126:127], s[2:3], v[116:117], v[116:117], 1.0
	v_rcp_f64_e32 v[128:129], v[126:127]
	v_div_scale_f64 v[130:131], vcc, 1.0, v[116:117], 1.0
	v_fma_f64 v[132:133], -v[126:127], v[128:129], 1.0
	v_fmac_f64_e32 v[128:129], v[128:129], v[132:133]
	v_fma_f64 v[132:133], -v[126:127], v[128:129], 1.0
	v_fmac_f64_e32 v[128:129], v[128:129], v[132:133]
	v_mul_f64 v[132:133], v[130:131], v[128:129]
	v_fma_f64 v[126:127], -v[126:127], v[132:133], v[130:131]
	v_div_fmas_f64 v[126:127], v[126:127], v[128:129], v[132:133]
	v_div_fixup_f64 v[116:117], v[126:127], v[116:117], 1.0
; %bb.206:
	s_or_b64 exec, exec, s[0:1]
	v_cmp_ne_u32_e32 vcc, v121, v118
	s_and_saveexec_b64 s[0:1], vcc
	s_xor_b64 s[0:1], exec, s[0:1]
	s_cbranch_execz .LBB110_212
; %bb.207:
	v_cmp_eq_u32_e32 vcc, 12, v121
	s_and_saveexec_b64 s[2:3], vcc
	s_cbranch_execz .LBB110_211
; %bb.208:
	v_cmp_ne_u32_e32 vcc, 12, v118
	s_xor_b64 s[14:15], s[6:7], -1
	s_and_b64 s[16:17], s[14:15], vcc
	s_and_saveexec_b64 s[14:15], s[16:17]
	s_cbranch_execz .LBB110_210
; %bb.209:
	v_ashrrev_i32_e32 v119, 31, v118
	v_lshlrev_b64 v[126:127], 2, v[118:119]
	v_add_co_u32_e32 v126, vcc, v4, v126
	v_addc_co_u32_e32 v127, vcc, v5, v127, vcc
	flat_load_dword v119, v[126:127]
	flat_load_dword v121, v[4:5] offset:48
	s_waitcnt vmcnt(0) lgkmcnt(0)
	flat_store_dword v[4:5], v119 offset:48
	flat_store_dword v[126:127], v121
.LBB110_210:
	s_or_b64 exec, exec, s[14:15]
	v_mov_b32_e32 v119, v118
	v_mov_b32_e32 v121, v118
.LBB110_211:
	s_or_b64 exec, exec, s[2:3]
.LBB110_212:
	s_andn2_saveexec_b64 s[0:1], s[0:1]
	s_cbranch_execz .LBB110_214
; %bb.213:
	v_mov_b32_e32 v121, 12
	ds_write2_b64 v120, v[86:87], v[84:85] offset0:13 offset1:14
	ds_write2_b64 v120, v[82:83], v[80:81] offset0:15 offset1:16
	;; [unrolled: 1-line block ×21, first 2 shown]
	ds_write_b64 v120, v[114:115] offset:440
.LBB110_214:
	s_or_b64 exec, exec, s[0:1]
	v_cmp_lt_i32_e32 vcc, 12, v121
	s_waitcnt lgkmcnt(0)
	s_barrier
	s_and_saveexec_b64 s[0:1], vcc
	s_cbranch_execz .LBB110_216
; %bb.215:
	ds_read2_b64 v[126:129], v120 offset0:13 offset1:14
	ds_read2_b64 v[130:133], v120 offset0:15 offset1:16
	;; [unrolled: 1-line block ×3, first 2 shown]
	v_mul_f64 v[88:89], v[116:117], v[88:89]
	ds_read_b64 v[116:117], v120 offset:440
	s_waitcnt lgkmcnt(0)
	v_fma_f64 v[86:87], -v[88:89], v[126:127], v[86:87]
	v_fma_f64 v[84:85], -v[88:89], v[128:129], v[84:85]
	ds_read2_b64 v[126:129], v120 offset0:19 offset1:20
	v_fma_f64 v[82:83], -v[88:89], v[130:131], v[82:83]
	v_fma_f64 v[80:81], -v[88:89], v[132:133], v[80:81]
	v_fma_f64 v[78:79], -v[88:89], v[134:135], v[78:79]
	ds_read2_b64 v[130:133], v120 offset0:21 offset1:22
	v_fma_f64 v[76:77], -v[88:89], v[136:137], v[76:77]
	ds_read2_b64 v[134:137], v120 offset0:23 offset1:24
	s_waitcnt lgkmcnt(0)
	v_fma_f64 v[74:75], -v[88:89], v[126:127], v[74:75]
	v_fma_f64 v[72:73], -v[88:89], v[128:129], v[72:73]
	v_fma_f64 v[70:71], -v[88:89], v[130:131], v[70:71]
	ds_read2_b64 v[126:129], v120 offset0:25 offset1:26
	v_fma_f64 v[68:69], -v[88:89], v[132:133], v[68:69]
	ds_read2_b64 v[130:133], v120 offset0:27 offset1:28
	v_fma_f64 v[66:67], -v[88:89], v[134:135], v[66:67]
	v_fma_f64 v[64:65], -v[88:89], v[136:137], v[64:65]
	ds_read2_b64 v[134:137], v120 offset0:29 offset1:30
	s_waitcnt lgkmcnt(0)
	v_fma_f64 v[62:63], -v[88:89], v[126:127], v[62:63]
	v_fma_f64 v[60:61], -v[88:89], v[128:129], v[60:61]
	ds_read2_b64 v[126:129], v120 offset0:31 offset1:32
	v_fma_f64 v[58:59], -v[88:89], v[130:131], v[58:59]
	v_fma_f64 v[56:57], -v[88:89], v[132:133], v[56:57]
	v_fma_f64 v[54:55], -v[88:89], v[134:135], v[54:55]
	ds_read2_b64 v[130:133], v120 offset0:33 offset1:34
	v_fma_f64 v[52:53], -v[88:89], v[136:137], v[52:53]
	ds_read2_b64 v[134:137], v120 offset0:35 offset1:36
	s_waitcnt lgkmcnt(0)
	v_fma_f64 v[50:51], -v[88:89], v[126:127], v[50:51]
	v_fma_f64 v[48:49], -v[88:89], v[128:129], v[48:49]
	v_fma_f64 v[46:47], -v[88:89], v[130:131], v[46:47]
	ds_read2_b64 v[126:129], v120 offset0:37 offset1:38
	v_fma_f64 v[44:45], -v[88:89], v[132:133], v[44:45]
	ds_read2_b64 v[130:133], v120 offset0:39 offset1:40
	v_fma_f64 v[42:43], -v[88:89], v[134:135], v[42:43]
	v_fma_f64 v[40:41], -v[88:89], v[136:137], v[40:41]
	ds_read2_b64 v[134:137], v120 offset0:41 offset1:42
	;; [unrolled: 20-line block ×3, first 2 shown]
	s_waitcnt lgkmcnt(0)
	v_fma_f64 v[14:15], -v[88:89], v[126:127], v[14:15]
	v_fma_f64 v[12:13], -v[88:89], v[128:129], v[12:13]
	;; [unrolled: 1-line block ×7, first 2 shown]
.LBB110_216:
	s_or_b64 exec, exec, s[0:1]
	v_lshl_add_u32 v116, v121, 3, v120
	s_barrier
	ds_write_b64 v116, v[86:87]
	s_waitcnt lgkmcnt(0)
	s_barrier
	ds_read_b64 v[116:117], v120 offset:104
	s_cmp_lt_i32 s18, 15
	v_mov_b32_e32 v118, 13
	s_cbranch_scc1 .LBB110_219
; %bb.217:
	v_add_u32_e32 v125, 0x70, v120
	s_mov_b32 s0, 14
	v_mov_b32_e32 v118, 13
.LBB110_218:                            ; =>This Inner Loop Header: Depth=1
	ds_read_b64 v[126:127], v125
	v_mov_b32_e32 v128, s0
	s_add_i32 s0, s0, 1
	v_add_u32_e32 v125, 8, v125
	s_cmp_lg_u32 s18, s0
	s_waitcnt lgkmcnt(0)
	v_cmp_lt_f64_e64 vcc, |v[116:117]|, |v[126:127]|
	v_cndmask_b32_e32 v117, v117, v127, vcc
	v_cndmask_b32_e32 v116, v116, v126, vcc
	;; [unrolled: 1-line block ×3, first 2 shown]
	s_cbranch_scc1 .LBB110_218
.LBB110_219:
	s_waitcnt lgkmcnt(0)
	v_cmp_eq_f64_e32 vcc, 0, v[116:117]
	s_and_saveexec_b64 s[0:1], vcc
	s_xor_b64 s[0:1], exec, s[0:1]
; %bb.220:
	v_cmp_ne_u32_e32 vcc, 0, v124
	v_cndmask_b32_e32 v124, 14, v124, vcc
; %bb.221:
	s_andn2_saveexec_b64 s[0:1], s[0:1]
; %bb.222:
	v_div_scale_f64 v[126:127], s[2:3], v[116:117], v[116:117], 1.0
	v_rcp_f64_e32 v[128:129], v[126:127]
	v_div_scale_f64 v[130:131], vcc, 1.0, v[116:117], 1.0
	v_fma_f64 v[132:133], -v[126:127], v[128:129], 1.0
	v_fmac_f64_e32 v[128:129], v[128:129], v[132:133]
	v_fma_f64 v[132:133], -v[126:127], v[128:129], 1.0
	v_fmac_f64_e32 v[128:129], v[128:129], v[132:133]
	v_mul_f64 v[132:133], v[130:131], v[128:129]
	v_fma_f64 v[126:127], -v[126:127], v[132:133], v[130:131]
	v_div_fmas_f64 v[126:127], v[126:127], v[128:129], v[132:133]
	v_div_fixup_f64 v[116:117], v[126:127], v[116:117], 1.0
; %bb.223:
	s_or_b64 exec, exec, s[0:1]
	v_cmp_ne_u32_e32 vcc, v121, v118
	s_and_saveexec_b64 s[0:1], vcc
	s_xor_b64 s[0:1], exec, s[0:1]
	s_cbranch_execz .LBB110_229
; %bb.224:
	v_cmp_eq_u32_e32 vcc, 13, v121
	s_and_saveexec_b64 s[2:3], vcc
	s_cbranch_execz .LBB110_228
; %bb.225:
	v_cmp_ne_u32_e32 vcc, 13, v118
	s_xor_b64 s[14:15], s[6:7], -1
	s_and_b64 s[16:17], s[14:15], vcc
	s_and_saveexec_b64 s[14:15], s[16:17]
	s_cbranch_execz .LBB110_227
; %bb.226:
	v_ashrrev_i32_e32 v119, 31, v118
	v_lshlrev_b64 v[126:127], 2, v[118:119]
	v_add_co_u32_e32 v126, vcc, v4, v126
	v_addc_co_u32_e32 v127, vcc, v5, v127, vcc
	flat_load_dword v119, v[126:127]
	flat_load_dword v121, v[4:5] offset:52
	s_waitcnt vmcnt(0) lgkmcnt(0)
	flat_store_dword v[4:5], v119 offset:52
	flat_store_dword v[126:127], v121
.LBB110_227:
	s_or_b64 exec, exec, s[14:15]
	v_mov_b32_e32 v119, v118
	v_mov_b32_e32 v121, v118
.LBB110_228:
	s_or_b64 exec, exec, s[2:3]
.LBB110_229:
	s_andn2_saveexec_b64 s[0:1], s[0:1]
	s_cbranch_execz .LBB110_231
; %bb.230:
	v_mov_b32_e32 v126, v84
	v_mov_b32_e32 v127, v85
	v_mov_b32_e32 v128, v82
	v_mov_b32_e32 v129, v83
	ds_write2_b64 v120, v[126:127], v[128:129] offset0:14 offset1:15
	v_mov_b32_e32 v126, v80
	v_mov_b32_e32 v127, v81
	v_mov_b32_e32 v128, v78
	v_mov_b32_e32 v129, v79
	ds_write2_b64 v120, v[126:127], v[128:129] offset0:16 offset1:17
	;; [unrolled: 5-line block ×20, first 2 shown]
	v_mov_b32_e32 v126, v0
	v_mov_b32_e32 v127, v1
	;; [unrolled: 1-line block ×3, first 2 shown]
	ds_write2_b64 v120, v[126:127], v[114:115] offset0:54 offset1:55
.LBB110_231:
	s_or_b64 exec, exec, s[0:1]
	v_cmp_lt_i32_e32 vcc, 13, v121
	s_waitcnt lgkmcnt(0)
	s_barrier
	s_and_saveexec_b64 s[0:1], vcc
	s_cbranch_execz .LBB110_233
; %bb.232:
	ds_read2_b64 v[126:129], v120 offset0:14 offset1:15
	ds_read2_b64 v[130:133], v120 offset0:16 offset1:17
	;; [unrolled: 1-line block ×3, first 2 shown]
	v_mul_f64 v[86:87], v[116:117], v[86:87]
	s_waitcnt lgkmcnt(0)
	v_fma_f64 v[84:85], -v[86:87], v[126:127], v[84:85]
	v_fma_f64 v[82:83], -v[86:87], v[128:129], v[82:83]
	ds_read2_b64 v[126:129], v120 offset0:20 offset1:21
	v_fma_f64 v[80:81], -v[86:87], v[130:131], v[80:81]
	v_fma_f64 v[78:79], -v[86:87], v[132:133], v[78:79]
	;; [unrolled: 1-line block ×3, first 2 shown]
	ds_read2_b64 v[130:133], v120 offset0:22 offset1:23
	v_fma_f64 v[74:75], -v[86:87], v[136:137], v[74:75]
	ds_read2_b64 v[134:137], v120 offset0:24 offset1:25
	s_waitcnt lgkmcnt(0)
	v_fma_f64 v[72:73], -v[86:87], v[126:127], v[72:73]
	v_fma_f64 v[70:71], -v[86:87], v[128:129], v[70:71]
	v_fma_f64 v[68:69], -v[86:87], v[130:131], v[68:69]
	ds_read2_b64 v[126:129], v120 offset0:26 offset1:27
	v_fma_f64 v[66:67], -v[86:87], v[132:133], v[66:67]
	ds_read2_b64 v[130:133], v120 offset0:28 offset1:29
	v_fma_f64 v[64:65], -v[86:87], v[134:135], v[64:65]
	v_fma_f64 v[62:63], -v[86:87], v[136:137], v[62:63]
	ds_read2_b64 v[134:137], v120 offset0:30 offset1:31
	s_waitcnt lgkmcnt(0)
	v_fma_f64 v[60:61], -v[86:87], v[126:127], v[60:61]
	v_fma_f64 v[58:59], -v[86:87], v[128:129], v[58:59]
	ds_read2_b64 v[126:129], v120 offset0:32 offset1:33
	v_fma_f64 v[56:57], -v[86:87], v[130:131], v[56:57]
	v_fma_f64 v[54:55], -v[86:87], v[132:133], v[54:55]
	;; [unrolled: 1-line block ×3, first 2 shown]
	ds_read2_b64 v[130:133], v120 offset0:34 offset1:35
	v_fma_f64 v[50:51], -v[86:87], v[136:137], v[50:51]
	ds_read2_b64 v[134:137], v120 offset0:36 offset1:37
	s_waitcnt lgkmcnt(0)
	v_fma_f64 v[48:49], -v[86:87], v[126:127], v[48:49]
	v_fma_f64 v[46:47], -v[86:87], v[128:129], v[46:47]
	;; [unrolled: 1-line block ×3, first 2 shown]
	ds_read2_b64 v[126:129], v120 offset0:38 offset1:39
	v_fma_f64 v[42:43], -v[86:87], v[132:133], v[42:43]
	ds_read2_b64 v[130:133], v120 offset0:40 offset1:41
	v_fma_f64 v[40:41], -v[86:87], v[134:135], v[40:41]
	v_fma_f64 v[38:39], -v[86:87], v[136:137], v[38:39]
	ds_read2_b64 v[134:137], v120 offset0:42 offset1:43
	s_waitcnt lgkmcnt(0)
	v_fma_f64 v[36:37], -v[86:87], v[126:127], v[36:37]
	v_fma_f64 v[34:35], -v[86:87], v[128:129], v[34:35]
	ds_read2_b64 v[126:129], v120 offset0:44 offset1:45
	v_fma_f64 v[32:33], -v[86:87], v[130:131], v[32:33]
	v_fma_f64 v[30:31], -v[86:87], v[132:133], v[30:31]
	;; [unrolled: 1-line block ×3, first 2 shown]
	ds_read2_b64 v[130:133], v120 offset0:46 offset1:47
	v_fma_f64 v[26:27], -v[86:87], v[136:137], v[26:27]
	ds_read2_b64 v[134:137], v120 offset0:48 offset1:49
	s_waitcnt lgkmcnt(0)
	v_fma_f64 v[24:25], -v[86:87], v[126:127], v[24:25]
	v_fma_f64 v[22:23], -v[86:87], v[128:129], v[22:23]
	;; [unrolled: 1-line block ×4, first 2 shown]
	ds_read2_b64 v[126:129], v120 offset0:50 offset1:51
	ds_read2_b64 v[130:133], v120 offset0:52 offset1:53
	v_fma_f64 v[16:17], -v[86:87], v[134:135], v[16:17]
	v_fma_f64 v[14:15], -v[86:87], v[136:137], v[14:15]
	ds_read2_b64 v[134:137], v120 offset0:54 offset1:55
	s_waitcnt lgkmcnt(0)
	v_fma_f64 v[12:13], -v[86:87], v[126:127], v[12:13]
	v_fma_f64 v[10:11], -v[86:87], v[128:129], v[10:11]
	;; [unrolled: 1-line block ×6, first 2 shown]
.LBB110_233:
	s_or_b64 exec, exec, s[0:1]
	v_lshl_add_u32 v116, v121, 3, v120
	s_barrier
	ds_write_b64 v116, v[84:85]
	s_waitcnt lgkmcnt(0)
	s_barrier
	ds_read_b64 v[116:117], v120 offset:112
	s_cmp_lt_i32 s18, 16
	v_mov_b32_e32 v118, 14
	s_cbranch_scc1 .LBB110_236
; %bb.234:
	v_add_u32_e32 v125, 0x78, v120
	s_mov_b32 s0, 15
	v_mov_b32_e32 v118, 14
.LBB110_235:                            ; =>This Inner Loop Header: Depth=1
	ds_read_b64 v[126:127], v125
	v_mov_b32_e32 v128, s0
	s_add_i32 s0, s0, 1
	v_add_u32_e32 v125, 8, v125
	s_cmp_lg_u32 s18, s0
	s_waitcnt lgkmcnt(0)
	v_cmp_lt_f64_e64 vcc, |v[116:117]|, |v[126:127]|
	v_cndmask_b32_e32 v117, v117, v127, vcc
	v_cndmask_b32_e32 v116, v116, v126, vcc
	;; [unrolled: 1-line block ×3, first 2 shown]
	s_cbranch_scc1 .LBB110_235
.LBB110_236:
	s_waitcnt lgkmcnt(0)
	v_cmp_eq_f64_e32 vcc, 0, v[116:117]
	s_and_saveexec_b64 s[0:1], vcc
	s_xor_b64 s[0:1], exec, s[0:1]
; %bb.237:
	v_cmp_ne_u32_e32 vcc, 0, v124
	v_cndmask_b32_e32 v124, 15, v124, vcc
; %bb.238:
	s_andn2_saveexec_b64 s[0:1], s[0:1]
; %bb.239:
	v_div_scale_f64 v[126:127], s[2:3], v[116:117], v[116:117], 1.0
	v_rcp_f64_e32 v[128:129], v[126:127]
	v_div_scale_f64 v[130:131], vcc, 1.0, v[116:117], 1.0
	v_fma_f64 v[132:133], -v[126:127], v[128:129], 1.0
	v_fmac_f64_e32 v[128:129], v[128:129], v[132:133]
	v_fma_f64 v[132:133], -v[126:127], v[128:129], 1.0
	v_fmac_f64_e32 v[128:129], v[128:129], v[132:133]
	v_mul_f64 v[132:133], v[130:131], v[128:129]
	v_fma_f64 v[126:127], -v[126:127], v[132:133], v[130:131]
	v_div_fmas_f64 v[126:127], v[126:127], v[128:129], v[132:133]
	v_div_fixup_f64 v[116:117], v[126:127], v[116:117], 1.0
; %bb.240:
	s_or_b64 exec, exec, s[0:1]
	v_cmp_ne_u32_e32 vcc, v121, v118
	s_and_saveexec_b64 s[0:1], vcc
	s_xor_b64 s[0:1], exec, s[0:1]
	s_cbranch_execz .LBB110_246
; %bb.241:
	v_cmp_eq_u32_e32 vcc, 14, v121
	s_and_saveexec_b64 s[2:3], vcc
	s_cbranch_execz .LBB110_245
; %bb.242:
	v_cmp_ne_u32_e32 vcc, 14, v118
	s_xor_b64 s[14:15], s[6:7], -1
	s_and_b64 s[16:17], s[14:15], vcc
	s_and_saveexec_b64 s[14:15], s[16:17]
	s_cbranch_execz .LBB110_244
; %bb.243:
	v_ashrrev_i32_e32 v119, 31, v118
	v_lshlrev_b64 v[126:127], 2, v[118:119]
	v_add_co_u32_e32 v126, vcc, v4, v126
	v_addc_co_u32_e32 v127, vcc, v5, v127, vcc
	flat_load_dword v119, v[126:127]
	flat_load_dword v121, v[4:5] offset:56
	s_waitcnt vmcnt(0) lgkmcnt(0)
	flat_store_dword v[4:5], v119 offset:56
	flat_store_dword v[126:127], v121
.LBB110_244:
	s_or_b64 exec, exec, s[14:15]
	v_mov_b32_e32 v119, v118
	v_mov_b32_e32 v121, v118
.LBB110_245:
	s_or_b64 exec, exec, s[2:3]
.LBB110_246:
	s_andn2_saveexec_b64 s[0:1], s[0:1]
	s_cbranch_execz .LBB110_248
; %bb.247:
	v_mov_b32_e32 v121, 14
	ds_write2_b64 v120, v[82:83], v[80:81] offset0:15 offset1:16
	ds_write2_b64 v120, v[78:79], v[76:77] offset0:17 offset1:18
	;; [unrolled: 1-line block ×20, first 2 shown]
	ds_write_b64 v120, v[114:115] offset:440
.LBB110_248:
	s_or_b64 exec, exec, s[0:1]
	v_cmp_lt_i32_e32 vcc, 14, v121
	s_waitcnt lgkmcnt(0)
	s_barrier
	s_and_saveexec_b64 s[0:1], vcc
	s_cbranch_execz .LBB110_250
; %bb.249:
	ds_read2_b64 v[126:129], v120 offset0:15 offset1:16
	ds_read2_b64 v[130:133], v120 offset0:17 offset1:18
	v_mul_f64 v[84:85], v[116:117], v[84:85]
	ds_read2_b64 v[134:137], v120 offset0:19 offset1:20
	ds_read_b64 v[116:117], v120 offset:440
	s_waitcnt lgkmcnt(0)
	v_fma_f64 v[82:83], -v[84:85], v[126:127], v[82:83]
	v_fma_f64 v[80:81], -v[84:85], v[128:129], v[80:81]
	ds_read2_b64 v[126:129], v120 offset0:21 offset1:22
	v_fma_f64 v[78:79], -v[84:85], v[130:131], v[78:79]
	v_fma_f64 v[76:77], -v[84:85], v[132:133], v[76:77]
	ds_read2_b64 v[130:133], v120 offset0:23 offset1:24
	;; [unrolled: 3-line block ×3, first 2 shown]
	s_waitcnt lgkmcnt(0)
	v_fma_f64 v[70:71], -v[84:85], v[126:127], v[70:71]
	v_fma_f64 v[68:69], -v[84:85], v[128:129], v[68:69]
	;; [unrolled: 1-line block ×3, first 2 shown]
	ds_read2_b64 v[126:129], v120 offset0:27 offset1:28
	v_fma_f64 v[64:65], -v[84:85], v[132:133], v[64:65]
	ds_read2_b64 v[130:133], v120 offset0:29 offset1:30
	v_fma_f64 v[62:63], -v[84:85], v[134:135], v[62:63]
	v_fma_f64 v[60:61], -v[84:85], v[136:137], v[60:61]
	s_waitcnt lgkmcnt(0)
	v_fma_f64 v[58:59], -v[84:85], v[126:127], v[58:59]
	ds_read2_b64 v[134:137], v120 offset0:31 offset1:32
	v_fma_f64 v[56:57], -v[84:85], v[128:129], v[56:57]
	ds_read2_b64 v[126:129], v120 offset0:33 offset1:34
	v_fma_f64 v[54:55], -v[84:85], v[130:131], v[54:55]
	v_fma_f64 v[52:53], -v[84:85], v[132:133], v[52:53]
	ds_read2_b64 v[130:133], v120 offset0:35 offset1:36
	s_waitcnt lgkmcnt(0)
	v_fma_f64 v[50:51], -v[84:85], v[134:135], v[50:51]
	v_fma_f64 v[48:49], -v[84:85], v[136:137], v[48:49]
	ds_read2_b64 v[134:137], v120 offset0:37 offset1:38
	v_fma_f64 v[46:47], -v[84:85], v[126:127], v[46:47]
	v_fma_f64 v[44:45], -v[84:85], v[128:129], v[44:45]
	;; [unrolled: 1-line block ×3, first 2 shown]
	ds_read2_b64 v[126:129], v120 offset0:39 offset1:40
	v_fma_f64 v[40:41], -v[84:85], v[132:133], v[40:41]
	ds_read2_b64 v[130:133], v120 offset0:41 offset1:42
	s_waitcnt lgkmcnt(0)
	v_fma_f64 v[38:39], -v[84:85], v[134:135], v[38:39]
	v_fma_f64 v[36:37], -v[84:85], v[136:137], v[36:37]
	;; [unrolled: 1-line block ×3, first 2 shown]
	ds_read2_b64 v[134:137], v120 offset0:43 offset1:44
	v_fma_f64 v[32:33], -v[84:85], v[128:129], v[32:33]
	ds_read2_b64 v[126:129], v120 offset0:45 offset1:46
	v_fma_f64 v[30:31], -v[84:85], v[130:131], v[30:31]
	v_fma_f64 v[28:29], -v[84:85], v[132:133], v[28:29]
	ds_read2_b64 v[130:133], v120 offset0:47 offset1:48
	s_waitcnt lgkmcnt(0)
	v_fma_f64 v[26:27], -v[84:85], v[134:135], v[26:27]
	v_fma_f64 v[24:25], -v[84:85], v[136:137], v[24:25]
	ds_read2_b64 v[134:137], v120 offset0:49 offset1:50
	v_fma_f64 v[22:23], -v[84:85], v[126:127], v[22:23]
	v_fma_f64 v[20:21], -v[84:85], v[128:129], v[20:21]
	v_fma_f64 v[18:19], -v[84:85], v[130:131], v[18:19]
	v_fma_f64 v[16:17], -v[84:85], v[132:133], v[16:17]
	ds_read2_b64 v[126:129], v120 offset0:51 offset1:52
	ds_read2_b64 v[130:133], v120 offset0:53 offset1:54
	s_waitcnt lgkmcnt(0)
	v_fma_f64 v[14:15], -v[84:85], v[134:135], v[14:15]
	v_fma_f64 v[12:13], -v[84:85], v[136:137], v[12:13]
	;; [unrolled: 1-line block ×7, first 2 shown]
.LBB110_250:
	s_or_b64 exec, exec, s[0:1]
	v_lshl_add_u32 v116, v121, 3, v120
	s_barrier
	ds_write_b64 v116, v[82:83]
	s_waitcnt lgkmcnt(0)
	s_barrier
	ds_read_b64 v[116:117], v120 offset:120
	s_cmp_lt_i32 s18, 17
	v_mov_b32_e32 v118, 15
	s_cbranch_scc1 .LBB110_253
; %bb.251:
	v_add_u32_e32 v125, 0x80, v120
	s_mov_b32 s0, 16
	v_mov_b32_e32 v118, 15
.LBB110_252:                            ; =>This Inner Loop Header: Depth=1
	ds_read_b64 v[126:127], v125
	v_mov_b32_e32 v128, s0
	s_add_i32 s0, s0, 1
	v_add_u32_e32 v125, 8, v125
	s_cmp_lg_u32 s18, s0
	s_waitcnt lgkmcnt(0)
	v_cmp_lt_f64_e64 vcc, |v[116:117]|, |v[126:127]|
	v_cndmask_b32_e32 v117, v117, v127, vcc
	v_cndmask_b32_e32 v116, v116, v126, vcc
	;; [unrolled: 1-line block ×3, first 2 shown]
	s_cbranch_scc1 .LBB110_252
.LBB110_253:
	s_waitcnt lgkmcnt(0)
	v_cmp_eq_f64_e32 vcc, 0, v[116:117]
	s_and_saveexec_b64 s[0:1], vcc
	s_xor_b64 s[0:1], exec, s[0:1]
; %bb.254:
	v_cmp_ne_u32_e32 vcc, 0, v124
	v_cndmask_b32_e32 v124, 16, v124, vcc
; %bb.255:
	s_andn2_saveexec_b64 s[0:1], s[0:1]
; %bb.256:
	v_div_scale_f64 v[126:127], s[2:3], v[116:117], v[116:117], 1.0
	v_rcp_f64_e32 v[128:129], v[126:127]
	v_div_scale_f64 v[130:131], vcc, 1.0, v[116:117], 1.0
	v_fma_f64 v[132:133], -v[126:127], v[128:129], 1.0
	v_fmac_f64_e32 v[128:129], v[128:129], v[132:133]
	v_fma_f64 v[132:133], -v[126:127], v[128:129], 1.0
	v_fmac_f64_e32 v[128:129], v[128:129], v[132:133]
	v_mul_f64 v[132:133], v[130:131], v[128:129]
	v_fma_f64 v[126:127], -v[126:127], v[132:133], v[130:131]
	v_div_fmas_f64 v[126:127], v[126:127], v[128:129], v[132:133]
	v_div_fixup_f64 v[116:117], v[126:127], v[116:117], 1.0
; %bb.257:
	s_or_b64 exec, exec, s[0:1]
	v_cmp_ne_u32_e32 vcc, v121, v118
	s_and_saveexec_b64 s[0:1], vcc
	s_xor_b64 s[0:1], exec, s[0:1]
	s_cbranch_execz .LBB110_263
; %bb.258:
	v_cmp_eq_u32_e32 vcc, 15, v121
	s_and_saveexec_b64 s[2:3], vcc
	s_cbranch_execz .LBB110_262
; %bb.259:
	v_cmp_ne_u32_e32 vcc, 15, v118
	s_xor_b64 s[14:15], s[6:7], -1
	s_and_b64 s[16:17], s[14:15], vcc
	s_and_saveexec_b64 s[14:15], s[16:17]
	s_cbranch_execz .LBB110_261
; %bb.260:
	v_ashrrev_i32_e32 v119, 31, v118
	v_lshlrev_b64 v[126:127], 2, v[118:119]
	v_add_co_u32_e32 v126, vcc, v4, v126
	v_addc_co_u32_e32 v127, vcc, v5, v127, vcc
	flat_load_dword v119, v[126:127]
	flat_load_dword v121, v[4:5] offset:60
	s_waitcnt vmcnt(0) lgkmcnt(0)
	flat_store_dword v[4:5], v119 offset:60
	flat_store_dword v[126:127], v121
.LBB110_261:
	s_or_b64 exec, exec, s[14:15]
	v_mov_b32_e32 v119, v118
	v_mov_b32_e32 v121, v118
.LBB110_262:
	s_or_b64 exec, exec, s[2:3]
.LBB110_263:
	s_andn2_saveexec_b64 s[0:1], s[0:1]
	s_cbranch_execz .LBB110_265
; %bb.264:
	v_mov_b32_e32 v126, v80
	v_mov_b32_e32 v127, v81
	v_mov_b32_e32 v128, v78
	v_mov_b32_e32 v129, v79
	ds_write2_b64 v120, v[126:127], v[128:129] offset0:16 offset1:17
	v_mov_b32_e32 v126, v76
	v_mov_b32_e32 v127, v77
	v_mov_b32_e32 v128, v74
	v_mov_b32_e32 v129, v75
	ds_write2_b64 v120, v[126:127], v[128:129] offset0:18 offset1:19
	v_mov_b32_e32 v126, v72
	v_mov_b32_e32 v127, v73
	v_mov_b32_e32 v128, v70
	v_mov_b32_e32 v129, v71
	ds_write2_b64 v120, v[126:127], v[128:129] offset0:20 offset1:21
	v_mov_b32_e32 v126, v68
	v_mov_b32_e32 v127, v69
	v_mov_b32_e32 v128, v66
	v_mov_b32_e32 v129, v67
	ds_write2_b64 v120, v[126:127], v[128:129] offset0:22 offset1:23
	v_mov_b32_e32 v126, v64
	v_mov_b32_e32 v127, v65
	v_mov_b32_e32 v128, v62
	v_mov_b32_e32 v129, v63
	ds_write2_b64 v120, v[126:127], v[128:129] offset0:24 offset1:25
	v_mov_b32_e32 v126, v60
	v_mov_b32_e32 v127, v61
	v_mov_b32_e32 v128, v58
	v_mov_b32_e32 v129, v59
	ds_write2_b64 v120, v[126:127], v[128:129] offset0:26 offset1:27
	v_mov_b32_e32 v126, v56
	v_mov_b32_e32 v127, v57
	v_mov_b32_e32 v128, v54
	v_mov_b32_e32 v129, v55
	ds_write2_b64 v120, v[126:127], v[128:129] offset0:28 offset1:29
	v_mov_b32_e32 v126, v52
	v_mov_b32_e32 v127, v53
	v_mov_b32_e32 v128, v50
	v_mov_b32_e32 v129, v51
	ds_write2_b64 v120, v[126:127], v[128:129] offset0:30 offset1:31
	v_mov_b32_e32 v126, v48
	v_mov_b32_e32 v127, v49
	v_mov_b32_e32 v128, v46
	v_mov_b32_e32 v129, v47
	ds_write2_b64 v120, v[126:127], v[128:129] offset0:32 offset1:33
	v_mov_b32_e32 v126, v44
	v_mov_b32_e32 v127, v45
	v_mov_b32_e32 v128, v42
	v_mov_b32_e32 v129, v43
	ds_write2_b64 v120, v[126:127], v[128:129] offset0:34 offset1:35
	v_mov_b32_e32 v126, v40
	v_mov_b32_e32 v127, v41
	v_mov_b32_e32 v128, v38
	v_mov_b32_e32 v129, v39
	ds_write2_b64 v120, v[126:127], v[128:129] offset0:36 offset1:37
	v_mov_b32_e32 v126, v36
	v_mov_b32_e32 v127, v37
	v_mov_b32_e32 v128, v34
	v_mov_b32_e32 v129, v35
	ds_write2_b64 v120, v[126:127], v[128:129] offset0:38 offset1:39
	v_mov_b32_e32 v126, v32
	v_mov_b32_e32 v127, v33
	v_mov_b32_e32 v128, v30
	v_mov_b32_e32 v129, v31
	ds_write2_b64 v120, v[126:127], v[128:129] offset0:40 offset1:41
	v_mov_b32_e32 v126, v28
	v_mov_b32_e32 v127, v29
	v_mov_b32_e32 v128, v26
	v_mov_b32_e32 v129, v27
	ds_write2_b64 v120, v[126:127], v[128:129] offset0:42 offset1:43
	v_mov_b32_e32 v126, v24
	v_mov_b32_e32 v127, v25
	v_mov_b32_e32 v128, v22
	v_mov_b32_e32 v129, v23
	ds_write2_b64 v120, v[126:127], v[128:129] offset0:44 offset1:45
	v_mov_b32_e32 v126, v20
	v_mov_b32_e32 v127, v21
	v_mov_b32_e32 v128, v18
	v_mov_b32_e32 v129, v19
	ds_write2_b64 v120, v[126:127], v[128:129] offset0:46 offset1:47
	v_mov_b32_e32 v126, v16
	v_mov_b32_e32 v127, v17
	v_mov_b32_e32 v128, v14
	v_mov_b32_e32 v129, v15
	ds_write2_b64 v120, v[126:127], v[128:129] offset0:48 offset1:49
	v_mov_b32_e32 v126, v12
	v_mov_b32_e32 v127, v13
	v_mov_b32_e32 v128, v10
	v_mov_b32_e32 v129, v11
	ds_write2_b64 v120, v[126:127], v[128:129] offset0:50 offset1:51
	v_mov_b32_e32 v126, v8
	v_mov_b32_e32 v127, v9
	v_mov_b32_e32 v128, v6
	v_mov_b32_e32 v129, v7
	ds_write2_b64 v120, v[126:127], v[128:129] offset0:52 offset1:53
	v_mov_b32_e32 v126, v0
	v_mov_b32_e32 v127, v1
	v_mov_b32_e32 v121, 15
	ds_write2_b64 v120, v[126:127], v[114:115] offset0:54 offset1:55
.LBB110_265:
	s_or_b64 exec, exec, s[0:1]
	v_cmp_lt_i32_e32 vcc, 15, v121
	s_waitcnt lgkmcnt(0)
	s_barrier
	s_and_saveexec_b64 s[0:1], vcc
	s_cbranch_execz .LBB110_267
; %bb.266:
	ds_read2_b64 v[126:129], v120 offset0:16 offset1:17
	ds_read2_b64 v[130:133], v120 offset0:18 offset1:19
	v_mul_f64 v[82:83], v[116:117], v[82:83]
	ds_read2_b64 v[134:137], v120 offset0:20 offset1:21
	s_waitcnt lgkmcnt(0)
	v_fma_f64 v[80:81], -v[82:83], v[126:127], v[80:81]
	v_fma_f64 v[78:79], -v[82:83], v[128:129], v[78:79]
	ds_read2_b64 v[126:129], v120 offset0:22 offset1:23
	v_fma_f64 v[76:77], -v[82:83], v[130:131], v[76:77]
	v_fma_f64 v[74:75], -v[82:83], v[132:133], v[74:75]
	ds_read2_b64 v[130:133], v120 offset0:24 offset1:25
	;; [unrolled: 3-line block ×3, first 2 shown]
	s_waitcnt lgkmcnt(0)
	v_fma_f64 v[68:69], -v[82:83], v[126:127], v[68:69]
	v_fma_f64 v[66:67], -v[82:83], v[128:129], v[66:67]
	;; [unrolled: 1-line block ×3, first 2 shown]
	ds_read2_b64 v[126:129], v120 offset0:28 offset1:29
	v_fma_f64 v[62:63], -v[82:83], v[132:133], v[62:63]
	ds_read2_b64 v[130:133], v120 offset0:30 offset1:31
	v_fma_f64 v[60:61], -v[82:83], v[134:135], v[60:61]
	v_fma_f64 v[58:59], -v[82:83], v[136:137], v[58:59]
	s_waitcnt lgkmcnt(0)
	v_fma_f64 v[56:57], -v[82:83], v[126:127], v[56:57]
	ds_read2_b64 v[134:137], v120 offset0:32 offset1:33
	v_fma_f64 v[54:55], -v[82:83], v[128:129], v[54:55]
	ds_read2_b64 v[126:129], v120 offset0:34 offset1:35
	v_fma_f64 v[52:53], -v[82:83], v[130:131], v[52:53]
	v_fma_f64 v[50:51], -v[82:83], v[132:133], v[50:51]
	ds_read2_b64 v[130:133], v120 offset0:36 offset1:37
	s_waitcnt lgkmcnt(0)
	v_fma_f64 v[48:49], -v[82:83], v[134:135], v[48:49]
	v_fma_f64 v[46:47], -v[82:83], v[136:137], v[46:47]
	ds_read2_b64 v[134:137], v120 offset0:38 offset1:39
	v_fma_f64 v[44:45], -v[82:83], v[126:127], v[44:45]
	v_fma_f64 v[42:43], -v[82:83], v[128:129], v[42:43]
	;; [unrolled: 1-line block ×3, first 2 shown]
	ds_read2_b64 v[126:129], v120 offset0:40 offset1:41
	v_fma_f64 v[38:39], -v[82:83], v[132:133], v[38:39]
	ds_read2_b64 v[130:133], v120 offset0:42 offset1:43
	s_waitcnt lgkmcnt(0)
	v_fma_f64 v[36:37], -v[82:83], v[134:135], v[36:37]
	v_fma_f64 v[34:35], -v[82:83], v[136:137], v[34:35]
	;; [unrolled: 1-line block ×3, first 2 shown]
	ds_read2_b64 v[134:137], v120 offset0:44 offset1:45
	v_fma_f64 v[30:31], -v[82:83], v[128:129], v[30:31]
	ds_read2_b64 v[126:129], v120 offset0:46 offset1:47
	v_fma_f64 v[28:29], -v[82:83], v[130:131], v[28:29]
	v_fma_f64 v[26:27], -v[82:83], v[132:133], v[26:27]
	ds_read2_b64 v[130:133], v120 offset0:48 offset1:49
	s_waitcnt lgkmcnt(0)
	v_fma_f64 v[24:25], -v[82:83], v[134:135], v[24:25]
	v_fma_f64 v[22:23], -v[82:83], v[136:137], v[22:23]
	;; [unrolled: 1-line block ×4, first 2 shown]
	ds_read2_b64 v[126:129], v120 offset0:50 offset1:51
	v_fma_f64 v[16:17], -v[82:83], v[130:131], v[16:17]
	ds_read2_b64 v[134:137], v120 offset0:52 offset1:53
	v_fma_f64 v[14:15], -v[82:83], v[132:133], v[14:15]
	ds_read2_b64 v[130:133], v120 offset0:54 offset1:55
	s_waitcnt lgkmcnt(0)
	v_fma_f64 v[12:13], -v[82:83], v[126:127], v[12:13]
	v_fma_f64 v[10:11], -v[82:83], v[128:129], v[10:11]
	;; [unrolled: 1-line block ×6, first 2 shown]
.LBB110_267:
	s_or_b64 exec, exec, s[0:1]
	v_lshl_add_u32 v116, v121, 3, v120
	s_barrier
	ds_write_b64 v116, v[80:81]
	s_waitcnt lgkmcnt(0)
	s_barrier
	ds_read_b64 v[116:117], v120 offset:128
	s_cmp_lt_i32 s18, 18
	v_mov_b32_e32 v118, 16
	s_cbranch_scc1 .LBB110_270
; %bb.268:
	v_add_u32_e32 v125, 0x88, v120
	s_mov_b32 s0, 17
	v_mov_b32_e32 v118, 16
.LBB110_269:                            ; =>This Inner Loop Header: Depth=1
	ds_read_b64 v[126:127], v125
	v_mov_b32_e32 v128, s0
	s_add_i32 s0, s0, 1
	v_add_u32_e32 v125, 8, v125
	s_cmp_lg_u32 s18, s0
	s_waitcnt lgkmcnt(0)
	v_cmp_lt_f64_e64 vcc, |v[116:117]|, |v[126:127]|
	v_cndmask_b32_e32 v117, v117, v127, vcc
	v_cndmask_b32_e32 v116, v116, v126, vcc
	;; [unrolled: 1-line block ×3, first 2 shown]
	s_cbranch_scc1 .LBB110_269
.LBB110_270:
	s_waitcnt lgkmcnt(0)
	v_cmp_eq_f64_e32 vcc, 0, v[116:117]
	s_and_saveexec_b64 s[0:1], vcc
	s_xor_b64 s[0:1], exec, s[0:1]
; %bb.271:
	v_cmp_ne_u32_e32 vcc, 0, v124
	v_cndmask_b32_e32 v124, 17, v124, vcc
; %bb.272:
	s_andn2_saveexec_b64 s[0:1], s[0:1]
; %bb.273:
	v_div_scale_f64 v[126:127], s[2:3], v[116:117], v[116:117], 1.0
	v_rcp_f64_e32 v[128:129], v[126:127]
	v_div_scale_f64 v[130:131], vcc, 1.0, v[116:117], 1.0
	v_fma_f64 v[132:133], -v[126:127], v[128:129], 1.0
	v_fmac_f64_e32 v[128:129], v[128:129], v[132:133]
	v_fma_f64 v[132:133], -v[126:127], v[128:129], 1.0
	v_fmac_f64_e32 v[128:129], v[128:129], v[132:133]
	v_mul_f64 v[132:133], v[130:131], v[128:129]
	v_fma_f64 v[126:127], -v[126:127], v[132:133], v[130:131]
	v_div_fmas_f64 v[126:127], v[126:127], v[128:129], v[132:133]
	v_div_fixup_f64 v[116:117], v[126:127], v[116:117], 1.0
; %bb.274:
	s_or_b64 exec, exec, s[0:1]
	v_cmp_ne_u32_e32 vcc, v121, v118
	s_and_saveexec_b64 s[0:1], vcc
	s_xor_b64 s[0:1], exec, s[0:1]
	s_cbranch_execz .LBB110_280
; %bb.275:
	v_cmp_eq_u32_e32 vcc, 16, v121
	s_and_saveexec_b64 s[2:3], vcc
	s_cbranch_execz .LBB110_279
; %bb.276:
	v_cmp_ne_u32_e32 vcc, 16, v118
	s_xor_b64 s[14:15], s[6:7], -1
	s_and_b64 s[16:17], s[14:15], vcc
	s_and_saveexec_b64 s[14:15], s[16:17]
	s_cbranch_execz .LBB110_278
; %bb.277:
	v_ashrrev_i32_e32 v119, 31, v118
	v_lshlrev_b64 v[126:127], 2, v[118:119]
	v_add_co_u32_e32 v126, vcc, v4, v126
	v_addc_co_u32_e32 v127, vcc, v5, v127, vcc
	flat_load_dword v119, v[126:127]
	flat_load_dword v121, v[4:5] offset:64
	s_waitcnt vmcnt(0) lgkmcnt(0)
	flat_store_dword v[4:5], v119 offset:64
	flat_store_dword v[126:127], v121
.LBB110_278:
	s_or_b64 exec, exec, s[14:15]
	v_mov_b32_e32 v119, v118
	v_mov_b32_e32 v121, v118
.LBB110_279:
	s_or_b64 exec, exec, s[2:3]
.LBB110_280:
	s_andn2_saveexec_b64 s[0:1], s[0:1]
	s_cbranch_execz .LBB110_282
; %bb.281:
	v_mov_b32_e32 v121, 16
	ds_write2_b64 v120, v[78:79], v[76:77] offset0:17 offset1:18
	ds_write2_b64 v120, v[74:75], v[72:73] offset0:19 offset1:20
	;; [unrolled: 1-line block ×19, first 2 shown]
	ds_write_b64 v120, v[114:115] offset:440
.LBB110_282:
	s_or_b64 exec, exec, s[0:1]
	v_cmp_lt_i32_e32 vcc, 16, v121
	s_waitcnt lgkmcnt(0)
	s_barrier
	s_and_saveexec_b64 s[0:1], vcc
	s_cbranch_execz .LBB110_284
; %bb.283:
	ds_read2_b64 v[126:129], v120 offset0:17 offset1:18
	ds_read2_b64 v[130:133], v120 offset0:19 offset1:20
	v_mul_f64 v[80:81], v[116:117], v[80:81]
	ds_read2_b64 v[134:137], v120 offset0:21 offset1:22
	ds_read_b64 v[116:117], v120 offset:440
	s_waitcnt lgkmcnt(0)
	v_fma_f64 v[78:79], -v[80:81], v[126:127], v[78:79]
	v_fma_f64 v[76:77], -v[80:81], v[128:129], v[76:77]
	ds_read2_b64 v[126:129], v120 offset0:23 offset1:24
	v_fma_f64 v[74:75], -v[80:81], v[130:131], v[74:75]
	v_fma_f64 v[72:73], -v[80:81], v[132:133], v[72:73]
	;; [unrolled: 1-line block ×3, first 2 shown]
	ds_read2_b64 v[130:133], v120 offset0:25 offset1:26
	v_fma_f64 v[68:69], -v[80:81], v[136:137], v[68:69]
	ds_read2_b64 v[134:137], v120 offset0:27 offset1:28
	s_waitcnt lgkmcnt(0)
	v_fma_f64 v[66:67], -v[80:81], v[126:127], v[66:67]
	v_fma_f64 v[64:65], -v[80:81], v[128:129], v[64:65]
	ds_read2_b64 v[126:129], v120 offset0:29 offset1:30
	v_fma_f64 v[62:63], -v[80:81], v[130:131], v[62:63]
	v_fma_f64 v[60:61], -v[80:81], v[132:133], v[60:61]
	ds_read2_b64 v[130:133], v120 offset0:31 offset1:32
	v_fma_f64 v[58:59], -v[80:81], v[134:135], v[58:59]
	v_fma_f64 v[56:57], -v[80:81], v[136:137], v[56:57]
	s_waitcnt lgkmcnt(0)
	v_fma_f64 v[54:55], -v[80:81], v[126:127], v[54:55]
	ds_read2_b64 v[134:137], v120 offset0:33 offset1:34
	v_fma_f64 v[52:53], -v[80:81], v[128:129], v[52:53]
	ds_read2_b64 v[126:129], v120 offset0:35 offset1:36
	v_fma_f64 v[50:51], -v[80:81], v[130:131], v[50:51]
	v_fma_f64 v[48:49], -v[80:81], v[132:133], v[48:49]
	s_waitcnt lgkmcnt(0)
	v_fma_f64 v[46:47], -v[80:81], v[134:135], v[46:47]
	ds_read2_b64 v[130:133], v120 offset0:37 offset1:38
	v_fma_f64 v[44:45], -v[80:81], v[136:137], v[44:45]
	ds_read2_b64 v[134:137], v120 offset0:39 offset1:40
	v_fma_f64 v[42:43], -v[80:81], v[126:127], v[42:43]
	v_fma_f64 v[40:41], -v[80:81], v[128:129], v[40:41]
	ds_read2_b64 v[126:129], v120 offset0:41 offset1:42
	s_waitcnt lgkmcnt(0)
	v_fma_f64 v[38:39], -v[80:81], v[130:131], v[38:39]
	v_fma_f64 v[36:37], -v[80:81], v[132:133], v[36:37]
	ds_read2_b64 v[130:133], v120 offset0:43 offset1:44
	v_fma_f64 v[34:35], -v[80:81], v[134:135], v[34:35]
	v_fma_f64 v[32:33], -v[80:81], v[136:137], v[32:33]
	;; [unrolled: 1-line block ×3, first 2 shown]
	ds_read2_b64 v[134:137], v120 offset0:45 offset1:46
	v_fma_f64 v[28:29], -v[80:81], v[128:129], v[28:29]
	ds_read2_b64 v[126:129], v120 offset0:47 offset1:48
	s_waitcnt lgkmcnt(0)
	v_fma_f64 v[26:27], -v[80:81], v[130:131], v[26:27]
	v_fma_f64 v[24:25], -v[80:81], v[132:133], v[24:25]
	;; [unrolled: 1-line block ×3, first 2 shown]
	ds_read2_b64 v[130:133], v120 offset0:49 offset1:50
	v_fma_f64 v[20:21], -v[80:81], v[136:137], v[20:21]
	v_fma_f64 v[18:19], -v[80:81], v[126:127], v[18:19]
	v_fma_f64 v[16:17], -v[80:81], v[128:129], v[16:17]
	ds_read2_b64 v[126:129], v120 offset0:51 offset1:52
	ds_read2_b64 v[134:137], v120 offset0:53 offset1:54
	s_waitcnt lgkmcnt(0)
	v_fma_f64 v[14:15], -v[80:81], v[130:131], v[14:15]
	v_fma_f64 v[12:13], -v[80:81], v[132:133], v[12:13]
	;; [unrolled: 1-line block ×7, first 2 shown]
.LBB110_284:
	s_or_b64 exec, exec, s[0:1]
	v_lshl_add_u32 v116, v121, 3, v120
	s_barrier
	ds_write_b64 v116, v[78:79]
	s_waitcnt lgkmcnt(0)
	s_barrier
	ds_read_b64 v[116:117], v120 offset:136
	s_cmp_lt_i32 s18, 19
	v_mov_b32_e32 v118, 17
	s_cbranch_scc1 .LBB110_287
; %bb.285:
	v_add_u32_e32 v125, 0x90, v120
	s_mov_b32 s0, 18
	v_mov_b32_e32 v118, 17
.LBB110_286:                            ; =>This Inner Loop Header: Depth=1
	ds_read_b64 v[126:127], v125
	v_mov_b32_e32 v128, s0
	s_add_i32 s0, s0, 1
	v_add_u32_e32 v125, 8, v125
	s_cmp_lg_u32 s18, s0
	s_waitcnt lgkmcnt(0)
	v_cmp_lt_f64_e64 vcc, |v[116:117]|, |v[126:127]|
	v_cndmask_b32_e32 v117, v117, v127, vcc
	v_cndmask_b32_e32 v116, v116, v126, vcc
	;; [unrolled: 1-line block ×3, first 2 shown]
	s_cbranch_scc1 .LBB110_286
.LBB110_287:
	s_waitcnt lgkmcnt(0)
	v_cmp_eq_f64_e32 vcc, 0, v[116:117]
	s_and_saveexec_b64 s[0:1], vcc
	s_xor_b64 s[0:1], exec, s[0:1]
; %bb.288:
	v_cmp_ne_u32_e32 vcc, 0, v124
	v_cndmask_b32_e32 v124, 18, v124, vcc
; %bb.289:
	s_andn2_saveexec_b64 s[0:1], s[0:1]
; %bb.290:
	v_div_scale_f64 v[126:127], s[2:3], v[116:117], v[116:117], 1.0
	v_rcp_f64_e32 v[128:129], v[126:127]
	v_div_scale_f64 v[130:131], vcc, 1.0, v[116:117], 1.0
	v_fma_f64 v[132:133], -v[126:127], v[128:129], 1.0
	v_fmac_f64_e32 v[128:129], v[128:129], v[132:133]
	v_fma_f64 v[132:133], -v[126:127], v[128:129], 1.0
	v_fmac_f64_e32 v[128:129], v[128:129], v[132:133]
	v_mul_f64 v[132:133], v[130:131], v[128:129]
	v_fma_f64 v[126:127], -v[126:127], v[132:133], v[130:131]
	v_div_fmas_f64 v[126:127], v[126:127], v[128:129], v[132:133]
	v_div_fixup_f64 v[116:117], v[126:127], v[116:117], 1.0
; %bb.291:
	s_or_b64 exec, exec, s[0:1]
	v_cmp_ne_u32_e32 vcc, v121, v118
	s_and_saveexec_b64 s[0:1], vcc
	s_xor_b64 s[0:1], exec, s[0:1]
	s_cbranch_execz .LBB110_297
; %bb.292:
	v_cmp_eq_u32_e32 vcc, 17, v121
	s_and_saveexec_b64 s[2:3], vcc
	s_cbranch_execz .LBB110_296
; %bb.293:
	v_cmp_ne_u32_e32 vcc, 17, v118
	s_xor_b64 s[14:15], s[6:7], -1
	s_and_b64 s[16:17], s[14:15], vcc
	s_and_saveexec_b64 s[14:15], s[16:17]
	s_cbranch_execz .LBB110_295
; %bb.294:
	v_ashrrev_i32_e32 v119, 31, v118
	v_lshlrev_b64 v[126:127], 2, v[118:119]
	v_add_co_u32_e32 v126, vcc, v4, v126
	v_addc_co_u32_e32 v127, vcc, v5, v127, vcc
	flat_load_dword v119, v[126:127]
	flat_load_dword v121, v[4:5] offset:68
	s_waitcnt vmcnt(0) lgkmcnt(0)
	flat_store_dword v[4:5], v119 offset:68
	flat_store_dword v[126:127], v121
.LBB110_295:
	s_or_b64 exec, exec, s[14:15]
	v_mov_b32_e32 v119, v118
	v_mov_b32_e32 v121, v118
.LBB110_296:
	s_or_b64 exec, exec, s[2:3]
.LBB110_297:
	s_andn2_saveexec_b64 s[0:1], s[0:1]
	s_cbranch_execz .LBB110_299
; %bb.298:
	v_mov_b32_e32 v126, v76
	v_mov_b32_e32 v127, v77
	v_mov_b32_e32 v128, v74
	v_mov_b32_e32 v129, v75
	ds_write2_b64 v120, v[126:127], v[128:129] offset0:18 offset1:19
	v_mov_b32_e32 v126, v72
	v_mov_b32_e32 v127, v73
	v_mov_b32_e32 v128, v70
	v_mov_b32_e32 v129, v71
	ds_write2_b64 v120, v[126:127], v[128:129] offset0:20 offset1:21
	;; [unrolled: 5-line block ×18, first 2 shown]
	v_mov_b32_e32 v126, v0
	v_mov_b32_e32 v127, v1
	;; [unrolled: 1-line block ×3, first 2 shown]
	ds_write2_b64 v120, v[126:127], v[114:115] offset0:54 offset1:55
.LBB110_299:
	s_or_b64 exec, exec, s[0:1]
	v_cmp_lt_i32_e32 vcc, 17, v121
	s_waitcnt lgkmcnt(0)
	s_barrier
	s_and_saveexec_b64 s[0:1], vcc
	s_cbranch_execz .LBB110_301
; %bb.300:
	ds_read2_b64 v[126:129], v120 offset0:18 offset1:19
	ds_read2_b64 v[130:133], v120 offset0:20 offset1:21
	v_mul_f64 v[78:79], v[116:117], v[78:79]
	ds_read2_b64 v[134:137], v120 offset0:22 offset1:23
	s_waitcnt lgkmcnt(0)
	v_fma_f64 v[76:77], -v[78:79], v[126:127], v[76:77]
	v_fma_f64 v[74:75], -v[78:79], v[128:129], v[74:75]
	ds_read2_b64 v[126:129], v120 offset0:24 offset1:25
	v_fma_f64 v[72:73], -v[78:79], v[130:131], v[72:73]
	v_fma_f64 v[70:71], -v[78:79], v[132:133], v[70:71]
	v_fma_f64 v[68:69], -v[78:79], v[134:135], v[68:69]
	ds_read2_b64 v[130:133], v120 offset0:26 offset1:27
	v_fma_f64 v[66:67], -v[78:79], v[136:137], v[66:67]
	ds_read2_b64 v[134:137], v120 offset0:28 offset1:29
	s_waitcnt lgkmcnt(0)
	v_fma_f64 v[64:65], -v[78:79], v[126:127], v[64:65]
	v_fma_f64 v[62:63], -v[78:79], v[128:129], v[62:63]
	ds_read2_b64 v[126:129], v120 offset0:30 offset1:31
	v_fma_f64 v[60:61], -v[78:79], v[130:131], v[60:61]
	v_fma_f64 v[58:59], -v[78:79], v[132:133], v[58:59]
	ds_read2_b64 v[130:133], v120 offset0:32 offset1:33
	v_fma_f64 v[56:57], -v[78:79], v[134:135], v[56:57]
	v_fma_f64 v[54:55], -v[78:79], v[136:137], v[54:55]
	s_waitcnt lgkmcnt(0)
	v_fma_f64 v[52:53], -v[78:79], v[126:127], v[52:53]
	ds_read2_b64 v[134:137], v120 offset0:34 offset1:35
	v_fma_f64 v[50:51], -v[78:79], v[128:129], v[50:51]
	ds_read2_b64 v[126:129], v120 offset0:36 offset1:37
	v_fma_f64 v[48:49], -v[78:79], v[130:131], v[48:49]
	v_fma_f64 v[46:47], -v[78:79], v[132:133], v[46:47]
	s_waitcnt lgkmcnt(0)
	v_fma_f64 v[44:45], -v[78:79], v[134:135], v[44:45]
	ds_read2_b64 v[130:133], v120 offset0:38 offset1:39
	v_fma_f64 v[42:43], -v[78:79], v[136:137], v[42:43]
	ds_read2_b64 v[134:137], v120 offset0:40 offset1:41
	v_fma_f64 v[40:41], -v[78:79], v[126:127], v[40:41]
	v_fma_f64 v[38:39], -v[78:79], v[128:129], v[38:39]
	ds_read2_b64 v[126:129], v120 offset0:42 offset1:43
	s_waitcnt lgkmcnt(0)
	v_fma_f64 v[36:37], -v[78:79], v[130:131], v[36:37]
	v_fma_f64 v[34:35], -v[78:79], v[132:133], v[34:35]
	ds_read2_b64 v[130:133], v120 offset0:44 offset1:45
	v_fma_f64 v[32:33], -v[78:79], v[134:135], v[32:33]
	v_fma_f64 v[30:31], -v[78:79], v[136:137], v[30:31]
	;; [unrolled: 1-line block ×3, first 2 shown]
	ds_read2_b64 v[134:137], v120 offset0:46 offset1:47
	v_fma_f64 v[26:27], -v[78:79], v[128:129], v[26:27]
	ds_read2_b64 v[126:129], v120 offset0:48 offset1:49
	s_waitcnt lgkmcnt(0)
	v_fma_f64 v[24:25], -v[78:79], v[130:131], v[24:25]
	v_fma_f64 v[22:23], -v[78:79], v[132:133], v[22:23]
	v_fma_f64 v[20:21], -v[78:79], v[134:135], v[20:21]
	v_fma_f64 v[18:19], -v[78:79], v[136:137], v[18:19]
	ds_read2_b64 v[130:133], v120 offset0:50 offset1:51
	ds_read2_b64 v[134:137], v120 offset0:52 offset1:53
	v_fma_f64 v[16:17], -v[78:79], v[126:127], v[16:17]
	v_fma_f64 v[14:15], -v[78:79], v[128:129], v[14:15]
	ds_read2_b64 v[126:129], v120 offset0:54 offset1:55
	s_waitcnt lgkmcnt(0)
	v_fma_f64 v[12:13], -v[78:79], v[130:131], v[12:13]
	v_fma_f64 v[10:11], -v[78:79], v[132:133], v[10:11]
	;; [unrolled: 1-line block ×6, first 2 shown]
.LBB110_301:
	s_or_b64 exec, exec, s[0:1]
	v_lshl_add_u32 v116, v121, 3, v120
	s_barrier
	ds_write_b64 v116, v[76:77]
	s_waitcnt lgkmcnt(0)
	s_barrier
	ds_read_b64 v[116:117], v120 offset:144
	s_cmp_lt_i32 s18, 20
	v_mov_b32_e32 v118, 18
	s_cbranch_scc1 .LBB110_304
; %bb.302:
	v_add_u32_e32 v125, 0x98, v120
	s_mov_b32 s0, 19
	v_mov_b32_e32 v118, 18
.LBB110_303:                            ; =>This Inner Loop Header: Depth=1
	ds_read_b64 v[126:127], v125
	v_mov_b32_e32 v128, s0
	s_add_i32 s0, s0, 1
	v_add_u32_e32 v125, 8, v125
	s_cmp_lg_u32 s18, s0
	s_waitcnt lgkmcnt(0)
	v_cmp_lt_f64_e64 vcc, |v[116:117]|, |v[126:127]|
	v_cndmask_b32_e32 v117, v117, v127, vcc
	v_cndmask_b32_e32 v116, v116, v126, vcc
	;; [unrolled: 1-line block ×3, first 2 shown]
	s_cbranch_scc1 .LBB110_303
.LBB110_304:
	s_waitcnt lgkmcnt(0)
	v_cmp_eq_f64_e32 vcc, 0, v[116:117]
	s_and_saveexec_b64 s[0:1], vcc
	s_xor_b64 s[0:1], exec, s[0:1]
; %bb.305:
	v_cmp_ne_u32_e32 vcc, 0, v124
	v_cndmask_b32_e32 v124, 19, v124, vcc
; %bb.306:
	s_andn2_saveexec_b64 s[0:1], s[0:1]
; %bb.307:
	v_div_scale_f64 v[126:127], s[2:3], v[116:117], v[116:117], 1.0
	v_rcp_f64_e32 v[128:129], v[126:127]
	v_div_scale_f64 v[130:131], vcc, 1.0, v[116:117], 1.0
	v_fma_f64 v[132:133], -v[126:127], v[128:129], 1.0
	v_fmac_f64_e32 v[128:129], v[128:129], v[132:133]
	v_fma_f64 v[132:133], -v[126:127], v[128:129], 1.0
	v_fmac_f64_e32 v[128:129], v[128:129], v[132:133]
	v_mul_f64 v[132:133], v[130:131], v[128:129]
	v_fma_f64 v[126:127], -v[126:127], v[132:133], v[130:131]
	v_div_fmas_f64 v[126:127], v[126:127], v[128:129], v[132:133]
	v_div_fixup_f64 v[116:117], v[126:127], v[116:117], 1.0
; %bb.308:
	s_or_b64 exec, exec, s[0:1]
	v_cmp_ne_u32_e32 vcc, v121, v118
	s_and_saveexec_b64 s[0:1], vcc
	s_xor_b64 s[0:1], exec, s[0:1]
	s_cbranch_execz .LBB110_314
; %bb.309:
	v_cmp_eq_u32_e32 vcc, 18, v121
	s_and_saveexec_b64 s[2:3], vcc
	s_cbranch_execz .LBB110_313
; %bb.310:
	v_cmp_ne_u32_e32 vcc, 18, v118
	s_xor_b64 s[14:15], s[6:7], -1
	s_and_b64 s[16:17], s[14:15], vcc
	s_and_saveexec_b64 s[14:15], s[16:17]
	s_cbranch_execz .LBB110_312
; %bb.311:
	v_ashrrev_i32_e32 v119, 31, v118
	v_lshlrev_b64 v[126:127], 2, v[118:119]
	v_add_co_u32_e32 v126, vcc, v4, v126
	v_addc_co_u32_e32 v127, vcc, v5, v127, vcc
	flat_load_dword v119, v[126:127]
	flat_load_dword v121, v[4:5] offset:72
	s_waitcnt vmcnt(0) lgkmcnt(0)
	flat_store_dword v[4:5], v119 offset:72
	flat_store_dword v[126:127], v121
.LBB110_312:
	s_or_b64 exec, exec, s[14:15]
	v_mov_b32_e32 v119, v118
	v_mov_b32_e32 v121, v118
.LBB110_313:
	s_or_b64 exec, exec, s[2:3]
.LBB110_314:
	s_andn2_saveexec_b64 s[0:1], s[0:1]
	s_cbranch_execz .LBB110_316
; %bb.315:
	v_mov_b32_e32 v121, 18
	ds_write2_b64 v120, v[74:75], v[72:73] offset0:19 offset1:20
	ds_write2_b64 v120, v[70:71], v[68:69] offset0:21 offset1:22
	;; [unrolled: 1-line block ×18, first 2 shown]
	ds_write_b64 v120, v[114:115] offset:440
.LBB110_316:
	s_or_b64 exec, exec, s[0:1]
	v_cmp_lt_i32_e32 vcc, 18, v121
	s_waitcnt lgkmcnt(0)
	s_barrier
	s_and_saveexec_b64 s[0:1], vcc
	s_cbranch_execz .LBB110_318
; %bb.317:
	ds_read2_b64 v[126:129], v120 offset0:19 offset1:20
	ds_read2_b64 v[130:133], v120 offset0:21 offset1:22
	ds_read2_b64 v[134:137], v120 offset0:23 offset1:24
	v_mul_f64 v[76:77], v[116:117], v[76:77]
	ds_read_b64 v[116:117], v120 offset:440
	s_waitcnt lgkmcnt(0)
	v_fma_f64 v[74:75], -v[76:77], v[126:127], v[74:75]
	v_fma_f64 v[72:73], -v[76:77], v[128:129], v[72:73]
	ds_read2_b64 v[126:129], v120 offset0:25 offset1:26
	v_fma_f64 v[70:71], -v[76:77], v[130:131], v[70:71]
	v_fma_f64 v[68:69], -v[76:77], v[132:133], v[68:69]
	;; [unrolled: 1-line block ×3, first 2 shown]
	ds_read2_b64 v[130:133], v120 offset0:27 offset1:28
	v_fma_f64 v[64:65], -v[76:77], v[136:137], v[64:65]
	ds_read2_b64 v[134:137], v120 offset0:29 offset1:30
	s_waitcnt lgkmcnt(0)
	v_fma_f64 v[62:63], -v[76:77], v[126:127], v[62:63]
	v_fma_f64 v[60:61], -v[76:77], v[128:129], v[60:61]
	;; [unrolled: 1-line block ×3, first 2 shown]
	ds_read2_b64 v[126:129], v120 offset0:31 offset1:32
	v_fma_f64 v[56:57], -v[76:77], v[132:133], v[56:57]
	ds_read2_b64 v[130:133], v120 offset0:33 offset1:34
	v_fma_f64 v[54:55], -v[76:77], v[134:135], v[54:55]
	v_fma_f64 v[52:53], -v[76:77], v[136:137], v[52:53]
	ds_read2_b64 v[134:137], v120 offset0:35 offset1:36
	s_waitcnt lgkmcnt(0)
	v_fma_f64 v[50:51], -v[76:77], v[126:127], v[50:51]
	v_fma_f64 v[48:49], -v[76:77], v[128:129], v[48:49]
	ds_read2_b64 v[126:129], v120 offset0:37 offset1:38
	v_fma_f64 v[46:47], -v[76:77], v[130:131], v[46:47]
	v_fma_f64 v[44:45], -v[76:77], v[132:133], v[44:45]
	;; [unrolled: 1-line block ×3, first 2 shown]
	ds_read2_b64 v[130:133], v120 offset0:39 offset1:40
	v_fma_f64 v[40:41], -v[76:77], v[136:137], v[40:41]
	ds_read2_b64 v[134:137], v120 offset0:41 offset1:42
	s_waitcnt lgkmcnt(0)
	v_fma_f64 v[38:39], -v[76:77], v[126:127], v[38:39]
	v_fma_f64 v[36:37], -v[76:77], v[128:129], v[36:37]
	;; [unrolled: 1-line block ×3, first 2 shown]
	ds_read2_b64 v[126:129], v120 offset0:43 offset1:44
	v_fma_f64 v[32:33], -v[76:77], v[132:133], v[32:33]
	ds_read2_b64 v[130:133], v120 offset0:45 offset1:46
	v_fma_f64 v[30:31], -v[76:77], v[134:135], v[30:31]
	v_fma_f64 v[28:29], -v[76:77], v[136:137], v[28:29]
	ds_read2_b64 v[134:137], v120 offset0:47 offset1:48
	s_waitcnt lgkmcnt(0)
	v_fma_f64 v[26:27], -v[76:77], v[126:127], v[26:27]
	v_fma_f64 v[24:25], -v[76:77], v[128:129], v[24:25]
	ds_read2_b64 v[126:129], v120 offset0:49 offset1:50
	v_fma_f64 v[22:23], -v[76:77], v[130:131], v[22:23]
	v_fma_f64 v[20:21], -v[76:77], v[132:133], v[20:21]
	;; [unrolled: 1-line block ×4, first 2 shown]
	ds_read2_b64 v[130:133], v120 offset0:51 offset1:52
	ds_read2_b64 v[134:137], v120 offset0:53 offset1:54
	s_waitcnt lgkmcnt(0)
	v_fma_f64 v[14:15], -v[76:77], v[126:127], v[14:15]
	v_fma_f64 v[12:13], -v[76:77], v[128:129], v[12:13]
	;; [unrolled: 1-line block ×7, first 2 shown]
.LBB110_318:
	s_or_b64 exec, exec, s[0:1]
	v_lshl_add_u32 v116, v121, 3, v120
	s_barrier
	ds_write_b64 v116, v[74:75]
	s_waitcnt lgkmcnt(0)
	s_barrier
	ds_read_b64 v[116:117], v120 offset:152
	s_cmp_lt_i32 s18, 21
	v_mov_b32_e32 v118, 19
	s_cbranch_scc1 .LBB110_321
; %bb.319:
	v_add_u32_e32 v125, 0xa0, v120
	s_mov_b32 s0, 20
	v_mov_b32_e32 v118, 19
.LBB110_320:                            ; =>This Inner Loop Header: Depth=1
	ds_read_b64 v[126:127], v125
	v_mov_b32_e32 v128, s0
	s_add_i32 s0, s0, 1
	v_add_u32_e32 v125, 8, v125
	s_cmp_lg_u32 s18, s0
	s_waitcnt lgkmcnt(0)
	v_cmp_lt_f64_e64 vcc, |v[116:117]|, |v[126:127]|
	v_cndmask_b32_e32 v117, v117, v127, vcc
	v_cndmask_b32_e32 v116, v116, v126, vcc
	v_cndmask_b32_e32 v118, v118, v128, vcc
	s_cbranch_scc1 .LBB110_320
.LBB110_321:
	s_waitcnt lgkmcnt(0)
	v_cmp_eq_f64_e32 vcc, 0, v[116:117]
	s_and_saveexec_b64 s[0:1], vcc
	s_xor_b64 s[0:1], exec, s[0:1]
; %bb.322:
	v_cmp_ne_u32_e32 vcc, 0, v124
	v_cndmask_b32_e32 v124, 20, v124, vcc
; %bb.323:
	s_andn2_saveexec_b64 s[0:1], s[0:1]
; %bb.324:
	v_div_scale_f64 v[126:127], s[2:3], v[116:117], v[116:117], 1.0
	v_rcp_f64_e32 v[128:129], v[126:127]
	v_div_scale_f64 v[130:131], vcc, 1.0, v[116:117], 1.0
	v_fma_f64 v[132:133], -v[126:127], v[128:129], 1.0
	v_fmac_f64_e32 v[128:129], v[128:129], v[132:133]
	v_fma_f64 v[132:133], -v[126:127], v[128:129], 1.0
	v_fmac_f64_e32 v[128:129], v[128:129], v[132:133]
	v_mul_f64 v[132:133], v[130:131], v[128:129]
	v_fma_f64 v[126:127], -v[126:127], v[132:133], v[130:131]
	v_div_fmas_f64 v[126:127], v[126:127], v[128:129], v[132:133]
	v_div_fixup_f64 v[116:117], v[126:127], v[116:117], 1.0
; %bb.325:
	s_or_b64 exec, exec, s[0:1]
	v_cmp_ne_u32_e32 vcc, v121, v118
	s_and_saveexec_b64 s[0:1], vcc
	s_xor_b64 s[0:1], exec, s[0:1]
	s_cbranch_execz .LBB110_331
; %bb.326:
	v_cmp_eq_u32_e32 vcc, 19, v121
	s_and_saveexec_b64 s[2:3], vcc
	s_cbranch_execz .LBB110_330
; %bb.327:
	v_cmp_ne_u32_e32 vcc, 19, v118
	s_xor_b64 s[14:15], s[6:7], -1
	s_and_b64 s[16:17], s[14:15], vcc
	s_and_saveexec_b64 s[14:15], s[16:17]
	s_cbranch_execz .LBB110_329
; %bb.328:
	v_ashrrev_i32_e32 v119, 31, v118
	v_lshlrev_b64 v[126:127], 2, v[118:119]
	v_add_co_u32_e32 v126, vcc, v4, v126
	v_addc_co_u32_e32 v127, vcc, v5, v127, vcc
	flat_load_dword v119, v[126:127]
	flat_load_dword v121, v[4:5] offset:76
	s_waitcnt vmcnt(0) lgkmcnt(0)
	flat_store_dword v[4:5], v119 offset:76
	flat_store_dword v[126:127], v121
.LBB110_329:
	s_or_b64 exec, exec, s[14:15]
	v_mov_b32_e32 v119, v118
	v_mov_b32_e32 v121, v118
.LBB110_330:
	s_or_b64 exec, exec, s[2:3]
.LBB110_331:
	s_andn2_saveexec_b64 s[0:1], s[0:1]
	s_cbranch_execz .LBB110_333
; %bb.332:
	v_mov_b32_e32 v126, v72
	v_mov_b32_e32 v127, v73
	v_mov_b32_e32 v128, v70
	v_mov_b32_e32 v129, v71
	ds_write2_b64 v120, v[126:127], v[128:129] offset0:20 offset1:21
	v_mov_b32_e32 v126, v68
	v_mov_b32_e32 v127, v69
	v_mov_b32_e32 v128, v66
	v_mov_b32_e32 v129, v67
	ds_write2_b64 v120, v[126:127], v[128:129] offset0:22 offset1:23
	;; [unrolled: 5-line block ×17, first 2 shown]
	v_mov_b32_e32 v126, v0
	v_mov_b32_e32 v127, v1
	;; [unrolled: 1-line block ×3, first 2 shown]
	ds_write2_b64 v120, v[126:127], v[114:115] offset0:54 offset1:55
.LBB110_333:
	s_or_b64 exec, exec, s[0:1]
	v_cmp_lt_i32_e32 vcc, 19, v121
	s_waitcnt lgkmcnt(0)
	s_barrier
	s_and_saveexec_b64 s[0:1], vcc
	s_cbranch_execz .LBB110_335
; %bb.334:
	ds_read2_b64 v[126:129], v120 offset0:20 offset1:21
	ds_read2_b64 v[130:133], v120 offset0:22 offset1:23
	;; [unrolled: 1-line block ×3, first 2 shown]
	v_mul_f64 v[74:75], v[116:117], v[74:75]
	s_waitcnt lgkmcnt(0)
	v_fma_f64 v[72:73], -v[74:75], v[126:127], v[72:73]
	v_fma_f64 v[70:71], -v[74:75], v[128:129], v[70:71]
	ds_read2_b64 v[126:129], v120 offset0:26 offset1:27
	v_fma_f64 v[68:69], -v[74:75], v[130:131], v[68:69]
	v_fma_f64 v[66:67], -v[74:75], v[132:133], v[66:67]
	;; [unrolled: 1-line block ×3, first 2 shown]
	ds_read2_b64 v[130:133], v120 offset0:28 offset1:29
	v_fma_f64 v[62:63], -v[74:75], v[136:137], v[62:63]
	ds_read2_b64 v[134:137], v120 offset0:30 offset1:31
	s_waitcnt lgkmcnt(0)
	v_fma_f64 v[60:61], -v[74:75], v[126:127], v[60:61]
	v_fma_f64 v[58:59], -v[74:75], v[128:129], v[58:59]
	;; [unrolled: 1-line block ×3, first 2 shown]
	ds_read2_b64 v[126:129], v120 offset0:32 offset1:33
	v_fma_f64 v[54:55], -v[74:75], v[132:133], v[54:55]
	ds_read2_b64 v[130:133], v120 offset0:34 offset1:35
	v_fma_f64 v[52:53], -v[74:75], v[134:135], v[52:53]
	v_fma_f64 v[50:51], -v[74:75], v[136:137], v[50:51]
	ds_read2_b64 v[134:137], v120 offset0:36 offset1:37
	s_waitcnt lgkmcnt(0)
	v_fma_f64 v[48:49], -v[74:75], v[126:127], v[48:49]
	v_fma_f64 v[46:47], -v[74:75], v[128:129], v[46:47]
	ds_read2_b64 v[126:129], v120 offset0:38 offset1:39
	v_fma_f64 v[44:45], -v[74:75], v[130:131], v[44:45]
	v_fma_f64 v[42:43], -v[74:75], v[132:133], v[42:43]
	;; [unrolled: 1-line block ×3, first 2 shown]
	ds_read2_b64 v[130:133], v120 offset0:40 offset1:41
	v_fma_f64 v[38:39], -v[74:75], v[136:137], v[38:39]
	ds_read2_b64 v[134:137], v120 offset0:42 offset1:43
	s_waitcnt lgkmcnt(0)
	v_fma_f64 v[36:37], -v[74:75], v[126:127], v[36:37]
	v_fma_f64 v[34:35], -v[74:75], v[128:129], v[34:35]
	;; [unrolled: 1-line block ×3, first 2 shown]
	ds_read2_b64 v[126:129], v120 offset0:44 offset1:45
	v_fma_f64 v[30:31], -v[74:75], v[132:133], v[30:31]
	ds_read2_b64 v[130:133], v120 offset0:46 offset1:47
	v_fma_f64 v[28:29], -v[74:75], v[134:135], v[28:29]
	v_fma_f64 v[26:27], -v[74:75], v[136:137], v[26:27]
	ds_read2_b64 v[134:137], v120 offset0:48 offset1:49
	s_waitcnt lgkmcnt(0)
	v_fma_f64 v[24:25], -v[74:75], v[126:127], v[24:25]
	v_fma_f64 v[22:23], -v[74:75], v[128:129], v[22:23]
	ds_read2_b64 v[126:129], v120 offset0:50 offset1:51
	v_fma_f64 v[20:21], -v[74:75], v[130:131], v[20:21]
	v_fma_f64 v[18:19], -v[74:75], v[132:133], v[18:19]
	;; [unrolled: 1-line block ×3, first 2 shown]
	ds_read2_b64 v[130:133], v120 offset0:52 offset1:53
	v_fma_f64 v[14:15], -v[74:75], v[136:137], v[14:15]
	ds_read2_b64 v[134:137], v120 offset0:54 offset1:55
	s_waitcnt lgkmcnt(0)
	v_fma_f64 v[12:13], -v[74:75], v[126:127], v[12:13]
	v_fma_f64 v[10:11], -v[74:75], v[128:129], v[10:11]
	;; [unrolled: 1-line block ×6, first 2 shown]
.LBB110_335:
	s_or_b64 exec, exec, s[0:1]
	v_lshl_add_u32 v116, v121, 3, v120
	s_barrier
	ds_write_b64 v116, v[72:73]
	s_waitcnt lgkmcnt(0)
	s_barrier
	ds_read_b64 v[116:117], v120 offset:160
	s_cmp_lt_i32 s18, 22
	v_mov_b32_e32 v118, 20
	s_cbranch_scc1 .LBB110_338
; %bb.336:
	v_add_u32_e32 v125, 0xa8, v120
	s_mov_b32 s0, 21
	v_mov_b32_e32 v118, 20
.LBB110_337:                            ; =>This Inner Loop Header: Depth=1
	ds_read_b64 v[126:127], v125
	v_mov_b32_e32 v128, s0
	s_add_i32 s0, s0, 1
	v_add_u32_e32 v125, 8, v125
	s_cmp_lg_u32 s18, s0
	s_waitcnt lgkmcnt(0)
	v_cmp_lt_f64_e64 vcc, |v[116:117]|, |v[126:127]|
	v_cndmask_b32_e32 v117, v117, v127, vcc
	v_cndmask_b32_e32 v116, v116, v126, vcc
	;; [unrolled: 1-line block ×3, first 2 shown]
	s_cbranch_scc1 .LBB110_337
.LBB110_338:
	s_waitcnt lgkmcnt(0)
	v_cmp_eq_f64_e32 vcc, 0, v[116:117]
	s_and_saveexec_b64 s[0:1], vcc
	s_xor_b64 s[0:1], exec, s[0:1]
; %bb.339:
	v_cmp_ne_u32_e32 vcc, 0, v124
	v_cndmask_b32_e32 v124, 21, v124, vcc
; %bb.340:
	s_andn2_saveexec_b64 s[0:1], s[0:1]
; %bb.341:
	v_div_scale_f64 v[126:127], s[2:3], v[116:117], v[116:117], 1.0
	v_rcp_f64_e32 v[128:129], v[126:127]
	v_div_scale_f64 v[130:131], vcc, 1.0, v[116:117], 1.0
	v_fma_f64 v[132:133], -v[126:127], v[128:129], 1.0
	v_fmac_f64_e32 v[128:129], v[128:129], v[132:133]
	v_fma_f64 v[132:133], -v[126:127], v[128:129], 1.0
	v_fmac_f64_e32 v[128:129], v[128:129], v[132:133]
	v_mul_f64 v[132:133], v[130:131], v[128:129]
	v_fma_f64 v[126:127], -v[126:127], v[132:133], v[130:131]
	v_div_fmas_f64 v[126:127], v[126:127], v[128:129], v[132:133]
	v_div_fixup_f64 v[116:117], v[126:127], v[116:117], 1.0
; %bb.342:
	s_or_b64 exec, exec, s[0:1]
	v_cmp_ne_u32_e32 vcc, v121, v118
	s_and_saveexec_b64 s[0:1], vcc
	s_xor_b64 s[0:1], exec, s[0:1]
	s_cbranch_execz .LBB110_348
; %bb.343:
	v_cmp_eq_u32_e32 vcc, 20, v121
	s_and_saveexec_b64 s[2:3], vcc
	s_cbranch_execz .LBB110_347
; %bb.344:
	v_cmp_ne_u32_e32 vcc, 20, v118
	s_xor_b64 s[14:15], s[6:7], -1
	s_and_b64 s[16:17], s[14:15], vcc
	s_and_saveexec_b64 s[14:15], s[16:17]
	s_cbranch_execz .LBB110_346
; %bb.345:
	v_ashrrev_i32_e32 v119, 31, v118
	v_lshlrev_b64 v[126:127], 2, v[118:119]
	v_add_co_u32_e32 v126, vcc, v4, v126
	v_addc_co_u32_e32 v127, vcc, v5, v127, vcc
	flat_load_dword v119, v[126:127]
	flat_load_dword v121, v[4:5] offset:80
	s_waitcnt vmcnt(0) lgkmcnt(0)
	flat_store_dword v[4:5], v119 offset:80
	flat_store_dword v[126:127], v121
.LBB110_346:
	s_or_b64 exec, exec, s[14:15]
	v_mov_b32_e32 v119, v118
	v_mov_b32_e32 v121, v118
.LBB110_347:
	s_or_b64 exec, exec, s[2:3]
.LBB110_348:
	s_andn2_saveexec_b64 s[0:1], s[0:1]
	s_cbranch_execz .LBB110_350
; %bb.349:
	v_mov_b32_e32 v121, 20
	ds_write2_b64 v120, v[70:71], v[68:69] offset0:21 offset1:22
	ds_write2_b64 v120, v[66:67], v[64:65] offset0:23 offset1:24
	;; [unrolled: 1-line block ×17, first 2 shown]
	ds_write_b64 v120, v[114:115] offset:440
.LBB110_350:
	s_or_b64 exec, exec, s[0:1]
	v_cmp_lt_i32_e32 vcc, 20, v121
	s_waitcnt lgkmcnt(0)
	s_barrier
	s_and_saveexec_b64 s[0:1], vcc
	s_cbranch_execz .LBB110_352
; %bb.351:
	ds_read2_b64 v[126:129], v120 offset0:21 offset1:22
	ds_read2_b64 v[130:133], v120 offset0:23 offset1:24
	v_mul_f64 v[72:73], v[116:117], v[72:73]
	ds_read2_b64 v[134:137], v120 offset0:25 offset1:26
	ds_read_b64 v[116:117], v120 offset:440
	s_waitcnt lgkmcnt(0)
	v_fma_f64 v[70:71], -v[72:73], v[126:127], v[70:71]
	v_fma_f64 v[68:69], -v[72:73], v[128:129], v[68:69]
	ds_read2_b64 v[126:129], v120 offset0:27 offset1:28
	v_fma_f64 v[66:67], -v[72:73], v[130:131], v[66:67]
	v_fma_f64 v[64:65], -v[72:73], v[132:133], v[64:65]
	ds_read2_b64 v[130:133], v120 offset0:29 offset1:30
	v_fma_f64 v[62:63], -v[72:73], v[134:135], v[62:63]
	v_fma_f64 v[60:61], -v[72:73], v[136:137], v[60:61]
	ds_read2_b64 v[134:137], v120 offset0:31 offset1:32
	s_waitcnt lgkmcnt(0)
	v_fma_f64 v[58:59], -v[72:73], v[126:127], v[58:59]
	v_fma_f64 v[56:57], -v[72:73], v[128:129], v[56:57]
	;; [unrolled: 1-line block ×3, first 2 shown]
	ds_read2_b64 v[126:129], v120 offset0:33 offset1:34
	v_fma_f64 v[52:53], -v[72:73], v[132:133], v[52:53]
	ds_read2_b64 v[130:133], v120 offset0:35 offset1:36
	v_fma_f64 v[50:51], -v[72:73], v[134:135], v[50:51]
	v_fma_f64 v[48:49], -v[72:73], v[136:137], v[48:49]
	s_waitcnt lgkmcnt(0)
	v_fma_f64 v[46:47], -v[72:73], v[126:127], v[46:47]
	ds_read2_b64 v[134:137], v120 offset0:37 offset1:38
	v_fma_f64 v[44:45], -v[72:73], v[128:129], v[44:45]
	ds_read2_b64 v[126:129], v120 offset0:39 offset1:40
	v_fma_f64 v[42:43], -v[72:73], v[130:131], v[42:43]
	v_fma_f64 v[40:41], -v[72:73], v[132:133], v[40:41]
	ds_read2_b64 v[130:133], v120 offset0:41 offset1:42
	s_waitcnt lgkmcnt(0)
	v_fma_f64 v[38:39], -v[72:73], v[134:135], v[38:39]
	v_fma_f64 v[36:37], -v[72:73], v[136:137], v[36:37]
	ds_read2_b64 v[134:137], v120 offset0:43 offset1:44
	v_fma_f64 v[34:35], -v[72:73], v[126:127], v[34:35]
	v_fma_f64 v[32:33], -v[72:73], v[128:129], v[32:33]
	;; [unrolled: 1-line block ×3, first 2 shown]
	ds_read2_b64 v[126:129], v120 offset0:45 offset1:46
	v_fma_f64 v[28:29], -v[72:73], v[132:133], v[28:29]
	ds_read2_b64 v[130:133], v120 offset0:47 offset1:48
	s_waitcnt lgkmcnt(0)
	v_fma_f64 v[26:27], -v[72:73], v[134:135], v[26:27]
	v_fma_f64 v[24:25], -v[72:73], v[136:137], v[24:25]
	;; [unrolled: 1-line block ×3, first 2 shown]
	ds_read2_b64 v[134:137], v120 offset0:49 offset1:50
	v_fma_f64 v[20:21], -v[72:73], v[128:129], v[20:21]
	ds_read2_b64 v[126:129], v120 offset0:51 offset1:52
	v_fma_f64 v[18:19], -v[72:73], v[130:131], v[18:19]
	v_fma_f64 v[16:17], -v[72:73], v[132:133], v[16:17]
	ds_read2_b64 v[130:133], v120 offset0:53 offset1:54
	s_waitcnt lgkmcnt(0)
	v_fma_f64 v[14:15], -v[72:73], v[134:135], v[14:15]
	v_fma_f64 v[12:13], -v[72:73], v[136:137], v[12:13]
	;; [unrolled: 1-line block ×7, first 2 shown]
.LBB110_352:
	s_or_b64 exec, exec, s[0:1]
	v_lshl_add_u32 v116, v121, 3, v120
	s_barrier
	ds_write_b64 v116, v[70:71]
	s_waitcnt lgkmcnt(0)
	s_barrier
	ds_read_b64 v[116:117], v120 offset:168
	s_cmp_lt_i32 s18, 23
	v_mov_b32_e32 v118, 21
	s_cbranch_scc1 .LBB110_355
; %bb.353:
	v_add_u32_e32 v125, 0xb0, v120
	s_mov_b32 s0, 22
	v_mov_b32_e32 v118, 21
.LBB110_354:                            ; =>This Inner Loop Header: Depth=1
	ds_read_b64 v[126:127], v125
	v_mov_b32_e32 v128, s0
	s_add_i32 s0, s0, 1
	v_add_u32_e32 v125, 8, v125
	s_cmp_lg_u32 s18, s0
	s_waitcnt lgkmcnt(0)
	v_cmp_lt_f64_e64 vcc, |v[116:117]|, |v[126:127]|
	v_cndmask_b32_e32 v117, v117, v127, vcc
	v_cndmask_b32_e32 v116, v116, v126, vcc
	;; [unrolled: 1-line block ×3, first 2 shown]
	s_cbranch_scc1 .LBB110_354
.LBB110_355:
	s_waitcnt lgkmcnt(0)
	v_cmp_eq_f64_e32 vcc, 0, v[116:117]
	s_and_saveexec_b64 s[0:1], vcc
	s_xor_b64 s[0:1], exec, s[0:1]
; %bb.356:
	v_cmp_ne_u32_e32 vcc, 0, v124
	v_cndmask_b32_e32 v124, 22, v124, vcc
; %bb.357:
	s_andn2_saveexec_b64 s[0:1], s[0:1]
; %bb.358:
	v_div_scale_f64 v[126:127], s[2:3], v[116:117], v[116:117], 1.0
	v_rcp_f64_e32 v[128:129], v[126:127]
	v_div_scale_f64 v[130:131], vcc, 1.0, v[116:117], 1.0
	v_fma_f64 v[132:133], -v[126:127], v[128:129], 1.0
	v_fmac_f64_e32 v[128:129], v[128:129], v[132:133]
	v_fma_f64 v[132:133], -v[126:127], v[128:129], 1.0
	v_fmac_f64_e32 v[128:129], v[128:129], v[132:133]
	v_mul_f64 v[132:133], v[130:131], v[128:129]
	v_fma_f64 v[126:127], -v[126:127], v[132:133], v[130:131]
	v_div_fmas_f64 v[126:127], v[126:127], v[128:129], v[132:133]
	v_div_fixup_f64 v[116:117], v[126:127], v[116:117], 1.0
; %bb.359:
	s_or_b64 exec, exec, s[0:1]
	v_cmp_ne_u32_e32 vcc, v121, v118
	s_and_saveexec_b64 s[0:1], vcc
	s_xor_b64 s[0:1], exec, s[0:1]
	s_cbranch_execz .LBB110_365
; %bb.360:
	v_cmp_eq_u32_e32 vcc, 21, v121
	s_and_saveexec_b64 s[2:3], vcc
	s_cbranch_execz .LBB110_364
; %bb.361:
	v_cmp_ne_u32_e32 vcc, 21, v118
	s_xor_b64 s[14:15], s[6:7], -1
	s_and_b64 s[16:17], s[14:15], vcc
	s_and_saveexec_b64 s[14:15], s[16:17]
	s_cbranch_execz .LBB110_363
; %bb.362:
	v_ashrrev_i32_e32 v119, 31, v118
	v_lshlrev_b64 v[126:127], 2, v[118:119]
	v_add_co_u32_e32 v126, vcc, v4, v126
	v_addc_co_u32_e32 v127, vcc, v5, v127, vcc
	flat_load_dword v119, v[126:127]
	flat_load_dword v121, v[4:5] offset:84
	s_waitcnt vmcnt(0) lgkmcnt(0)
	flat_store_dword v[4:5], v119 offset:84
	flat_store_dword v[126:127], v121
.LBB110_363:
	s_or_b64 exec, exec, s[14:15]
	v_mov_b32_e32 v119, v118
	v_mov_b32_e32 v121, v118
.LBB110_364:
	s_or_b64 exec, exec, s[2:3]
.LBB110_365:
	s_andn2_saveexec_b64 s[0:1], s[0:1]
	s_cbranch_execz .LBB110_367
; %bb.366:
	v_mov_b32_e32 v126, v68
	v_mov_b32_e32 v127, v69
	v_mov_b32_e32 v128, v66
	v_mov_b32_e32 v129, v67
	ds_write2_b64 v120, v[126:127], v[128:129] offset0:22 offset1:23
	v_mov_b32_e32 v126, v64
	v_mov_b32_e32 v127, v65
	v_mov_b32_e32 v128, v62
	v_mov_b32_e32 v129, v63
	ds_write2_b64 v120, v[126:127], v[128:129] offset0:24 offset1:25
	;; [unrolled: 5-line block ×16, first 2 shown]
	v_mov_b32_e32 v126, v0
	v_mov_b32_e32 v127, v1
	;; [unrolled: 1-line block ×3, first 2 shown]
	ds_write2_b64 v120, v[126:127], v[114:115] offset0:54 offset1:55
.LBB110_367:
	s_or_b64 exec, exec, s[0:1]
	v_cmp_lt_i32_e32 vcc, 21, v121
	s_waitcnt lgkmcnt(0)
	s_barrier
	s_and_saveexec_b64 s[0:1], vcc
	s_cbranch_execz .LBB110_369
; %bb.368:
	ds_read2_b64 v[126:129], v120 offset0:22 offset1:23
	ds_read2_b64 v[130:133], v120 offset0:24 offset1:25
	v_mul_f64 v[70:71], v[116:117], v[70:71]
	ds_read2_b64 v[134:137], v120 offset0:26 offset1:27
	s_waitcnt lgkmcnt(0)
	v_fma_f64 v[68:69], -v[70:71], v[126:127], v[68:69]
	v_fma_f64 v[66:67], -v[70:71], v[128:129], v[66:67]
	ds_read2_b64 v[126:129], v120 offset0:28 offset1:29
	v_fma_f64 v[64:65], -v[70:71], v[130:131], v[64:65]
	v_fma_f64 v[62:63], -v[70:71], v[132:133], v[62:63]
	ds_read2_b64 v[130:133], v120 offset0:30 offset1:31
	;; [unrolled: 3-line block ×3, first 2 shown]
	s_waitcnt lgkmcnt(0)
	v_fma_f64 v[56:57], -v[70:71], v[126:127], v[56:57]
	v_fma_f64 v[54:55], -v[70:71], v[128:129], v[54:55]
	;; [unrolled: 1-line block ×3, first 2 shown]
	ds_read2_b64 v[126:129], v120 offset0:34 offset1:35
	v_fma_f64 v[50:51], -v[70:71], v[132:133], v[50:51]
	ds_read2_b64 v[130:133], v120 offset0:36 offset1:37
	v_fma_f64 v[48:49], -v[70:71], v[134:135], v[48:49]
	v_fma_f64 v[46:47], -v[70:71], v[136:137], v[46:47]
	s_waitcnt lgkmcnt(0)
	v_fma_f64 v[44:45], -v[70:71], v[126:127], v[44:45]
	ds_read2_b64 v[134:137], v120 offset0:38 offset1:39
	v_fma_f64 v[42:43], -v[70:71], v[128:129], v[42:43]
	ds_read2_b64 v[126:129], v120 offset0:40 offset1:41
	v_fma_f64 v[40:41], -v[70:71], v[130:131], v[40:41]
	v_fma_f64 v[38:39], -v[70:71], v[132:133], v[38:39]
	ds_read2_b64 v[130:133], v120 offset0:42 offset1:43
	s_waitcnt lgkmcnt(0)
	v_fma_f64 v[36:37], -v[70:71], v[134:135], v[36:37]
	v_fma_f64 v[34:35], -v[70:71], v[136:137], v[34:35]
	ds_read2_b64 v[134:137], v120 offset0:44 offset1:45
	v_fma_f64 v[32:33], -v[70:71], v[126:127], v[32:33]
	v_fma_f64 v[30:31], -v[70:71], v[128:129], v[30:31]
	;; [unrolled: 1-line block ×3, first 2 shown]
	ds_read2_b64 v[126:129], v120 offset0:46 offset1:47
	v_fma_f64 v[26:27], -v[70:71], v[132:133], v[26:27]
	ds_read2_b64 v[130:133], v120 offset0:48 offset1:49
	s_waitcnt lgkmcnt(0)
	v_fma_f64 v[24:25], -v[70:71], v[134:135], v[24:25]
	v_fma_f64 v[22:23], -v[70:71], v[136:137], v[22:23]
	;; [unrolled: 1-line block ×4, first 2 shown]
	ds_read2_b64 v[126:129], v120 offset0:50 offset1:51
	ds_read2_b64 v[134:137], v120 offset0:52 offset1:53
	v_fma_f64 v[16:17], -v[70:71], v[130:131], v[16:17]
	v_fma_f64 v[14:15], -v[70:71], v[132:133], v[14:15]
	ds_read2_b64 v[130:133], v120 offset0:54 offset1:55
	s_waitcnt lgkmcnt(0)
	v_fma_f64 v[12:13], -v[70:71], v[126:127], v[12:13]
	v_fma_f64 v[10:11], -v[70:71], v[128:129], v[10:11]
	;; [unrolled: 1-line block ×6, first 2 shown]
.LBB110_369:
	s_or_b64 exec, exec, s[0:1]
	v_lshl_add_u32 v116, v121, 3, v120
	s_barrier
	ds_write_b64 v116, v[68:69]
	s_waitcnt lgkmcnt(0)
	s_barrier
	ds_read_b64 v[116:117], v120 offset:176
	s_cmp_lt_i32 s18, 24
	v_mov_b32_e32 v118, 22
	s_cbranch_scc1 .LBB110_372
; %bb.370:
	v_add_u32_e32 v125, 0xb8, v120
	s_mov_b32 s0, 23
	v_mov_b32_e32 v118, 22
.LBB110_371:                            ; =>This Inner Loop Header: Depth=1
	ds_read_b64 v[126:127], v125
	v_mov_b32_e32 v128, s0
	s_add_i32 s0, s0, 1
	v_add_u32_e32 v125, 8, v125
	s_cmp_lg_u32 s18, s0
	s_waitcnt lgkmcnt(0)
	v_cmp_lt_f64_e64 vcc, |v[116:117]|, |v[126:127]|
	v_cndmask_b32_e32 v117, v117, v127, vcc
	v_cndmask_b32_e32 v116, v116, v126, vcc
	v_cndmask_b32_e32 v118, v118, v128, vcc
	s_cbranch_scc1 .LBB110_371
.LBB110_372:
	s_waitcnt lgkmcnt(0)
	v_cmp_eq_f64_e32 vcc, 0, v[116:117]
	s_and_saveexec_b64 s[0:1], vcc
	s_xor_b64 s[0:1], exec, s[0:1]
; %bb.373:
	v_cmp_ne_u32_e32 vcc, 0, v124
	v_cndmask_b32_e32 v124, 23, v124, vcc
; %bb.374:
	s_andn2_saveexec_b64 s[0:1], s[0:1]
; %bb.375:
	v_div_scale_f64 v[126:127], s[2:3], v[116:117], v[116:117], 1.0
	v_rcp_f64_e32 v[128:129], v[126:127]
	v_div_scale_f64 v[130:131], vcc, 1.0, v[116:117], 1.0
	v_fma_f64 v[132:133], -v[126:127], v[128:129], 1.0
	v_fmac_f64_e32 v[128:129], v[128:129], v[132:133]
	v_fma_f64 v[132:133], -v[126:127], v[128:129], 1.0
	v_fmac_f64_e32 v[128:129], v[128:129], v[132:133]
	v_mul_f64 v[132:133], v[130:131], v[128:129]
	v_fma_f64 v[126:127], -v[126:127], v[132:133], v[130:131]
	v_div_fmas_f64 v[126:127], v[126:127], v[128:129], v[132:133]
	v_div_fixup_f64 v[116:117], v[126:127], v[116:117], 1.0
; %bb.376:
	s_or_b64 exec, exec, s[0:1]
	v_cmp_ne_u32_e32 vcc, v121, v118
	s_and_saveexec_b64 s[0:1], vcc
	s_xor_b64 s[0:1], exec, s[0:1]
	s_cbranch_execz .LBB110_382
; %bb.377:
	v_cmp_eq_u32_e32 vcc, 22, v121
	s_and_saveexec_b64 s[2:3], vcc
	s_cbranch_execz .LBB110_381
; %bb.378:
	v_cmp_ne_u32_e32 vcc, 22, v118
	s_xor_b64 s[14:15], s[6:7], -1
	s_and_b64 s[16:17], s[14:15], vcc
	s_and_saveexec_b64 s[14:15], s[16:17]
	s_cbranch_execz .LBB110_380
; %bb.379:
	v_ashrrev_i32_e32 v119, 31, v118
	v_lshlrev_b64 v[126:127], 2, v[118:119]
	v_add_co_u32_e32 v126, vcc, v4, v126
	v_addc_co_u32_e32 v127, vcc, v5, v127, vcc
	flat_load_dword v119, v[126:127]
	flat_load_dword v121, v[4:5] offset:88
	s_waitcnt vmcnt(0) lgkmcnt(0)
	flat_store_dword v[4:5], v119 offset:88
	flat_store_dword v[126:127], v121
.LBB110_380:
	s_or_b64 exec, exec, s[14:15]
	v_mov_b32_e32 v119, v118
	v_mov_b32_e32 v121, v118
.LBB110_381:
	s_or_b64 exec, exec, s[2:3]
.LBB110_382:
	s_andn2_saveexec_b64 s[0:1], s[0:1]
	s_cbranch_execz .LBB110_384
; %bb.383:
	v_mov_b32_e32 v121, 22
	ds_write2_b64 v120, v[66:67], v[64:65] offset0:23 offset1:24
	ds_write2_b64 v120, v[62:63], v[60:61] offset0:25 offset1:26
	;; [unrolled: 1-line block ×16, first 2 shown]
	ds_write_b64 v120, v[114:115] offset:440
.LBB110_384:
	s_or_b64 exec, exec, s[0:1]
	v_cmp_lt_i32_e32 vcc, 22, v121
	s_waitcnt lgkmcnt(0)
	s_barrier
	s_and_saveexec_b64 s[0:1], vcc
	s_cbranch_execz .LBB110_386
; %bb.385:
	ds_read2_b64 v[126:129], v120 offset0:23 offset1:24
	ds_read2_b64 v[130:133], v120 offset0:25 offset1:26
	v_mul_f64 v[68:69], v[116:117], v[68:69]
	ds_read2_b64 v[134:137], v120 offset0:27 offset1:28
	ds_read_b64 v[116:117], v120 offset:440
	s_waitcnt lgkmcnt(0)
	v_fma_f64 v[66:67], -v[68:69], v[126:127], v[66:67]
	v_fma_f64 v[64:65], -v[68:69], v[128:129], v[64:65]
	ds_read2_b64 v[126:129], v120 offset0:29 offset1:30
	v_fma_f64 v[62:63], -v[68:69], v[130:131], v[62:63]
	v_fma_f64 v[60:61], -v[68:69], v[132:133], v[60:61]
	;; [unrolled: 1-line block ×3, first 2 shown]
	ds_read2_b64 v[130:133], v120 offset0:31 offset1:32
	v_fma_f64 v[56:57], -v[68:69], v[136:137], v[56:57]
	ds_read2_b64 v[134:137], v120 offset0:33 offset1:34
	s_waitcnt lgkmcnt(0)
	v_fma_f64 v[54:55], -v[68:69], v[126:127], v[54:55]
	v_fma_f64 v[52:53], -v[68:69], v[128:129], v[52:53]
	ds_read2_b64 v[126:129], v120 offset0:35 offset1:36
	v_fma_f64 v[50:51], -v[68:69], v[130:131], v[50:51]
	v_fma_f64 v[48:49], -v[68:69], v[132:133], v[48:49]
	ds_read2_b64 v[130:133], v120 offset0:37 offset1:38
	v_fma_f64 v[46:47], -v[68:69], v[134:135], v[46:47]
	v_fma_f64 v[44:45], -v[68:69], v[136:137], v[44:45]
	s_waitcnt lgkmcnt(0)
	v_fma_f64 v[42:43], -v[68:69], v[126:127], v[42:43]
	ds_read2_b64 v[134:137], v120 offset0:39 offset1:40
	v_fma_f64 v[40:41], -v[68:69], v[128:129], v[40:41]
	ds_read2_b64 v[126:129], v120 offset0:41 offset1:42
	v_fma_f64 v[38:39], -v[68:69], v[130:131], v[38:39]
	v_fma_f64 v[36:37], -v[68:69], v[132:133], v[36:37]
	s_waitcnt lgkmcnt(0)
	v_fma_f64 v[34:35], -v[68:69], v[134:135], v[34:35]
	ds_read2_b64 v[130:133], v120 offset0:43 offset1:44
	v_fma_f64 v[32:33], -v[68:69], v[136:137], v[32:33]
	ds_read2_b64 v[134:137], v120 offset0:45 offset1:46
	v_fma_f64 v[30:31], -v[68:69], v[126:127], v[30:31]
	v_fma_f64 v[28:29], -v[68:69], v[128:129], v[28:29]
	ds_read2_b64 v[126:129], v120 offset0:47 offset1:48
	s_waitcnt lgkmcnt(0)
	v_fma_f64 v[26:27], -v[68:69], v[130:131], v[26:27]
	v_fma_f64 v[24:25], -v[68:69], v[132:133], v[24:25]
	ds_read2_b64 v[130:133], v120 offset0:49 offset1:50
	v_fma_f64 v[22:23], -v[68:69], v[134:135], v[22:23]
	v_fma_f64 v[20:21], -v[68:69], v[136:137], v[20:21]
	;; [unrolled: 1-line block ×4, first 2 shown]
	ds_read2_b64 v[126:129], v120 offset0:51 offset1:52
	ds_read2_b64 v[134:137], v120 offset0:53 offset1:54
	s_waitcnt lgkmcnt(0)
	v_fma_f64 v[14:15], -v[68:69], v[130:131], v[14:15]
	v_fma_f64 v[12:13], -v[68:69], v[132:133], v[12:13]
	;; [unrolled: 1-line block ×7, first 2 shown]
.LBB110_386:
	s_or_b64 exec, exec, s[0:1]
	v_lshl_add_u32 v116, v121, 3, v120
	s_barrier
	ds_write_b64 v116, v[66:67]
	s_waitcnt lgkmcnt(0)
	s_barrier
	ds_read_b64 v[116:117], v120 offset:184
	s_cmp_lt_i32 s18, 25
	v_mov_b32_e32 v118, 23
	s_cbranch_scc1 .LBB110_389
; %bb.387:
	v_add_u32_e32 v125, 0xc0, v120
	s_mov_b32 s0, 24
	v_mov_b32_e32 v118, 23
.LBB110_388:                            ; =>This Inner Loop Header: Depth=1
	ds_read_b64 v[126:127], v125
	v_mov_b32_e32 v128, s0
	s_add_i32 s0, s0, 1
	v_add_u32_e32 v125, 8, v125
	s_cmp_lg_u32 s18, s0
	s_waitcnt lgkmcnt(0)
	v_cmp_lt_f64_e64 vcc, |v[116:117]|, |v[126:127]|
	v_cndmask_b32_e32 v117, v117, v127, vcc
	v_cndmask_b32_e32 v116, v116, v126, vcc
	;; [unrolled: 1-line block ×3, first 2 shown]
	s_cbranch_scc1 .LBB110_388
.LBB110_389:
	s_waitcnt lgkmcnt(0)
	v_cmp_eq_f64_e32 vcc, 0, v[116:117]
	s_and_saveexec_b64 s[0:1], vcc
	s_xor_b64 s[0:1], exec, s[0:1]
; %bb.390:
	v_cmp_ne_u32_e32 vcc, 0, v124
	v_cndmask_b32_e32 v124, 24, v124, vcc
; %bb.391:
	s_andn2_saveexec_b64 s[0:1], s[0:1]
; %bb.392:
	v_div_scale_f64 v[126:127], s[2:3], v[116:117], v[116:117], 1.0
	v_rcp_f64_e32 v[128:129], v[126:127]
	v_div_scale_f64 v[130:131], vcc, 1.0, v[116:117], 1.0
	v_fma_f64 v[132:133], -v[126:127], v[128:129], 1.0
	v_fmac_f64_e32 v[128:129], v[128:129], v[132:133]
	v_fma_f64 v[132:133], -v[126:127], v[128:129], 1.0
	v_fmac_f64_e32 v[128:129], v[128:129], v[132:133]
	v_mul_f64 v[132:133], v[130:131], v[128:129]
	v_fma_f64 v[126:127], -v[126:127], v[132:133], v[130:131]
	v_div_fmas_f64 v[126:127], v[126:127], v[128:129], v[132:133]
	v_div_fixup_f64 v[116:117], v[126:127], v[116:117], 1.0
; %bb.393:
	s_or_b64 exec, exec, s[0:1]
	v_cmp_ne_u32_e32 vcc, v121, v118
	s_and_saveexec_b64 s[0:1], vcc
	s_xor_b64 s[0:1], exec, s[0:1]
	s_cbranch_execz .LBB110_399
; %bb.394:
	v_cmp_eq_u32_e32 vcc, 23, v121
	s_and_saveexec_b64 s[2:3], vcc
	s_cbranch_execz .LBB110_398
; %bb.395:
	v_cmp_ne_u32_e32 vcc, 23, v118
	s_xor_b64 s[14:15], s[6:7], -1
	s_and_b64 s[16:17], s[14:15], vcc
	s_and_saveexec_b64 s[14:15], s[16:17]
	s_cbranch_execz .LBB110_397
; %bb.396:
	v_ashrrev_i32_e32 v119, 31, v118
	v_lshlrev_b64 v[126:127], 2, v[118:119]
	v_add_co_u32_e32 v126, vcc, v4, v126
	v_addc_co_u32_e32 v127, vcc, v5, v127, vcc
	flat_load_dword v119, v[126:127]
	flat_load_dword v121, v[4:5] offset:92
	s_waitcnt vmcnt(0) lgkmcnt(0)
	flat_store_dword v[4:5], v119 offset:92
	flat_store_dword v[126:127], v121
.LBB110_397:
	s_or_b64 exec, exec, s[14:15]
	v_mov_b32_e32 v119, v118
	v_mov_b32_e32 v121, v118
.LBB110_398:
	s_or_b64 exec, exec, s[2:3]
.LBB110_399:
	s_andn2_saveexec_b64 s[0:1], s[0:1]
	s_cbranch_execz .LBB110_401
; %bb.400:
	v_mov_b32_e32 v126, v64
	v_mov_b32_e32 v127, v65
	v_mov_b32_e32 v128, v62
	v_mov_b32_e32 v129, v63
	ds_write2_b64 v120, v[126:127], v[128:129] offset0:24 offset1:25
	v_mov_b32_e32 v126, v60
	v_mov_b32_e32 v127, v61
	v_mov_b32_e32 v128, v58
	v_mov_b32_e32 v129, v59
	ds_write2_b64 v120, v[126:127], v[128:129] offset0:26 offset1:27
	;; [unrolled: 5-line block ×15, first 2 shown]
	v_mov_b32_e32 v126, v0
	v_mov_b32_e32 v127, v1
	;; [unrolled: 1-line block ×3, first 2 shown]
	ds_write2_b64 v120, v[126:127], v[114:115] offset0:54 offset1:55
.LBB110_401:
	s_or_b64 exec, exec, s[0:1]
	v_cmp_lt_i32_e32 vcc, 23, v121
	s_waitcnt lgkmcnt(0)
	s_barrier
	s_and_saveexec_b64 s[0:1], vcc
	s_cbranch_execz .LBB110_403
; %bb.402:
	ds_read2_b64 v[126:129], v120 offset0:24 offset1:25
	ds_read2_b64 v[130:133], v120 offset0:26 offset1:27
	v_mul_f64 v[66:67], v[116:117], v[66:67]
	ds_read2_b64 v[134:137], v120 offset0:28 offset1:29
	s_waitcnt lgkmcnt(0)
	v_fma_f64 v[64:65], -v[66:67], v[126:127], v[64:65]
	v_fma_f64 v[62:63], -v[66:67], v[128:129], v[62:63]
	ds_read2_b64 v[126:129], v120 offset0:30 offset1:31
	v_fma_f64 v[60:61], -v[66:67], v[130:131], v[60:61]
	v_fma_f64 v[58:59], -v[66:67], v[132:133], v[58:59]
	;; [unrolled: 1-line block ×3, first 2 shown]
	ds_read2_b64 v[130:133], v120 offset0:32 offset1:33
	v_fma_f64 v[54:55], -v[66:67], v[136:137], v[54:55]
	ds_read2_b64 v[134:137], v120 offset0:34 offset1:35
	s_waitcnt lgkmcnt(0)
	v_fma_f64 v[52:53], -v[66:67], v[126:127], v[52:53]
	v_fma_f64 v[50:51], -v[66:67], v[128:129], v[50:51]
	ds_read2_b64 v[126:129], v120 offset0:36 offset1:37
	v_fma_f64 v[48:49], -v[66:67], v[130:131], v[48:49]
	v_fma_f64 v[46:47], -v[66:67], v[132:133], v[46:47]
	ds_read2_b64 v[130:133], v120 offset0:38 offset1:39
	v_fma_f64 v[44:45], -v[66:67], v[134:135], v[44:45]
	v_fma_f64 v[42:43], -v[66:67], v[136:137], v[42:43]
	s_waitcnt lgkmcnt(0)
	v_fma_f64 v[40:41], -v[66:67], v[126:127], v[40:41]
	ds_read2_b64 v[134:137], v120 offset0:40 offset1:41
	v_fma_f64 v[38:39], -v[66:67], v[128:129], v[38:39]
	ds_read2_b64 v[126:129], v120 offset0:42 offset1:43
	v_fma_f64 v[36:37], -v[66:67], v[130:131], v[36:37]
	v_fma_f64 v[34:35], -v[66:67], v[132:133], v[34:35]
	s_waitcnt lgkmcnt(0)
	v_fma_f64 v[32:33], -v[66:67], v[134:135], v[32:33]
	ds_read2_b64 v[130:133], v120 offset0:44 offset1:45
	v_fma_f64 v[30:31], -v[66:67], v[136:137], v[30:31]
	ds_read2_b64 v[134:137], v120 offset0:46 offset1:47
	v_fma_f64 v[28:29], -v[66:67], v[126:127], v[28:29]
	v_fma_f64 v[26:27], -v[66:67], v[128:129], v[26:27]
	ds_read2_b64 v[126:129], v120 offset0:48 offset1:49
	s_waitcnt lgkmcnt(0)
	v_fma_f64 v[24:25], -v[66:67], v[130:131], v[24:25]
	v_fma_f64 v[22:23], -v[66:67], v[132:133], v[22:23]
	ds_read2_b64 v[130:133], v120 offset0:50 offset1:51
	v_fma_f64 v[20:21], -v[66:67], v[134:135], v[20:21]
	v_fma_f64 v[18:19], -v[66:67], v[136:137], v[18:19]
	;; [unrolled: 1-line block ×3, first 2 shown]
	ds_read2_b64 v[134:137], v120 offset0:52 offset1:53
	v_fma_f64 v[14:15], -v[66:67], v[128:129], v[14:15]
	ds_read2_b64 v[126:129], v120 offset0:54 offset1:55
	s_waitcnt lgkmcnt(0)
	v_fma_f64 v[12:13], -v[66:67], v[130:131], v[12:13]
	v_fma_f64 v[10:11], -v[66:67], v[132:133], v[10:11]
	;; [unrolled: 1-line block ×6, first 2 shown]
.LBB110_403:
	s_or_b64 exec, exec, s[0:1]
	v_lshl_add_u32 v116, v121, 3, v120
	s_barrier
	ds_write_b64 v116, v[64:65]
	s_waitcnt lgkmcnt(0)
	s_barrier
	ds_read_b64 v[116:117], v120 offset:192
	s_cmp_lt_i32 s18, 26
	v_mov_b32_e32 v118, 24
	s_cbranch_scc1 .LBB110_406
; %bb.404:
	v_add_u32_e32 v125, 0xc8, v120
	s_mov_b32 s0, 25
	v_mov_b32_e32 v118, 24
.LBB110_405:                            ; =>This Inner Loop Header: Depth=1
	ds_read_b64 v[126:127], v125
	v_mov_b32_e32 v128, s0
	s_add_i32 s0, s0, 1
	v_add_u32_e32 v125, 8, v125
	s_cmp_lg_u32 s18, s0
	s_waitcnt lgkmcnt(0)
	v_cmp_lt_f64_e64 vcc, |v[116:117]|, |v[126:127]|
	v_cndmask_b32_e32 v117, v117, v127, vcc
	v_cndmask_b32_e32 v116, v116, v126, vcc
	;; [unrolled: 1-line block ×3, first 2 shown]
	s_cbranch_scc1 .LBB110_405
.LBB110_406:
	s_waitcnt lgkmcnt(0)
	v_cmp_eq_f64_e32 vcc, 0, v[116:117]
	s_and_saveexec_b64 s[0:1], vcc
	s_xor_b64 s[0:1], exec, s[0:1]
; %bb.407:
	v_cmp_ne_u32_e32 vcc, 0, v124
	v_cndmask_b32_e32 v124, 25, v124, vcc
; %bb.408:
	s_andn2_saveexec_b64 s[0:1], s[0:1]
; %bb.409:
	v_div_scale_f64 v[126:127], s[2:3], v[116:117], v[116:117], 1.0
	v_rcp_f64_e32 v[128:129], v[126:127]
	v_div_scale_f64 v[130:131], vcc, 1.0, v[116:117], 1.0
	v_fma_f64 v[132:133], -v[126:127], v[128:129], 1.0
	v_fmac_f64_e32 v[128:129], v[128:129], v[132:133]
	v_fma_f64 v[132:133], -v[126:127], v[128:129], 1.0
	v_fmac_f64_e32 v[128:129], v[128:129], v[132:133]
	v_mul_f64 v[132:133], v[130:131], v[128:129]
	v_fma_f64 v[126:127], -v[126:127], v[132:133], v[130:131]
	v_div_fmas_f64 v[126:127], v[126:127], v[128:129], v[132:133]
	v_div_fixup_f64 v[116:117], v[126:127], v[116:117], 1.0
; %bb.410:
	s_or_b64 exec, exec, s[0:1]
	v_cmp_ne_u32_e32 vcc, v121, v118
	s_and_saveexec_b64 s[0:1], vcc
	s_xor_b64 s[0:1], exec, s[0:1]
	s_cbranch_execz .LBB110_416
; %bb.411:
	v_cmp_eq_u32_e32 vcc, 24, v121
	s_and_saveexec_b64 s[2:3], vcc
	s_cbranch_execz .LBB110_415
; %bb.412:
	v_cmp_ne_u32_e32 vcc, 24, v118
	s_xor_b64 s[14:15], s[6:7], -1
	s_and_b64 s[16:17], s[14:15], vcc
	s_and_saveexec_b64 s[14:15], s[16:17]
	s_cbranch_execz .LBB110_414
; %bb.413:
	v_ashrrev_i32_e32 v119, 31, v118
	v_lshlrev_b64 v[126:127], 2, v[118:119]
	v_add_co_u32_e32 v126, vcc, v4, v126
	v_addc_co_u32_e32 v127, vcc, v5, v127, vcc
	flat_load_dword v119, v[126:127]
	flat_load_dword v121, v[4:5] offset:96
	s_waitcnt vmcnt(0) lgkmcnt(0)
	flat_store_dword v[4:5], v119 offset:96
	flat_store_dword v[126:127], v121
.LBB110_414:
	s_or_b64 exec, exec, s[14:15]
	v_mov_b32_e32 v119, v118
	v_mov_b32_e32 v121, v118
.LBB110_415:
	s_or_b64 exec, exec, s[2:3]
.LBB110_416:
	s_andn2_saveexec_b64 s[0:1], s[0:1]
	s_cbranch_execz .LBB110_418
; %bb.417:
	v_mov_b32_e32 v121, 24
	ds_write2_b64 v120, v[62:63], v[60:61] offset0:25 offset1:26
	ds_write2_b64 v120, v[58:59], v[56:57] offset0:27 offset1:28
	;; [unrolled: 1-line block ×15, first 2 shown]
	ds_write_b64 v120, v[114:115] offset:440
.LBB110_418:
	s_or_b64 exec, exec, s[0:1]
	v_cmp_lt_i32_e32 vcc, 24, v121
	s_waitcnt lgkmcnt(0)
	s_barrier
	s_and_saveexec_b64 s[0:1], vcc
	s_cbranch_execz .LBB110_420
; %bb.419:
	ds_read2_b64 v[126:129], v120 offset0:25 offset1:26
	ds_read2_b64 v[130:133], v120 offset0:27 offset1:28
	;; [unrolled: 1-line block ×3, first 2 shown]
	v_mul_f64 v[64:65], v[116:117], v[64:65]
	ds_read_b64 v[116:117], v120 offset:440
	s_waitcnt lgkmcnt(0)
	v_fma_f64 v[62:63], -v[64:65], v[126:127], v[62:63]
	v_fma_f64 v[60:61], -v[64:65], v[128:129], v[60:61]
	ds_read2_b64 v[126:129], v120 offset0:31 offset1:32
	v_fma_f64 v[58:59], -v[64:65], v[130:131], v[58:59]
	v_fma_f64 v[56:57], -v[64:65], v[132:133], v[56:57]
	;; [unrolled: 1-line block ×3, first 2 shown]
	ds_read2_b64 v[130:133], v120 offset0:33 offset1:34
	v_fma_f64 v[52:53], -v[64:65], v[136:137], v[52:53]
	ds_read2_b64 v[134:137], v120 offset0:35 offset1:36
	s_waitcnt lgkmcnt(0)
	v_fma_f64 v[50:51], -v[64:65], v[126:127], v[50:51]
	v_fma_f64 v[48:49], -v[64:65], v[128:129], v[48:49]
	;; [unrolled: 1-line block ×3, first 2 shown]
	ds_read2_b64 v[126:129], v120 offset0:37 offset1:38
	v_fma_f64 v[44:45], -v[64:65], v[132:133], v[44:45]
	ds_read2_b64 v[130:133], v120 offset0:39 offset1:40
	v_fma_f64 v[42:43], -v[64:65], v[134:135], v[42:43]
	v_fma_f64 v[40:41], -v[64:65], v[136:137], v[40:41]
	ds_read2_b64 v[134:137], v120 offset0:41 offset1:42
	s_waitcnt lgkmcnt(0)
	v_fma_f64 v[38:39], -v[64:65], v[126:127], v[38:39]
	v_fma_f64 v[36:37], -v[64:65], v[128:129], v[36:37]
	ds_read2_b64 v[126:129], v120 offset0:43 offset1:44
	v_fma_f64 v[34:35], -v[64:65], v[130:131], v[34:35]
	v_fma_f64 v[32:33], -v[64:65], v[132:133], v[32:33]
	v_fma_f64 v[30:31], -v[64:65], v[134:135], v[30:31]
	ds_read2_b64 v[130:133], v120 offset0:45 offset1:46
	v_fma_f64 v[28:29], -v[64:65], v[136:137], v[28:29]
	ds_read2_b64 v[134:137], v120 offset0:47 offset1:48
	s_waitcnt lgkmcnt(0)
	v_fma_f64 v[26:27], -v[64:65], v[126:127], v[26:27]
	v_fma_f64 v[24:25], -v[64:65], v[128:129], v[24:25]
	;; [unrolled: 1-line block ×3, first 2 shown]
	ds_read2_b64 v[126:129], v120 offset0:49 offset1:50
	v_fma_f64 v[20:21], -v[64:65], v[132:133], v[20:21]
	ds_read2_b64 v[130:133], v120 offset0:51 offset1:52
	v_fma_f64 v[18:19], -v[64:65], v[134:135], v[18:19]
	v_fma_f64 v[16:17], -v[64:65], v[136:137], v[16:17]
	ds_read2_b64 v[134:137], v120 offset0:53 offset1:54
	s_waitcnt lgkmcnt(0)
	v_fma_f64 v[14:15], -v[64:65], v[126:127], v[14:15]
	v_fma_f64 v[12:13], -v[64:65], v[128:129], v[12:13]
	;; [unrolled: 1-line block ×7, first 2 shown]
.LBB110_420:
	s_or_b64 exec, exec, s[0:1]
	v_lshl_add_u32 v116, v121, 3, v120
	s_barrier
	ds_write_b64 v116, v[62:63]
	s_waitcnt lgkmcnt(0)
	s_barrier
	ds_read_b64 v[116:117], v120 offset:200
	s_cmp_lt_i32 s18, 27
	v_mov_b32_e32 v118, 25
	s_cbranch_scc1 .LBB110_423
; %bb.421:
	v_add_u32_e32 v125, 0xd0, v120
	s_mov_b32 s0, 26
	v_mov_b32_e32 v118, 25
.LBB110_422:                            ; =>This Inner Loop Header: Depth=1
	ds_read_b64 v[126:127], v125
	v_mov_b32_e32 v128, s0
	s_add_i32 s0, s0, 1
	v_add_u32_e32 v125, 8, v125
	s_cmp_lg_u32 s18, s0
	s_waitcnt lgkmcnt(0)
	v_cmp_lt_f64_e64 vcc, |v[116:117]|, |v[126:127]|
	v_cndmask_b32_e32 v117, v117, v127, vcc
	v_cndmask_b32_e32 v116, v116, v126, vcc
	;; [unrolled: 1-line block ×3, first 2 shown]
	s_cbranch_scc1 .LBB110_422
.LBB110_423:
	s_waitcnt lgkmcnt(0)
	v_cmp_eq_f64_e32 vcc, 0, v[116:117]
	s_and_saveexec_b64 s[0:1], vcc
	s_xor_b64 s[0:1], exec, s[0:1]
; %bb.424:
	v_cmp_ne_u32_e32 vcc, 0, v124
	v_cndmask_b32_e32 v124, 26, v124, vcc
; %bb.425:
	s_andn2_saveexec_b64 s[0:1], s[0:1]
; %bb.426:
	v_div_scale_f64 v[126:127], s[2:3], v[116:117], v[116:117], 1.0
	v_rcp_f64_e32 v[128:129], v[126:127]
	v_div_scale_f64 v[130:131], vcc, 1.0, v[116:117], 1.0
	v_fma_f64 v[132:133], -v[126:127], v[128:129], 1.0
	v_fmac_f64_e32 v[128:129], v[128:129], v[132:133]
	v_fma_f64 v[132:133], -v[126:127], v[128:129], 1.0
	v_fmac_f64_e32 v[128:129], v[128:129], v[132:133]
	v_mul_f64 v[132:133], v[130:131], v[128:129]
	v_fma_f64 v[126:127], -v[126:127], v[132:133], v[130:131]
	v_div_fmas_f64 v[126:127], v[126:127], v[128:129], v[132:133]
	v_div_fixup_f64 v[116:117], v[126:127], v[116:117], 1.0
; %bb.427:
	s_or_b64 exec, exec, s[0:1]
	v_cmp_ne_u32_e32 vcc, v121, v118
	s_and_saveexec_b64 s[0:1], vcc
	s_xor_b64 s[0:1], exec, s[0:1]
	s_cbranch_execz .LBB110_433
; %bb.428:
	v_cmp_eq_u32_e32 vcc, 25, v121
	s_and_saveexec_b64 s[2:3], vcc
	s_cbranch_execz .LBB110_432
; %bb.429:
	v_cmp_ne_u32_e32 vcc, 25, v118
	s_xor_b64 s[14:15], s[6:7], -1
	s_and_b64 s[16:17], s[14:15], vcc
	s_and_saveexec_b64 s[14:15], s[16:17]
	s_cbranch_execz .LBB110_431
; %bb.430:
	v_ashrrev_i32_e32 v119, 31, v118
	v_lshlrev_b64 v[126:127], 2, v[118:119]
	v_add_co_u32_e32 v126, vcc, v4, v126
	v_addc_co_u32_e32 v127, vcc, v5, v127, vcc
	flat_load_dword v119, v[126:127]
	flat_load_dword v121, v[4:5] offset:100
	s_waitcnt vmcnt(0) lgkmcnt(0)
	flat_store_dword v[4:5], v119 offset:100
	flat_store_dword v[126:127], v121
.LBB110_431:
	s_or_b64 exec, exec, s[14:15]
	v_mov_b32_e32 v119, v118
	v_mov_b32_e32 v121, v118
.LBB110_432:
	s_or_b64 exec, exec, s[2:3]
.LBB110_433:
	s_andn2_saveexec_b64 s[0:1], s[0:1]
	s_cbranch_execz .LBB110_435
; %bb.434:
	v_mov_b32_e32 v126, v60
	v_mov_b32_e32 v127, v61
	v_mov_b32_e32 v128, v58
	v_mov_b32_e32 v129, v59
	ds_write2_b64 v120, v[126:127], v[128:129] offset0:26 offset1:27
	v_mov_b32_e32 v126, v56
	v_mov_b32_e32 v127, v57
	v_mov_b32_e32 v128, v54
	v_mov_b32_e32 v129, v55
	ds_write2_b64 v120, v[126:127], v[128:129] offset0:28 offset1:29
	;; [unrolled: 5-line block ×14, first 2 shown]
	v_mov_b32_e32 v126, v0
	v_mov_b32_e32 v127, v1
	;; [unrolled: 1-line block ×3, first 2 shown]
	ds_write2_b64 v120, v[126:127], v[114:115] offset0:54 offset1:55
.LBB110_435:
	s_or_b64 exec, exec, s[0:1]
	v_cmp_lt_i32_e32 vcc, 25, v121
	s_waitcnt lgkmcnt(0)
	s_barrier
	s_and_saveexec_b64 s[0:1], vcc
	s_cbranch_execz .LBB110_437
; %bb.436:
	ds_read2_b64 v[126:129], v120 offset0:26 offset1:27
	ds_read2_b64 v[130:133], v120 offset0:28 offset1:29
	;; [unrolled: 1-line block ×3, first 2 shown]
	v_mul_f64 v[62:63], v[116:117], v[62:63]
	s_waitcnt lgkmcnt(0)
	v_fma_f64 v[60:61], -v[62:63], v[126:127], v[60:61]
	v_fma_f64 v[58:59], -v[62:63], v[128:129], v[58:59]
	ds_read2_b64 v[126:129], v120 offset0:32 offset1:33
	v_fma_f64 v[56:57], -v[62:63], v[130:131], v[56:57]
	v_fma_f64 v[54:55], -v[62:63], v[132:133], v[54:55]
	;; [unrolled: 1-line block ×3, first 2 shown]
	ds_read2_b64 v[130:133], v120 offset0:34 offset1:35
	v_fma_f64 v[50:51], -v[62:63], v[136:137], v[50:51]
	ds_read2_b64 v[134:137], v120 offset0:36 offset1:37
	s_waitcnt lgkmcnt(0)
	v_fma_f64 v[48:49], -v[62:63], v[126:127], v[48:49]
	v_fma_f64 v[46:47], -v[62:63], v[128:129], v[46:47]
	;; [unrolled: 1-line block ×3, first 2 shown]
	ds_read2_b64 v[126:129], v120 offset0:38 offset1:39
	v_fma_f64 v[42:43], -v[62:63], v[132:133], v[42:43]
	ds_read2_b64 v[130:133], v120 offset0:40 offset1:41
	v_fma_f64 v[40:41], -v[62:63], v[134:135], v[40:41]
	v_fma_f64 v[38:39], -v[62:63], v[136:137], v[38:39]
	ds_read2_b64 v[134:137], v120 offset0:42 offset1:43
	s_waitcnt lgkmcnt(0)
	v_fma_f64 v[36:37], -v[62:63], v[126:127], v[36:37]
	v_fma_f64 v[34:35], -v[62:63], v[128:129], v[34:35]
	ds_read2_b64 v[126:129], v120 offset0:44 offset1:45
	v_fma_f64 v[32:33], -v[62:63], v[130:131], v[32:33]
	v_fma_f64 v[30:31], -v[62:63], v[132:133], v[30:31]
	;; [unrolled: 1-line block ×3, first 2 shown]
	ds_read2_b64 v[130:133], v120 offset0:46 offset1:47
	v_fma_f64 v[26:27], -v[62:63], v[136:137], v[26:27]
	ds_read2_b64 v[134:137], v120 offset0:48 offset1:49
	s_waitcnt lgkmcnt(0)
	v_fma_f64 v[24:25], -v[62:63], v[126:127], v[24:25]
	v_fma_f64 v[22:23], -v[62:63], v[128:129], v[22:23]
	;; [unrolled: 1-line block ×4, first 2 shown]
	ds_read2_b64 v[126:129], v120 offset0:50 offset1:51
	ds_read2_b64 v[130:133], v120 offset0:52 offset1:53
	v_fma_f64 v[16:17], -v[62:63], v[134:135], v[16:17]
	v_fma_f64 v[14:15], -v[62:63], v[136:137], v[14:15]
	ds_read2_b64 v[134:137], v120 offset0:54 offset1:55
	s_waitcnt lgkmcnt(0)
	v_fma_f64 v[12:13], -v[62:63], v[126:127], v[12:13]
	v_fma_f64 v[10:11], -v[62:63], v[128:129], v[10:11]
	;; [unrolled: 1-line block ×6, first 2 shown]
.LBB110_437:
	s_or_b64 exec, exec, s[0:1]
	v_lshl_add_u32 v116, v121, 3, v120
	s_barrier
	ds_write_b64 v116, v[60:61]
	s_waitcnt lgkmcnt(0)
	s_barrier
	ds_read_b64 v[116:117], v120 offset:208
	s_cmp_lt_i32 s18, 28
	v_mov_b32_e32 v118, 26
	s_cbranch_scc1 .LBB110_440
; %bb.438:
	v_add_u32_e32 v125, 0xd8, v120
	s_mov_b32 s0, 27
	v_mov_b32_e32 v118, 26
.LBB110_439:                            ; =>This Inner Loop Header: Depth=1
	ds_read_b64 v[126:127], v125
	v_mov_b32_e32 v128, s0
	s_add_i32 s0, s0, 1
	v_add_u32_e32 v125, 8, v125
	s_cmp_lg_u32 s18, s0
	s_waitcnt lgkmcnt(0)
	v_cmp_lt_f64_e64 vcc, |v[116:117]|, |v[126:127]|
	v_cndmask_b32_e32 v117, v117, v127, vcc
	v_cndmask_b32_e32 v116, v116, v126, vcc
	v_cndmask_b32_e32 v118, v118, v128, vcc
	s_cbranch_scc1 .LBB110_439
.LBB110_440:
	s_waitcnt lgkmcnt(0)
	v_cmp_eq_f64_e32 vcc, 0, v[116:117]
	s_and_saveexec_b64 s[0:1], vcc
	s_xor_b64 s[0:1], exec, s[0:1]
; %bb.441:
	v_cmp_ne_u32_e32 vcc, 0, v124
	v_cndmask_b32_e32 v124, 27, v124, vcc
; %bb.442:
	s_andn2_saveexec_b64 s[0:1], s[0:1]
; %bb.443:
	v_div_scale_f64 v[126:127], s[2:3], v[116:117], v[116:117], 1.0
	v_rcp_f64_e32 v[128:129], v[126:127]
	v_div_scale_f64 v[130:131], vcc, 1.0, v[116:117], 1.0
	v_fma_f64 v[132:133], -v[126:127], v[128:129], 1.0
	v_fmac_f64_e32 v[128:129], v[128:129], v[132:133]
	v_fma_f64 v[132:133], -v[126:127], v[128:129], 1.0
	v_fmac_f64_e32 v[128:129], v[128:129], v[132:133]
	v_mul_f64 v[132:133], v[130:131], v[128:129]
	v_fma_f64 v[126:127], -v[126:127], v[132:133], v[130:131]
	v_div_fmas_f64 v[126:127], v[126:127], v[128:129], v[132:133]
	v_div_fixup_f64 v[116:117], v[126:127], v[116:117], 1.0
; %bb.444:
	s_or_b64 exec, exec, s[0:1]
	v_cmp_ne_u32_e32 vcc, v121, v118
	s_and_saveexec_b64 s[0:1], vcc
	s_xor_b64 s[0:1], exec, s[0:1]
	s_cbranch_execz .LBB110_450
; %bb.445:
	v_cmp_eq_u32_e32 vcc, 26, v121
	s_and_saveexec_b64 s[2:3], vcc
	s_cbranch_execz .LBB110_449
; %bb.446:
	v_cmp_ne_u32_e32 vcc, 26, v118
	s_xor_b64 s[14:15], s[6:7], -1
	s_and_b64 s[16:17], s[14:15], vcc
	s_and_saveexec_b64 s[14:15], s[16:17]
	s_cbranch_execz .LBB110_448
; %bb.447:
	v_ashrrev_i32_e32 v119, 31, v118
	v_lshlrev_b64 v[126:127], 2, v[118:119]
	v_add_co_u32_e32 v126, vcc, v4, v126
	v_addc_co_u32_e32 v127, vcc, v5, v127, vcc
	flat_load_dword v119, v[126:127]
	flat_load_dword v121, v[4:5] offset:104
	s_waitcnt vmcnt(0) lgkmcnt(0)
	flat_store_dword v[4:5], v119 offset:104
	flat_store_dword v[126:127], v121
.LBB110_448:
	s_or_b64 exec, exec, s[14:15]
	v_mov_b32_e32 v119, v118
	v_mov_b32_e32 v121, v118
.LBB110_449:
	s_or_b64 exec, exec, s[2:3]
.LBB110_450:
	s_andn2_saveexec_b64 s[0:1], s[0:1]
	s_cbranch_execz .LBB110_452
; %bb.451:
	v_mov_b32_e32 v121, 26
	ds_write2_b64 v120, v[58:59], v[56:57] offset0:27 offset1:28
	ds_write2_b64 v120, v[54:55], v[52:53] offset0:29 offset1:30
	;; [unrolled: 1-line block ×14, first 2 shown]
	ds_write_b64 v120, v[114:115] offset:440
.LBB110_452:
	s_or_b64 exec, exec, s[0:1]
	v_cmp_lt_i32_e32 vcc, 26, v121
	s_waitcnt lgkmcnt(0)
	s_barrier
	s_and_saveexec_b64 s[0:1], vcc
	s_cbranch_execz .LBB110_454
; %bb.453:
	ds_read2_b64 v[126:129], v120 offset0:27 offset1:28
	ds_read2_b64 v[130:133], v120 offset0:29 offset1:30
	v_mul_f64 v[60:61], v[116:117], v[60:61]
	ds_read2_b64 v[134:137], v120 offset0:31 offset1:32
	ds_read_b64 v[116:117], v120 offset:440
	s_waitcnt lgkmcnt(0)
	v_fma_f64 v[58:59], -v[60:61], v[126:127], v[58:59]
	v_fma_f64 v[56:57], -v[60:61], v[128:129], v[56:57]
	ds_read2_b64 v[126:129], v120 offset0:33 offset1:34
	v_fma_f64 v[54:55], -v[60:61], v[130:131], v[54:55]
	v_fma_f64 v[52:53], -v[60:61], v[132:133], v[52:53]
	ds_read2_b64 v[130:133], v120 offset0:35 offset1:36
	;; [unrolled: 3-line block ×3, first 2 shown]
	s_waitcnt lgkmcnt(0)
	v_fma_f64 v[46:47], -v[60:61], v[126:127], v[46:47]
	v_fma_f64 v[44:45], -v[60:61], v[128:129], v[44:45]
	;; [unrolled: 1-line block ×3, first 2 shown]
	ds_read2_b64 v[126:129], v120 offset0:39 offset1:40
	v_fma_f64 v[40:41], -v[60:61], v[132:133], v[40:41]
	ds_read2_b64 v[130:133], v120 offset0:41 offset1:42
	v_fma_f64 v[38:39], -v[60:61], v[134:135], v[38:39]
	v_fma_f64 v[36:37], -v[60:61], v[136:137], v[36:37]
	s_waitcnt lgkmcnt(0)
	v_fma_f64 v[34:35], -v[60:61], v[126:127], v[34:35]
	ds_read2_b64 v[134:137], v120 offset0:43 offset1:44
	v_fma_f64 v[32:33], -v[60:61], v[128:129], v[32:33]
	ds_read2_b64 v[126:129], v120 offset0:45 offset1:46
	v_fma_f64 v[30:31], -v[60:61], v[130:131], v[30:31]
	v_fma_f64 v[28:29], -v[60:61], v[132:133], v[28:29]
	ds_read2_b64 v[130:133], v120 offset0:47 offset1:48
	s_waitcnt lgkmcnt(0)
	v_fma_f64 v[26:27], -v[60:61], v[134:135], v[26:27]
	v_fma_f64 v[24:25], -v[60:61], v[136:137], v[24:25]
	ds_read2_b64 v[134:137], v120 offset0:49 offset1:50
	v_fma_f64 v[22:23], -v[60:61], v[126:127], v[22:23]
	v_fma_f64 v[20:21], -v[60:61], v[128:129], v[20:21]
	;; [unrolled: 1-line block ×4, first 2 shown]
	ds_read2_b64 v[126:129], v120 offset0:51 offset1:52
	ds_read2_b64 v[130:133], v120 offset0:53 offset1:54
	s_waitcnt lgkmcnt(0)
	v_fma_f64 v[14:15], -v[60:61], v[134:135], v[14:15]
	v_fma_f64 v[12:13], -v[60:61], v[136:137], v[12:13]
	;; [unrolled: 1-line block ×7, first 2 shown]
.LBB110_454:
	s_or_b64 exec, exec, s[0:1]
	v_lshl_add_u32 v116, v121, 3, v120
	s_barrier
	ds_write_b64 v116, v[58:59]
	s_waitcnt lgkmcnt(0)
	s_barrier
	ds_read_b64 v[116:117], v120 offset:216
	s_cmp_lt_i32 s18, 29
	v_mov_b32_e32 v118, 27
	s_cbranch_scc1 .LBB110_457
; %bb.455:
	v_add_u32_e32 v125, 0xe0, v120
	s_mov_b32 s0, 28
	v_mov_b32_e32 v118, 27
.LBB110_456:                            ; =>This Inner Loop Header: Depth=1
	ds_read_b64 v[126:127], v125
	v_mov_b32_e32 v128, s0
	s_add_i32 s0, s0, 1
	v_add_u32_e32 v125, 8, v125
	s_cmp_lg_u32 s18, s0
	s_waitcnt lgkmcnt(0)
	v_cmp_lt_f64_e64 vcc, |v[116:117]|, |v[126:127]|
	v_cndmask_b32_e32 v117, v117, v127, vcc
	v_cndmask_b32_e32 v116, v116, v126, vcc
	;; [unrolled: 1-line block ×3, first 2 shown]
	s_cbranch_scc1 .LBB110_456
.LBB110_457:
	s_waitcnt lgkmcnt(0)
	v_cmp_eq_f64_e32 vcc, 0, v[116:117]
	s_and_saveexec_b64 s[0:1], vcc
	s_xor_b64 s[0:1], exec, s[0:1]
; %bb.458:
	v_cmp_ne_u32_e32 vcc, 0, v124
	v_cndmask_b32_e32 v124, 28, v124, vcc
; %bb.459:
	s_andn2_saveexec_b64 s[0:1], s[0:1]
; %bb.460:
	v_div_scale_f64 v[126:127], s[2:3], v[116:117], v[116:117], 1.0
	v_rcp_f64_e32 v[128:129], v[126:127]
	v_div_scale_f64 v[130:131], vcc, 1.0, v[116:117], 1.0
	v_fma_f64 v[132:133], -v[126:127], v[128:129], 1.0
	v_fmac_f64_e32 v[128:129], v[128:129], v[132:133]
	v_fma_f64 v[132:133], -v[126:127], v[128:129], 1.0
	v_fmac_f64_e32 v[128:129], v[128:129], v[132:133]
	v_mul_f64 v[132:133], v[130:131], v[128:129]
	v_fma_f64 v[126:127], -v[126:127], v[132:133], v[130:131]
	v_div_fmas_f64 v[126:127], v[126:127], v[128:129], v[132:133]
	v_div_fixup_f64 v[116:117], v[126:127], v[116:117], 1.0
; %bb.461:
	s_or_b64 exec, exec, s[0:1]
	v_cmp_ne_u32_e32 vcc, v121, v118
	s_and_saveexec_b64 s[0:1], vcc
	s_xor_b64 s[0:1], exec, s[0:1]
	s_cbranch_execz .LBB110_467
; %bb.462:
	v_cmp_eq_u32_e32 vcc, 27, v121
	s_and_saveexec_b64 s[2:3], vcc
	s_cbranch_execz .LBB110_466
; %bb.463:
	v_cmp_ne_u32_e32 vcc, 27, v118
	s_xor_b64 s[14:15], s[6:7], -1
	s_and_b64 s[16:17], s[14:15], vcc
	s_and_saveexec_b64 s[14:15], s[16:17]
	s_cbranch_execz .LBB110_465
; %bb.464:
	v_ashrrev_i32_e32 v119, 31, v118
	v_lshlrev_b64 v[126:127], 2, v[118:119]
	v_add_co_u32_e32 v126, vcc, v4, v126
	v_addc_co_u32_e32 v127, vcc, v5, v127, vcc
	flat_load_dword v119, v[126:127]
	flat_load_dword v121, v[4:5] offset:108
	s_waitcnt vmcnt(0) lgkmcnt(0)
	flat_store_dword v[4:5], v119 offset:108
	flat_store_dword v[126:127], v121
.LBB110_465:
	s_or_b64 exec, exec, s[14:15]
	v_mov_b32_e32 v119, v118
	v_mov_b32_e32 v121, v118
.LBB110_466:
	s_or_b64 exec, exec, s[2:3]
.LBB110_467:
	s_andn2_saveexec_b64 s[0:1], s[0:1]
	s_cbranch_execz .LBB110_469
; %bb.468:
	v_mov_b32_e32 v126, v56
	v_mov_b32_e32 v127, v57
	v_mov_b32_e32 v128, v54
	v_mov_b32_e32 v129, v55
	ds_write2_b64 v120, v[126:127], v[128:129] offset0:28 offset1:29
	v_mov_b32_e32 v126, v52
	v_mov_b32_e32 v127, v53
	v_mov_b32_e32 v128, v50
	v_mov_b32_e32 v129, v51
	ds_write2_b64 v120, v[126:127], v[128:129] offset0:30 offset1:31
	;; [unrolled: 5-line block ×13, first 2 shown]
	v_mov_b32_e32 v126, v0
	v_mov_b32_e32 v127, v1
	;; [unrolled: 1-line block ×3, first 2 shown]
	ds_write2_b64 v120, v[126:127], v[114:115] offset0:54 offset1:55
.LBB110_469:
	s_or_b64 exec, exec, s[0:1]
	v_cmp_lt_i32_e32 vcc, 27, v121
	s_waitcnt lgkmcnt(0)
	s_barrier
	s_and_saveexec_b64 s[0:1], vcc
	s_cbranch_execz .LBB110_471
; %bb.470:
	ds_read2_b64 v[126:129], v120 offset0:28 offset1:29
	ds_read2_b64 v[130:133], v120 offset0:30 offset1:31
	v_mul_f64 v[58:59], v[116:117], v[58:59]
	ds_read2_b64 v[134:137], v120 offset0:32 offset1:33
	s_waitcnt lgkmcnt(0)
	v_fma_f64 v[56:57], -v[58:59], v[126:127], v[56:57]
	v_fma_f64 v[54:55], -v[58:59], v[128:129], v[54:55]
	ds_read2_b64 v[126:129], v120 offset0:34 offset1:35
	v_fma_f64 v[52:53], -v[58:59], v[130:131], v[52:53]
	v_fma_f64 v[50:51], -v[58:59], v[132:133], v[50:51]
	ds_read2_b64 v[130:133], v120 offset0:36 offset1:37
	v_fma_f64 v[48:49], -v[58:59], v[134:135], v[48:49]
	v_fma_f64 v[46:47], -v[58:59], v[136:137], v[46:47]
	ds_read2_b64 v[134:137], v120 offset0:38 offset1:39
	s_waitcnt lgkmcnt(0)
	v_fma_f64 v[44:45], -v[58:59], v[126:127], v[44:45]
	v_fma_f64 v[42:43], -v[58:59], v[128:129], v[42:43]
	;; [unrolled: 1-line block ×3, first 2 shown]
	ds_read2_b64 v[126:129], v120 offset0:40 offset1:41
	v_fma_f64 v[38:39], -v[58:59], v[132:133], v[38:39]
	ds_read2_b64 v[130:133], v120 offset0:42 offset1:43
	v_fma_f64 v[36:37], -v[58:59], v[134:135], v[36:37]
	v_fma_f64 v[34:35], -v[58:59], v[136:137], v[34:35]
	s_waitcnt lgkmcnt(0)
	v_fma_f64 v[32:33], -v[58:59], v[126:127], v[32:33]
	ds_read2_b64 v[134:137], v120 offset0:44 offset1:45
	v_fma_f64 v[30:31], -v[58:59], v[128:129], v[30:31]
	ds_read2_b64 v[126:129], v120 offset0:46 offset1:47
	v_fma_f64 v[28:29], -v[58:59], v[130:131], v[28:29]
	v_fma_f64 v[26:27], -v[58:59], v[132:133], v[26:27]
	ds_read2_b64 v[130:133], v120 offset0:48 offset1:49
	s_waitcnt lgkmcnt(0)
	v_fma_f64 v[24:25], -v[58:59], v[134:135], v[24:25]
	v_fma_f64 v[22:23], -v[58:59], v[136:137], v[22:23]
	;; [unrolled: 1-line block ×4, first 2 shown]
	ds_read2_b64 v[126:129], v120 offset0:50 offset1:51
	v_fma_f64 v[16:17], -v[58:59], v[130:131], v[16:17]
	ds_read2_b64 v[134:137], v120 offset0:52 offset1:53
	v_fma_f64 v[14:15], -v[58:59], v[132:133], v[14:15]
	ds_read2_b64 v[130:133], v120 offset0:54 offset1:55
	s_waitcnt lgkmcnt(0)
	v_fma_f64 v[12:13], -v[58:59], v[126:127], v[12:13]
	v_fma_f64 v[10:11], -v[58:59], v[128:129], v[10:11]
	;; [unrolled: 1-line block ×6, first 2 shown]
.LBB110_471:
	s_or_b64 exec, exec, s[0:1]
	v_lshl_add_u32 v116, v121, 3, v120
	s_barrier
	ds_write_b64 v116, v[56:57]
	s_waitcnt lgkmcnt(0)
	s_barrier
	ds_read_b64 v[116:117], v120 offset:224
	s_cmp_lt_i32 s18, 30
	v_mov_b32_e32 v118, 28
	s_cbranch_scc1 .LBB110_474
; %bb.472:
	v_add_u32_e32 v125, 0xe8, v120
	s_mov_b32 s0, 29
	v_mov_b32_e32 v118, 28
.LBB110_473:                            ; =>This Inner Loop Header: Depth=1
	ds_read_b64 v[126:127], v125
	v_mov_b32_e32 v128, s0
	s_add_i32 s0, s0, 1
	v_add_u32_e32 v125, 8, v125
	s_cmp_lg_u32 s18, s0
	s_waitcnt lgkmcnt(0)
	v_cmp_lt_f64_e64 vcc, |v[116:117]|, |v[126:127]|
	v_cndmask_b32_e32 v117, v117, v127, vcc
	v_cndmask_b32_e32 v116, v116, v126, vcc
	;; [unrolled: 1-line block ×3, first 2 shown]
	s_cbranch_scc1 .LBB110_473
.LBB110_474:
	s_waitcnt lgkmcnt(0)
	v_cmp_eq_f64_e32 vcc, 0, v[116:117]
	s_and_saveexec_b64 s[0:1], vcc
	s_xor_b64 s[0:1], exec, s[0:1]
; %bb.475:
	v_cmp_ne_u32_e32 vcc, 0, v124
	v_cndmask_b32_e32 v124, 29, v124, vcc
; %bb.476:
	s_andn2_saveexec_b64 s[0:1], s[0:1]
; %bb.477:
	v_div_scale_f64 v[126:127], s[2:3], v[116:117], v[116:117], 1.0
	v_rcp_f64_e32 v[128:129], v[126:127]
	v_div_scale_f64 v[130:131], vcc, 1.0, v[116:117], 1.0
	v_fma_f64 v[132:133], -v[126:127], v[128:129], 1.0
	v_fmac_f64_e32 v[128:129], v[128:129], v[132:133]
	v_fma_f64 v[132:133], -v[126:127], v[128:129], 1.0
	v_fmac_f64_e32 v[128:129], v[128:129], v[132:133]
	v_mul_f64 v[132:133], v[130:131], v[128:129]
	v_fma_f64 v[126:127], -v[126:127], v[132:133], v[130:131]
	v_div_fmas_f64 v[126:127], v[126:127], v[128:129], v[132:133]
	v_div_fixup_f64 v[116:117], v[126:127], v[116:117], 1.0
; %bb.478:
	s_or_b64 exec, exec, s[0:1]
	v_cmp_ne_u32_e32 vcc, v121, v118
	s_and_saveexec_b64 s[0:1], vcc
	s_xor_b64 s[0:1], exec, s[0:1]
	s_cbranch_execz .LBB110_484
; %bb.479:
	v_cmp_eq_u32_e32 vcc, 28, v121
	s_and_saveexec_b64 s[2:3], vcc
	s_cbranch_execz .LBB110_483
; %bb.480:
	v_cmp_ne_u32_e32 vcc, 28, v118
	s_xor_b64 s[14:15], s[6:7], -1
	s_and_b64 s[16:17], s[14:15], vcc
	s_and_saveexec_b64 s[14:15], s[16:17]
	s_cbranch_execz .LBB110_482
; %bb.481:
	v_ashrrev_i32_e32 v119, 31, v118
	v_lshlrev_b64 v[126:127], 2, v[118:119]
	v_add_co_u32_e32 v126, vcc, v4, v126
	v_addc_co_u32_e32 v127, vcc, v5, v127, vcc
	flat_load_dword v119, v[126:127]
	flat_load_dword v121, v[4:5] offset:112
	s_waitcnt vmcnt(0) lgkmcnt(0)
	flat_store_dword v[4:5], v119 offset:112
	flat_store_dword v[126:127], v121
.LBB110_482:
	s_or_b64 exec, exec, s[14:15]
	v_mov_b32_e32 v119, v118
	v_mov_b32_e32 v121, v118
.LBB110_483:
	s_or_b64 exec, exec, s[2:3]
.LBB110_484:
	s_andn2_saveexec_b64 s[0:1], s[0:1]
	s_cbranch_execz .LBB110_486
; %bb.485:
	v_mov_b32_e32 v121, 28
	ds_write2_b64 v120, v[54:55], v[52:53] offset0:29 offset1:30
	ds_write2_b64 v120, v[50:51], v[48:49] offset0:31 offset1:32
	;; [unrolled: 1-line block ×13, first 2 shown]
	ds_write_b64 v120, v[114:115] offset:440
.LBB110_486:
	s_or_b64 exec, exec, s[0:1]
	v_cmp_lt_i32_e32 vcc, 28, v121
	s_waitcnt lgkmcnt(0)
	s_barrier
	s_and_saveexec_b64 s[0:1], vcc
	s_cbranch_execz .LBB110_488
; %bb.487:
	ds_read2_b64 v[126:129], v120 offset0:29 offset1:30
	ds_read2_b64 v[130:133], v120 offset0:31 offset1:32
	v_mul_f64 v[56:57], v[116:117], v[56:57]
	ds_read2_b64 v[134:137], v120 offset0:33 offset1:34
	ds_read_b64 v[116:117], v120 offset:440
	s_waitcnt lgkmcnt(0)
	v_fma_f64 v[54:55], -v[56:57], v[126:127], v[54:55]
	v_fma_f64 v[52:53], -v[56:57], v[128:129], v[52:53]
	ds_read2_b64 v[126:129], v120 offset0:35 offset1:36
	v_fma_f64 v[50:51], -v[56:57], v[130:131], v[50:51]
	v_fma_f64 v[48:49], -v[56:57], v[132:133], v[48:49]
	v_fma_f64 v[46:47], -v[56:57], v[134:135], v[46:47]
	ds_read2_b64 v[130:133], v120 offset0:37 offset1:38
	v_fma_f64 v[44:45], -v[56:57], v[136:137], v[44:45]
	ds_read2_b64 v[134:137], v120 offset0:39 offset1:40
	s_waitcnt lgkmcnt(0)
	v_fma_f64 v[42:43], -v[56:57], v[126:127], v[42:43]
	v_fma_f64 v[40:41], -v[56:57], v[128:129], v[40:41]
	ds_read2_b64 v[126:129], v120 offset0:41 offset1:42
	v_fma_f64 v[38:39], -v[56:57], v[130:131], v[38:39]
	v_fma_f64 v[36:37], -v[56:57], v[132:133], v[36:37]
	ds_read2_b64 v[130:133], v120 offset0:43 offset1:44
	v_fma_f64 v[34:35], -v[56:57], v[134:135], v[34:35]
	v_fma_f64 v[32:33], -v[56:57], v[136:137], v[32:33]
	s_waitcnt lgkmcnt(0)
	v_fma_f64 v[30:31], -v[56:57], v[126:127], v[30:31]
	ds_read2_b64 v[134:137], v120 offset0:45 offset1:46
	v_fma_f64 v[28:29], -v[56:57], v[128:129], v[28:29]
	ds_read2_b64 v[126:129], v120 offset0:47 offset1:48
	v_fma_f64 v[26:27], -v[56:57], v[130:131], v[26:27]
	v_fma_f64 v[24:25], -v[56:57], v[132:133], v[24:25]
	s_waitcnt lgkmcnt(0)
	v_fma_f64 v[22:23], -v[56:57], v[134:135], v[22:23]
	ds_read2_b64 v[130:133], v120 offset0:49 offset1:50
	v_fma_f64 v[20:21], -v[56:57], v[136:137], v[20:21]
	v_fma_f64 v[18:19], -v[56:57], v[126:127], v[18:19]
	v_fma_f64 v[16:17], -v[56:57], v[128:129], v[16:17]
	ds_read2_b64 v[126:129], v120 offset0:51 offset1:52
	ds_read2_b64 v[134:137], v120 offset0:53 offset1:54
	s_waitcnt lgkmcnt(0)
	v_fma_f64 v[14:15], -v[56:57], v[130:131], v[14:15]
	v_fma_f64 v[12:13], -v[56:57], v[132:133], v[12:13]
	;; [unrolled: 1-line block ×7, first 2 shown]
.LBB110_488:
	s_or_b64 exec, exec, s[0:1]
	v_lshl_add_u32 v116, v121, 3, v120
	s_barrier
	ds_write_b64 v116, v[54:55]
	s_waitcnt lgkmcnt(0)
	s_barrier
	ds_read_b64 v[116:117], v120 offset:232
	s_cmp_lt_i32 s18, 31
	v_mov_b32_e32 v118, 29
	s_cbranch_scc1 .LBB110_491
; %bb.489:
	v_add_u32_e32 v125, 0xf0, v120
	s_mov_b32 s0, 30
	v_mov_b32_e32 v118, 29
.LBB110_490:                            ; =>This Inner Loop Header: Depth=1
	ds_read_b64 v[126:127], v125
	v_mov_b32_e32 v128, s0
	s_add_i32 s0, s0, 1
	v_add_u32_e32 v125, 8, v125
	s_cmp_lg_u32 s18, s0
	s_waitcnt lgkmcnt(0)
	v_cmp_lt_f64_e64 vcc, |v[116:117]|, |v[126:127]|
	v_cndmask_b32_e32 v117, v117, v127, vcc
	v_cndmask_b32_e32 v116, v116, v126, vcc
	;; [unrolled: 1-line block ×3, first 2 shown]
	s_cbranch_scc1 .LBB110_490
.LBB110_491:
	s_waitcnt lgkmcnt(0)
	v_cmp_eq_f64_e32 vcc, 0, v[116:117]
	s_and_saveexec_b64 s[0:1], vcc
	s_xor_b64 s[0:1], exec, s[0:1]
; %bb.492:
	v_cmp_ne_u32_e32 vcc, 0, v124
	v_cndmask_b32_e32 v124, 30, v124, vcc
; %bb.493:
	s_andn2_saveexec_b64 s[0:1], s[0:1]
; %bb.494:
	v_div_scale_f64 v[126:127], s[2:3], v[116:117], v[116:117], 1.0
	v_rcp_f64_e32 v[128:129], v[126:127]
	v_div_scale_f64 v[130:131], vcc, 1.0, v[116:117], 1.0
	v_fma_f64 v[132:133], -v[126:127], v[128:129], 1.0
	v_fmac_f64_e32 v[128:129], v[128:129], v[132:133]
	v_fma_f64 v[132:133], -v[126:127], v[128:129], 1.0
	v_fmac_f64_e32 v[128:129], v[128:129], v[132:133]
	v_mul_f64 v[132:133], v[130:131], v[128:129]
	v_fma_f64 v[126:127], -v[126:127], v[132:133], v[130:131]
	v_div_fmas_f64 v[126:127], v[126:127], v[128:129], v[132:133]
	v_div_fixup_f64 v[116:117], v[126:127], v[116:117], 1.0
; %bb.495:
	s_or_b64 exec, exec, s[0:1]
	v_cmp_ne_u32_e32 vcc, v121, v118
	s_and_saveexec_b64 s[0:1], vcc
	s_xor_b64 s[0:1], exec, s[0:1]
	s_cbranch_execz .LBB110_501
; %bb.496:
	v_cmp_eq_u32_e32 vcc, 29, v121
	s_and_saveexec_b64 s[2:3], vcc
	s_cbranch_execz .LBB110_500
; %bb.497:
	v_cmp_ne_u32_e32 vcc, 29, v118
	s_xor_b64 s[14:15], s[6:7], -1
	s_and_b64 s[16:17], s[14:15], vcc
	s_and_saveexec_b64 s[14:15], s[16:17]
	s_cbranch_execz .LBB110_499
; %bb.498:
	v_ashrrev_i32_e32 v119, 31, v118
	v_lshlrev_b64 v[126:127], 2, v[118:119]
	v_add_co_u32_e32 v126, vcc, v4, v126
	v_addc_co_u32_e32 v127, vcc, v5, v127, vcc
	flat_load_dword v119, v[126:127]
	flat_load_dword v121, v[4:5] offset:116
	s_waitcnt vmcnt(0) lgkmcnt(0)
	flat_store_dword v[4:5], v119 offset:116
	flat_store_dword v[126:127], v121
.LBB110_499:
	s_or_b64 exec, exec, s[14:15]
	v_mov_b32_e32 v119, v118
	v_mov_b32_e32 v121, v118
.LBB110_500:
	s_or_b64 exec, exec, s[2:3]
.LBB110_501:
	s_andn2_saveexec_b64 s[0:1], s[0:1]
	s_cbranch_execz .LBB110_503
; %bb.502:
	v_mov_b32_e32 v126, v52
	v_mov_b32_e32 v127, v53
	v_mov_b32_e32 v128, v50
	v_mov_b32_e32 v129, v51
	ds_write2_b64 v120, v[126:127], v[128:129] offset0:30 offset1:31
	v_mov_b32_e32 v126, v48
	v_mov_b32_e32 v127, v49
	v_mov_b32_e32 v128, v46
	v_mov_b32_e32 v129, v47
	ds_write2_b64 v120, v[126:127], v[128:129] offset0:32 offset1:33
	;; [unrolled: 5-line block ×12, first 2 shown]
	v_mov_b32_e32 v126, v0
	v_mov_b32_e32 v127, v1
	;; [unrolled: 1-line block ×3, first 2 shown]
	ds_write2_b64 v120, v[126:127], v[114:115] offset0:54 offset1:55
.LBB110_503:
	s_or_b64 exec, exec, s[0:1]
	v_cmp_lt_i32_e32 vcc, 29, v121
	s_waitcnt lgkmcnt(0)
	s_barrier
	s_and_saveexec_b64 s[0:1], vcc
	s_cbranch_execz .LBB110_505
; %bb.504:
	ds_read2_b64 v[126:129], v120 offset0:30 offset1:31
	ds_read2_b64 v[130:133], v120 offset0:32 offset1:33
	v_mul_f64 v[54:55], v[116:117], v[54:55]
	ds_read2_b64 v[134:137], v120 offset0:34 offset1:35
	s_waitcnt lgkmcnt(0)
	v_fma_f64 v[52:53], -v[54:55], v[126:127], v[52:53]
	v_fma_f64 v[50:51], -v[54:55], v[128:129], v[50:51]
	ds_read2_b64 v[126:129], v120 offset0:36 offset1:37
	v_fma_f64 v[48:49], -v[54:55], v[130:131], v[48:49]
	v_fma_f64 v[46:47], -v[54:55], v[132:133], v[46:47]
	;; [unrolled: 1-line block ×3, first 2 shown]
	ds_read2_b64 v[130:133], v120 offset0:38 offset1:39
	v_fma_f64 v[42:43], -v[54:55], v[136:137], v[42:43]
	ds_read2_b64 v[134:137], v120 offset0:40 offset1:41
	s_waitcnt lgkmcnt(0)
	v_fma_f64 v[40:41], -v[54:55], v[126:127], v[40:41]
	v_fma_f64 v[38:39], -v[54:55], v[128:129], v[38:39]
	ds_read2_b64 v[126:129], v120 offset0:42 offset1:43
	v_fma_f64 v[36:37], -v[54:55], v[130:131], v[36:37]
	v_fma_f64 v[34:35], -v[54:55], v[132:133], v[34:35]
	ds_read2_b64 v[130:133], v120 offset0:44 offset1:45
	v_fma_f64 v[32:33], -v[54:55], v[134:135], v[32:33]
	v_fma_f64 v[30:31], -v[54:55], v[136:137], v[30:31]
	s_waitcnt lgkmcnt(0)
	v_fma_f64 v[28:29], -v[54:55], v[126:127], v[28:29]
	ds_read2_b64 v[134:137], v120 offset0:46 offset1:47
	v_fma_f64 v[26:27], -v[54:55], v[128:129], v[26:27]
	ds_read2_b64 v[126:129], v120 offset0:48 offset1:49
	v_fma_f64 v[24:25], -v[54:55], v[130:131], v[24:25]
	v_fma_f64 v[22:23], -v[54:55], v[132:133], v[22:23]
	s_waitcnt lgkmcnt(0)
	v_fma_f64 v[20:21], -v[54:55], v[134:135], v[20:21]
	v_fma_f64 v[18:19], -v[54:55], v[136:137], v[18:19]
	ds_read2_b64 v[130:133], v120 offset0:50 offset1:51
	ds_read2_b64 v[134:137], v120 offset0:52 offset1:53
	v_fma_f64 v[16:17], -v[54:55], v[126:127], v[16:17]
	v_fma_f64 v[14:15], -v[54:55], v[128:129], v[14:15]
	ds_read2_b64 v[126:129], v120 offset0:54 offset1:55
	s_waitcnt lgkmcnt(0)
	v_fma_f64 v[12:13], -v[54:55], v[130:131], v[12:13]
	v_fma_f64 v[10:11], -v[54:55], v[132:133], v[10:11]
	;; [unrolled: 1-line block ×6, first 2 shown]
.LBB110_505:
	s_or_b64 exec, exec, s[0:1]
	v_lshl_add_u32 v116, v121, 3, v120
	s_barrier
	ds_write_b64 v116, v[52:53]
	s_waitcnt lgkmcnt(0)
	s_barrier
	ds_read_b64 v[116:117], v120 offset:240
	s_cmp_lt_i32 s18, 32
	v_mov_b32_e32 v118, 30
	s_cbranch_scc1 .LBB110_508
; %bb.506:
	v_add_u32_e32 v125, 0xf8, v120
	s_mov_b32 s0, 31
	v_mov_b32_e32 v118, 30
.LBB110_507:                            ; =>This Inner Loop Header: Depth=1
	ds_read_b64 v[126:127], v125
	v_mov_b32_e32 v128, s0
	s_add_i32 s0, s0, 1
	v_add_u32_e32 v125, 8, v125
	s_cmp_lg_u32 s18, s0
	s_waitcnt lgkmcnt(0)
	v_cmp_lt_f64_e64 vcc, |v[116:117]|, |v[126:127]|
	v_cndmask_b32_e32 v117, v117, v127, vcc
	v_cndmask_b32_e32 v116, v116, v126, vcc
	;; [unrolled: 1-line block ×3, first 2 shown]
	s_cbranch_scc1 .LBB110_507
.LBB110_508:
	s_waitcnt lgkmcnt(0)
	v_cmp_eq_f64_e32 vcc, 0, v[116:117]
	s_and_saveexec_b64 s[0:1], vcc
	s_xor_b64 s[0:1], exec, s[0:1]
; %bb.509:
	v_cmp_ne_u32_e32 vcc, 0, v124
	v_cndmask_b32_e32 v124, 31, v124, vcc
; %bb.510:
	s_andn2_saveexec_b64 s[0:1], s[0:1]
; %bb.511:
	v_div_scale_f64 v[126:127], s[2:3], v[116:117], v[116:117], 1.0
	v_rcp_f64_e32 v[128:129], v[126:127]
	v_div_scale_f64 v[130:131], vcc, 1.0, v[116:117], 1.0
	v_fma_f64 v[132:133], -v[126:127], v[128:129], 1.0
	v_fmac_f64_e32 v[128:129], v[128:129], v[132:133]
	v_fma_f64 v[132:133], -v[126:127], v[128:129], 1.0
	v_fmac_f64_e32 v[128:129], v[128:129], v[132:133]
	v_mul_f64 v[132:133], v[130:131], v[128:129]
	v_fma_f64 v[126:127], -v[126:127], v[132:133], v[130:131]
	v_div_fmas_f64 v[126:127], v[126:127], v[128:129], v[132:133]
	v_div_fixup_f64 v[116:117], v[126:127], v[116:117], 1.0
; %bb.512:
	s_or_b64 exec, exec, s[0:1]
	v_cmp_ne_u32_e32 vcc, v121, v118
	s_and_saveexec_b64 s[0:1], vcc
	s_xor_b64 s[0:1], exec, s[0:1]
	s_cbranch_execz .LBB110_518
; %bb.513:
	v_cmp_eq_u32_e32 vcc, 30, v121
	s_and_saveexec_b64 s[2:3], vcc
	s_cbranch_execz .LBB110_517
; %bb.514:
	v_cmp_ne_u32_e32 vcc, 30, v118
	s_xor_b64 s[14:15], s[6:7], -1
	s_and_b64 s[16:17], s[14:15], vcc
	s_and_saveexec_b64 s[14:15], s[16:17]
	s_cbranch_execz .LBB110_516
; %bb.515:
	v_ashrrev_i32_e32 v119, 31, v118
	v_lshlrev_b64 v[126:127], 2, v[118:119]
	v_add_co_u32_e32 v126, vcc, v4, v126
	v_addc_co_u32_e32 v127, vcc, v5, v127, vcc
	flat_load_dword v119, v[126:127]
	flat_load_dword v121, v[4:5] offset:120
	s_waitcnt vmcnt(0) lgkmcnt(0)
	flat_store_dword v[4:5], v119 offset:120
	flat_store_dword v[126:127], v121
.LBB110_516:
	s_or_b64 exec, exec, s[14:15]
	v_mov_b32_e32 v119, v118
	v_mov_b32_e32 v121, v118
.LBB110_517:
	s_or_b64 exec, exec, s[2:3]
.LBB110_518:
	s_andn2_saveexec_b64 s[0:1], s[0:1]
	s_cbranch_execz .LBB110_520
; %bb.519:
	v_mov_b32_e32 v121, 30
	ds_write2_b64 v120, v[50:51], v[48:49] offset0:31 offset1:32
	ds_write2_b64 v120, v[46:47], v[44:45] offset0:33 offset1:34
	;; [unrolled: 1-line block ×12, first 2 shown]
	ds_write_b64 v120, v[114:115] offset:440
.LBB110_520:
	s_or_b64 exec, exec, s[0:1]
	v_cmp_lt_i32_e32 vcc, 30, v121
	s_waitcnt lgkmcnt(0)
	s_barrier
	s_and_saveexec_b64 s[0:1], vcc
	s_cbranch_execz .LBB110_522
; %bb.521:
	ds_read2_b64 v[126:129], v120 offset0:31 offset1:32
	ds_read2_b64 v[130:133], v120 offset0:33 offset1:34
	;; [unrolled: 1-line block ×3, first 2 shown]
	v_mul_f64 v[52:53], v[116:117], v[52:53]
	ds_read_b64 v[116:117], v120 offset:440
	s_waitcnt lgkmcnt(0)
	v_fma_f64 v[50:51], -v[52:53], v[126:127], v[50:51]
	v_fma_f64 v[48:49], -v[52:53], v[128:129], v[48:49]
	ds_read2_b64 v[126:129], v120 offset0:37 offset1:38
	v_fma_f64 v[46:47], -v[52:53], v[130:131], v[46:47]
	v_fma_f64 v[44:45], -v[52:53], v[132:133], v[44:45]
	;; [unrolled: 1-line block ×3, first 2 shown]
	ds_read2_b64 v[130:133], v120 offset0:39 offset1:40
	v_fma_f64 v[40:41], -v[52:53], v[136:137], v[40:41]
	ds_read2_b64 v[134:137], v120 offset0:41 offset1:42
	s_waitcnt lgkmcnt(0)
	v_fma_f64 v[38:39], -v[52:53], v[126:127], v[38:39]
	v_fma_f64 v[36:37], -v[52:53], v[128:129], v[36:37]
	;; [unrolled: 1-line block ×3, first 2 shown]
	ds_read2_b64 v[126:129], v120 offset0:43 offset1:44
	v_fma_f64 v[32:33], -v[52:53], v[132:133], v[32:33]
	ds_read2_b64 v[130:133], v120 offset0:45 offset1:46
	v_fma_f64 v[30:31], -v[52:53], v[134:135], v[30:31]
	v_fma_f64 v[28:29], -v[52:53], v[136:137], v[28:29]
	ds_read2_b64 v[134:137], v120 offset0:47 offset1:48
	s_waitcnt lgkmcnt(0)
	v_fma_f64 v[26:27], -v[52:53], v[126:127], v[26:27]
	v_fma_f64 v[24:25], -v[52:53], v[128:129], v[24:25]
	ds_read2_b64 v[126:129], v120 offset0:49 offset1:50
	v_fma_f64 v[22:23], -v[52:53], v[130:131], v[22:23]
	v_fma_f64 v[20:21], -v[52:53], v[132:133], v[20:21]
	;; [unrolled: 1-line block ×4, first 2 shown]
	ds_read2_b64 v[130:133], v120 offset0:51 offset1:52
	ds_read2_b64 v[134:137], v120 offset0:53 offset1:54
	s_waitcnt lgkmcnt(0)
	v_fma_f64 v[14:15], -v[52:53], v[126:127], v[14:15]
	v_fma_f64 v[12:13], -v[52:53], v[128:129], v[12:13]
	;; [unrolled: 1-line block ×7, first 2 shown]
.LBB110_522:
	s_or_b64 exec, exec, s[0:1]
	v_lshl_add_u32 v116, v121, 3, v120
	s_barrier
	ds_write_b64 v116, v[50:51]
	s_waitcnt lgkmcnt(0)
	s_barrier
	ds_read_b64 v[116:117], v120 offset:248
	s_cmp_lt_i32 s18, 33
	v_mov_b32_e32 v118, 31
	s_cbranch_scc1 .LBB110_525
; %bb.523:
	v_add_u32_e32 v125, 0x100, v120
	s_mov_b32 s0, 32
	v_mov_b32_e32 v118, 31
.LBB110_524:                            ; =>This Inner Loop Header: Depth=1
	ds_read_b64 v[126:127], v125
	v_mov_b32_e32 v128, s0
	s_add_i32 s0, s0, 1
	v_add_u32_e32 v125, 8, v125
	s_cmp_lg_u32 s18, s0
	s_waitcnt lgkmcnt(0)
	v_cmp_lt_f64_e64 vcc, |v[116:117]|, |v[126:127]|
	v_cndmask_b32_e32 v117, v117, v127, vcc
	v_cndmask_b32_e32 v116, v116, v126, vcc
	;; [unrolled: 1-line block ×3, first 2 shown]
	s_cbranch_scc1 .LBB110_524
.LBB110_525:
	s_waitcnt lgkmcnt(0)
	v_cmp_eq_f64_e32 vcc, 0, v[116:117]
	s_and_saveexec_b64 s[0:1], vcc
	s_xor_b64 s[0:1], exec, s[0:1]
; %bb.526:
	v_cmp_ne_u32_e32 vcc, 0, v124
	v_cndmask_b32_e32 v124, 32, v124, vcc
; %bb.527:
	s_andn2_saveexec_b64 s[0:1], s[0:1]
; %bb.528:
	v_div_scale_f64 v[126:127], s[2:3], v[116:117], v[116:117], 1.0
	v_rcp_f64_e32 v[128:129], v[126:127]
	v_div_scale_f64 v[130:131], vcc, 1.0, v[116:117], 1.0
	v_fma_f64 v[132:133], -v[126:127], v[128:129], 1.0
	v_fmac_f64_e32 v[128:129], v[128:129], v[132:133]
	v_fma_f64 v[132:133], -v[126:127], v[128:129], 1.0
	v_fmac_f64_e32 v[128:129], v[128:129], v[132:133]
	v_mul_f64 v[132:133], v[130:131], v[128:129]
	v_fma_f64 v[126:127], -v[126:127], v[132:133], v[130:131]
	v_div_fmas_f64 v[126:127], v[126:127], v[128:129], v[132:133]
	v_div_fixup_f64 v[116:117], v[126:127], v[116:117], 1.0
; %bb.529:
	s_or_b64 exec, exec, s[0:1]
	v_cmp_ne_u32_e32 vcc, v121, v118
	s_and_saveexec_b64 s[0:1], vcc
	s_xor_b64 s[0:1], exec, s[0:1]
	s_cbranch_execz .LBB110_535
; %bb.530:
	v_cmp_eq_u32_e32 vcc, 31, v121
	s_and_saveexec_b64 s[2:3], vcc
	s_cbranch_execz .LBB110_534
; %bb.531:
	v_cmp_ne_u32_e32 vcc, 31, v118
	s_xor_b64 s[14:15], s[6:7], -1
	s_and_b64 s[16:17], s[14:15], vcc
	s_and_saveexec_b64 s[14:15], s[16:17]
	s_cbranch_execz .LBB110_533
; %bb.532:
	v_ashrrev_i32_e32 v119, 31, v118
	v_lshlrev_b64 v[126:127], 2, v[118:119]
	v_add_co_u32_e32 v126, vcc, v4, v126
	v_addc_co_u32_e32 v127, vcc, v5, v127, vcc
	flat_load_dword v119, v[126:127]
	flat_load_dword v121, v[4:5] offset:124
	s_waitcnt vmcnt(0) lgkmcnt(0)
	flat_store_dword v[4:5], v119 offset:124
	flat_store_dword v[126:127], v121
.LBB110_533:
	s_or_b64 exec, exec, s[14:15]
	v_mov_b32_e32 v119, v118
	v_mov_b32_e32 v121, v118
.LBB110_534:
	s_or_b64 exec, exec, s[2:3]
.LBB110_535:
	s_andn2_saveexec_b64 s[0:1], s[0:1]
	s_cbranch_execz .LBB110_537
; %bb.536:
	v_mov_b32_e32 v126, v48
	v_mov_b32_e32 v127, v49
	v_mov_b32_e32 v128, v46
	v_mov_b32_e32 v129, v47
	ds_write2_b64 v120, v[126:127], v[128:129] offset0:32 offset1:33
	v_mov_b32_e32 v126, v44
	v_mov_b32_e32 v127, v45
	v_mov_b32_e32 v128, v42
	v_mov_b32_e32 v129, v43
	ds_write2_b64 v120, v[126:127], v[128:129] offset0:34 offset1:35
	;; [unrolled: 5-line block ×11, first 2 shown]
	v_mov_b32_e32 v126, v0
	v_mov_b32_e32 v127, v1
	;; [unrolled: 1-line block ×3, first 2 shown]
	ds_write2_b64 v120, v[126:127], v[114:115] offset0:54 offset1:55
.LBB110_537:
	s_or_b64 exec, exec, s[0:1]
	v_cmp_lt_i32_e32 vcc, 31, v121
	s_waitcnt lgkmcnt(0)
	s_barrier
	s_and_saveexec_b64 s[0:1], vcc
	s_cbranch_execz .LBB110_539
; %bb.538:
	ds_read2_b64 v[126:129], v120 offset0:32 offset1:33
	ds_read2_b64 v[130:133], v120 offset0:34 offset1:35
	;; [unrolled: 1-line block ×3, first 2 shown]
	v_mul_f64 v[50:51], v[116:117], v[50:51]
	s_waitcnt lgkmcnt(0)
	v_fma_f64 v[48:49], -v[50:51], v[126:127], v[48:49]
	v_fma_f64 v[46:47], -v[50:51], v[128:129], v[46:47]
	ds_read2_b64 v[126:129], v120 offset0:38 offset1:39
	v_fma_f64 v[44:45], -v[50:51], v[130:131], v[44:45]
	v_fma_f64 v[42:43], -v[50:51], v[132:133], v[42:43]
	v_fma_f64 v[40:41], -v[50:51], v[134:135], v[40:41]
	ds_read2_b64 v[130:133], v120 offset0:40 offset1:41
	v_fma_f64 v[38:39], -v[50:51], v[136:137], v[38:39]
	ds_read2_b64 v[134:137], v120 offset0:42 offset1:43
	s_waitcnt lgkmcnt(0)
	v_fma_f64 v[36:37], -v[50:51], v[126:127], v[36:37]
	v_fma_f64 v[34:35], -v[50:51], v[128:129], v[34:35]
	v_fma_f64 v[32:33], -v[50:51], v[130:131], v[32:33]
	ds_read2_b64 v[126:129], v120 offset0:44 offset1:45
	v_fma_f64 v[30:31], -v[50:51], v[132:133], v[30:31]
	ds_read2_b64 v[130:133], v120 offset0:46 offset1:47
	v_fma_f64 v[28:29], -v[50:51], v[134:135], v[28:29]
	v_fma_f64 v[26:27], -v[50:51], v[136:137], v[26:27]
	ds_read2_b64 v[134:137], v120 offset0:48 offset1:49
	s_waitcnt lgkmcnt(0)
	v_fma_f64 v[24:25], -v[50:51], v[126:127], v[24:25]
	v_fma_f64 v[22:23], -v[50:51], v[128:129], v[22:23]
	ds_read2_b64 v[126:129], v120 offset0:50 offset1:51
	v_fma_f64 v[20:21], -v[50:51], v[130:131], v[20:21]
	v_fma_f64 v[18:19], -v[50:51], v[132:133], v[18:19]
	;; [unrolled: 1-line block ×3, first 2 shown]
	ds_read2_b64 v[130:133], v120 offset0:52 offset1:53
	v_fma_f64 v[14:15], -v[50:51], v[136:137], v[14:15]
	ds_read2_b64 v[134:137], v120 offset0:54 offset1:55
	s_waitcnt lgkmcnt(0)
	v_fma_f64 v[12:13], -v[50:51], v[126:127], v[12:13]
	v_fma_f64 v[10:11], -v[50:51], v[128:129], v[10:11]
	;; [unrolled: 1-line block ×6, first 2 shown]
.LBB110_539:
	s_or_b64 exec, exec, s[0:1]
	v_lshl_add_u32 v116, v121, 3, v120
	s_barrier
	ds_write_b64 v116, v[48:49]
	s_waitcnt lgkmcnt(0)
	s_barrier
	ds_read_b64 v[116:117], v120 offset:256
	s_cmp_lt_i32 s18, 34
	v_mov_b32_e32 v118, 32
	s_cbranch_scc1 .LBB110_542
; %bb.540:
	v_add_u32_e32 v125, 0x108, v120
	s_mov_b32 s0, 33
	v_mov_b32_e32 v118, 32
.LBB110_541:                            ; =>This Inner Loop Header: Depth=1
	ds_read_b64 v[126:127], v125
	v_mov_b32_e32 v128, s0
	s_add_i32 s0, s0, 1
	v_add_u32_e32 v125, 8, v125
	s_cmp_lg_u32 s18, s0
	s_waitcnt lgkmcnt(0)
	v_cmp_lt_f64_e64 vcc, |v[116:117]|, |v[126:127]|
	v_cndmask_b32_e32 v117, v117, v127, vcc
	v_cndmask_b32_e32 v116, v116, v126, vcc
	;; [unrolled: 1-line block ×3, first 2 shown]
	s_cbranch_scc1 .LBB110_541
.LBB110_542:
	s_waitcnt lgkmcnt(0)
	v_cmp_eq_f64_e32 vcc, 0, v[116:117]
	s_and_saveexec_b64 s[0:1], vcc
	s_xor_b64 s[0:1], exec, s[0:1]
; %bb.543:
	v_cmp_ne_u32_e32 vcc, 0, v124
	v_cndmask_b32_e32 v124, 33, v124, vcc
; %bb.544:
	s_andn2_saveexec_b64 s[0:1], s[0:1]
; %bb.545:
	v_div_scale_f64 v[126:127], s[2:3], v[116:117], v[116:117], 1.0
	v_rcp_f64_e32 v[128:129], v[126:127]
	v_div_scale_f64 v[130:131], vcc, 1.0, v[116:117], 1.0
	v_fma_f64 v[132:133], -v[126:127], v[128:129], 1.0
	v_fmac_f64_e32 v[128:129], v[128:129], v[132:133]
	v_fma_f64 v[132:133], -v[126:127], v[128:129], 1.0
	v_fmac_f64_e32 v[128:129], v[128:129], v[132:133]
	v_mul_f64 v[132:133], v[130:131], v[128:129]
	v_fma_f64 v[126:127], -v[126:127], v[132:133], v[130:131]
	v_div_fmas_f64 v[126:127], v[126:127], v[128:129], v[132:133]
	v_div_fixup_f64 v[116:117], v[126:127], v[116:117], 1.0
; %bb.546:
	s_or_b64 exec, exec, s[0:1]
	v_cmp_ne_u32_e32 vcc, v121, v118
	s_and_saveexec_b64 s[0:1], vcc
	s_xor_b64 s[0:1], exec, s[0:1]
	s_cbranch_execz .LBB110_552
; %bb.547:
	v_cmp_eq_u32_e32 vcc, 32, v121
	s_and_saveexec_b64 s[2:3], vcc
	s_cbranch_execz .LBB110_551
; %bb.548:
	v_cmp_ne_u32_e32 vcc, 32, v118
	s_xor_b64 s[14:15], s[6:7], -1
	s_and_b64 s[16:17], s[14:15], vcc
	s_and_saveexec_b64 s[14:15], s[16:17]
	s_cbranch_execz .LBB110_550
; %bb.549:
	v_ashrrev_i32_e32 v119, 31, v118
	v_lshlrev_b64 v[126:127], 2, v[118:119]
	v_add_co_u32_e32 v126, vcc, v4, v126
	v_addc_co_u32_e32 v127, vcc, v5, v127, vcc
	flat_load_dword v119, v[126:127]
	flat_load_dword v121, v[4:5] offset:128
	s_waitcnt vmcnt(0) lgkmcnt(0)
	flat_store_dword v[4:5], v119 offset:128
	flat_store_dword v[126:127], v121
.LBB110_550:
	s_or_b64 exec, exec, s[14:15]
	v_mov_b32_e32 v119, v118
	v_mov_b32_e32 v121, v118
.LBB110_551:
	s_or_b64 exec, exec, s[2:3]
.LBB110_552:
	s_andn2_saveexec_b64 s[0:1], s[0:1]
	s_cbranch_execz .LBB110_554
; %bb.553:
	v_mov_b32_e32 v121, 32
	ds_write2_b64 v120, v[46:47], v[44:45] offset0:33 offset1:34
	ds_write2_b64 v120, v[42:43], v[40:41] offset0:35 offset1:36
	;; [unrolled: 1-line block ×11, first 2 shown]
	ds_write_b64 v120, v[114:115] offset:440
.LBB110_554:
	s_or_b64 exec, exec, s[0:1]
	v_cmp_lt_i32_e32 vcc, 32, v121
	s_waitcnt lgkmcnt(0)
	s_barrier
	s_and_saveexec_b64 s[0:1], vcc
	s_cbranch_execz .LBB110_556
; %bb.555:
	ds_read2_b64 v[126:129], v120 offset0:33 offset1:34
	ds_read2_b64 v[130:133], v120 offset0:35 offset1:36
	v_mul_f64 v[48:49], v[116:117], v[48:49]
	ds_read2_b64 v[134:137], v120 offset0:37 offset1:38
	ds_read_b64 v[116:117], v120 offset:440
	s_waitcnt lgkmcnt(0)
	v_fma_f64 v[46:47], -v[48:49], v[126:127], v[46:47]
	v_fma_f64 v[44:45], -v[48:49], v[128:129], v[44:45]
	ds_read2_b64 v[126:129], v120 offset0:39 offset1:40
	v_fma_f64 v[42:43], -v[48:49], v[130:131], v[42:43]
	v_fma_f64 v[40:41], -v[48:49], v[132:133], v[40:41]
	ds_read2_b64 v[130:133], v120 offset0:41 offset1:42
	;; [unrolled: 3-line block ×3, first 2 shown]
	s_waitcnt lgkmcnt(0)
	v_fma_f64 v[34:35], -v[48:49], v[126:127], v[34:35]
	v_fma_f64 v[32:33], -v[48:49], v[128:129], v[32:33]
	v_fma_f64 v[30:31], -v[48:49], v[130:131], v[30:31]
	ds_read2_b64 v[126:129], v120 offset0:45 offset1:46
	v_fma_f64 v[28:29], -v[48:49], v[132:133], v[28:29]
	ds_read2_b64 v[130:133], v120 offset0:47 offset1:48
	v_fma_f64 v[26:27], -v[48:49], v[134:135], v[26:27]
	v_fma_f64 v[24:25], -v[48:49], v[136:137], v[24:25]
	s_waitcnt lgkmcnt(0)
	v_fma_f64 v[22:23], -v[48:49], v[126:127], v[22:23]
	ds_read2_b64 v[134:137], v120 offset0:49 offset1:50
	v_fma_f64 v[20:21], -v[48:49], v[128:129], v[20:21]
	ds_read2_b64 v[126:129], v120 offset0:51 offset1:52
	v_fma_f64 v[18:19], -v[48:49], v[130:131], v[18:19]
	v_fma_f64 v[16:17], -v[48:49], v[132:133], v[16:17]
	ds_read2_b64 v[130:133], v120 offset0:53 offset1:54
	s_waitcnt lgkmcnt(0)
	v_fma_f64 v[14:15], -v[48:49], v[134:135], v[14:15]
	v_fma_f64 v[12:13], -v[48:49], v[136:137], v[12:13]
	;; [unrolled: 1-line block ×7, first 2 shown]
.LBB110_556:
	s_or_b64 exec, exec, s[0:1]
	v_lshl_add_u32 v116, v121, 3, v120
	s_barrier
	ds_write_b64 v116, v[46:47]
	s_waitcnt lgkmcnt(0)
	s_barrier
	ds_read_b64 v[116:117], v120 offset:264
	s_cmp_lt_i32 s18, 35
	v_mov_b32_e32 v118, 33
	s_cbranch_scc1 .LBB110_559
; %bb.557:
	v_add_u32_e32 v125, 0x110, v120
	s_mov_b32 s0, 34
	v_mov_b32_e32 v118, 33
.LBB110_558:                            ; =>This Inner Loop Header: Depth=1
	ds_read_b64 v[126:127], v125
	v_mov_b32_e32 v128, s0
	s_add_i32 s0, s0, 1
	v_add_u32_e32 v125, 8, v125
	s_cmp_lg_u32 s18, s0
	s_waitcnt lgkmcnt(0)
	v_cmp_lt_f64_e64 vcc, |v[116:117]|, |v[126:127]|
	v_cndmask_b32_e32 v117, v117, v127, vcc
	v_cndmask_b32_e32 v116, v116, v126, vcc
	v_cndmask_b32_e32 v118, v118, v128, vcc
	s_cbranch_scc1 .LBB110_558
.LBB110_559:
	s_waitcnt lgkmcnt(0)
	v_cmp_eq_f64_e32 vcc, 0, v[116:117]
	s_and_saveexec_b64 s[0:1], vcc
	s_xor_b64 s[0:1], exec, s[0:1]
; %bb.560:
	v_cmp_ne_u32_e32 vcc, 0, v124
	v_cndmask_b32_e32 v124, 34, v124, vcc
; %bb.561:
	s_andn2_saveexec_b64 s[0:1], s[0:1]
; %bb.562:
	v_div_scale_f64 v[126:127], s[2:3], v[116:117], v[116:117], 1.0
	v_rcp_f64_e32 v[128:129], v[126:127]
	v_div_scale_f64 v[130:131], vcc, 1.0, v[116:117], 1.0
	v_fma_f64 v[132:133], -v[126:127], v[128:129], 1.0
	v_fmac_f64_e32 v[128:129], v[128:129], v[132:133]
	v_fma_f64 v[132:133], -v[126:127], v[128:129], 1.0
	v_fmac_f64_e32 v[128:129], v[128:129], v[132:133]
	v_mul_f64 v[132:133], v[130:131], v[128:129]
	v_fma_f64 v[126:127], -v[126:127], v[132:133], v[130:131]
	v_div_fmas_f64 v[126:127], v[126:127], v[128:129], v[132:133]
	v_div_fixup_f64 v[116:117], v[126:127], v[116:117], 1.0
; %bb.563:
	s_or_b64 exec, exec, s[0:1]
	v_cmp_ne_u32_e32 vcc, v121, v118
	s_and_saveexec_b64 s[0:1], vcc
	s_xor_b64 s[0:1], exec, s[0:1]
	s_cbranch_execz .LBB110_569
; %bb.564:
	v_cmp_eq_u32_e32 vcc, 33, v121
	s_and_saveexec_b64 s[2:3], vcc
	s_cbranch_execz .LBB110_568
; %bb.565:
	v_cmp_ne_u32_e32 vcc, 33, v118
	s_xor_b64 s[14:15], s[6:7], -1
	s_and_b64 s[16:17], s[14:15], vcc
	s_and_saveexec_b64 s[14:15], s[16:17]
	s_cbranch_execz .LBB110_567
; %bb.566:
	v_ashrrev_i32_e32 v119, 31, v118
	v_lshlrev_b64 v[126:127], 2, v[118:119]
	v_add_co_u32_e32 v126, vcc, v4, v126
	v_addc_co_u32_e32 v127, vcc, v5, v127, vcc
	flat_load_dword v119, v[126:127]
	flat_load_dword v121, v[4:5] offset:132
	s_waitcnt vmcnt(0) lgkmcnt(0)
	flat_store_dword v[4:5], v119 offset:132
	flat_store_dword v[126:127], v121
.LBB110_567:
	s_or_b64 exec, exec, s[14:15]
	v_mov_b32_e32 v119, v118
	v_mov_b32_e32 v121, v118
.LBB110_568:
	s_or_b64 exec, exec, s[2:3]
.LBB110_569:
	s_andn2_saveexec_b64 s[0:1], s[0:1]
	s_cbranch_execz .LBB110_571
; %bb.570:
	v_mov_b32_e32 v126, v44
	v_mov_b32_e32 v127, v45
	v_mov_b32_e32 v128, v42
	v_mov_b32_e32 v129, v43
	ds_write2_b64 v120, v[126:127], v[128:129] offset0:34 offset1:35
	v_mov_b32_e32 v126, v40
	v_mov_b32_e32 v127, v41
	v_mov_b32_e32 v128, v38
	v_mov_b32_e32 v129, v39
	ds_write2_b64 v120, v[126:127], v[128:129] offset0:36 offset1:37
	;; [unrolled: 5-line block ×10, first 2 shown]
	v_mov_b32_e32 v126, v0
	v_mov_b32_e32 v127, v1
	;; [unrolled: 1-line block ×3, first 2 shown]
	ds_write2_b64 v120, v[126:127], v[114:115] offset0:54 offset1:55
.LBB110_571:
	s_or_b64 exec, exec, s[0:1]
	v_cmp_lt_i32_e32 vcc, 33, v121
	s_waitcnt lgkmcnt(0)
	s_barrier
	s_and_saveexec_b64 s[0:1], vcc
	s_cbranch_execz .LBB110_573
; %bb.572:
	ds_read2_b64 v[126:129], v120 offset0:34 offset1:35
	ds_read2_b64 v[130:133], v120 offset0:36 offset1:37
	v_mul_f64 v[46:47], v[116:117], v[46:47]
	ds_read2_b64 v[134:137], v120 offset0:38 offset1:39
	s_waitcnt lgkmcnt(0)
	v_fma_f64 v[44:45], -v[46:47], v[126:127], v[44:45]
	v_fma_f64 v[42:43], -v[46:47], v[128:129], v[42:43]
	ds_read2_b64 v[126:129], v120 offset0:40 offset1:41
	v_fma_f64 v[40:41], -v[46:47], v[130:131], v[40:41]
	v_fma_f64 v[38:39], -v[46:47], v[132:133], v[38:39]
	ds_read2_b64 v[130:133], v120 offset0:42 offset1:43
	v_fma_f64 v[36:37], -v[46:47], v[134:135], v[36:37]
	v_fma_f64 v[34:35], -v[46:47], v[136:137], v[34:35]
	ds_read2_b64 v[134:137], v120 offset0:44 offset1:45
	s_waitcnt lgkmcnt(0)
	v_fma_f64 v[32:33], -v[46:47], v[126:127], v[32:33]
	v_fma_f64 v[30:31], -v[46:47], v[128:129], v[30:31]
	;; [unrolled: 1-line block ×3, first 2 shown]
	ds_read2_b64 v[126:129], v120 offset0:46 offset1:47
	v_fma_f64 v[26:27], -v[46:47], v[132:133], v[26:27]
	ds_read2_b64 v[130:133], v120 offset0:48 offset1:49
	v_fma_f64 v[24:25], -v[46:47], v[134:135], v[24:25]
	v_fma_f64 v[22:23], -v[46:47], v[136:137], v[22:23]
	s_waitcnt lgkmcnt(0)
	v_fma_f64 v[20:21], -v[46:47], v[126:127], v[20:21]
	v_fma_f64 v[18:19], -v[46:47], v[128:129], v[18:19]
	ds_read2_b64 v[126:129], v120 offset0:50 offset1:51
	ds_read2_b64 v[134:137], v120 offset0:52 offset1:53
	v_fma_f64 v[16:17], -v[46:47], v[130:131], v[16:17]
	v_fma_f64 v[14:15], -v[46:47], v[132:133], v[14:15]
	ds_read2_b64 v[130:133], v120 offset0:54 offset1:55
	s_waitcnt lgkmcnt(0)
	v_fma_f64 v[12:13], -v[46:47], v[126:127], v[12:13]
	v_fma_f64 v[10:11], -v[46:47], v[128:129], v[10:11]
	;; [unrolled: 1-line block ×6, first 2 shown]
.LBB110_573:
	s_or_b64 exec, exec, s[0:1]
	v_lshl_add_u32 v116, v121, 3, v120
	s_barrier
	ds_write_b64 v116, v[44:45]
	s_waitcnt lgkmcnt(0)
	s_barrier
	ds_read_b64 v[116:117], v120 offset:272
	s_cmp_lt_i32 s18, 36
	v_mov_b32_e32 v118, 34
	s_cbranch_scc1 .LBB110_576
; %bb.574:
	v_add_u32_e32 v125, 0x118, v120
	s_mov_b32 s0, 35
	v_mov_b32_e32 v118, 34
.LBB110_575:                            ; =>This Inner Loop Header: Depth=1
	ds_read_b64 v[126:127], v125
	v_mov_b32_e32 v128, s0
	s_add_i32 s0, s0, 1
	v_add_u32_e32 v125, 8, v125
	s_cmp_lg_u32 s18, s0
	s_waitcnt lgkmcnt(0)
	v_cmp_lt_f64_e64 vcc, |v[116:117]|, |v[126:127]|
	v_cndmask_b32_e32 v117, v117, v127, vcc
	v_cndmask_b32_e32 v116, v116, v126, vcc
	;; [unrolled: 1-line block ×3, first 2 shown]
	s_cbranch_scc1 .LBB110_575
.LBB110_576:
	s_waitcnt lgkmcnt(0)
	v_cmp_eq_f64_e32 vcc, 0, v[116:117]
	s_and_saveexec_b64 s[0:1], vcc
	s_xor_b64 s[0:1], exec, s[0:1]
; %bb.577:
	v_cmp_ne_u32_e32 vcc, 0, v124
	v_cndmask_b32_e32 v124, 35, v124, vcc
; %bb.578:
	s_andn2_saveexec_b64 s[0:1], s[0:1]
; %bb.579:
	v_div_scale_f64 v[126:127], s[2:3], v[116:117], v[116:117], 1.0
	v_rcp_f64_e32 v[128:129], v[126:127]
	v_div_scale_f64 v[130:131], vcc, 1.0, v[116:117], 1.0
	v_fma_f64 v[132:133], -v[126:127], v[128:129], 1.0
	v_fmac_f64_e32 v[128:129], v[128:129], v[132:133]
	v_fma_f64 v[132:133], -v[126:127], v[128:129], 1.0
	v_fmac_f64_e32 v[128:129], v[128:129], v[132:133]
	v_mul_f64 v[132:133], v[130:131], v[128:129]
	v_fma_f64 v[126:127], -v[126:127], v[132:133], v[130:131]
	v_div_fmas_f64 v[126:127], v[126:127], v[128:129], v[132:133]
	v_div_fixup_f64 v[116:117], v[126:127], v[116:117], 1.0
; %bb.580:
	s_or_b64 exec, exec, s[0:1]
	v_cmp_ne_u32_e32 vcc, v121, v118
	s_and_saveexec_b64 s[0:1], vcc
	s_xor_b64 s[0:1], exec, s[0:1]
	s_cbranch_execz .LBB110_586
; %bb.581:
	v_cmp_eq_u32_e32 vcc, 34, v121
	s_and_saveexec_b64 s[2:3], vcc
	s_cbranch_execz .LBB110_585
; %bb.582:
	v_cmp_ne_u32_e32 vcc, 34, v118
	s_xor_b64 s[14:15], s[6:7], -1
	s_and_b64 s[16:17], s[14:15], vcc
	s_and_saveexec_b64 s[14:15], s[16:17]
	s_cbranch_execz .LBB110_584
; %bb.583:
	v_ashrrev_i32_e32 v119, 31, v118
	v_lshlrev_b64 v[126:127], 2, v[118:119]
	v_add_co_u32_e32 v126, vcc, v4, v126
	v_addc_co_u32_e32 v127, vcc, v5, v127, vcc
	flat_load_dword v119, v[126:127]
	flat_load_dword v121, v[4:5] offset:136
	s_waitcnt vmcnt(0) lgkmcnt(0)
	flat_store_dword v[4:5], v119 offset:136
	flat_store_dword v[126:127], v121
.LBB110_584:
	s_or_b64 exec, exec, s[14:15]
	v_mov_b32_e32 v119, v118
	v_mov_b32_e32 v121, v118
.LBB110_585:
	s_or_b64 exec, exec, s[2:3]
.LBB110_586:
	s_andn2_saveexec_b64 s[0:1], s[0:1]
	s_cbranch_execz .LBB110_588
; %bb.587:
	v_mov_b32_e32 v121, 34
	ds_write2_b64 v120, v[42:43], v[40:41] offset0:35 offset1:36
	ds_write2_b64 v120, v[38:39], v[36:37] offset0:37 offset1:38
	ds_write2_b64 v120, v[34:35], v[32:33] offset0:39 offset1:40
	ds_write2_b64 v120, v[30:31], v[28:29] offset0:41 offset1:42
	ds_write2_b64 v120, v[26:27], v[24:25] offset0:43 offset1:44
	ds_write2_b64 v120, v[22:23], v[20:21] offset0:45 offset1:46
	ds_write2_b64 v120, v[18:19], v[16:17] offset0:47 offset1:48
	ds_write2_b64 v120, v[14:15], v[12:13] offset0:49 offset1:50
	ds_write2_b64 v120, v[10:11], v[8:9] offset0:51 offset1:52
	ds_write2_b64 v120, v[6:7], v[0:1] offset0:53 offset1:54
	ds_write_b64 v120, v[114:115] offset:440
.LBB110_588:
	s_or_b64 exec, exec, s[0:1]
	v_cmp_lt_i32_e32 vcc, 34, v121
	s_waitcnt lgkmcnt(0)
	s_barrier
	s_and_saveexec_b64 s[0:1], vcc
	s_cbranch_execz .LBB110_590
; %bb.589:
	ds_read2_b64 v[126:129], v120 offset0:35 offset1:36
	ds_read2_b64 v[130:133], v120 offset0:37 offset1:38
	v_mul_f64 v[44:45], v[116:117], v[44:45]
	ds_read2_b64 v[134:137], v120 offset0:39 offset1:40
	ds_read_b64 v[116:117], v120 offset:440
	s_waitcnt lgkmcnt(0)
	v_fma_f64 v[42:43], -v[44:45], v[126:127], v[42:43]
	v_fma_f64 v[40:41], -v[44:45], v[128:129], v[40:41]
	ds_read2_b64 v[126:129], v120 offset0:41 offset1:42
	v_fma_f64 v[38:39], -v[44:45], v[130:131], v[38:39]
	v_fma_f64 v[36:37], -v[44:45], v[132:133], v[36:37]
	;; [unrolled: 1-line block ×3, first 2 shown]
	ds_read2_b64 v[130:133], v120 offset0:43 offset1:44
	v_fma_f64 v[32:33], -v[44:45], v[136:137], v[32:33]
	ds_read2_b64 v[134:137], v120 offset0:45 offset1:46
	s_waitcnt lgkmcnt(0)
	v_fma_f64 v[30:31], -v[44:45], v[126:127], v[30:31]
	v_fma_f64 v[28:29], -v[44:45], v[128:129], v[28:29]
	ds_read2_b64 v[126:129], v120 offset0:47 offset1:48
	v_fma_f64 v[26:27], -v[44:45], v[130:131], v[26:27]
	v_fma_f64 v[24:25], -v[44:45], v[132:133], v[24:25]
	ds_read2_b64 v[130:133], v120 offset0:49 offset1:50
	v_fma_f64 v[22:23], -v[44:45], v[134:135], v[22:23]
	v_fma_f64 v[20:21], -v[44:45], v[136:137], v[20:21]
	s_waitcnt lgkmcnt(0)
	v_fma_f64 v[18:19], -v[44:45], v[126:127], v[18:19]
	v_fma_f64 v[16:17], -v[44:45], v[128:129], v[16:17]
	ds_read2_b64 v[126:129], v120 offset0:51 offset1:52
	ds_read2_b64 v[134:137], v120 offset0:53 offset1:54
	v_fma_f64 v[14:15], -v[44:45], v[130:131], v[14:15]
	v_fma_f64 v[12:13], -v[44:45], v[132:133], v[12:13]
	;; [unrolled: 1-line block ×3, first 2 shown]
	s_waitcnt lgkmcnt(0)
	v_fma_f64 v[10:11], -v[44:45], v[126:127], v[10:11]
	v_fma_f64 v[8:9], -v[44:45], v[128:129], v[8:9]
	;; [unrolled: 1-line block ×4, first 2 shown]
.LBB110_590:
	s_or_b64 exec, exec, s[0:1]
	v_lshl_add_u32 v116, v121, 3, v120
	s_barrier
	ds_write_b64 v116, v[42:43]
	s_waitcnt lgkmcnt(0)
	s_barrier
	ds_read_b64 v[116:117], v120 offset:280
	s_cmp_lt_i32 s18, 37
	v_mov_b32_e32 v118, 35
	s_cbranch_scc1 .LBB110_593
; %bb.591:
	v_add_u32_e32 v125, 0x120, v120
	s_mov_b32 s0, 36
	v_mov_b32_e32 v118, 35
.LBB110_592:                            ; =>This Inner Loop Header: Depth=1
	ds_read_b64 v[126:127], v125
	v_mov_b32_e32 v128, s0
	s_add_i32 s0, s0, 1
	v_add_u32_e32 v125, 8, v125
	s_cmp_lg_u32 s18, s0
	s_waitcnt lgkmcnt(0)
	v_cmp_lt_f64_e64 vcc, |v[116:117]|, |v[126:127]|
	v_cndmask_b32_e32 v117, v117, v127, vcc
	v_cndmask_b32_e32 v116, v116, v126, vcc
	;; [unrolled: 1-line block ×3, first 2 shown]
	s_cbranch_scc1 .LBB110_592
.LBB110_593:
	s_waitcnt lgkmcnt(0)
	v_cmp_eq_f64_e32 vcc, 0, v[116:117]
	s_and_saveexec_b64 s[0:1], vcc
	s_xor_b64 s[0:1], exec, s[0:1]
; %bb.594:
	v_cmp_ne_u32_e32 vcc, 0, v124
	v_cndmask_b32_e32 v124, 36, v124, vcc
; %bb.595:
	s_andn2_saveexec_b64 s[0:1], s[0:1]
; %bb.596:
	v_div_scale_f64 v[126:127], s[2:3], v[116:117], v[116:117], 1.0
	v_rcp_f64_e32 v[128:129], v[126:127]
	v_div_scale_f64 v[130:131], vcc, 1.0, v[116:117], 1.0
	v_fma_f64 v[132:133], -v[126:127], v[128:129], 1.0
	v_fmac_f64_e32 v[128:129], v[128:129], v[132:133]
	v_fma_f64 v[132:133], -v[126:127], v[128:129], 1.0
	v_fmac_f64_e32 v[128:129], v[128:129], v[132:133]
	v_mul_f64 v[132:133], v[130:131], v[128:129]
	v_fma_f64 v[126:127], -v[126:127], v[132:133], v[130:131]
	v_div_fmas_f64 v[126:127], v[126:127], v[128:129], v[132:133]
	v_div_fixup_f64 v[116:117], v[126:127], v[116:117], 1.0
; %bb.597:
	s_or_b64 exec, exec, s[0:1]
	v_cmp_ne_u32_e32 vcc, v121, v118
	s_and_saveexec_b64 s[0:1], vcc
	s_xor_b64 s[0:1], exec, s[0:1]
	s_cbranch_execz .LBB110_603
; %bb.598:
	v_cmp_eq_u32_e32 vcc, 35, v121
	s_and_saveexec_b64 s[2:3], vcc
	s_cbranch_execz .LBB110_602
; %bb.599:
	v_cmp_ne_u32_e32 vcc, 35, v118
	s_xor_b64 s[14:15], s[6:7], -1
	s_and_b64 s[16:17], s[14:15], vcc
	s_and_saveexec_b64 s[14:15], s[16:17]
	s_cbranch_execz .LBB110_601
; %bb.600:
	v_ashrrev_i32_e32 v119, 31, v118
	v_lshlrev_b64 v[126:127], 2, v[118:119]
	v_add_co_u32_e32 v126, vcc, v4, v126
	v_addc_co_u32_e32 v127, vcc, v5, v127, vcc
	flat_load_dword v119, v[126:127]
	flat_load_dword v121, v[4:5] offset:140
	s_waitcnt vmcnt(0) lgkmcnt(0)
	flat_store_dword v[4:5], v119 offset:140
	flat_store_dword v[126:127], v121
.LBB110_601:
	s_or_b64 exec, exec, s[14:15]
	v_mov_b32_e32 v119, v118
	v_mov_b32_e32 v121, v118
.LBB110_602:
	s_or_b64 exec, exec, s[2:3]
.LBB110_603:
	s_andn2_saveexec_b64 s[0:1], s[0:1]
	s_cbranch_execz .LBB110_605
; %bb.604:
	v_mov_b32_e32 v126, v40
	v_mov_b32_e32 v127, v41
	v_mov_b32_e32 v128, v38
	v_mov_b32_e32 v129, v39
	ds_write2_b64 v120, v[126:127], v[128:129] offset0:36 offset1:37
	v_mov_b32_e32 v126, v36
	v_mov_b32_e32 v127, v37
	v_mov_b32_e32 v128, v34
	v_mov_b32_e32 v129, v35
	ds_write2_b64 v120, v[126:127], v[128:129] offset0:38 offset1:39
	;; [unrolled: 5-line block ×9, first 2 shown]
	v_mov_b32_e32 v126, v0
	v_mov_b32_e32 v127, v1
	;; [unrolled: 1-line block ×3, first 2 shown]
	ds_write2_b64 v120, v[126:127], v[114:115] offset0:54 offset1:55
.LBB110_605:
	s_or_b64 exec, exec, s[0:1]
	v_cmp_lt_i32_e32 vcc, 35, v121
	s_waitcnt lgkmcnt(0)
	s_barrier
	s_and_saveexec_b64 s[0:1], vcc
	s_cbranch_execz .LBB110_607
; %bb.606:
	ds_read2_b64 v[126:129], v120 offset0:36 offset1:37
	ds_read2_b64 v[130:133], v120 offset0:38 offset1:39
	v_mul_f64 v[42:43], v[116:117], v[42:43]
	ds_read2_b64 v[134:137], v120 offset0:40 offset1:41
	s_waitcnt lgkmcnt(0)
	v_fma_f64 v[40:41], -v[42:43], v[126:127], v[40:41]
	v_fma_f64 v[38:39], -v[42:43], v[128:129], v[38:39]
	ds_read2_b64 v[126:129], v120 offset0:42 offset1:43
	v_fma_f64 v[36:37], -v[42:43], v[130:131], v[36:37]
	v_fma_f64 v[34:35], -v[42:43], v[132:133], v[34:35]
	;; [unrolled: 1-line block ×3, first 2 shown]
	ds_read2_b64 v[130:133], v120 offset0:44 offset1:45
	v_fma_f64 v[30:31], -v[42:43], v[136:137], v[30:31]
	ds_read2_b64 v[134:137], v120 offset0:46 offset1:47
	s_waitcnt lgkmcnt(0)
	v_fma_f64 v[28:29], -v[42:43], v[126:127], v[28:29]
	v_fma_f64 v[26:27], -v[42:43], v[128:129], v[26:27]
	ds_read2_b64 v[126:129], v120 offset0:48 offset1:49
	v_fma_f64 v[24:25], -v[42:43], v[130:131], v[24:25]
	v_fma_f64 v[22:23], -v[42:43], v[132:133], v[22:23]
	ds_read2_b64 v[130:133], v120 offset0:50 offset1:51
	v_fma_f64 v[20:21], -v[42:43], v[134:135], v[20:21]
	v_fma_f64 v[18:19], -v[42:43], v[136:137], v[18:19]
	s_waitcnt lgkmcnt(0)
	v_fma_f64 v[16:17], -v[42:43], v[126:127], v[16:17]
	ds_read2_b64 v[134:137], v120 offset0:52 offset1:53
	v_fma_f64 v[14:15], -v[42:43], v[128:129], v[14:15]
	ds_read2_b64 v[126:129], v120 offset0:54 offset1:55
	v_fma_f64 v[12:13], -v[42:43], v[130:131], v[12:13]
	v_fma_f64 v[10:11], -v[42:43], v[132:133], v[10:11]
	s_waitcnt lgkmcnt(0)
	v_fma_f64 v[8:9], -v[42:43], v[134:135], v[8:9]
	v_fma_f64 v[6:7], -v[42:43], v[136:137], v[6:7]
	;; [unrolled: 1-line block ×4, first 2 shown]
.LBB110_607:
	s_or_b64 exec, exec, s[0:1]
	v_lshl_add_u32 v116, v121, 3, v120
	s_barrier
	ds_write_b64 v116, v[40:41]
	s_waitcnt lgkmcnt(0)
	s_barrier
	ds_read_b64 v[116:117], v120 offset:288
	s_cmp_lt_i32 s18, 38
	v_mov_b32_e32 v118, 36
	s_cbranch_scc1 .LBB110_610
; %bb.608:
	v_add_u32_e32 v125, 0x128, v120
	s_mov_b32 s0, 37
	v_mov_b32_e32 v118, 36
.LBB110_609:                            ; =>This Inner Loop Header: Depth=1
	ds_read_b64 v[126:127], v125
	v_mov_b32_e32 v128, s0
	s_add_i32 s0, s0, 1
	v_add_u32_e32 v125, 8, v125
	s_cmp_lg_u32 s18, s0
	s_waitcnt lgkmcnt(0)
	v_cmp_lt_f64_e64 vcc, |v[116:117]|, |v[126:127]|
	v_cndmask_b32_e32 v117, v117, v127, vcc
	v_cndmask_b32_e32 v116, v116, v126, vcc
	;; [unrolled: 1-line block ×3, first 2 shown]
	s_cbranch_scc1 .LBB110_609
.LBB110_610:
	s_waitcnt lgkmcnt(0)
	v_cmp_eq_f64_e32 vcc, 0, v[116:117]
	s_and_saveexec_b64 s[0:1], vcc
	s_xor_b64 s[0:1], exec, s[0:1]
; %bb.611:
	v_cmp_ne_u32_e32 vcc, 0, v124
	v_cndmask_b32_e32 v124, 37, v124, vcc
; %bb.612:
	s_andn2_saveexec_b64 s[0:1], s[0:1]
; %bb.613:
	v_div_scale_f64 v[126:127], s[2:3], v[116:117], v[116:117], 1.0
	v_rcp_f64_e32 v[128:129], v[126:127]
	v_div_scale_f64 v[130:131], vcc, 1.0, v[116:117], 1.0
	v_fma_f64 v[132:133], -v[126:127], v[128:129], 1.0
	v_fmac_f64_e32 v[128:129], v[128:129], v[132:133]
	v_fma_f64 v[132:133], -v[126:127], v[128:129], 1.0
	v_fmac_f64_e32 v[128:129], v[128:129], v[132:133]
	v_mul_f64 v[132:133], v[130:131], v[128:129]
	v_fma_f64 v[126:127], -v[126:127], v[132:133], v[130:131]
	v_div_fmas_f64 v[126:127], v[126:127], v[128:129], v[132:133]
	v_div_fixup_f64 v[116:117], v[126:127], v[116:117], 1.0
; %bb.614:
	s_or_b64 exec, exec, s[0:1]
	v_cmp_ne_u32_e32 vcc, v121, v118
	s_and_saveexec_b64 s[0:1], vcc
	s_xor_b64 s[0:1], exec, s[0:1]
	s_cbranch_execz .LBB110_620
; %bb.615:
	v_cmp_eq_u32_e32 vcc, 36, v121
	s_and_saveexec_b64 s[2:3], vcc
	s_cbranch_execz .LBB110_619
; %bb.616:
	v_cmp_ne_u32_e32 vcc, 36, v118
	s_xor_b64 s[14:15], s[6:7], -1
	s_and_b64 s[16:17], s[14:15], vcc
	s_and_saveexec_b64 s[14:15], s[16:17]
	s_cbranch_execz .LBB110_618
; %bb.617:
	v_ashrrev_i32_e32 v119, 31, v118
	v_lshlrev_b64 v[126:127], 2, v[118:119]
	v_add_co_u32_e32 v126, vcc, v4, v126
	v_addc_co_u32_e32 v127, vcc, v5, v127, vcc
	flat_load_dword v119, v[126:127]
	flat_load_dword v121, v[4:5] offset:144
	s_waitcnt vmcnt(0) lgkmcnt(0)
	flat_store_dword v[4:5], v119 offset:144
	flat_store_dword v[126:127], v121
.LBB110_618:
	s_or_b64 exec, exec, s[14:15]
	v_mov_b32_e32 v119, v118
	v_mov_b32_e32 v121, v118
.LBB110_619:
	s_or_b64 exec, exec, s[2:3]
.LBB110_620:
	s_andn2_saveexec_b64 s[0:1], s[0:1]
	s_cbranch_execz .LBB110_622
; %bb.621:
	v_mov_b32_e32 v121, 36
	ds_write2_b64 v120, v[38:39], v[36:37] offset0:37 offset1:38
	ds_write2_b64 v120, v[34:35], v[32:33] offset0:39 offset1:40
	;; [unrolled: 1-line block ×9, first 2 shown]
	ds_write_b64 v120, v[114:115] offset:440
.LBB110_622:
	s_or_b64 exec, exec, s[0:1]
	v_cmp_lt_i32_e32 vcc, 36, v121
	s_waitcnt lgkmcnt(0)
	s_barrier
	s_and_saveexec_b64 s[0:1], vcc
	s_cbranch_execz .LBB110_624
; %bb.623:
	ds_read2_b64 v[126:129], v120 offset0:37 offset1:38
	ds_read2_b64 v[130:133], v120 offset0:39 offset1:40
	;; [unrolled: 1-line block ×3, first 2 shown]
	v_mul_f64 v[40:41], v[116:117], v[40:41]
	ds_read_b64 v[116:117], v120 offset:440
	s_waitcnt lgkmcnt(0)
	v_fma_f64 v[38:39], -v[40:41], v[126:127], v[38:39]
	v_fma_f64 v[36:37], -v[40:41], v[128:129], v[36:37]
	ds_read2_b64 v[126:129], v120 offset0:43 offset1:44
	v_fma_f64 v[34:35], -v[40:41], v[130:131], v[34:35]
	v_fma_f64 v[32:33], -v[40:41], v[132:133], v[32:33]
	;; [unrolled: 1-line block ×3, first 2 shown]
	ds_read2_b64 v[130:133], v120 offset0:45 offset1:46
	v_fma_f64 v[28:29], -v[40:41], v[136:137], v[28:29]
	ds_read2_b64 v[134:137], v120 offset0:47 offset1:48
	s_waitcnt lgkmcnt(0)
	v_fma_f64 v[26:27], -v[40:41], v[126:127], v[26:27]
	v_fma_f64 v[24:25], -v[40:41], v[128:129], v[24:25]
	;; [unrolled: 1-line block ×3, first 2 shown]
	ds_read2_b64 v[126:129], v120 offset0:49 offset1:50
	v_fma_f64 v[20:21], -v[40:41], v[132:133], v[20:21]
	ds_read2_b64 v[130:133], v120 offset0:51 offset1:52
	v_fma_f64 v[18:19], -v[40:41], v[134:135], v[18:19]
	v_fma_f64 v[16:17], -v[40:41], v[136:137], v[16:17]
	ds_read2_b64 v[134:137], v120 offset0:53 offset1:54
	s_waitcnt lgkmcnt(0)
	v_fma_f64 v[14:15], -v[40:41], v[126:127], v[14:15]
	v_fma_f64 v[12:13], -v[40:41], v[128:129], v[12:13]
	;; [unrolled: 1-line block ×7, first 2 shown]
.LBB110_624:
	s_or_b64 exec, exec, s[0:1]
	v_lshl_add_u32 v116, v121, 3, v120
	s_barrier
	ds_write_b64 v116, v[38:39]
	s_waitcnt lgkmcnt(0)
	s_barrier
	ds_read_b64 v[116:117], v120 offset:296
	s_cmp_lt_i32 s18, 39
	v_mov_b32_e32 v118, 37
	s_cbranch_scc1 .LBB110_627
; %bb.625:
	v_add_u32_e32 v125, 0x130, v120
	s_mov_b32 s0, 38
	v_mov_b32_e32 v118, 37
.LBB110_626:                            ; =>This Inner Loop Header: Depth=1
	ds_read_b64 v[126:127], v125
	v_mov_b32_e32 v128, s0
	s_add_i32 s0, s0, 1
	v_add_u32_e32 v125, 8, v125
	s_cmp_lg_u32 s18, s0
	s_waitcnt lgkmcnt(0)
	v_cmp_lt_f64_e64 vcc, |v[116:117]|, |v[126:127]|
	v_cndmask_b32_e32 v117, v117, v127, vcc
	v_cndmask_b32_e32 v116, v116, v126, vcc
	;; [unrolled: 1-line block ×3, first 2 shown]
	s_cbranch_scc1 .LBB110_626
.LBB110_627:
	s_waitcnt lgkmcnt(0)
	v_cmp_eq_f64_e32 vcc, 0, v[116:117]
	s_and_saveexec_b64 s[0:1], vcc
	s_xor_b64 s[0:1], exec, s[0:1]
; %bb.628:
	v_cmp_ne_u32_e32 vcc, 0, v124
	v_cndmask_b32_e32 v124, 38, v124, vcc
; %bb.629:
	s_andn2_saveexec_b64 s[0:1], s[0:1]
; %bb.630:
	v_div_scale_f64 v[126:127], s[2:3], v[116:117], v[116:117], 1.0
	v_rcp_f64_e32 v[128:129], v[126:127]
	v_div_scale_f64 v[130:131], vcc, 1.0, v[116:117], 1.0
	v_fma_f64 v[132:133], -v[126:127], v[128:129], 1.0
	v_fmac_f64_e32 v[128:129], v[128:129], v[132:133]
	v_fma_f64 v[132:133], -v[126:127], v[128:129], 1.0
	v_fmac_f64_e32 v[128:129], v[128:129], v[132:133]
	v_mul_f64 v[132:133], v[130:131], v[128:129]
	v_fma_f64 v[126:127], -v[126:127], v[132:133], v[130:131]
	v_div_fmas_f64 v[126:127], v[126:127], v[128:129], v[132:133]
	v_div_fixup_f64 v[116:117], v[126:127], v[116:117], 1.0
; %bb.631:
	s_or_b64 exec, exec, s[0:1]
	v_cmp_ne_u32_e32 vcc, v121, v118
	s_and_saveexec_b64 s[0:1], vcc
	s_xor_b64 s[0:1], exec, s[0:1]
	s_cbranch_execz .LBB110_637
; %bb.632:
	v_cmp_eq_u32_e32 vcc, 37, v121
	s_and_saveexec_b64 s[2:3], vcc
	s_cbranch_execz .LBB110_636
; %bb.633:
	v_cmp_ne_u32_e32 vcc, 37, v118
	s_xor_b64 s[14:15], s[6:7], -1
	s_and_b64 s[16:17], s[14:15], vcc
	s_and_saveexec_b64 s[14:15], s[16:17]
	s_cbranch_execz .LBB110_635
; %bb.634:
	v_ashrrev_i32_e32 v119, 31, v118
	v_lshlrev_b64 v[126:127], 2, v[118:119]
	v_add_co_u32_e32 v126, vcc, v4, v126
	v_addc_co_u32_e32 v127, vcc, v5, v127, vcc
	flat_load_dword v119, v[126:127]
	flat_load_dword v121, v[4:5] offset:148
	s_waitcnt vmcnt(0) lgkmcnt(0)
	flat_store_dword v[4:5], v119 offset:148
	flat_store_dword v[126:127], v121
.LBB110_635:
	s_or_b64 exec, exec, s[14:15]
	v_mov_b32_e32 v119, v118
	v_mov_b32_e32 v121, v118
.LBB110_636:
	s_or_b64 exec, exec, s[2:3]
.LBB110_637:
	s_andn2_saveexec_b64 s[0:1], s[0:1]
	s_cbranch_execz .LBB110_639
; %bb.638:
	v_mov_b32_e32 v126, v36
	v_mov_b32_e32 v127, v37
	v_mov_b32_e32 v128, v34
	v_mov_b32_e32 v129, v35
	ds_write2_b64 v120, v[126:127], v[128:129] offset0:38 offset1:39
	v_mov_b32_e32 v126, v32
	v_mov_b32_e32 v127, v33
	v_mov_b32_e32 v128, v30
	v_mov_b32_e32 v129, v31
	ds_write2_b64 v120, v[126:127], v[128:129] offset0:40 offset1:41
	;; [unrolled: 5-line block ×8, first 2 shown]
	v_mov_b32_e32 v126, v0
	v_mov_b32_e32 v127, v1
	;; [unrolled: 1-line block ×3, first 2 shown]
	ds_write2_b64 v120, v[126:127], v[114:115] offset0:54 offset1:55
.LBB110_639:
	s_or_b64 exec, exec, s[0:1]
	v_cmp_lt_i32_e32 vcc, 37, v121
	s_waitcnt lgkmcnt(0)
	s_barrier
	s_and_saveexec_b64 s[0:1], vcc
	s_cbranch_execz .LBB110_641
; %bb.640:
	ds_read2_b64 v[126:129], v120 offset0:38 offset1:39
	ds_read2_b64 v[130:133], v120 offset0:40 offset1:41
	;; [unrolled: 1-line block ×3, first 2 shown]
	v_mul_f64 v[38:39], v[116:117], v[38:39]
	s_waitcnt lgkmcnt(0)
	v_fma_f64 v[36:37], -v[38:39], v[126:127], v[36:37]
	v_fma_f64 v[34:35], -v[38:39], v[128:129], v[34:35]
	ds_read2_b64 v[126:129], v120 offset0:44 offset1:45
	v_fma_f64 v[32:33], -v[38:39], v[130:131], v[32:33]
	v_fma_f64 v[30:31], -v[38:39], v[132:133], v[30:31]
	;; [unrolled: 1-line block ×3, first 2 shown]
	ds_read2_b64 v[130:133], v120 offset0:46 offset1:47
	v_fma_f64 v[26:27], -v[38:39], v[136:137], v[26:27]
	ds_read2_b64 v[134:137], v120 offset0:48 offset1:49
	s_waitcnt lgkmcnt(0)
	v_fma_f64 v[24:25], -v[38:39], v[126:127], v[24:25]
	v_fma_f64 v[22:23], -v[38:39], v[128:129], v[22:23]
	;; [unrolled: 1-line block ×4, first 2 shown]
	ds_read2_b64 v[126:129], v120 offset0:50 offset1:51
	ds_read2_b64 v[130:133], v120 offset0:52 offset1:53
	v_fma_f64 v[16:17], -v[38:39], v[134:135], v[16:17]
	v_fma_f64 v[14:15], -v[38:39], v[136:137], v[14:15]
	ds_read2_b64 v[134:137], v120 offset0:54 offset1:55
	s_waitcnt lgkmcnt(0)
	v_fma_f64 v[12:13], -v[38:39], v[126:127], v[12:13]
	v_fma_f64 v[10:11], -v[38:39], v[128:129], v[10:11]
	;; [unrolled: 1-line block ×6, first 2 shown]
.LBB110_641:
	s_or_b64 exec, exec, s[0:1]
	v_lshl_add_u32 v116, v121, 3, v120
	s_barrier
	ds_write_b64 v116, v[36:37]
	s_waitcnt lgkmcnt(0)
	s_barrier
	ds_read_b64 v[116:117], v120 offset:304
	s_cmp_lt_i32 s18, 40
	v_mov_b32_e32 v118, 38
	s_cbranch_scc1 .LBB110_644
; %bb.642:
	v_add_u32_e32 v125, 0x138, v120
	s_mov_b32 s0, 39
	v_mov_b32_e32 v118, 38
.LBB110_643:                            ; =>This Inner Loop Header: Depth=1
	ds_read_b64 v[126:127], v125
	v_mov_b32_e32 v128, s0
	s_add_i32 s0, s0, 1
	v_add_u32_e32 v125, 8, v125
	s_cmp_lg_u32 s18, s0
	s_waitcnt lgkmcnt(0)
	v_cmp_lt_f64_e64 vcc, |v[116:117]|, |v[126:127]|
	v_cndmask_b32_e32 v117, v117, v127, vcc
	v_cndmask_b32_e32 v116, v116, v126, vcc
	v_cndmask_b32_e32 v118, v118, v128, vcc
	s_cbranch_scc1 .LBB110_643
.LBB110_644:
	s_waitcnt lgkmcnt(0)
	v_cmp_eq_f64_e32 vcc, 0, v[116:117]
	s_and_saveexec_b64 s[0:1], vcc
	s_xor_b64 s[0:1], exec, s[0:1]
; %bb.645:
	v_cmp_ne_u32_e32 vcc, 0, v124
	v_cndmask_b32_e32 v124, 39, v124, vcc
; %bb.646:
	s_andn2_saveexec_b64 s[0:1], s[0:1]
; %bb.647:
	v_div_scale_f64 v[126:127], s[2:3], v[116:117], v[116:117], 1.0
	v_rcp_f64_e32 v[128:129], v[126:127]
	v_div_scale_f64 v[130:131], vcc, 1.0, v[116:117], 1.0
	v_fma_f64 v[132:133], -v[126:127], v[128:129], 1.0
	v_fmac_f64_e32 v[128:129], v[128:129], v[132:133]
	v_fma_f64 v[132:133], -v[126:127], v[128:129], 1.0
	v_fmac_f64_e32 v[128:129], v[128:129], v[132:133]
	v_mul_f64 v[132:133], v[130:131], v[128:129]
	v_fma_f64 v[126:127], -v[126:127], v[132:133], v[130:131]
	v_div_fmas_f64 v[126:127], v[126:127], v[128:129], v[132:133]
	v_div_fixup_f64 v[116:117], v[126:127], v[116:117], 1.0
; %bb.648:
	s_or_b64 exec, exec, s[0:1]
	v_cmp_ne_u32_e32 vcc, v121, v118
	s_and_saveexec_b64 s[0:1], vcc
	s_xor_b64 s[0:1], exec, s[0:1]
	s_cbranch_execz .LBB110_654
; %bb.649:
	v_cmp_eq_u32_e32 vcc, 38, v121
	s_and_saveexec_b64 s[2:3], vcc
	s_cbranch_execz .LBB110_653
; %bb.650:
	v_cmp_ne_u32_e32 vcc, 38, v118
	s_xor_b64 s[14:15], s[6:7], -1
	s_and_b64 s[16:17], s[14:15], vcc
	s_and_saveexec_b64 s[14:15], s[16:17]
	s_cbranch_execz .LBB110_652
; %bb.651:
	v_ashrrev_i32_e32 v119, 31, v118
	v_lshlrev_b64 v[126:127], 2, v[118:119]
	v_add_co_u32_e32 v126, vcc, v4, v126
	v_addc_co_u32_e32 v127, vcc, v5, v127, vcc
	flat_load_dword v119, v[126:127]
	flat_load_dword v121, v[4:5] offset:152
	s_waitcnt vmcnt(0) lgkmcnt(0)
	flat_store_dword v[4:5], v119 offset:152
	flat_store_dword v[126:127], v121
.LBB110_652:
	s_or_b64 exec, exec, s[14:15]
	v_mov_b32_e32 v119, v118
	v_mov_b32_e32 v121, v118
.LBB110_653:
	s_or_b64 exec, exec, s[2:3]
.LBB110_654:
	s_andn2_saveexec_b64 s[0:1], s[0:1]
	s_cbranch_execz .LBB110_656
; %bb.655:
	v_mov_b32_e32 v121, 38
	ds_write2_b64 v120, v[34:35], v[32:33] offset0:39 offset1:40
	ds_write2_b64 v120, v[30:31], v[28:29] offset0:41 offset1:42
	;; [unrolled: 1-line block ×8, first 2 shown]
	ds_write_b64 v120, v[114:115] offset:440
.LBB110_656:
	s_or_b64 exec, exec, s[0:1]
	v_cmp_lt_i32_e32 vcc, 38, v121
	s_waitcnt lgkmcnt(0)
	s_barrier
	s_and_saveexec_b64 s[0:1], vcc
	s_cbranch_execz .LBB110_658
; %bb.657:
	ds_read2_b64 v[126:129], v120 offset0:39 offset1:40
	ds_read2_b64 v[130:133], v120 offset0:41 offset1:42
	v_mul_f64 v[36:37], v[116:117], v[36:37]
	ds_read2_b64 v[134:137], v120 offset0:43 offset1:44
	ds_read_b64 v[116:117], v120 offset:440
	s_waitcnt lgkmcnt(0)
	v_fma_f64 v[34:35], -v[36:37], v[126:127], v[34:35]
	v_fma_f64 v[32:33], -v[36:37], v[128:129], v[32:33]
	ds_read2_b64 v[126:129], v120 offset0:45 offset1:46
	v_fma_f64 v[30:31], -v[36:37], v[130:131], v[30:31]
	v_fma_f64 v[28:29], -v[36:37], v[132:133], v[28:29]
	ds_read2_b64 v[130:133], v120 offset0:47 offset1:48
	v_fma_f64 v[26:27], -v[36:37], v[134:135], v[26:27]
	v_fma_f64 v[24:25], -v[36:37], v[136:137], v[24:25]
	ds_read2_b64 v[134:137], v120 offset0:49 offset1:50
	s_waitcnt lgkmcnt(0)
	v_fma_f64 v[22:23], -v[36:37], v[126:127], v[22:23]
	v_fma_f64 v[20:21], -v[36:37], v[128:129], v[20:21]
	;; [unrolled: 1-line block ×4, first 2 shown]
	ds_read2_b64 v[126:129], v120 offset0:51 offset1:52
	ds_read2_b64 v[130:133], v120 offset0:53 offset1:54
	v_fma_f64 v[14:15], -v[36:37], v[134:135], v[14:15]
	v_fma_f64 v[12:13], -v[36:37], v[136:137], v[12:13]
	v_fma_f64 v[114:115], -v[36:37], v[116:117], v[114:115]
	s_waitcnt lgkmcnt(0)
	v_fma_f64 v[10:11], -v[36:37], v[126:127], v[10:11]
	v_fma_f64 v[8:9], -v[36:37], v[128:129], v[8:9]
	;; [unrolled: 1-line block ×4, first 2 shown]
.LBB110_658:
	s_or_b64 exec, exec, s[0:1]
	v_lshl_add_u32 v116, v121, 3, v120
	s_barrier
	ds_write_b64 v116, v[34:35]
	s_waitcnt lgkmcnt(0)
	s_barrier
	ds_read_b64 v[116:117], v120 offset:312
	s_cmp_lt_i32 s18, 41
	v_mov_b32_e32 v118, 39
	s_cbranch_scc1 .LBB110_661
; %bb.659:
	v_add_u32_e32 v125, 0x140, v120
	s_mov_b32 s0, 40
	v_mov_b32_e32 v118, 39
.LBB110_660:                            ; =>This Inner Loop Header: Depth=1
	ds_read_b64 v[126:127], v125
	v_mov_b32_e32 v128, s0
	s_add_i32 s0, s0, 1
	v_add_u32_e32 v125, 8, v125
	s_cmp_lg_u32 s18, s0
	s_waitcnt lgkmcnt(0)
	v_cmp_lt_f64_e64 vcc, |v[116:117]|, |v[126:127]|
	v_cndmask_b32_e32 v117, v117, v127, vcc
	v_cndmask_b32_e32 v116, v116, v126, vcc
	;; [unrolled: 1-line block ×3, first 2 shown]
	s_cbranch_scc1 .LBB110_660
.LBB110_661:
	s_waitcnt lgkmcnt(0)
	v_cmp_eq_f64_e32 vcc, 0, v[116:117]
	s_and_saveexec_b64 s[0:1], vcc
	s_xor_b64 s[0:1], exec, s[0:1]
; %bb.662:
	v_cmp_ne_u32_e32 vcc, 0, v124
	v_cndmask_b32_e32 v124, 40, v124, vcc
; %bb.663:
	s_andn2_saveexec_b64 s[0:1], s[0:1]
; %bb.664:
	v_div_scale_f64 v[126:127], s[2:3], v[116:117], v[116:117], 1.0
	v_rcp_f64_e32 v[128:129], v[126:127]
	v_div_scale_f64 v[130:131], vcc, 1.0, v[116:117], 1.0
	v_fma_f64 v[132:133], -v[126:127], v[128:129], 1.0
	v_fmac_f64_e32 v[128:129], v[128:129], v[132:133]
	v_fma_f64 v[132:133], -v[126:127], v[128:129], 1.0
	v_fmac_f64_e32 v[128:129], v[128:129], v[132:133]
	v_mul_f64 v[132:133], v[130:131], v[128:129]
	v_fma_f64 v[126:127], -v[126:127], v[132:133], v[130:131]
	v_div_fmas_f64 v[126:127], v[126:127], v[128:129], v[132:133]
	v_div_fixup_f64 v[116:117], v[126:127], v[116:117], 1.0
; %bb.665:
	s_or_b64 exec, exec, s[0:1]
	v_cmp_ne_u32_e32 vcc, v121, v118
	s_and_saveexec_b64 s[0:1], vcc
	s_xor_b64 s[0:1], exec, s[0:1]
	s_cbranch_execz .LBB110_671
; %bb.666:
	v_cmp_eq_u32_e32 vcc, 39, v121
	s_and_saveexec_b64 s[2:3], vcc
	s_cbranch_execz .LBB110_670
; %bb.667:
	v_cmp_ne_u32_e32 vcc, 39, v118
	s_xor_b64 s[14:15], s[6:7], -1
	s_and_b64 s[16:17], s[14:15], vcc
	s_and_saveexec_b64 s[14:15], s[16:17]
	s_cbranch_execz .LBB110_669
; %bb.668:
	v_ashrrev_i32_e32 v119, 31, v118
	v_lshlrev_b64 v[126:127], 2, v[118:119]
	v_add_co_u32_e32 v126, vcc, v4, v126
	v_addc_co_u32_e32 v127, vcc, v5, v127, vcc
	flat_load_dword v119, v[126:127]
	flat_load_dword v121, v[4:5] offset:156
	s_waitcnt vmcnt(0) lgkmcnt(0)
	flat_store_dword v[4:5], v119 offset:156
	flat_store_dword v[126:127], v121
.LBB110_669:
	s_or_b64 exec, exec, s[14:15]
	v_mov_b32_e32 v119, v118
	v_mov_b32_e32 v121, v118
.LBB110_670:
	s_or_b64 exec, exec, s[2:3]
.LBB110_671:
	s_andn2_saveexec_b64 s[0:1], s[0:1]
	s_cbranch_execz .LBB110_673
; %bb.672:
	v_mov_b32_e32 v126, v32
	v_mov_b32_e32 v127, v33
	v_mov_b32_e32 v128, v30
	v_mov_b32_e32 v129, v31
	ds_write2_b64 v120, v[126:127], v[128:129] offset0:40 offset1:41
	v_mov_b32_e32 v126, v28
	v_mov_b32_e32 v127, v29
	v_mov_b32_e32 v128, v26
	v_mov_b32_e32 v129, v27
	ds_write2_b64 v120, v[126:127], v[128:129] offset0:42 offset1:43
	;; [unrolled: 5-line block ×7, first 2 shown]
	v_mov_b32_e32 v126, v0
	v_mov_b32_e32 v127, v1
	;; [unrolled: 1-line block ×3, first 2 shown]
	ds_write2_b64 v120, v[126:127], v[114:115] offset0:54 offset1:55
.LBB110_673:
	s_or_b64 exec, exec, s[0:1]
	v_cmp_lt_i32_e32 vcc, 39, v121
	s_waitcnt lgkmcnt(0)
	s_barrier
	s_and_saveexec_b64 s[0:1], vcc
	s_cbranch_execz .LBB110_675
; %bb.674:
	ds_read2_b64 v[126:129], v120 offset0:40 offset1:41
	ds_read2_b64 v[130:133], v120 offset0:42 offset1:43
	v_mul_f64 v[34:35], v[116:117], v[34:35]
	ds_read2_b64 v[134:137], v120 offset0:44 offset1:45
	s_waitcnt lgkmcnt(0)
	v_fma_f64 v[32:33], -v[34:35], v[126:127], v[32:33]
	v_fma_f64 v[30:31], -v[34:35], v[128:129], v[30:31]
	ds_read2_b64 v[126:129], v120 offset0:46 offset1:47
	v_fma_f64 v[28:29], -v[34:35], v[130:131], v[28:29]
	v_fma_f64 v[26:27], -v[34:35], v[132:133], v[26:27]
	ds_read2_b64 v[130:133], v120 offset0:48 offset1:49
	v_fma_f64 v[24:25], -v[34:35], v[134:135], v[24:25]
	v_fma_f64 v[22:23], -v[34:35], v[136:137], v[22:23]
	s_waitcnt lgkmcnt(0)
	v_fma_f64 v[20:21], -v[34:35], v[126:127], v[20:21]
	v_fma_f64 v[18:19], -v[34:35], v[128:129], v[18:19]
	ds_read2_b64 v[126:129], v120 offset0:50 offset1:51
	v_fma_f64 v[16:17], -v[34:35], v[130:131], v[16:17]
	ds_read2_b64 v[134:137], v120 offset0:52 offset1:53
	v_fma_f64 v[14:15], -v[34:35], v[132:133], v[14:15]
	ds_read2_b64 v[130:133], v120 offset0:54 offset1:55
	s_waitcnt lgkmcnt(0)
	v_fma_f64 v[12:13], -v[34:35], v[126:127], v[12:13]
	v_fma_f64 v[10:11], -v[34:35], v[128:129], v[10:11]
	;; [unrolled: 1-line block ×6, first 2 shown]
.LBB110_675:
	s_or_b64 exec, exec, s[0:1]
	v_lshl_add_u32 v116, v121, 3, v120
	s_barrier
	ds_write_b64 v116, v[32:33]
	s_waitcnt lgkmcnt(0)
	s_barrier
	ds_read_b64 v[116:117], v120 offset:320
	s_cmp_lt_i32 s18, 42
	v_mov_b32_e32 v118, 40
	s_cbranch_scc1 .LBB110_678
; %bb.676:
	v_add_u32_e32 v125, 0x148, v120
	s_mov_b32 s0, 41
	v_mov_b32_e32 v118, 40
.LBB110_677:                            ; =>This Inner Loop Header: Depth=1
	ds_read_b64 v[126:127], v125
	v_mov_b32_e32 v128, s0
	s_add_i32 s0, s0, 1
	v_add_u32_e32 v125, 8, v125
	s_cmp_lg_u32 s18, s0
	s_waitcnt lgkmcnt(0)
	v_cmp_lt_f64_e64 vcc, |v[116:117]|, |v[126:127]|
	v_cndmask_b32_e32 v117, v117, v127, vcc
	v_cndmask_b32_e32 v116, v116, v126, vcc
	;; [unrolled: 1-line block ×3, first 2 shown]
	s_cbranch_scc1 .LBB110_677
.LBB110_678:
	s_waitcnt lgkmcnt(0)
	v_cmp_eq_f64_e32 vcc, 0, v[116:117]
	s_and_saveexec_b64 s[0:1], vcc
	s_xor_b64 s[0:1], exec, s[0:1]
; %bb.679:
	v_cmp_ne_u32_e32 vcc, 0, v124
	v_cndmask_b32_e32 v124, 41, v124, vcc
; %bb.680:
	s_andn2_saveexec_b64 s[0:1], s[0:1]
; %bb.681:
	v_div_scale_f64 v[126:127], s[2:3], v[116:117], v[116:117], 1.0
	v_rcp_f64_e32 v[128:129], v[126:127]
	v_div_scale_f64 v[130:131], vcc, 1.0, v[116:117], 1.0
	v_fma_f64 v[132:133], -v[126:127], v[128:129], 1.0
	v_fmac_f64_e32 v[128:129], v[128:129], v[132:133]
	v_fma_f64 v[132:133], -v[126:127], v[128:129], 1.0
	v_fmac_f64_e32 v[128:129], v[128:129], v[132:133]
	v_mul_f64 v[132:133], v[130:131], v[128:129]
	v_fma_f64 v[126:127], -v[126:127], v[132:133], v[130:131]
	v_div_fmas_f64 v[126:127], v[126:127], v[128:129], v[132:133]
	v_div_fixup_f64 v[116:117], v[126:127], v[116:117], 1.0
; %bb.682:
	s_or_b64 exec, exec, s[0:1]
	v_cmp_ne_u32_e32 vcc, v121, v118
	s_and_saveexec_b64 s[0:1], vcc
	s_xor_b64 s[0:1], exec, s[0:1]
	s_cbranch_execz .LBB110_688
; %bb.683:
	v_cmp_eq_u32_e32 vcc, 40, v121
	s_and_saveexec_b64 s[2:3], vcc
	s_cbranch_execz .LBB110_687
; %bb.684:
	v_cmp_ne_u32_e32 vcc, 40, v118
	s_xor_b64 s[14:15], s[6:7], -1
	s_and_b64 s[16:17], s[14:15], vcc
	s_and_saveexec_b64 s[14:15], s[16:17]
	s_cbranch_execz .LBB110_686
; %bb.685:
	v_ashrrev_i32_e32 v119, 31, v118
	v_lshlrev_b64 v[126:127], 2, v[118:119]
	v_add_co_u32_e32 v126, vcc, v4, v126
	v_addc_co_u32_e32 v127, vcc, v5, v127, vcc
	flat_load_dword v119, v[126:127]
	flat_load_dword v121, v[4:5] offset:160
	s_waitcnt vmcnt(0) lgkmcnt(0)
	flat_store_dword v[4:5], v119 offset:160
	flat_store_dword v[126:127], v121
.LBB110_686:
	s_or_b64 exec, exec, s[14:15]
	v_mov_b32_e32 v119, v118
	v_mov_b32_e32 v121, v118
.LBB110_687:
	s_or_b64 exec, exec, s[2:3]
.LBB110_688:
	s_andn2_saveexec_b64 s[0:1], s[0:1]
	s_cbranch_execz .LBB110_690
; %bb.689:
	v_mov_b32_e32 v121, 40
	ds_write2_b64 v120, v[30:31], v[28:29] offset0:41 offset1:42
	ds_write2_b64 v120, v[26:27], v[24:25] offset0:43 offset1:44
	;; [unrolled: 1-line block ×7, first 2 shown]
	ds_write_b64 v120, v[114:115] offset:440
.LBB110_690:
	s_or_b64 exec, exec, s[0:1]
	v_cmp_lt_i32_e32 vcc, 40, v121
	s_waitcnt lgkmcnt(0)
	s_barrier
	s_and_saveexec_b64 s[0:1], vcc
	s_cbranch_execz .LBB110_692
; %bb.691:
	ds_read2_b64 v[126:129], v120 offset0:41 offset1:42
	ds_read2_b64 v[130:133], v120 offset0:43 offset1:44
	v_mul_f64 v[32:33], v[116:117], v[32:33]
	ds_read2_b64 v[134:137], v120 offset0:45 offset1:46
	ds_read_b64 v[116:117], v120 offset:440
	s_waitcnt lgkmcnt(0)
	v_fma_f64 v[30:31], -v[32:33], v[126:127], v[30:31]
	v_fma_f64 v[28:29], -v[32:33], v[128:129], v[28:29]
	ds_read2_b64 v[126:129], v120 offset0:47 offset1:48
	v_fma_f64 v[26:27], -v[32:33], v[130:131], v[26:27]
	v_fma_f64 v[24:25], -v[32:33], v[132:133], v[24:25]
	;; [unrolled: 1-line block ×3, first 2 shown]
	ds_read2_b64 v[130:133], v120 offset0:49 offset1:50
	v_fma_f64 v[20:21], -v[32:33], v[136:137], v[20:21]
	s_waitcnt lgkmcnt(0)
	v_fma_f64 v[18:19], -v[32:33], v[126:127], v[18:19]
	v_fma_f64 v[16:17], -v[32:33], v[128:129], v[16:17]
	ds_read2_b64 v[126:129], v120 offset0:51 offset1:52
	ds_read2_b64 v[134:137], v120 offset0:53 offset1:54
	v_fma_f64 v[14:15], -v[32:33], v[130:131], v[14:15]
	v_fma_f64 v[12:13], -v[32:33], v[132:133], v[12:13]
	;; [unrolled: 1-line block ×3, first 2 shown]
	s_waitcnt lgkmcnt(0)
	v_fma_f64 v[10:11], -v[32:33], v[126:127], v[10:11]
	v_fma_f64 v[8:9], -v[32:33], v[128:129], v[8:9]
	v_fma_f64 v[6:7], -v[32:33], v[134:135], v[6:7]
	v_fma_f64 v[0:1], -v[32:33], v[136:137], v[0:1]
.LBB110_692:
	s_or_b64 exec, exec, s[0:1]
	v_lshl_add_u32 v116, v121, 3, v120
	s_barrier
	ds_write_b64 v116, v[30:31]
	s_waitcnt lgkmcnt(0)
	s_barrier
	ds_read_b64 v[116:117], v120 offset:328
	s_cmp_lt_i32 s18, 43
	v_mov_b32_e32 v118, 41
	s_cbranch_scc1 .LBB110_695
; %bb.693:
	v_add_u32_e32 v125, 0x150, v120
	s_mov_b32 s0, 42
	v_mov_b32_e32 v118, 41
.LBB110_694:                            ; =>This Inner Loop Header: Depth=1
	ds_read_b64 v[126:127], v125
	v_mov_b32_e32 v128, s0
	s_add_i32 s0, s0, 1
	v_add_u32_e32 v125, 8, v125
	s_cmp_lg_u32 s18, s0
	s_waitcnt lgkmcnt(0)
	v_cmp_lt_f64_e64 vcc, |v[116:117]|, |v[126:127]|
	v_cndmask_b32_e32 v117, v117, v127, vcc
	v_cndmask_b32_e32 v116, v116, v126, vcc
	;; [unrolled: 1-line block ×3, first 2 shown]
	s_cbranch_scc1 .LBB110_694
.LBB110_695:
	s_waitcnt lgkmcnt(0)
	v_cmp_eq_f64_e32 vcc, 0, v[116:117]
	s_and_saveexec_b64 s[0:1], vcc
	s_xor_b64 s[0:1], exec, s[0:1]
; %bb.696:
	v_cmp_ne_u32_e32 vcc, 0, v124
	v_cndmask_b32_e32 v124, 42, v124, vcc
; %bb.697:
	s_andn2_saveexec_b64 s[0:1], s[0:1]
; %bb.698:
	v_div_scale_f64 v[126:127], s[2:3], v[116:117], v[116:117], 1.0
	v_rcp_f64_e32 v[128:129], v[126:127]
	v_div_scale_f64 v[130:131], vcc, 1.0, v[116:117], 1.0
	v_fma_f64 v[132:133], -v[126:127], v[128:129], 1.0
	v_fmac_f64_e32 v[128:129], v[128:129], v[132:133]
	v_fma_f64 v[132:133], -v[126:127], v[128:129], 1.0
	v_fmac_f64_e32 v[128:129], v[128:129], v[132:133]
	v_mul_f64 v[132:133], v[130:131], v[128:129]
	v_fma_f64 v[126:127], -v[126:127], v[132:133], v[130:131]
	v_div_fmas_f64 v[126:127], v[126:127], v[128:129], v[132:133]
	v_div_fixup_f64 v[116:117], v[126:127], v[116:117], 1.0
; %bb.699:
	s_or_b64 exec, exec, s[0:1]
	v_cmp_ne_u32_e32 vcc, v121, v118
	s_and_saveexec_b64 s[0:1], vcc
	s_xor_b64 s[0:1], exec, s[0:1]
	s_cbranch_execz .LBB110_705
; %bb.700:
	v_cmp_eq_u32_e32 vcc, 41, v121
	s_and_saveexec_b64 s[2:3], vcc
	s_cbranch_execz .LBB110_704
; %bb.701:
	v_cmp_ne_u32_e32 vcc, 41, v118
	s_xor_b64 s[14:15], s[6:7], -1
	s_and_b64 s[16:17], s[14:15], vcc
	s_and_saveexec_b64 s[14:15], s[16:17]
	s_cbranch_execz .LBB110_703
; %bb.702:
	v_ashrrev_i32_e32 v119, 31, v118
	v_lshlrev_b64 v[126:127], 2, v[118:119]
	v_add_co_u32_e32 v126, vcc, v4, v126
	v_addc_co_u32_e32 v127, vcc, v5, v127, vcc
	flat_load_dword v119, v[126:127]
	flat_load_dword v121, v[4:5] offset:164
	s_waitcnt vmcnt(0) lgkmcnt(0)
	flat_store_dword v[4:5], v119 offset:164
	flat_store_dword v[126:127], v121
.LBB110_703:
	s_or_b64 exec, exec, s[14:15]
	v_mov_b32_e32 v119, v118
	v_mov_b32_e32 v121, v118
.LBB110_704:
	s_or_b64 exec, exec, s[2:3]
.LBB110_705:
	s_andn2_saveexec_b64 s[0:1], s[0:1]
	s_cbranch_execz .LBB110_707
; %bb.706:
	v_mov_b32_e32 v126, v28
	v_mov_b32_e32 v127, v29
	v_mov_b32_e32 v128, v26
	v_mov_b32_e32 v129, v27
	ds_write2_b64 v120, v[126:127], v[128:129] offset0:42 offset1:43
	v_mov_b32_e32 v126, v24
	v_mov_b32_e32 v127, v25
	v_mov_b32_e32 v128, v22
	v_mov_b32_e32 v129, v23
	ds_write2_b64 v120, v[126:127], v[128:129] offset0:44 offset1:45
	;; [unrolled: 5-line block ×6, first 2 shown]
	v_mov_b32_e32 v126, v0
	v_mov_b32_e32 v127, v1
	;; [unrolled: 1-line block ×3, first 2 shown]
	ds_write2_b64 v120, v[126:127], v[114:115] offset0:54 offset1:55
.LBB110_707:
	s_or_b64 exec, exec, s[0:1]
	v_cmp_lt_i32_e32 vcc, 41, v121
	s_waitcnt lgkmcnt(0)
	s_barrier
	s_and_saveexec_b64 s[0:1], vcc
	s_cbranch_execz .LBB110_709
; %bb.708:
	ds_read2_b64 v[126:129], v120 offset0:42 offset1:43
	ds_read2_b64 v[130:133], v120 offset0:44 offset1:45
	v_mul_f64 v[30:31], v[116:117], v[30:31]
	ds_read2_b64 v[134:137], v120 offset0:46 offset1:47
	s_waitcnt lgkmcnt(0)
	v_fma_f64 v[28:29], -v[30:31], v[126:127], v[28:29]
	v_fma_f64 v[26:27], -v[30:31], v[128:129], v[26:27]
	ds_read2_b64 v[126:129], v120 offset0:48 offset1:49
	v_fma_f64 v[24:25], -v[30:31], v[130:131], v[24:25]
	v_fma_f64 v[22:23], -v[30:31], v[132:133], v[22:23]
	;; [unrolled: 1-line block ×4, first 2 shown]
	ds_read2_b64 v[130:133], v120 offset0:50 offset1:51
	ds_read2_b64 v[134:137], v120 offset0:52 offset1:53
	s_waitcnt lgkmcnt(0)
	v_fma_f64 v[16:17], -v[30:31], v[126:127], v[16:17]
	v_fma_f64 v[14:15], -v[30:31], v[128:129], v[14:15]
	ds_read2_b64 v[126:129], v120 offset0:54 offset1:55
	v_fma_f64 v[12:13], -v[30:31], v[130:131], v[12:13]
	v_fma_f64 v[10:11], -v[30:31], v[132:133], v[10:11]
	;; [unrolled: 1-line block ×4, first 2 shown]
	s_waitcnt lgkmcnt(0)
	v_fma_f64 v[0:1], -v[30:31], v[126:127], v[0:1]
	v_fma_f64 v[114:115], -v[30:31], v[128:129], v[114:115]
.LBB110_709:
	s_or_b64 exec, exec, s[0:1]
	v_lshl_add_u32 v116, v121, 3, v120
	s_barrier
	ds_write_b64 v116, v[28:29]
	s_waitcnt lgkmcnt(0)
	s_barrier
	ds_read_b64 v[116:117], v120 offset:336
	s_cmp_lt_i32 s18, 44
	v_mov_b32_e32 v118, 42
	s_cbranch_scc1 .LBB110_712
; %bb.710:
	v_add_u32_e32 v125, 0x158, v120
	s_mov_b32 s0, 43
	v_mov_b32_e32 v118, 42
.LBB110_711:                            ; =>This Inner Loop Header: Depth=1
	ds_read_b64 v[126:127], v125
	v_mov_b32_e32 v128, s0
	s_add_i32 s0, s0, 1
	v_add_u32_e32 v125, 8, v125
	s_cmp_lg_u32 s18, s0
	s_waitcnt lgkmcnt(0)
	v_cmp_lt_f64_e64 vcc, |v[116:117]|, |v[126:127]|
	v_cndmask_b32_e32 v117, v117, v127, vcc
	v_cndmask_b32_e32 v116, v116, v126, vcc
	;; [unrolled: 1-line block ×3, first 2 shown]
	s_cbranch_scc1 .LBB110_711
.LBB110_712:
	s_waitcnt lgkmcnt(0)
	v_cmp_eq_f64_e32 vcc, 0, v[116:117]
	s_and_saveexec_b64 s[0:1], vcc
	s_xor_b64 s[0:1], exec, s[0:1]
; %bb.713:
	v_cmp_ne_u32_e32 vcc, 0, v124
	v_cndmask_b32_e32 v124, 43, v124, vcc
; %bb.714:
	s_andn2_saveexec_b64 s[0:1], s[0:1]
; %bb.715:
	v_div_scale_f64 v[126:127], s[2:3], v[116:117], v[116:117], 1.0
	v_rcp_f64_e32 v[128:129], v[126:127]
	v_div_scale_f64 v[130:131], vcc, 1.0, v[116:117], 1.0
	v_fma_f64 v[132:133], -v[126:127], v[128:129], 1.0
	v_fmac_f64_e32 v[128:129], v[128:129], v[132:133]
	v_fma_f64 v[132:133], -v[126:127], v[128:129], 1.0
	v_fmac_f64_e32 v[128:129], v[128:129], v[132:133]
	v_mul_f64 v[132:133], v[130:131], v[128:129]
	v_fma_f64 v[126:127], -v[126:127], v[132:133], v[130:131]
	v_div_fmas_f64 v[126:127], v[126:127], v[128:129], v[132:133]
	v_div_fixup_f64 v[116:117], v[126:127], v[116:117], 1.0
; %bb.716:
	s_or_b64 exec, exec, s[0:1]
	v_cmp_ne_u32_e32 vcc, v121, v118
	s_and_saveexec_b64 s[0:1], vcc
	s_xor_b64 s[0:1], exec, s[0:1]
	s_cbranch_execz .LBB110_722
; %bb.717:
	v_cmp_eq_u32_e32 vcc, 42, v121
	s_and_saveexec_b64 s[2:3], vcc
	s_cbranch_execz .LBB110_721
; %bb.718:
	v_cmp_ne_u32_e32 vcc, 42, v118
	s_xor_b64 s[14:15], s[6:7], -1
	s_and_b64 s[16:17], s[14:15], vcc
	s_and_saveexec_b64 s[14:15], s[16:17]
	s_cbranch_execz .LBB110_720
; %bb.719:
	v_ashrrev_i32_e32 v119, 31, v118
	v_lshlrev_b64 v[126:127], 2, v[118:119]
	v_add_co_u32_e32 v126, vcc, v4, v126
	v_addc_co_u32_e32 v127, vcc, v5, v127, vcc
	flat_load_dword v119, v[126:127]
	flat_load_dword v121, v[4:5] offset:168
	s_waitcnt vmcnt(0) lgkmcnt(0)
	flat_store_dword v[4:5], v119 offset:168
	flat_store_dword v[126:127], v121
.LBB110_720:
	s_or_b64 exec, exec, s[14:15]
	v_mov_b32_e32 v119, v118
	v_mov_b32_e32 v121, v118
.LBB110_721:
	s_or_b64 exec, exec, s[2:3]
.LBB110_722:
	s_andn2_saveexec_b64 s[0:1], s[0:1]
	s_cbranch_execz .LBB110_724
; %bb.723:
	v_mov_b32_e32 v121, 42
	ds_write2_b64 v120, v[26:27], v[24:25] offset0:43 offset1:44
	ds_write2_b64 v120, v[22:23], v[20:21] offset0:45 offset1:46
	;; [unrolled: 1-line block ×6, first 2 shown]
	ds_write_b64 v120, v[114:115] offset:440
.LBB110_724:
	s_or_b64 exec, exec, s[0:1]
	v_cmp_lt_i32_e32 vcc, 42, v121
	s_waitcnt lgkmcnt(0)
	s_barrier
	s_and_saveexec_b64 s[0:1], vcc
	s_cbranch_execz .LBB110_726
; %bb.725:
	ds_read2_b64 v[126:129], v120 offset0:43 offset1:44
	ds_read2_b64 v[130:133], v120 offset0:45 offset1:46
	;; [unrolled: 1-line block ×3, first 2 shown]
	v_mul_f64 v[28:29], v[116:117], v[28:29]
	ds_read_b64 v[116:117], v120 offset:440
	s_waitcnt lgkmcnt(0)
	v_fma_f64 v[26:27], -v[28:29], v[126:127], v[26:27]
	v_fma_f64 v[24:25], -v[28:29], v[128:129], v[24:25]
	ds_read2_b64 v[126:129], v120 offset0:49 offset1:50
	v_fma_f64 v[22:23], -v[28:29], v[130:131], v[22:23]
	v_fma_f64 v[20:21], -v[28:29], v[132:133], v[20:21]
	;; [unrolled: 1-line block ×4, first 2 shown]
	ds_read2_b64 v[130:133], v120 offset0:51 offset1:52
	ds_read2_b64 v[134:137], v120 offset0:53 offset1:54
	s_waitcnt lgkmcnt(0)
	v_fma_f64 v[14:15], -v[28:29], v[126:127], v[14:15]
	v_fma_f64 v[12:13], -v[28:29], v[128:129], v[12:13]
	v_fma_f64 v[114:115], -v[28:29], v[116:117], v[114:115]
	v_fma_f64 v[10:11], -v[28:29], v[130:131], v[10:11]
	v_fma_f64 v[8:9], -v[28:29], v[132:133], v[8:9]
	v_fma_f64 v[6:7], -v[28:29], v[134:135], v[6:7]
	v_fma_f64 v[0:1], -v[28:29], v[136:137], v[0:1]
.LBB110_726:
	s_or_b64 exec, exec, s[0:1]
	v_lshl_add_u32 v116, v121, 3, v120
	s_barrier
	ds_write_b64 v116, v[26:27]
	s_waitcnt lgkmcnt(0)
	s_barrier
	ds_read_b64 v[116:117], v120 offset:344
	s_cmp_lt_i32 s18, 45
	v_mov_b32_e32 v118, 43
	s_cbranch_scc1 .LBB110_729
; %bb.727:
	v_add_u32_e32 v125, 0x160, v120
	s_mov_b32 s0, 44
	v_mov_b32_e32 v118, 43
.LBB110_728:                            ; =>This Inner Loop Header: Depth=1
	ds_read_b64 v[126:127], v125
	v_mov_b32_e32 v128, s0
	s_add_i32 s0, s0, 1
	v_add_u32_e32 v125, 8, v125
	s_cmp_lg_u32 s18, s0
	s_waitcnt lgkmcnt(0)
	v_cmp_lt_f64_e64 vcc, |v[116:117]|, |v[126:127]|
	v_cndmask_b32_e32 v117, v117, v127, vcc
	v_cndmask_b32_e32 v116, v116, v126, vcc
	;; [unrolled: 1-line block ×3, first 2 shown]
	s_cbranch_scc1 .LBB110_728
.LBB110_729:
	s_waitcnt lgkmcnt(0)
	v_cmp_eq_f64_e32 vcc, 0, v[116:117]
	s_and_saveexec_b64 s[0:1], vcc
	s_xor_b64 s[0:1], exec, s[0:1]
; %bb.730:
	v_cmp_ne_u32_e32 vcc, 0, v124
	v_cndmask_b32_e32 v124, 44, v124, vcc
; %bb.731:
	s_andn2_saveexec_b64 s[0:1], s[0:1]
; %bb.732:
	v_div_scale_f64 v[126:127], s[2:3], v[116:117], v[116:117], 1.0
	v_rcp_f64_e32 v[128:129], v[126:127]
	v_div_scale_f64 v[130:131], vcc, 1.0, v[116:117], 1.0
	v_fma_f64 v[132:133], -v[126:127], v[128:129], 1.0
	v_fmac_f64_e32 v[128:129], v[128:129], v[132:133]
	v_fma_f64 v[132:133], -v[126:127], v[128:129], 1.0
	v_fmac_f64_e32 v[128:129], v[128:129], v[132:133]
	v_mul_f64 v[132:133], v[130:131], v[128:129]
	v_fma_f64 v[126:127], -v[126:127], v[132:133], v[130:131]
	v_div_fmas_f64 v[126:127], v[126:127], v[128:129], v[132:133]
	v_div_fixup_f64 v[116:117], v[126:127], v[116:117], 1.0
; %bb.733:
	s_or_b64 exec, exec, s[0:1]
	v_cmp_ne_u32_e32 vcc, v121, v118
	s_and_saveexec_b64 s[0:1], vcc
	s_xor_b64 s[0:1], exec, s[0:1]
	s_cbranch_execz .LBB110_739
; %bb.734:
	v_cmp_eq_u32_e32 vcc, 43, v121
	s_and_saveexec_b64 s[2:3], vcc
	s_cbranch_execz .LBB110_738
; %bb.735:
	v_cmp_ne_u32_e32 vcc, 43, v118
	s_xor_b64 s[14:15], s[6:7], -1
	s_and_b64 s[16:17], s[14:15], vcc
	s_and_saveexec_b64 s[14:15], s[16:17]
	s_cbranch_execz .LBB110_737
; %bb.736:
	v_ashrrev_i32_e32 v119, 31, v118
	v_lshlrev_b64 v[126:127], 2, v[118:119]
	v_add_co_u32_e32 v126, vcc, v4, v126
	v_addc_co_u32_e32 v127, vcc, v5, v127, vcc
	flat_load_dword v119, v[126:127]
	flat_load_dword v121, v[4:5] offset:172
	s_waitcnt vmcnt(0) lgkmcnt(0)
	flat_store_dword v[4:5], v119 offset:172
	flat_store_dword v[126:127], v121
.LBB110_737:
	s_or_b64 exec, exec, s[14:15]
	v_mov_b32_e32 v119, v118
	v_mov_b32_e32 v121, v118
.LBB110_738:
	s_or_b64 exec, exec, s[2:3]
.LBB110_739:
	s_andn2_saveexec_b64 s[0:1], s[0:1]
	s_cbranch_execz .LBB110_741
; %bb.740:
	v_mov_b32_e32 v126, v24
	v_mov_b32_e32 v127, v25
	v_mov_b32_e32 v128, v22
	v_mov_b32_e32 v129, v23
	ds_write2_b64 v120, v[126:127], v[128:129] offset0:44 offset1:45
	v_mov_b32_e32 v126, v20
	v_mov_b32_e32 v127, v21
	v_mov_b32_e32 v128, v18
	v_mov_b32_e32 v129, v19
	ds_write2_b64 v120, v[126:127], v[128:129] offset0:46 offset1:47
	;; [unrolled: 5-line block ×5, first 2 shown]
	v_mov_b32_e32 v126, v0
	v_mov_b32_e32 v127, v1
	;; [unrolled: 1-line block ×3, first 2 shown]
	ds_write2_b64 v120, v[126:127], v[114:115] offset0:54 offset1:55
.LBB110_741:
	s_or_b64 exec, exec, s[0:1]
	v_cmp_lt_i32_e32 vcc, 43, v121
	s_waitcnt lgkmcnt(0)
	s_barrier
	s_and_saveexec_b64 s[0:1], vcc
	s_cbranch_execz .LBB110_743
; %bb.742:
	ds_read2_b64 v[126:129], v120 offset0:44 offset1:45
	ds_read2_b64 v[130:133], v120 offset0:46 offset1:47
	;; [unrolled: 1-line block ×3, first 2 shown]
	v_mul_f64 v[26:27], v[116:117], v[26:27]
	s_waitcnt lgkmcnt(0)
	v_fma_f64 v[24:25], -v[26:27], v[126:127], v[24:25]
	v_fma_f64 v[22:23], -v[26:27], v[128:129], v[22:23]
	ds_read2_b64 v[126:129], v120 offset0:50 offset1:51
	v_fma_f64 v[20:21], -v[26:27], v[130:131], v[20:21]
	v_fma_f64 v[18:19], -v[26:27], v[132:133], v[18:19]
	;; [unrolled: 1-line block ×3, first 2 shown]
	ds_read2_b64 v[130:133], v120 offset0:52 offset1:53
	v_fma_f64 v[14:15], -v[26:27], v[136:137], v[14:15]
	ds_read2_b64 v[134:137], v120 offset0:54 offset1:55
	s_waitcnt lgkmcnt(0)
	v_fma_f64 v[12:13], -v[26:27], v[126:127], v[12:13]
	v_fma_f64 v[10:11], -v[26:27], v[128:129], v[10:11]
	;; [unrolled: 1-line block ×6, first 2 shown]
.LBB110_743:
	s_or_b64 exec, exec, s[0:1]
	v_lshl_add_u32 v116, v121, 3, v120
	s_barrier
	ds_write_b64 v116, v[24:25]
	s_waitcnt lgkmcnt(0)
	s_barrier
	ds_read_b64 v[116:117], v120 offset:352
	s_cmp_lt_i32 s18, 46
	v_mov_b32_e32 v118, 44
	s_cbranch_scc1 .LBB110_746
; %bb.744:
	v_add_u32_e32 v125, 0x168, v120
	s_mov_b32 s0, 45
	v_mov_b32_e32 v118, 44
.LBB110_745:                            ; =>This Inner Loop Header: Depth=1
	ds_read_b64 v[126:127], v125
	v_mov_b32_e32 v128, s0
	s_add_i32 s0, s0, 1
	v_add_u32_e32 v125, 8, v125
	s_cmp_lg_u32 s18, s0
	s_waitcnt lgkmcnt(0)
	v_cmp_lt_f64_e64 vcc, |v[116:117]|, |v[126:127]|
	v_cndmask_b32_e32 v117, v117, v127, vcc
	v_cndmask_b32_e32 v116, v116, v126, vcc
	;; [unrolled: 1-line block ×3, first 2 shown]
	s_cbranch_scc1 .LBB110_745
.LBB110_746:
	s_waitcnt lgkmcnt(0)
	v_cmp_eq_f64_e32 vcc, 0, v[116:117]
	s_and_saveexec_b64 s[0:1], vcc
	s_xor_b64 s[0:1], exec, s[0:1]
; %bb.747:
	v_cmp_ne_u32_e32 vcc, 0, v124
	v_cndmask_b32_e32 v124, 45, v124, vcc
; %bb.748:
	s_andn2_saveexec_b64 s[0:1], s[0:1]
; %bb.749:
	v_div_scale_f64 v[126:127], s[2:3], v[116:117], v[116:117], 1.0
	v_rcp_f64_e32 v[128:129], v[126:127]
	v_div_scale_f64 v[130:131], vcc, 1.0, v[116:117], 1.0
	v_fma_f64 v[132:133], -v[126:127], v[128:129], 1.0
	v_fmac_f64_e32 v[128:129], v[128:129], v[132:133]
	v_fma_f64 v[132:133], -v[126:127], v[128:129], 1.0
	v_fmac_f64_e32 v[128:129], v[128:129], v[132:133]
	v_mul_f64 v[132:133], v[130:131], v[128:129]
	v_fma_f64 v[126:127], -v[126:127], v[132:133], v[130:131]
	v_div_fmas_f64 v[126:127], v[126:127], v[128:129], v[132:133]
	v_div_fixup_f64 v[116:117], v[126:127], v[116:117], 1.0
; %bb.750:
	s_or_b64 exec, exec, s[0:1]
	v_cmp_ne_u32_e32 vcc, v121, v118
	s_and_saveexec_b64 s[0:1], vcc
	s_xor_b64 s[0:1], exec, s[0:1]
	s_cbranch_execz .LBB110_756
; %bb.751:
	v_cmp_eq_u32_e32 vcc, 44, v121
	s_and_saveexec_b64 s[2:3], vcc
	s_cbranch_execz .LBB110_755
; %bb.752:
	v_cmp_ne_u32_e32 vcc, 44, v118
	s_xor_b64 s[14:15], s[6:7], -1
	s_and_b64 s[16:17], s[14:15], vcc
	s_and_saveexec_b64 s[14:15], s[16:17]
	s_cbranch_execz .LBB110_754
; %bb.753:
	v_ashrrev_i32_e32 v119, 31, v118
	v_lshlrev_b64 v[126:127], 2, v[118:119]
	v_add_co_u32_e32 v126, vcc, v4, v126
	v_addc_co_u32_e32 v127, vcc, v5, v127, vcc
	flat_load_dword v119, v[126:127]
	flat_load_dword v121, v[4:5] offset:176
	s_waitcnt vmcnt(0) lgkmcnt(0)
	flat_store_dword v[4:5], v119 offset:176
	flat_store_dword v[126:127], v121
.LBB110_754:
	s_or_b64 exec, exec, s[14:15]
	v_mov_b32_e32 v119, v118
	v_mov_b32_e32 v121, v118
.LBB110_755:
	s_or_b64 exec, exec, s[2:3]
.LBB110_756:
	s_andn2_saveexec_b64 s[0:1], s[0:1]
	s_cbranch_execz .LBB110_758
; %bb.757:
	v_mov_b32_e32 v121, 44
	ds_write2_b64 v120, v[22:23], v[20:21] offset0:45 offset1:46
	ds_write2_b64 v120, v[18:19], v[16:17] offset0:47 offset1:48
	ds_write2_b64 v120, v[14:15], v[12:13] offset0:49 offset1:50
	ds_write2_b64 v120, v[10:11], v[8:9] offset0:51 offset1:52
	ds_write2_b64 v120, v[6:7], v[0:1] offset0:53 offset1:54
	ds_write_b64 v120, v[114:115] offset:440
.LBB110_758:
	s_or_b64 exec, exec, s[0:1]
	v_cmp_lt_i32_e32 vcc, 44, v121
	s_waitcnt lgkmcnt(0)
	s_barrier
	s_and_saveexec_b64 s[0:1], vcc
	s_cbranch_execz .LBB110_760
; %bb.759:
	ds_read2_b64 v[126:129], v120 offset0:45 offset1:46
	ds_read2_b64 v[130:133], v120 offset0:47 offset1:48
	v_mul_f64 v[24:25], v[116:117], v[24:25]
	ds_read2_b64 v[134:137], v120 offset0:49 offset1:50
	ds_read_b64 v[116:117], v120 offset:440
	s_waitcnt lgkmcnt(0)
	v_fma_f64 v[22:23], -v[24:25], v[126:127], v[22:23]
	v_fma_f64 v[20:21], -v[24:25], v[128:129], v[20:21]
	ds_read2_b64 v[126:129], v120 offset0:51 offset1:52
	v_fma_f64 v[18:19], -v[24:25], v[130:131], v[18:19]
	v_fma_f64 v[16:17], -v[24:25], v[132:133], v[16:17]
	ds_read2_b64 v[130:133], v120 offset0:53 offset1:54
	v_fma_f64 v[14:15], -v[24:25], v[134:135], v[14:15]
	v_fma_f64 v[12:13], -v[24:25], v[136:137], v[12:13]
	s_waitcnt lgkmcnt(0)
	v_fma_f64 v[10:11], -v[24:25], v[126:127], v[10:11]
	v_fma_f64 v[8:9], -v[24:25], v[128:129], v[8:9]
	;; [unrolled: 1-line block ×5, first 2 shown]
.LBB110_760:
	s_or_b64 exec, exec, s[0:1]
	v_lshl_add_u32 v116, v121, 3, v120
	s_barrier
	ds_write_b64 v116, v[22:23]
	s_waitcnt lgkmcnt(0)
	s_barrier
	ds_read_b64 v[116:117], v120 offset:360
	s_cmp_lt_i32 s18, 47
	v_mov_b32_e32 v118, 45
	s_cbranch_scc1 .LBB110_763
; %bb.761:
	v_add_u32_e32 v125, 0x170, v120
	s_mov_b32 s0, 46
	v_mov_b32_e32 v118, 45
.LBB110_762:                            ; =>This Inner Loop Header: Depth=1
	ds_read_b64 v[126:127], v125
	v_mov_b32_e32 v128, s0
	s_add_i32 s0, s0, 1
	v_add_u32_e32 v125, 8, v125
	s_cmp_lg_u32 s18, s0
	s_waitcnt lgkmcnt(0)
	v_cmp_lt_f64_e64 vcc, |v[116:117]|, |v[126:127]|
	v_cndmask_b32_e32 v117, v117, v127, vcc
	v_cndmask_b32_e32 v116, v116, v126, vcc
	;; [unrolled: 1-line block ×3, first 2 shown]
	s_cbranch_scc1 .LBB110_762
.LBB110_763:
	s_waitcnt lgkmcnt(0)
	v_cmp_eq_f64_e32 vcc, 0, v[116:117]
	s_and_saveexec_b64 s[0:1], vcc
	s_xor_b64 s[0:1], exec, s[0:1]
; %bb.764:
	v_cmp_ne_u32_e32 vcc, 0, v124
	v_cndmask_b32_e32 v124, 46, v124, vcc
; %bb.765:
	s_andn2_saveexec_b64 s[0:1], s[0:1]
; %bb.766:
	v_div_scale_f64 v[126:127], s[2:3], v[116:117], v[116:117], 1.0
	v_rcp_f64_e32 v[128:129], v[126:127]
	v_div_scale_f64 v[130:131], vcc, 1.0, v[116:117], 1.0
	v_fma_f64 v[132:133], -v[126:127], v[128:129], 1.0
	v_fmac_f64_e32 v[128:129], v[128:129], v[132:133]
	v_fma_f64 v[132:133], -v[126:127], v[128:129], 1.0
	v_fmac_f64_e32 v[128:129], v[128:129], v[132:133]
	v_mul_f64 v[132:133], v[130:131], v[128:129]
	v_fma_f64 v[126:127], -v[126:127], v[132:133], v[130:131]
	v_div_fmas_f64 v[126:127], v[126:127], v[128:129], v[132:133]
	v_div_fixup_f64 v[116:117], v[126:127], v[116:117], 1.0
; %bb.767:
	s_or_b64 exec, exec, s[0:1]
	v_cmp_ne_u32_e32 vcc, v121, v118
	s_and_saveexec_b64 s[0:1], vcc
	s_xor_b64 s[0:1], exec, s[0:1]
	s_cbranch_execz .LBB110_773
; %bb.768:
	v_cmp_eq_u32_e32 vcc, 45, v121
	s_and_saveexec_b64 s[2:3], vcc
	s_cbranch_execz .LBB110_772
; %bb.769:
	v_cmp_ne_u32_e32 vcc, 45, v118
	s_xor_b64 s[14:15], s[6:7], -1
	s_and_b64 s[16:17], s[14:15], vcc
	s_and_saveexec_b64 s[14:15], s[16:17]
	s_cbranch_execz .LBB110_771
; %bb.770:
	v_ashrrev_i32_e32 v119, 31, v118
	v_lshlrev_b64 v[126:127], 2, v[118:119]
	v_add_co_u32_e32 v126, vcc, v4, v126
	v_addc_co_u32_e32 v127, vcc, v5, v127, vcc
	flat_load_dword v119, v[126:127]
	flat_load_dword v121, v[4:5] offset:180
	s_waitcnt vmcnt(0) lgkmcnt(0)
	flat_store_dword v[4:5], v119 offset:180
	flat_store_dword v[126:127], v121
.LBB110_771:
	s_or_b64 exec, exec, s[14:15]
	v_mov_b32_e32 v119, v118
	v_mov_b32_e32 v121, v118
.LBB110_772:
	s_or_b64 exec, exec, s[2:3]
.LBB110_773:
	s_andn2_saveexec_b64 s[0:1], s[0:1]
	s_cbranch_execz .LBB110_775
; %bb.774:
	v_mov_b32_e32 v126, v20
	v_mov_b32_e32 v127, v21
	v_mov_b32_e32 v128, v18
	v_mov_b32_e32 v129, v19
	ds_write2_b64 v120, v[126:127], v[128:129] offset0:46 offset1:47
	v_mov_b32_e32 v126, v16
	v_mov_b32_e32 v127, v17
	v_mov_b32_e32 v128, v14
	v_mov_b32_e32 v129, v15
	ds_write2_b64 v120, v[126:127], v[128:129] offset0:48 offset1:49
	;; [unrolled: 5-line block ×4, first 2 shown]
	v_mov_b32_e32 v126, v0
	v_mov_b32_e32 v127, v1
	;; [unrolled: 1-line block ×3, first 2 shown]
	ds_write2_b64 v120, v[126:127], v[114:115] offset0:54 offset1:55
.LBB110_775:
	s_or_b64 exec, exec, s[0:1]
	v_cmp_lt_i32_e32 vcc, 45, v121
	s_waitcnt lgkmcnt(0)
	s_barrier
	s_and_saveexec_b64 s[0:1], vcc
	s_cbranch_execz .LBB110_777
; %bb.776:
	ds_read2_b64 v[126:129], v120 offset0:46 offset1:47
	ds_read2_b64 v[130:133], v120 offset0:48 offset1:49
	v_mul_f64 v[22:23], v[116:117], v[22:23]
	ds_read2_b64 v[134:137], v120 offset0:52 offset1:53
	s_waitcnt lgkmcnt(0)
	v_fma_f64 v[20:21], -v[22:23], v[126:127], v[20:21]
	v_fma_f64 v[18:19], -v[22:23], v[128:129], v[18:19]
	ds_read2_b64 v[126:129], v120 offset0:50 offset1:51
	v_fma_f64 v[16:17], -v[22:23], v[130:131], v[16:17]
	v_fma_f64 v[14:15], -v[22:23], v[132:133], v[14:15]
	ds_read2_b64 v[130:133], v120 offset0:54 offset1:55
	v_fma_f64 v[8:9], -v[22:23], v[134:135], v[8:9]
	s_waitcnt lgkmcnt(0)
	v_fma_f64 v[12:13], -v[22:23], v[126:127], v[12:13]
	v_fma_f64 v[10:11], -v[22:23], v[128:129], v[10:11]
	;; [unrolled: 1-line block ×5, first 2 shown]
.LBB110_777:
	s_or_b64 exec, exec, s[0:1]
	v_lshl_add_u32 v116, v121, 3, v120
	s_barrier
	ds_write_b64 v116, v[20:21]
	s_waitcnt lgkmcnt(0)
	s_barrier
	ds_read_b64 v[116:117], v120 offset:368
	s_cmp_lt_i32 s18, 48
	v_mov_b32_e32 v118, 46
	s_cbranch_scc1 .LBB110_780
; %bb.778:
	v_add_u32_e32 v125, 0x178, v120
	s_mov_b32 s0, 47
	v_mov_b32_e32 v118, 46
.LBB110_779:                            ; =>This Inner Loop Header: Depth=1
	ds_read_b64 v[126:127], v125
	v_mov_b32_e32 v128, s0
	s_add_i32 s0, s0, 1
	v_add_u32_e32 v125, 8, v125
	s_cmp_lg_u32 s18, s0
	s_waitcnt lgkmcnt(0)
	v_cmp_lt_f64_e64 vcc, |v[116:117]|, |v[126:127]|
	v_cndmask_b32_e32 v117, v117, v127, vcc
	v_cndmask_b32_e32 v116, v116, v126, vcc
	;; [unrolled: 1-line block ×3, first 2 shown]
	s_cbranch_scc1 .LBB110_779
.LBB110_780:
	s_waitcnt lgkmcnt(0)
	v_cmp_eq_f64_e32 vcc, 0, v[116:117]
	s_and_saveexec_b64 s[0:1], vcc
	s_xor_b64 s[0:1], exec, s[0:1]
; %bb.781:
	v_cmp_ne_u32_e32 vcc, 0, v124
	v_cndmask_b32_e32 v124, 47, v124, vcc
; %bb.782:
	s_andn2_saveexec_b64 s[0:1], s[0:1]
; %bb.783:
	v_div_scale_f64 v[126:127], s[2:3], v[116:117], v[116:117], 1.0
	v_rcp_f64_e32 v[128:129], v[126:127]
	v_div_scale_f64 v[130:131], vcc, 1.0, v[116:117], 1.0
	v_fma_f64 v[132:133], -v[126:127], v[128:129], 1.0
	v_fmac_f64_e32 v[128:129], v[128:129], v[132:133]
	v_fma_f64 v[132:133], -v[126:127], v[128:129], 1.0
	v_fmac_f64_e32 v[128:129], v[128:129], v[132:133]
	v_mul_f64 v[132:133], v[130:131], v[128:129]
	v_fma_f64 v[126:127], -v[126:127], v[132:133], v[130:131]
	v_div_fmas_f64 v[126:127], v[126:127], v[128:129], v[132:133]
	v_div_fixup_f64 v[116:117], v[126:127], v[116:117], 1.0
; %bb.784:
	s_or_b64 exec, exec, s[0:1]
	v_cmp_ne_u32_e32 vcc, v121, v118
	s_and_saveexec_b64 s[0:1], vcc
	s_xor_b64 s[0:1], exec, s[0:1]
	s_cbranch_execz .LBB110_790
; %bb.785:
	v_cmp_eq_u32_e32 vcc, 46, v121
	s_and_saveexec_b64 s[2:3], vcc
	s_cbranch_execz .LBB110_789
; %bb.786:
	v_cmp_ne_u32_e32 vcc, 46, v118
	s_xor_b64 s[14:15], s[6:7], -1
	s_and_b64 s[16:17], s[14:15], vcc
	s_and_saveexec_b64 s[14:15], s[16:17]
	s_cbranch_execz .LBB110_788
; %bb.787:
	v_ashrrev_i32_e32 v119, 31, v118
	v_lshlrev_b64 v[126:127], 2, v[118:119]
	v_add_co_u32_e32 v126, vcc, v4, v126
	v_addc_co_u32_e32 v127, vcc, v5, v127, vcc
	flat_load_dword v119, v[126:127]
	flat_load_dword v121, v[4:5] offset:184
	s_waitcnt vmcnt(0) lgkmcnt(0)
	flat_store_dword v[4:5], v119 offset:184
	flat_store_dword v[126:127], v121
.LBB110_788:
	s_or_b64 exec, exec, s[14:15]
	v_mov_b32_e32 v119, v118
	v_mov_b32_e32 v121, v118
.LBB110_789:
	s_or_b64 exec, exec, s[2:3]
.LBB110_790:
	s_andn2_saveexec_b64 s[0:1], s[0:1]
	s_cbranch_execz .LBB110_792
; %bb.791:
	v_mov_b32_e32 v121, 46
	ds_write2_b64 v120, v[18:19], v[16:17] offset0:47 offset1:48
	ds_write2_b64 v120, v[14:15], v[12:13] offset0:49 offset1:50
	;; [unrolled: 1-line block ×4, first 2 shown]
	ds_write_b64 v120, v[114:115] offset:440
.LBB110_792:
	s_or_b64 exec, exec, s[0:1]
	v_cmp_lt_i32_e32 vcc, 46, v121
	s_waitcnt lgkmcnt(0)
	s_barrier
	s_and_saveexec_b64 s[0:1], vcc
	s_cbranch_execz .LBB110_794
; %bb.793:
	ds_read2_b64 v[126:129], v120 offset0:47 offset1:48
	ds_read2_b64 v[130:133], v120 offset0:49 offset1:50
	v_mul_f64 v[20:21], v[116:117], v[20:21]
	ds_read_b64 v[116:117], v120 offset:440
	ds_read2_b64 v[134:137], v120 offset0:53 offset1:54
	s_waitcnt lgkmcnt(0)
	v_fma_f64 v[18:19], -v[20:21], v[126:127], v[18:19]
	v_fma_f64 v[16:17], -v[20:21], v[128:129], v[16:17]
	ds_read2_b64 v[126:129], v120 offset0:51 offset1:52
	v_fma_f64 v[14:15], -v[20:21], v[130:131], v[14:15]
	v_fma_f64 v[12:13], -v[20:21], v[132:133], v[12:13]
	;; [unrolled: 1-line block ×4, first 2 shown]
	s_waitcnt lgkmcnt(0)
	v_fma_f64 v[10:11], -v[20:21], v[126:127], v[10:11]
	v_fma_f64 v[8:9], -v[20:21], v[128:129], v[8:9]
	;; [unrolled: 1-line block ×3, first 2 shown]
.LBB110_794:
	s_or_b64 exec, exec, s[0:1]
	v_lshl_add_u32 v116, v121, 3, v120
	s_barrier
	ds_write_b64 v116, v[18:19]
	s_waitcnt lgkmcnt(0)
	s_barrier
	ds_read_b64 v[116:117], v120 offset:376
	s_cmp_lt_i32 s18, 49
	v_mov_b32_e32 v118, 47
	s_cbranch_scc1 .LBB110_797
; %bb.795:
	v_add_u32_e32 v125, 0x180, v120
	s_mov_b32 s0, 48
	v_mov_b32_e32 v118, 47
.LBB110_796:                            ; =>This Inner Loop Header: Depth=1
	ds_read_b64 v[126:127], v125
	v_mov_b32_e32 v128, s0
	s_add_i32 s0, s0, 1
	v_add_u32_e32 v125, 8, v125
	s_cmp_lg_u32 s18, s0
	s_waitcnt lgkmcnt(0)
	v_cmp_lt_f64_e64 vcc, |v[116:117]|, |v[126:127]|
	v_cndmask_b32_e32 v117, v117, v127, vcc
	v_cndmask_b32_e32 v116, v116, v126, vcc
	;; [unrolled: 1-line block ×3, first 2 shown]
	s_cbranch_scc1 .LBB110_796
.LBB110_797:
	s_waitcnt lgkmcnt(0)
	v_cmp_eq_f64_e32 vcc, 0, v[116:117]
	s_and_saveexec_b64 s[0:1], vcc
	s_xor_b64 s[0:1], exec, s[0:1]
; %bb.798:
	v_cmp_ne_u32_e32 vcc, 0, v124
	v_cndmask_b32_e32 v124, 48, v124, vcc
; %bb.799:
	s_andn2_saveexec_b64 s[0:1], s[0:1]
; %bb.800:
	v_div_scale_f64 v[126:127], s[2:3], v[116:117], v[116:117], 1.0
	v_rcp_f64_e32 v[128:129], v[126:127]
	v_div_scale_f64 v[130:131], vcc, 1.0, v[116:117], 1.0
	v_fma_f64 v[132:133], -v[126:127], v[128:129], 1.0
	v_fmac_f64_e32 v[128:129], v[128:129], v[132:133]
	v_fma_f64 v[132:133], -v[126:127], v[128:129], 1.0
	v_fmac_f64_e32 v[128:129], v[128:129], v[132:133]
	v_mul_f64 v[132:133], v[130:131], v[128:129]
	v_fma_f64 v[126:127], -v[126:127], v[132:133], v[130:131]
	v_div_fmas_f64 v[126:127], v[126:127], v[128:129], v[132:133]
	v_div_fixup_f64 v[116:117], v[126:127], v[116:117], 1.0
; %bb.801:
	s_or_b64 exec, exec, s[0:1]
	v_cmp_ne_u32_e32 vcc, v121, v118
	s_and_saveexec_b64 s[0:1], vcc
	s_xor_b64 s[0:1], exec, s[0:1]
	s_cbranch_execz .LBB110_807
; %bb.802:
	v_cmp_eq_u32_e32 vcc, 47, v121
	s_and_saveexec_b64 s[2:3], vcc
	s_cbranch_execz .LBB110_806
; %bb.803:
	v_cmp_ne_u32_e32 vcc, 47, v118
	s_xor_b64 s[14:15], s[6:7], -1
	s_and_b64 s[16:17], s[14:15], vcc
	s_and_saveexec_b64 s[14:15], s[16:17]
	s_cbranch_execz .LBB110_805
; %bb.804:
	v_ashrrev_i32_e32 v119, 31, v118
	v_lshlrev_b64 v[126:127], 2, v[118:119]
	v_add_co_u32_e32 v126, vcc, v4, v126
	v_addc_co_u32_e32 v127, vcc, v5, v127, vcc
	flat_load_dword v119, v[126:127]
	flat_load_dword v121, v[4:5] offset:188
	s_waitcnt vmcnt(0) lgkmcnt(0)
	flat_store_dword v[4:5], v119 offset:188
	flat_store_dword v[126:127], v121
.LBB110_805:
	s_or_b64 exec, exec, s[14:15]
	v_mov_b32_e32 v119, v118
	v_mov_b32_e32 v121, v118
.LBB110_806:
	s_or_b64 exec, exec, s[2:3]
.LBB110_807:
	s_andn2_saveexec_b64 s[0:1], s[0:1]
	s_cbranch_execz .LBB110_809
; %bb.808:
	v_mov_b32_e32 v126, v16
	v_mov_b32_e32 v127, v17
	v_mov_b32_e32 v128, v14
	v_mov_b32_e32 v129, v15
	ds_write2_b64 v120, v[126:127], v[128:129] offset0:48 offset1:49
	v_mov_b32_e32 v126, v12
	v_mov_b32_e32 v127, v13
	v_mov_b32_e32 v128, v10
	v_mov_b32_e32 v129, v11
	ds_write2_b64 v120, v[126:127], v[128:129] offset0:50 offset1:51
	v_mov_b32_e32 v126, v8
	v_mov_b32_e32 v127, v9
	v_mov_b32_e32 v128, v6
	v_mov_b32_e32 v129, v7
	ds_write2_b64 v120, v[126:127], v[128:129] offset0:52 offset1:53
	v_mov_b32_e32 v126, v0
	v_mov_b32_e32 v127, v1
	;; [unrolled: 1-line block ×3, first 2 shown]
	ds_write2_b64 v120, v[126:127], v[114:115] offset0:54 offset1:55
.LBB110_809:
	s_or_b64 exec, exec, s[0:1]
	v_cmp_lt_i32_e32 vcc, 47, v121
	s_waitcnt lgkmcnt(0)
	s_barrier
	s_and_saveexec_b64 s[0:1], vcc
	s_cbranch_execz .LBB110_811
; %bb.810:
	ds_read2_b64 v[126:129], v120 offset0:48 offset1:49
	ds_read2_b64 v[130:133], v120 offset0:50 offset1:51
	v_mul_f64 v[18:19], v[116:117], v[18:19]
	ds_read2_b64 v[134:137], v120 offset0:52 offset1:53
	s_waitcnt lgkmcnt(0)
	v_fma_f64 v[16:17], -v[18:19], v[126:127], v[16:17]
	v_fma_f64 v[14:15], -v[18:19], v[128:129], v[14:15]
	ds_read2_b64 v[126:129], v120 offset0:54 offset1:55
	v_fma_f64 v[12:13], -v[18:19], v[130:131], v[12:13]
	v_fma_f64 v[10:11], -v[18:19], v[132:133], v[10:11]
	;; [unrolled: 1-line block ×4, first 2 shown]
	s_waitcnt lgkmcnt(0)
	v_fma_f64 v[0:1], -v[18:19], v[126:127], v[0:1]
	v_fma_f64 v[114:115], -v[18:19], v[128:129], v[114:115]
.LBB110_811:
	s_or_b64 exec, exec, s[0:1]
	v_lshl_add_u32 v116, v121, 3, v120
	s_barrier
	ds_write_b64 v116, v[16:17]
	s_waitcnt lgkmcnt(0)
	s_barrier
	ds_read_b64 v[116:117], v120 offset:384
	s_cmp_lt_i32 s18, 50
	v_mov_b32_e32 v118, 48
	s_cbranch_scc1 .LBB110_814
; %bb.812:
	v_add_u32_e32 v125, 0x188, v120
	s_mov_b32 s0, 49
	v_mov_b32_e32 v118, 48
.LBB110_813:                            ; =>This Inner Loop Header: Depth=1
	ds_read_b64 v[126:127], v125
	v_mov_b32_e32 v128, s0
	s_add_i32 s0, s0, 1
	v_add_u32_e32 v125, 8, v125
	s_cmp_lg_u32 s18, s0
	s_waitcnt lgkmcnt(0)
	v_cmp_lt_f64_e64 vcc, |v[116:117]|, |v[126:127]|
	v_cndmask_b32_e32 v117, v117, v127, vcc
	v_cndmask_b32_e32 v116, v116, v126, vcc
	;; [unrolled: 1-line block ×3, first 2 shown]
	s_cbranch_scc1 .LBB110_813
.LBB110_814:
	s_waitcnt lgkmcnt(0)
	v_cmp_eq_f64_e32 vcc, 0, v[116:117]
	s_and_saveexec_b64 s[0:1], vcc
	s_xor_b64 s[0:1], exec, s[0:1]
; %bb.815:
	v_cmp_ne_u32_e32 vcc, 0, v124
	v_cndmask_b32_e32 v124, 49, v124, vcc
; %bb.816:
	s_andn2_saveexec_b64 s[0:1], s[0:1]
; %bb.817:
	v_div_scale_f64 v[126:127], s[2:3], v[116:117], v[116:117], 1.0
	v_rcp_f64_e32 v[128:129], v[126:127]
	v_div_scale_f64 v[130:131], vcc, 1.0, v[116:117], 1.0
	v_fma_f64 v[132:133], -v[126:127], v[128:129], 1.0
	v_fmac_f64_e32 v[128:129], v[128:129], v[132:133]
	v_fma_f64 v[132:133], -v[126:127], v[128:129], 1.0
	v_fmac_f64_e32 v[128:129], v[128:129], v[132:133]
	v_mul_f64 v[132:133], v[130:131], v[128:129]
	v_fma_f64 v[126:127], -v[126:127], v[132:133], v[130:131]
	v_div_fmas_f64 v[126:127], v[126:127], v[128:129], v[132:133]
	v_div_fixup_f64 v[116:117], v[126:127], v[116:117], 1.0
; %bb.818:
	s_or_b64 exec, exec, s[0:1]
	v_cmp_ne_u32_e32 vcc, v121, v118
	s_and_saveexec_b64 s[0:1], vcc
	s_xor_b64 s[0:1], exec, s[0:1]
	s_cbranch_execz .LBB110_824
; %bb.819:
	v_cmp_eq_u32_e32 vcc, 48, v121
	s_and_saveexec_b64 s[2:3], vcc
	s_cbranch_execz .LBB110_823
; %bb.820:
	v_cmp_ne_u32_e32 vcc, 48, v118
	s_xor_b64 s[14:15], s[6:7], -1
	s_and_b64 s[16:17], s[14:15], vcc
	s_and_saveexec_b64 s[14:15], s[16:17]
	s_cbranch_execz .LBB110_822
; %bb.821:
	v_ashrrev_i32_e32 v119, 31, v118
	v_lshlrev_b64 v[126:127], 2, v[118:119]
	v_add_co_u32_e32 v126, vcc, v4, v126
	v_addc_co_u32_e32 v127, vcc, v5, v127, vcc
	flat_load_dword v119, v[126:127]
	flat_load_dword v121, v[4:5] offset:192
	s_waitcnt vmcnt(0) lgkmcnt(0)
	flat_store_dword v[4:5], v119 offset:192
	flat_store_dword v[126:127], v121
.LBB110_822:
	s_or_b64 exec, exec, s[14:15]
	v_mov_b32_e32 v119, v118
	v_mov_b32_e32 v121, v118
.LBB110_823:
	s_or_b64 exec, exec, s[2:3]
.LBB110_824:
	s_andn2_saveexec_b64 s[0:1], s[0:1]
	s_cbranch_execz .LBB110_826
; %bb.825:
	v_mov_b32_e32 v121, 48
	ds_write2_b64 v120, v[14:15], v[12:13] offset0:49 offset1:50
	ds_write2_b64 v120, v[10:11], v[8:9] offset0:51 offset1:52
	ds_write2_b64 v120, v[6:7], v[0:1] offset0:53 offset1:54
	ds_write_b64 v120, v[114:115] offset:440
.LBB110_826:
	s_or_b64 exec, exec, s[0:1]
	v_cmp_lt_i32_e32 vcc, 48, v121
	s_waitcnt lgkmcnt(0)
	s_barrier
	s_and_saveexec_b64 s[0:1], vcc
	s_cbranch_execz .LBB110_828
; %bb.827:
	ds_read2_b64 v[126:129], v120 offset0:49 offset1:50
	ds_read2_b64 v[130:133], v120 offset0:51 offset1:52
	v_mul_f64 v[16:17], v[116:117], v[16:17]
	ds_read2_b64 v[134:137], v120 offset0:53 offset1:54
	ds_read_b64 v[116:117], v120 offset:440
	s_waitcnt lgkmcnt(0)
	v_fma_f64 v[14:15], -v[16:17], v[126:127], v[14:15]
	v_fma_f64 v[12:13], -v[16:17], v[128:129], v[12:13]
	;; [unrolled: 1-line block ×7, first 2 shown]
.LBB110_828:
	s_or_b64 exec, exec, s[0:1]
	v_lshl_add_u32 v116, v121, 3, v120
	s_barrier
	ds_write_b64 v116, v[14:15]
	s_waitcnt lgkmcnt(0)
	s_barrier
	ds_read_b64 v[116:117], v120 offset:392
	s_cmp_lt_i32 s18, 51
	v_mov_b32_e32 v118, 49
	s_cbranch_scc1 .LBB110_831
; %bb.829:
	v_add_u32_e32 v125, 0x190, v120
	s_mov_b32 s0, 50
	v_mov_b32_e32 v118, 49
.LBB110_830:                            ; =>This Inner Loop Header: Depth=1
	ds_read_b64 v[126:127], v125
	v_mov_b32_e32 v128, s0
	s_add_i32 s0, s0, 1
	v_add_u32_e32 v125, 8, v125
	s_cmp_lg_u32 s18, s0
	s_waitcnt lgkmcnt(0)
	v_cmp_lt_f64_e64 vcc, |v[116:117]|, |v[126:127]|
	v_cndmask_b32_e32 v117, v117, v127, vcc
	v_cndmask_b32_e32 v116, v116, v126, vcc
	;; [unrolled: 1-line block ×3, first 2 shown]
	s_cbranch_scc1 .LBB110_830
.LBB110_831:
	s_waitcnt lgkmcnt(0)
	v_cmp_eq_f64_e32 vcc, 0, v[116:117]
	s_and_saveexec_b64 s[0:1], vcc
	s_xor_b64 s[0:1], exec, s[0:1]
; %bb.832:
	v_cmp_ne_u32_e32 vcc, 0, v124
	v_cndmask_b32_e32 v124, 50, v124, vcc
; %bb.833:
	s_andn2_saveexec_b64 s[0:1], s[0:1]
; %bb.834:
	v_div_scale_f64 v[126:127], s[2:3], v[116:117], v[116:117], 1.0
	v_rcp_f64_e32 v[128:129], v[126:127]
	v_div_scale_f64 v[130:131], vcc, 1.0, v[116:117], 1.0
	v_fma_f64 v[132:133], -v[126:127], v[128:129], 1.0
	v_fmac_f64_e32 v[128:129], v[128:129], v[132:133]
	v_fma_f64 v[132:133], -v[126:127], v[128:129], 1.0
	v_fmac_f64_e32 v[128:129], v[128:129], v[132:133]
	v_mul_f64 v[132:133], v[130:131], v[128:129]
	v_fma_f64 v[126:127], -v[126:127], v[132:133], v[130:131]
	v_div_fmas_f64 v[126:127], v[126:127], v[128:129], v[132:133]
	v_div_fixup_f64 v[116:117], v[126:127], v[116:117], 1.0
; %bb.835:
	s_or_b64 exec, exec, s[0:1]
	v_cmp_ne_u32_e32 vcc, v121, v118
	s_and_saveexec_b64 s[0:1], vcc
	s_xor_b64 s[0:1], exec, s[0:1]
	s_cbranch_execz .LBB110_841
; %bb.836:
	v_cmp_eq_u32_e32 vcc, 49, v121
	s_and_saveexec_b64 s[2:3], vcc
	s_cbranch_execz .LBB110_840
; %bb.837:
	v_cmp_ne_u32_e32 vcc, 49, v118
	s_xor_b64 s[14:15], s[6:7], -1
	s_and_b64 s[16:17], s[14:15], vcc
	s_and_saveexec_b64 s[14:15], s[16:17]
	s_cbranch_execz .LBB110_839
; %bb.838:
	v_ashrrev_i32_e32 v119, 31, v118
	v_lshlrev_b64 v[126:127], 2, v[118:119]
	v_add_co_u32_e32 v126, vcc, v4, v126
	v_addc_co_u32_e32 v127, vcc, v5, v127, vcc
	flat_load_dword v119, v[126:127]
	flat_load_dword v121, v[4:5] offset:196
	s_waitcnt vmcnt(0) lgkmcnt(0)
	flat_store_dword v[4:5], v119 offset:196
	flat_store_dword v[126:127], v121
.LBB110_839:
	s_or_b64 exec, exec, s[14:15]
	v_mov_b32_e32 v119, v118
	v_mov_b32_e32 v121, v118
.LBB110_840:
	s_or_b64 exec, exec, s[2:3]
.LBB110_841:
	s_andn2_saveexec_b64 s[0:1], s[0:1]
	s_cbranch_execz .LBB110_843
; %bb.842:
	v_mov_b32_e32 v126, v12
	v_mov_b32_e32 v127, v13
	;; [unrolled: 1-line block ×4, first 2 shown]
	ds_write2_b64 v120, v[126:127], v[128:129] offset0:50 offset1:51
	v_mov_b32_e32 v126, v8
	v_mov_b32_e32 v127, v9
	;; [unrolled: 1-line block ×4, first 2 shown]
	ds_write2_b64 v120, v[126:127], v[128:129] offset0:52 offset1:53
	v_mov_b32_e32 v126, v0
	v_mov_b32_e32 v127, v1
	;; [unrolled: 1-line block ×3, first 2 shown]
	ds_write2_b64 v120, v[126:127], v[114:115] offset0:54 offset1:55
.LBB110_843:
	s_or_b64 exec, exec, s[0:1]
	v_cmp_lt_i32_e32 vcc, 49, v121
	s_waitcnt lgkmcnt(0)
	s_barrier
	s_and_saveexec_b64 s[0:1], vcc
	s_cbranch_execz .LBB110_845
; %bb.844:
	ds_read2_b64 v[126:129], v120 offset0:50 offset1:51
	ds_read2_b64 v[130:133], v120 offset0:52 offset1:53
	;; [unrolled: 1-line block ×3, first 2 shown]
	v_mul_f64 v[14:15], v[116:117], v[14:15]
	s_waitcnt lgkmcnt(0)
	v_fma_f64 v[12:13], -v[14:15], v[126:127], v[12:13]
	v_fma_f64 v[10:11], -v[14:15], v[128:129], v[10:11]
	;; [unrolled: 1-line block ×6, first 2 shown]
.LBB110_845:
	s_or_b64 exec, exec, s[0:1]
	v_lshl_add_u32 v116, v121, 3, v120
	s_barrier
	ds_write_b64 v116, v[12:13]
	s_waitcnt lgkmcnt(0)
	s_barrier
	ds_read_b64 v[116:117], v120 offset:400
	s_cmp_lt_i32 s18, 52
	v_mov_b32_e32 v118, 50
	s_cbranch_scc1 .LBB110_848
; %bb.846:
	v_add_u32_e32 v125, 0x198, v120
	s_mov_b32 s0, 51
	v_mov_b32_e32 v118, 50
.LBB110_847:                            ; =>This Inner Loop Header: Depth=1
	ds_read_b64 v[126:127], v125
	v_mov_b32_e32 v128, s0
	s_add_i32 s0, s0, 1
	v_add_u32_e32 v125, 8, v125
	s_cmp_lg_u32 s18, s0
	s_waitcnt lgkmcnt(0)
	v_cmp_lt_f64_e64 vcc, |v[116:117]|, |v[126:127]|
	v_cndmask_b32_e32 v117, v117, v127, vcc
	v_cndmask_b32_e32 v116, v116, v126, vcc
	;; [unrolled: 1-line block ×3, first 2 shown]
	s_cbranch_scc1 .LBB110_847
.LBB110_848:
	s_waitcnt lgkmcnt(0)
	v_cmp_eq_f64_e32 vcc, 0, v[116:117]
	s_and_saveexec_b64 s[0:1], vcc
	s_xor_b64 s[0:1], exec, s[0:1]
; %bb.849:
	v_cmp_ne_u32_e32 vcc, 0, v124
	v_cndmask_b32_e32 v124, 51, v124, vcc
; %bb.850:
	s_andn2_saveexec_b64 s[0:1], s[0:1]
; %bb.851:
	v_div_scale_f64 v[126:127], s[2:3], v[116:117], v[116:117], 1.0
	v_rcp_f64_e32 v[128:129], v[126:127]
	v_div_scale_f64 v[130:131], vcc, 1.0, v[116:117], 1.0
	v_fma_f64 v[132:133], -v[126:127], v[128:129], 1.0
	v_fmac_f64_e32 v[128:129], v[128:129], v[132:133]
	v_fma_f64 v[132:133], -v[126:127], v[128:129], 1.0
	v_fmac_f64_e32 v[128:129], v[128:129], v[132:133]
	v_mul_f64 v[132:133], v[130:131], v[128:129]
	v_fma_f64 v[126:127], -v[126:127], v[132:133], v[130:131]
	v_div_fmas_f64 v[126:127], v[126:127], v[128:129], v[132:133]
	v_div_fixup_f64 v[116:117], v[126:127], v[116:117], 1.0
; %bb.852:
	s_or_b64 exec, exec, s[0:1]
	v_cmp_ne_u32_e32 vcc, v121, v118
	s_and_saveexec_b64 s[0:1], vcc
	s_xor_b64 s[0:1], exec, s[0:1]
	s_cbranch_execz .LBB110_858
; %bb.853:
	v_cmp_eq_u32_e32 vcc, 50, v121
	s_and_saveexec_b64 s[2:3], vcc
	s_cbranch_execz .LBB110_857
; %bb.854:
	v_cmp_ne_u32_e32 vcc, 50, v118
	s_xor_b64 s[14:15], s[6:7], -1
	s_and_b64 s[16:17], s[14:15], vcc
	s_and_saveexec_b64 s[14:15], s[16:17]
	s_cbranch_execz .LBB110_856
; %bb.855:
	v_ashrrev_i32_e32 v119, 31, v118
	v_lshlrev_b64 v[126:127], 2, v[118:119]
	v_add_co_u32_e32 v126, vcc, v4, v126
	v_addc_co_u32_e32 v127, vcc, v5, v127, vcc
	flat_load_dword v119, v[126:127]
	flat_load_dword v121, v[4:5] offset:200
	s_waitcnt vmcnt(0) lgkmcnt(0)
	flat_store_dword v[4:5], v119 offset:200
	flat_store_dword v[126:127], v121
.LBB110_856:
	s_or_b64 exec, exec, s[14:15]
	v_mov_b32_e32 v119, v118
	v_mov_b32_e32 v121, v118
.LBB110_857:
	s_or_b64 exec, exec, s[2:3]
.LBB110_858:
	s_andn2_saveexec_b64 s[0:1], s[0:1]
	s_cbranch_execz .LBB110_860
; %bb.859:
	v_mov_b32_e32 v121, 50
	ds_write2_b64 v120, v[10:11], v[8:9] offset0:51 offset1:52
	ds_write2_b64 v120, v[6:7], v[0:1] offset0:53 offset1:54
	ds_write_b64 v120, v[114:115] offset:440
.LBB110_860:
	s_or_b64 exec, exec, s[0:1]
	v_cmp_lt_i32_e32 vcc, 50, v121
	s_waitcnt lgkmcnt(0)
	s_barrier
	s_and_saveexec_b64 s[0:1], vcc
	s_cbranch_execz .LBB110_862
; %bb.861:
	ds_read2_b64 v[126:129], v120 offset0:51 offset1:52
	ds_read2_b64 v[130:133], v120 offset0:53 offset1:54
	v_mul_f64 v[12:13], v[116:117], v[12:13]
	ds_read_b64 v[116:117], v120 offset:440
	s_waitcnt lgkmcnt(0)
	v_fma_f64 v[10:11], -v[12:13], v[126:127], v[10:11]
	v_fma_f64 v[8:9], -v[12:13], v[128:129], v[8:9]
	v_fma_f64 v[6:7], -v[12:13], v[130:131], v[6:7]
	v_fma_f64 v[0:1], -v[12:13], v[132:133], v[0:1]
	v_fma_f64 v[114:115], -v[12:13], v[116:117], v[114:115]
.LBB110_862:
	s_or_b64 exec, exec, s[0:1]
	v_lshl_add_u32 v116, v121, 3, v120
	s_barrier
	ds_write_b64 v116, v[10:11]
	s_waitcnt lgkmcnt(0)
	s_barrier
	ds_read_b64 v[116:117], v120 offset:408
	s_cmp_lt_i32 s18, 53
	v_mov_b32_e32 v118, 51
	s_cbranch_scc1 .LBB110_865
; %bb.863:
	v_add_u32_e32 v125, 0x1a0, v120
	s_mov_b32 s0, 52
	v_mov_b32_e32 v118, 51
.LBB110_864:                            ; =>This Inner Loop Header: Depth=1
	ds_read_b64 v[126:127], v125
	v_mov_b32_e32 v128, s0
	s_add_i32 s0, s0, 1
	v_add_u32_e32 v125, 8, v125
	s_cmp_lg_u32 s18, s0
	s_waitcnt lgkmcnt(0)
	v_cmp_lt_f64_e64 vcc, |v[116:117]|, |v[126:127]|
	v_cndmask_b32_e32 v117, v117, v127, vcc
	v_cndmask_b32_e32 v116, v116, v126, vcc
	;; [unrolled: 1-line block ×3, first 2 shown]
	s_cbranch_scc1 .LBB110_864
.LBB110_865:
	s_waitcnt lgkmcnt(0)
	v_cmp_eq_f64_e32 vcc, 0, v[116:117]
	s_and_saveexec_b64 s[0:1], vcc
	s_xor_b64 s[0:1], exec, s[0:1]
; %bb.866:
	v_cmp_ne_u32_e32 vcc, 0, v124
	v_cndmask_b32_e32 v124, 52, v124, vcc
; %bb.867:
	s_andn2_saveexec_b64 s[0:1], s[0:1]
; %bb.868:
	v_div_scale_f64 v[126:127], s[2:3], v[116:117], v[116:117], 1.0
	v_rcp_f64_e32 v[128:129], v[126:127]
	v_div_scale_f64 v[130:131], vcc, 1.0, v[116:117], 1.0
	v_fma_f64 v[132:133], -v[126:127], v[128:129], 1.0
	v_fmac_f64_e32 v[128:129], v[128:129], v[132:133]
	v_fma_f64 v[132:133], -v[126:127], v[128:129], 1.0
	v_fmac_f64_e32 v[128:129], v[128:129], v[132:133]
	v_mul_f64 v[132:133], v[130:131], v[128:129]
	v_fma_f64 v[126:127], -v[126:127], v[132:133], v[130:131]
	v_div_fmas_f64 v[126:127], v[126:127], v[128:129], v[132:133]
	v_div_fixup_f64 v[116:117], v[126:127], v[116:117], 1.0
; %bb.869:
	s_or_b64 exec, exec, s[0:1]
	v_cmp_ne_u32_e32 vcc, v121, v118
	s_and_saveexec_b64 s[0:1], vcc
	s_xor_b64 s[0:1], exec, s[0:1]
	s_cbranch_execz .LBB110_875
; %bb.870:
	v_cmp_eq_u32_e32 vcc, 51, v121
	s_and_saveexec_b64 s[2:3], vcc
	s_cbranch_execz .LBB110_874
; %bb.871:
	v_cmp_ne_u32_e32 vcc, 51, v118
	s_xor_b64 s[14:15], s[6:7], -1
	s_and_b64 s[16:17], s[14:15], vcc
	s_and_saveexec_b64 s[14:15], s[16:17]
	s_cbranch_execz .LBB110_873
; %bb.872:
	v_ashrrev_i32_e32 v119, 31, v118
	v_lshlrev_b64 v[126:127], 2, v[118:119]
	v_add_co_u32_e32 v126, vcc, v4, v126
	v_addc_co_u32_e32 v127, vcc, v5, v127, vcc
	flat_load_dword v119, v[126:127]
	flat_load_dword v121, v[4:5] offset:204
	s_waitcnt vmcnt(0) lgkmcnt(0)
	flat_store_dword v[4:5], v119 offset:204
	flat_store_dword v[126:127], v121
.LBB110_873:
	s_or_b64 exec, exec, s[14:15]
	v_mov_b32_e32 v119, v118
	v_mov_b32_e32 v121, v118
.LBB110_874:
	s_or_b64 exec, exec, s[2:3]
.LBB110_875:
	s_andn2_saveexec_b64 s[0:1], s[0:1]
	s_cbranch_execz .LBB110_877
; %bb.876:
	v_mov_b32_e32 v126, v8
	v_mov_b32_e32 v127, v9
	;; [unrolled: 1-line block ×4, first 2 shown]
	ds_write2_b64 v120, v[126:127], v[128:129] offset0:52 offset1:53
	v_mov_b32_e32 v126, v0
	v_mov_b32_e32 v127, v1
	;; [unrolled: 1-line block ×3, first 2 shown]
	ds_write2_b64 v120, v[126:127], v[114:115] offset0:54 offset1:55
.LBB110_877:
	s_or_b64 exec, exec, s[0:1]
	v_cmp_lt_i32_e32 vcc, 51, v121
	s_waitcnt lgkmcnt(0)
	s_barrier
	s_and_saveexec_b64 s[0:1], vcc
	s_cbranch_execz .LBB110_879
; %bb.878:
	ds_read2_b64 v[126:129], v120 offset0:52 offset1:53
	ds_read2_b64 v[130:133], v120 offset0:54 offset1:55
	v_mul_f64 v[10:11], v[116:117], v[10:11]
	s_waitcnt lgkmcnt(0)
	v_fma_f64 v[8:9], -v[10:11], v[126:127], v[8:9]
	v_fma_f64 v[6:7], -v[10:11], v[128:129], v[6:7]
	;; [unrolled: 1-line block ×4, first 2 shown]
.LBB110_879:
	s_or_b64 exec, exec, s[0:1]
	v_lshl_add_u32 v116, v121, 3, v120
	s_barrier
	ds_write_b64 v116, v[8:9]
	s_waitcnt lgkmcnt(0)
	s_barrier
	ds_read_b64 v[116:117], v120 offset:416
	s_cmp_lt_i32 s18, 54
	v_mov_b32_e32 v118, 52
	s_cbranch_scc1 .LBB110_882
; %bb.880:
	v_add_u32_e32 v125, 0x1a8, v120
	s_mov_b32 s0, 53
	v_mov_b32_e32 v118, 52
.LBB110_881:                            ; =>This Inner Loop Header: Depth=1
	ds_read_b64 v[126:127], v125
	v_mov_b32_e32 v128, s0
	s_add_i32 s0, s0, 1
	v_add_u32_e32 v125, 8, v125
	s_cmp_lg_u32 s18, s0
	s_waitcnt lgkmcnt(0)
	v_cmp_lt_f64_e64 vcc, |v[116:117]|, |v[126:127]|
	v_cndmask_b32_e32 v117, v117, v127, vcc
	v_cndmask_b32_e32 v116, v116, v126, vcc
	;; [unrolled: 1-line block ×3, first 2 shown]
	s_cbranch_scc1 .LBB110_881
.LBB110_882:
	s_waitcnt lgkmcnt(0)
	v_cmp_eq_f64_e32 vcc, 0, v[116:117]
	s_and_saveexec_b64 s[0:1], vcc
	s_xor_b64 s[0:1], exec, s[0:1]
; %bb.883:
	v_cmp_ne_u32_e32 vcc, 0, v124
	v_cndmask_b32_e32 v124, 53, v124, vcc
; %bb.884:
	s_andn2_saveexec_b64 s[0:1], s[0:1]
; %bb.885:
	v_div_scale_f64 v[126:127], s[2:3], v[116:117], v[116:117], 1.0
	v_rcp_f64_e32 v[128:129], v[126:127]
	v_div_scale_f64 v[130:131], vcc, 1.0, v[116:117], 1.0
	v_fma_f64 v[132:133], -v[126:127], v[128:129], 1.0
	v_fmac_f64_e32 v[128:129], v[128:129], v[132:133]
	v_fma_f64 v[132:133], -v[126:127], v[128:129], 1.0
	v_fmac_f64_e32 v[128:129], v[128:129], v[132:133]
	v_mul_f64 v[132:133], v[130:131], v[128:129]
	v_fma_f64 v[126:127], -v[126:127], v[132:133], v[130:131]
	v_div_fmas_f64 v[126:127], v[126:127], v[128:129], v[132:133]
	v_div_fixup_f64 v[116:117], v[126:127], v[116:117], 1.0
; %bb.886:
	s_or_b64 exec, exec, s[0:1]
	v_cmp_ne_u32_e32 vcc, v121, v118
	s_and_saveexec_b64 s[0:1], vcc
	s_xor_b64 s[0:1], exec, s[0:1]
	s_cbranch_execz .LBB110_892
; %bb.887:
	v_cmp_eq_u32_e32 vcc, 52, v121
	s_and_saveexec_b64 s[2:3], vcc
	s_cbranch_execz .LBB110_891
; %bb.888:
	v_cmp_ne_u32_e32 vcc, 52, v118
	s_xor_b64 s[14:15], s[6:7], -1
	s_and_b64 s[16:17], s[14:15], vcc
	s_and_saveexec_b64 s[14:15], s[16:17]
	s_cbranch_execz .LBB110_890
; %bb.889:
	v_ashrrev_i32_e32 v119, 31, v118
	v_lshlrev_b64 v[126:127], 2, v[118:119]
	v_add_co_u32_e32 v126, vcc, v4, v126
	v_addc_co_u32_e32 v127, vcc, v5, v127, vcc
	flat_load_dword v119, v[126:127]
	flat_load_dword v121, v[4:5] offset:208
	s_waitcnt vmcnt(0) lgkmcnt(0)
	flat_store_dword v[4:5], v119 offset:208
	flat_store_dword v[126:127], v121
.LBB110_890:
	s_or_b64 exec, exec, s[14:15]
	v_mov_b32_e32 v119, v118
	v_mov_b32_e32 v121, v118
.LBB110_891:
	s_or_b64 exec, exec, s[2:3]
.LBB110_892:
	s_andn2_saveexec_b64 s[0:1], s[0:1]
	s_cbranch_execz .LBB110_894
; %bb.893:
	v_mov_b32_e32 v121, 52
	ds_write2_b64 v120, v[6:7], v[0:1] offset0:53 offset1:54
	ds_write_b64 v120, v[114:115] offset:440
.LBB110_894:
	s_or_b64 exec, exec, s[0:1]
	v_cmp_lt_i32_e32 vcc, 52, v121
	s_waitcnt lgkmcnt(0)
	s_barrier
	s_and_saveexec_b64 s[0:1], vcc
	s_cbranch_execz .LBB110_896
; %bb.895:
	ds_read2_b64 v[126:129], v120 offset0:53 offset1:54
	ds_read_b64 v[130:131], v120 offset:440
	v_mul_f64 v[8:9], v[116:117], v[8:9]
	s_waitcnt lgkmcnt(0)
	v_fma_f64 v[6:7], -v[8:9], v[126:127], v[6:7]
	v_fma_f64 v[0:1], -v[8:9], v[128:129], v[0:1]
	;; [unrolled: 1-line block ×3, first 2 shown]
.LBB110_896:
	s_or_b64 exec, exec, s[0:1]
	v_lshl_add_u32 v116, v121, 3, v120
	s_barrier
	ds_write_b64 v116, v[6:7]
	s_waitcnt lgkmcnt(0)
	s_barrier
	ds_read_b64 v[116:117], v120 offset:424
	s_cmp_lt_i32 s18, 55
	v_mov_b32_e32 v118, 53
	s_cbranch_scc1 .LBB110_899
; %bb.897:
	v_add_u32_e32 v125, 0x1b0, v120
	s_mov_b32 s0, 54
	v_mov_b32_e32 v118, 53
.LBB110_898:                            ; =>This Inner Loop Header: Depth=1
	ds_read_b64 v[126:127], v125
	v_mov_b32_e32 v128, s0
	s_add_i32 s0, s0, 1
	v_add_u32_e32 v125, 8, v125
	s_cmp_lg_u32 s18, s0
	s_waitcnt lgkmcnt(0)
	v_cmp_lt_f64_e64 vcc, |v[116:117]|, |v[126:127]|
	v_cndmask_b32_e32 v117, v117, v127, vcc
	v_cndmask_b32_e32 v116, v116, v126, vcc
	;; [unrolled: 1-line block ×3, first 2 shown]
	s_cbranch_scc1 .LBB110_898
.LBB110_899:
	s_waitcnt lgkmcnt(0)
	v_cmp_eq_f64_e32 vcc, 0, v[116:117]
	s_and_saveexec_b64 s[0:1], vcc
	s_xor_b64 s[0:1], exec, s[0:1]
; %bb.900:
	v_cmp_ne_u32_e32 vcc, 0, v124
	v_cndmask_b32_e32 v124, 54, v124, vcc
; %bb.901:
	s_andn2_saveexec_b64 s[0:1], s[0:1]
; %bb.902:
	v_div_scale_f64 v[126:127], s[2:3], v[116:117], v[116:117], 1.0
	v_rcp_f64_e32 v[128:129], v[126:127]
	v_div_scale_f64 v[130:131], vcc, 1.0, v[116:117], 1.0
	v_fma_f64 v[132:133], -v[126:127], v[128:129], 1.0
	v_fmac_f64_e32 v[128:129], v[128:129], v[132:133]
	v_fma_f64 v[132:133], -v[126:127], v[128:129], 1.0
	v_fmac_f64_e32 v[128:129], v[128:129], v[132:133]
	v_mul_f64 v[132:133], v[130:131], v[128:129]
	v_fma_f64 v[126:127], -v[126:127], v[132:133], v[130:131]
	v_div_fmas_f64 v[126:127], v[126:127], v[128:129], v[132:133]
	v_div_fixup_f64 v[116:117], v[126:127], v[116:117], 1.0
; %bb.903:
	s_or_b64 exec, exec, s[0:1]
	v_cmp_ne_u32_e32 vcc, v121, v118
	s_and_saveexec_b64 s[0:1], vcc
	s_xor_b64 s[0:1], exec, s[0:1]
	s_cbranch_execz .LBB110_909
; %bb.904:
	v_cmp_eq_u32_e32 vcc, 53, v121
	s_and_saveexec_b64 s[2:3], vcc
	s_cbranch_execz .LBB110_908
; %bb.905:
	v_cmp_ne_u32_e32 vcc, 53, v118
	s_xor_b64 s[14:15], s[6:7], -1
	s_and_b64 s[16:17], s[14:15], vcc
	s_and_saveexec_b64 s[14:15], s[16:17]
	s_cbranch_execz .LBB110_907
; %bb.906:
	v_ashrrev_i32_e32 v119, 31, v118
	v_lshlrev_b64 v[126:127], 2, v[118:119]
	v_add_co_u32_e32 v126, vcc, v4, v126
	v_addc_co_u32_e32 v127, vcc, v5, v127, vcc
	flat_load_dword v119, v[126:127]
	flat_load_dword v121, v[4:5] offset:212
	s_waitcnt vmcnt(0) lgkmcnt(0)
	flat_store_dword v[4:5], v119 offset:212
	flat_store_dword v[126:127], v121
.LBB110_907:
	s_or_b64 exec, exec, s[14:15]
	v_mov_b32_e32 v119, v118
	v_mov_b32_e32 v121, v118
.LBB110_908:
	s_or_b64 exec, exec, s[2:3]
.LBB110_909:
	s_andn2_saveexec_b64 s[0:1], s[0:1]
	s_cbranch_execz .LBB110_911
; %bb.910:
	v_mov_b32_e32 v126, v0
	v_mov_b32_e32 v127, v1
	;; [unrolled: 1-line block ×3, first 2 shown]
	ds_write2_b64 v120, v[126:127], v[114:115] offset0:54 offset1:55
.LBB110_911:
	s_or_b64 exec, exec, s[0:1]
	v_cmp_lt_i32_e32 vcc, 53, v121
	s_waitcnt lgkmcnt(0)
	s_barrier
	s_and_saveexec_b64 s[0:1], vcc
	s_cbranch_execz .LBB110_913
; %bb.912:
	ds_read2_b64 v[126:129], v120 offset0:54 offset1:55
	v_mul_f64 v[6:7], v[116:117], v[6:7]
	s_waitcnt lgkmcnt(0)
	v_fma_f64 v[0:1], -v[6:7], v[126:127], v[0:1]
	v_fma_f64 v[114:115], -v[6:7], v[128:129], v[114:115]
.LBB110_913:
	s_or_b64 exec, exec, s[0:1]
	v_lshl_add_u32 v116, v121, 3, v120
	s_barrier
	ds_write_b64 v116, v[0:1]
	s_waitcnt lgkmcnt(0)
	s_barrier
	ds_read_b64 v[116:117], v120 offset:432
	s_cmp_lt_i32 s18, 56
	v_mov_b32_e32 v118, 54
	s_cbranch_scc1 .LBB110_916
; %bb.914:
	v_add_u32_e32 v125, 0x1b8, v120
	s_mov_b32 s0, 55
	v_mov_b32_e32 v118, 54
.LBB110_915:                            ; =>This Inner Loop Header: Depth=1
	ds_read_b64 v[126:127], v125
	v_mov_b32_e32 v128, s0
	s_add_i32 s0, s0, 1
	v_add_u32_e32 v125, 8, v125
	s_cmp_lg_u32 s18, s0
	s_waitcnt lgkmcnt(0)
	v_cmp_lt_f64_e64 vcc, |v[116:117]|, |v[126:127]|
	v_cndmask_b32_e32 v117, v117, v127, vcc
	v_cndmask_b32_e32 v116, v116, v126, vcc
	;; [unrolled: 1-line block ×3, first 2 shown]
	s_cbranch_scc1 .LBB110_915
.LBB110_916:
	s_waitcnt lgkmcnt(0)
	v_cmp_eq_f64_e32 vcc, 0, v[116:117]
	s_and_saveexec_b64 s[0:1], vcc
	s_xor_b64 s[0:1], exec, s[0:1]
; %bb.917:
	v_cmp_ne_u32_e32 vcc, 0, v124
	v_cndmask_b32_e32 v124, 55, v124, vcc
; %bb.918:
	s_andn2_saveexec_b64 s[0:1], s[0:1]
; %bb.919:
	v_div_scale_f64 v[126:127], s[2:3], v[116:117], v[116:117], 1.0
	v_rcp_f64_e32 v[128:129], v[126:127]
	v_div_scale_f64 v[130:131], vcc, 1.0, v[116:117], 1.0
	v_fma_f64 v[132:133], -v[126:127], v[128:129], 1.0
	v_fmac_f64_e32 v[128:129], v[128:129], v[132:133]
	v_fma_f64 v[132:133], -v[126:127], v[128:129], 1.0
	v_fmac_f64_e32 v[128:129], v[128:129], v[132:133]
	v_mul_f64 v[132:133], v[130:131], v[128:129]
	v_fma_f64 v[126:127], -v[126:127], v[132:133], v[130:131]
	v_div_fmas_f64 v[126:127], v[126:127], v[128:129], v[132:133]
	v_div_fixup_f64 v[116:117], v[126:127], v[116:117], 1.0
; %bb.920:
	s_or_b64 exec, exec, s[0:1]
	v_cmp_ne_u32_e32 vcc, v121, v118
	s_and_saveexec_b64 s[0:1], vcc
	s_xor_b64 s[0:1], exec, s[0:1]
	s_cbranch_execz .LBB110_926
; %bb.921:
	v_cmp_eq_u32_e32 vcc, 54, v121
	s_and_saveexec_b64 s[2:3], vcc
	s_cbranch_execz .LBB110_925
; %bb.922:
	v_cmp_ne_u32_e32 vcc, 54, v118
	s_xor_b64 s[14:15], s[6:7], -1
	s_and_b64 s[16:17], s[14:15], vcc
	s_and_saveexec_b64 s[14:15], s[16:17]
	s_cbranch_execz .LBB110_924
; %bb.923:
	v_ashrrev_i32_e32 v119, 31, v118
	v_lshlrev_b64 v[126:127], 2, v[118:119]
	v_add_co_u32_e32 v126, vcc, v4, v126
	v_addc_co_u32_e32 v127, vcc, v5, v127, vcc
	flat_load_dword v119, v[126:127]
	flat_load_dword v121, v[4:5] offset:216
	s_waitcnt vmcnt(0) lgkmcnt(0)
	flat_store_dword v[4:5], v119 offset:216
	flat_store_dword v[126:127], v121
.LBB110_924:
	s_or_b64 exec, exec, s[14:15]
	v_mov_b32_e32 v119, v118
	v_mov_b32_e32 v121, v118
.LBB110_925:
	s_or_b64 exec, exec, s[2:3]
.LBB110_926:
	s_andn2_saveexec_b64 s[0:1], s[0:1]
	s_cbranch_execz .LBB110_928
; %bb.927:
	v_mov_b32_e32 v121, 54
	ds_write_b64 v120, v[114:115] offset:440
.LBB110_928:
	s_or_b64 exec, exec, s[0:1]
	v_cmp_lt_i32_e32 vcc, 54, v121
	s_waitcnt lgkmcnt(0)
	s_barrier
	s_and_saveexec_b64 s[0:1], vcc
	s_cbranch_execz .LBB110_930
; %bb.929:
	ds_read_b64 v[126:127], v120 offset:440
	v_mul_f64 v[0:1], v[116:117], v[0:1]
	s_waitcnt lgkmcnt(0)
	v_fma_f64 v[114:115], -v[0:1], v[126:127], v[114:115]
.LBB110_930:
	s_or_b64 exec, exec, s[0:1]
	v_lshl_add_u32 v116, v121, 3, v120
	s_barrier
	ds_write_b64 v116, v[114:115]
	s_waitcnt lgkmcnt(0)
	s_barrier
	ds_read_b64 v[116:117], v120 offset:440
	s_cmp_lt_i32 s18, 57
	v_mov_b32_e32 v118, 55
	s_cbranch_scc1 .LBB110_933
; %bb.931:
	v_add_u32_e32 v120, 0x1c0, v120
	s_mov_b32 s0, 56
	v_mov_b32_e32 v118, 55
.LBB110_932:                            ; =>This Inner Loop Header: Depth=1
	ds_read_b64 v[126:127], v120
	v_mov_b32_e32 v125, s0
	s_add_i32 s0, s0, 1
	v_add_u32_e32 v120, 8, v120
	s_cmp_lg_u32 s18, s0
	s_waitcnt lgkmcnt(0)
	v_cmp_lt_f64_e64 vcc, |v[116:117]|, |v[126:127]|
	v_cndmask_b32_e32 v117, v117, v127, vcc
	v_cndmask_b32_e32 v116, v116, v126, vcc
	v_cndmask_b32_e32 v118, v118, v125, vcc
	s_cbranch_scc1 .LBB110_932
.LBB110_933:
	s_waitcnt lgkmcnt(0)
	v_cmp_eq_f64_e32 vcc, 0, v[116:117]
	s_and_saveexec_b64 s[0:1], vcc
	s_xor_b64 s[0:1], exec, s[0:1]
; %bb.934:
	v_cmp_ne_u32_e32 vcc, 0, v124
	v_cndmask_b32_e32 v124, 56, v124, vcc
; %bb.935:
	s_andn2_saveexec_b64 s[0:1], s[0:1]
; %bb.936:
	v_div_scale_f64 v[126:127], s[2:3], v[116:117], v[116:117], 1.0
	v_rcp_f64_e32 v[128:129], v[126:127]
	v_div_scale_f64 v[130:131], vcc, 1.0, v[116:117], 1.0
	v_fma_f64 v[132:133], -v[126:127], v[128:129], 1.0
	v_fmac_f64_e32 v[128:129], v[128:129], v[132:133]
	v_fma_f64 v[132:133], -v[126:127], v[128:129], 1.0
	v_fmac_f64_e32 v[128:129], v[128:129], v[132:133]
	v_mul_f64 v[132:133], v[130:131], v[128:129]
	v_fma_f64 v[126:127], -v[126:127], v[132:133], v[130:131]
	v_div_fmas_f64 v[126:127], v[126:127], v[128:129], v[132:133]
	v_div_fixup_f64 v[116:117], v[126:127], v[116:117], 1.0
; %bb.937:
	s_or_b64 exec, exec, s[0:1]
	v_cmp_ne_u32_e32 vcc, v121, v118
	v_mov_b32_e32 v120, 55
	s_and_saveexec_b64 s[0:1], vcc
	s_cbranch_execz .LBB110_943
; %bb.938:
	v_cmp_eq_u32_e32 vcc, 55, v121
	s_and_saveexec_b64 s[2:3], vcc
	s_cbranch_execz .LBB110_942
; %bb.939:
	v_cmp_ne_u32_e32 vcc, 55, v118
	s_xor_b64 s[6:7], s[6:7], -1
	s_and_b64 s[14:15], s[6:7], vcc
	s_and_saveexec_b64 s[6:7], s[14:15]
	s_cbranch_execz .LBB110_941
; %bb.940:
	v_ashrrev_i32_e32 v119, 31, v118
	v_lshlrev_b64 v[120:121], 2, v[118:119]
	v_add_co_u32_e32 v120, vcc, v4, v120
	v_addc_co_u32_e32 v121, vcc, v5, v121, vcc
	flat_load_dword v119, v[120:121]
	flat_load_dword v125, v[4:5] offset:220
	s_waitcnt vmcnt(0) lgkmcnt(0)
	flat_store_dword v[4:5], v119 offset:220
	flat_store_dword v[120:121], v125
.LBB110_941:
	s_or_b64 exec, exec, s[6:7]
	v_mov_b32_e32 v119, v118
	v_mov_b32_e32 v121, v118
.LBB110_942:
	s_or_b64 exec, exec, s[2:3]
	v_mov_b32_e32 v120, v121
.LBB110_943:
	s_or_b64 exec, exec, s[0:1]
	s_load_dwordx8 s[0:7], s[4:5], 0x28
	v_cmp_gt_i32_e32 vcc, 56, v120
	v_ashrrev_i32_e32 v121, 31, v120
	s_waitcnt lgkmcnt(0)
	s_barrier
	s_barrier
	s_and_saveexec_b64 s[14:15], vcc
	s_cbranch_execz .LBB110_945
; %bb.944:
	v_mul_lo_u32 v118, v3, s4
	v_mul_lo_u32 v125, v2, s5
	v_mad_u64_u32 v[4:5], s[4:5], v2, s4, 0
	s_lshl_b64 s[2:3], s[2:3], 2
	v_add3_u32 v5, v5, v125, v118
	s_add_u32 s0, s2, s0
	v_lshlrev_b64 v[4:5], 2, v[4:5]
	s_addc_u32 s1, s3, s1
	v_mov_b32_e32 v118, s1
	v_add_co_u32_e32 v125, vcc, s0, v4
	v_addc_co_u32_e32 v118, vcc, v118, v5, vcc
	v_lshlrev_b64 v[4:5], 2, v[120:121]
	v_add_co_u32_e32 v4, vcc, v125, v4
	v_addc_co_u32_e32 v5, vcc, v118, v5, vcc
	v_add3_u32 v118, v119, s13, 1
	global_store_dword v[4:5], v118, off
.LBB110_945:
	s_or_b64 exec, exec, s[14:15]
	v_cmp_eq_u32_e32 vcc, 0, v120
	s_and_saveexec_b64 s[2:3], vcc
	s_cbranch_execz .LBB110_948
; %bb.946:
	v_lshlrev_b64 v[2:3], 2, v[2:3]
	v_mov_b32_e32 v4, s7
	v_add_co_u32_e32 v2, vcc, s6, v2
	v_addc_co_u32_e32 v3, vcc, v4, v3, vcc
	global_load_dword v4, v[2:3], off
	v_cmp_lt_i32_e64 s[0:1], 0, v124
	s_waitcnt vmcnt(0)
	v_cmp_eq_u32_e32 vcc, 0, v4
	s_and_b64 s[0:1], vcc, s[0:1]
	s_and_b64 exec, exec, s[0:1]
	s_cbranch_execz .LBB110_948
; %bb.947:
	v_add_u32_e32 v4, s13, v124
	global_store_dword v[2:3], v4, off
.LBB110_948:
	s_or_b64 exec, exec, s[2:3]
	v_mul_f64 v[2:3], v[116:117], v[114:115]
	v_cmp_lt_i32_e32 vcc, 55, v120
	v_lshlrev_b64 v[4:5], 3, v[120:121]
	v_cndmask_b32_e32 v3, v115, v3, vcc
	v_cndmask_b32_e32 v2, v114, v2, vcc
	v_add_co_u32_e32 v4, vcc, v122, v4
	v_addc_co_u32_e32 v5, vcc, v123, v5, vcc
	global_store_dwordx2 v[4:5], v[112:113], off
	v_mov_b32_e32 v112, s11
	v_add_co_u32_e32 v4, vcc, s10, v4
	v_addc_co_u32_e32 v5, vcc, v5, v112, vcc
	global_store_dwordx2 v[4:5], v[110:111], off
	v_add_u32_e32 v4, s12, v120
	v_ashrrev_i32_e32 v5, 31, v4
	v_lshlrev_b64 v[110:111], 3, v[4:5]
	v_add_co_u32_e32 v110, vcc, v122, v110
	v_add_u32_e32 v4, s8, v4
	v_addc_co_u32_e32 v111, vcc, v123, v111, vcc
	v_ashrrev_i32_e32 v5, 31, v4
	global_store_dwordx2 v[110:111], v[108:109], off
	v_lshlrev_b64 v[108:109], 3, v[4:5]
	v_add_co_u32_e32 v108, vcc, v122, v108
	v_add_u32_e32 v4, s8, v4
	v_addc_co_u32_e32 v109, vcc, v123, v109, vcc
	v_ashrrev_i32_e32 v5, 31, v4
	global_store_dwordx2 v[108:109], v[106:107], off
	;; [unrolled: 6-line block ×52, first 2 shown]
	v_lshlrev_b64 v[6:7], 3, v[4:5]
	v_add_co_u32_e32 v6, vcc, v122, v6
	v_addc_co_u32_e32 v7, vcc, v123, v7, vcc
	global_store_dwordx2 v[6:7], v[0:1], off
	v_add_u32_e32 v0, s8, v4
	v_ashrrev_i32_e32 v1, 31, v0
	v_lshlrev_b64 v[0:1], 3, v[0:1]
	v_add_co_u32_e32 v0, vcc, v122, v0
	v_addc_co_u32_e32 v1, vcc, v123, v1, vcc
	global_store_dwordx2 v[0:1], v[2:3], off
.LBB110_949:
	s_endpgm
	.section	.rodata,"a",@progbits
	.p2align	6, 0x0
	.amdhsa_kernel _ZN9rocsolver6v33100L18getf2_small_kernelILi56EdiiPKPdEEvT1_T3_lS5_lPS5_llPT2_S5_S5_S7_l
		.amdhsa_group_segment_fixed_size 0
		.amdhsa_private_segment_fixed_size 0
		.amdhsa_kernarg_size 352
		.amdhsa_user_sgpr_count 6
		.amdhsa_user_sgpr_private_segment_buffer 1
		.amdhsa_user_sgpr_dispatch_ptr 0
		.amdhsa_user_sgpr_queue_ptr 0
		.amdhsa_user_sgpr_kernarg_segment_ptr 1
		.amdhsa_user_sgpr_dispatch_id 0
		.amdhsa_user_sgpr_flat_scratch_init 0
		.amdhsa_user_sgpr_kernarg_preload_length 0
		.amdhsa_user_sgpr_kernarg_preload_offset 0
		.amdhsa_user_sgpr_private_segment_size 0
		.amdhsa_uses_dynamic_stack 0
		.amdhsa_system_sgpr_private_segment_wavefront_offset 0
		.amdhsa_system_sgpr_workgroup_id_x 1
		.amdhsa_system_sgpr_workgroup_id_y 1
		.amdhsa_system_sgpr_workgroup_id_z 0
		.amdhsa_system_sgpr_workgroup_info 0
		.amdhsa_system_vgpr_workitem_id 1
		.amdhsa_next_free_vgpr 178
		.amdhsa_next_free_sgpr 22
		.amdhsa_accum_offset 180
		.amdhsa_reserve_vcc 1
		.amdhsa_reserve_flat_scratch 0
		.amdhsa_float_round_mode_32 0
		.amdhsa_float_round_mode_16_64 0
		.amdhsa_float_denorm_mode_32 3
		.amdhsa_float_denorm_mode_16_64 3
		.amdhsa_dx10_clamp 1
		.amdhsa_ieee_mode 1
		.amdhsa_fp16_overflow 0
		.amdhsa_tg_split 0
		.amdhsa_exception_fp_ieee_invalid_op 0
		.amdhsa_exception_fp_denorm_src 0
		.amdhsa_exception_fp_ieee_div_zero 0
		.amdhsa_exception_fp_ieee_overflow 0
		.amdhsa_exception_fp_ieee_underflow 0
		.amdhsa_exception_fp_ieee_inexact 0
		.amdhsa_exception_int_div_zero 0
	.end_amdhsa_kernel
	.section	.text._ZN9rocsolver6v33100L18getf2_small_kernelILi56EdiiPKPdEEvT1_T3_lS5_lPS5_llPT2_S5_S5_S7_l,"axG",@progbits,_ZN9rocsolver6v33100L18getf2_small_kernelILi56EdiiPKPdEEvT1_T3_lS5_lPS5_llPT2_S5_S5_S7_l,comdat
.Lfunc_end110:
	.size	_ZN9rocsolver6v33100L18getf2_small_kernelILi56EdiiPKPdEEvT1_T3_lS5_lPS5_llPT2_S5_S5_S7_l, .Lfunc_end110-_ZN9rocsolver6v33100L18getf2_small_kernelILi56EdiiPKPdEEvT1_T3_lS5_lPS5_llPT2_S5_S5_S7_l
                                        ; -- End function
	.section	.AMDGPU.csdata,"",@progbits
; Kernel info:
; codeLenInByte = 57836
; NumSgprs: 26
; NumVgprs: 178
; NumAgprs: 0
; TotalNumVgprs: 178
; ScratchSize: 0
; MemoryBound: 0
; FloatMode: 240
; IeeeMode: 1
; LDSByteSize: 0 bytes/workgroup (compile time only)
; SGPRBlocks: 3
; VGPRBlocks: 22
; NumSGPRsForWavesPerEU: 26
; NumVGPRsForWavesPerEU: 178
; AccumOffset: 180
; Occupancy: 2
; WaveLimiterHint : 1
; COMPUTE_PGM_RSRC2:SCRATCH_EN: 0
; COMPUTE_PGM_RSRC2:USER_SGPR: 6
; COMPUTE_PGM_RSRC2:TRAP_HANDLER: 0
; COMPUTE_PGM_RSRC2:TGID_X_EN: 1
; COMPUTE_PGM_RSRC2:TGID_Y_EN: 1
; COMPUTE_PGM_RSRC2:TGID_Z_EN: 0
; COMPUTE_PGM_RSRC2:TIDIG_COMP_CNT: 1
; COMPUTE_PGM_RSRC3_GFX90A:ACCUM_OFFSET: 44
; COMPUTE_PGM_RSRC3_GFX90A:TG_SPLIT: 0
	.section	.text._ZN9rocsolver6v33100L23getf2_npvt_small_kernelILi56EdiiPKPdEEvT1_T3_lS5_lPT2_S5_S5_,"axG",@progbits,_ZN9rocsolver6v33100L23getf2_npvt_small_kernelILi56EdiiPKPdEEvT1_T3_lS5_lPT2_S5_S5_,comdat
	.globl	_ZN9rocsolver6v33100L23getf2_npvt_small_kernelILi56EdiiPKPdEEvT1_T3_lS5_lPT2_S5_S5_ ; -- Begin function _ZN9rocsolver6v33100L23getf2_npvt_small_kernelILi56EdiiPKPdEEvT1_T3_lS5_lPT2_S5_S5_
	.p2align	8
	.type	_ZN9rocsolver6v33100L23getf2_npvt_small_kernelILi56EdiiPKPdEEvT1_T3_lS5_lPT2_S5_S5_,@function
_ZN9rocsolver6v33100L23getf2_npvt_small_kernelILi56EdiiPKPdEEvT1_T3_lS5_lPT2_S5_S5_: ; @_ZN9rocsolver6v33100L23getf2_npvt_small_kernelILi56EdiiPKPdEEvT1_T3_lS5_lPT2_S5_S5_
; %bb.0:
	s_mov_b64 s[18:19], s[2:3]
	s_mov_b64 s[16:17], s[0:1]
	s_add_u32 s16, s16, s8
	s_load_dword s0, s[4:5], 0x44
	s_load_dwordx2 s[8:9], s[4:5], 0x30
	s_addc_u32 s17, s17, 0
	v_bfe_u32 v1, v0, 10, 10
	s_waitcnt lgkmcnt(0)
	s_lshr_b32 s6, s0, 16
	s_mul_i32 s7, s7, s6
	v_add_u32_e32 v46, s7, v1
	v_cmp_gt_i32_e32 vcc, s8, v46
	s_and_saveexec_b64 s[0:1], vcc
	s_cbranch_execz .LBB111_283
; %bb.1:
	s_load_dwordx4 s[12:15], s[4:5], 0x8
	s_load_dword s0, s[4:5], 0x18
	v_ashrrev_i32_e32 v47, 31, v46
	v_lshlrev_b64 v[2:3], 3, v[46:47]
	v_and_b32_e32 v38, 0x3ff, v0
	s_waitcnt lgkmcnt(0)
	v_mov_b32_e32 v4, s13
	v_add_co_u32_e32 v2, vcc, s12, v2
	v_addc_co_u32_e32 v3, vcc, v4, v3, vcc
	global_load_dwordx2 v[2:3], v[2:3], off
	s_add_i32 s1, s0, s0
	s_lshl_b64 s[2:3], s[14:15], 3
	v_add_u32_e32 v4, s1, v38
	v_mov_b32_e32 v0, s3
	v_ashrrev_i32_e32 v5, 31, v4
	v_add_u32_e32 v6, s0, v4
	v_lshlrev_b64 v[4:5], 3, v[4:5]
	v_ashrrev_i32_e32 v7, 31, v6
	v_add_u32_e32 v8, s0, v6
	v_lshlrev_b64 v[6:7], 3, v[6:7]
	;; [unrolled: 3-line block ×10, first 2 shown]
	v_ashrrev_i32_e32 v25, 31, v24
	s_ashr_i32 s1, s0, 31
	s_mulk_i32 s6, 0x1c0
	s_waitcnt vmcnt(0)
	v_add_co_u32_e32 v26, vcc, s2, v2
	v_addc_co_u32_e32 v0, vcc, v3, v0, vcc
	v_add_co_u32_e32 v48, vcc, v26, v4
	v_addc_co_u32_e32 v49, vcc, v0, v5, vcc
	;; [unrolled: 2-line block ×11, first 2 shown]
	v_lshlrev_b64 v[2:3], 3, v[24:25]
	v_add_co_u32_e32 v68, vcc, v26, v2
	v_add_u32_e32 v2, s0, v24
	v_addc_co_u32_e32 v69, vcc, v0, v3, vcc
	v_ashrrev_i32_e32 v3, 31, v2
	v_lshlrev_b64 v[4:5], 3, v[2:3]
	v_add_u32_e32 v2, s0, v2
	v_add_co_u32_e32 v70, vcc, v26, v4
	v_ashrrev_i32_e32 v3, 31, v2
	v_addc_co_u32_e32 v71, vcc, v0, v5, vcc
	v_lshlrev_b64 v[4:5], 3, v[2:3]
	v_add_u32_e32 v2, s0, v2
	v_add_co_u32_e32 v72, vcc, v26, v4
	v_ashrrev_i32_e32 v3, 31, v2
	v_addc_co_u32_e32 v73, vcc, v0, v5, vcc
	;; [unrolled: 5-line block ×42, first 2 shown]
	v_lshlrev_b64 v[2:3], 3, v[2:3]
	v_add_co_u32_e32 v12, vcc, v26, v2
	v_addc_co_u32_e32 v13, vcc, v0, v3, vcc
	v_lshlrev_b32_e32 v2, 3, v38
	v_add_co_u32_e32 v2, vcc, v26, v2
	v_addc_co_u32_e32 v3, vcc, 0, v0, vcc
	s_lshl_b64 s[0:1], s[0:1], 3
	v_mov_b32_e32 v0, s1
	v_add_co_u32_e32 v14, vcc, s0, v2
	v_addc_co_u32_e32 v15, vcc, v3, v0, vcc
	buffer_store_dword v2, off, s[16:19], 0 offset:40 ; 4-byte Folded Spill
	s_nop 0
	buffer_store_dword v3, off, s[16:19], 0 offset:44 ; 4-byte Folded Spill
	s_movk_i32 s0, 0x1c0
	s_add_i32 s1, s6, 0
	v_mad_u32_u24 v37, v1, s0, 0
	v_lshl_add_u32 v36, v1, 3, s1
	v_cmp_ne_u32_e64 s[2:3], 0, v38
	v_cmp_eq_u32_e64 s[0:1], 0, v38
	global_load_dwordx2 v[114:115], v[2:3], off
	s_nop 0
	buffer_store_dword v14, off, s[16:19], 0 offset:48 ; 4-byte Folded Spill
	s_nop 0
	buffer_store_dword v15, off, s[16:19], 0 offset:52 ; 4-byte Folded Spill
	global_load_dwordx2 v[168:169], v[14:15], off
	global_load_dwordx2 v[222:223], v[48:49], off
	global_load_dwordx2 v[166:167], v[50:51], off
	global_load_dwordx2 v[220:221], v[52:53], off
	global_load_dwordx2 v[164:165], v[54:55], off
	global_load_dwordx2 v[218:219], v[56:57], off
	global_load_dwordx2 v[162:163], v[58:59], off
	global_load_dwordx2 v[216:217], v[60:61], off
	global_load_dwordx2 v[160:161], v[62:63], off
	global_load_dwordx2 v[214:215], v[64:65], off
	global_load_dwordx2 v[158:159], v[66:67], off
	global_load_dwordx2 v[212:213], v[68:69], off
	global_load_dwordx2 v[156:157], v[70:71], off
	global_load_dwordx2 v[210:211], v[72:73], off
	global_load_dwordx2 v[154:155], v[74:75], off
	global_load_dwordx2 v[208:209], v[76:77], off
	global_load_dwordx2 v[152:153], v[78:79], off
	global_load_dwordx2 v[206:207], v[80:81], off
	global_load_dwordx2 v[150:151], v[82:83], off
	global_load_dwordx2 v[204:205], v[84:85], off
	global_load_dwordx2 v[148:149], v[86:87], off
	global_load_dwordx2 v[202:203], v[88:89], off
	global_load_dwordx2 v[146:147], v[90:91], off
	global_load_dwordx2 v[200:201], v[92:93], off
	global_load_dwordx2 v[144:145], v[94:95], off
	global_load_dwordx2 v[198:199], v[96:97], off
	global_load_dwordx2 v[142:143], v[98:99], off
	global_load_dwordx2 v[196:197], v[100:101], off
	global_load_dwordx2 v[140:141], v[102:103], off
	global_load_dwordx2 v[194:195], v[104:105], off
	global_load_dwordx2 v[138:139], v[106:107], off
	global_load_dwordx2 v[192:193], v[108:109], off
	global_load_dwordx2 v[136:137], v[240:241], off
	global_load_dwordx2 v[190:191], v[112:113], off
	global_load_dwordx2 v[134:135], v[242:243], off
	global_load_dwordx2 v[188:189], v[244:245], off
	global_load_dwordx2 v[132:133], v[246:247], off
	global_load_dwordx2 v[186:187], v[248:249], off
	global_load_dwordx2 v[130:131], v[250:251], off
	global_load_dwordx2 v[184:185], v[110:111], off
	global_load_dwordx2 v[128:129], v[252:253], off
	global_load_dwordx2 v[182:183], v[254:255], off
	global_load_dwordx2 v[126:127], v[226:227], off
	global_load_dwordx2 v[180:181], v[228:229], off
	global_load_dwordx2 v[124:125], v[44:45], off
	global_load_dwordx2 v[178:179], v[230:231], off
	global_load_dwordx2 v[122:123], v[232:233], off
	global_load_dwordx2 v[176:177], v[234:235], off
	global_load_dwordx2 v[120:121], v[236:237], off
	global_load_dwordx2 v[174:175], v[238:239], off
	s_nop 0
	buffer_store_dword v6, off, s[16:19], 0 ; 4-byte Folded Spill
	s_nop 0
	buffer_store_dword v7, off, s[16:19], 0 offset:4 ; 4-byte Folded Spill
	global_load_dwordx2 v[118:119], v[6:7], off
	s_nop 0
	buffer_store_dword v8, off, s[16:19], 0 offset:8 ; 4-byte Folded Spill
	s_nop 0
	buffer_store_dword v9, off, s[16:19], 0 offset:12 ; 4-byte Folded Spill
	global_load_dwordx2 v[172:173], v[8:9], off
	s_nop 0
	buffer_store_dword v10, off, s[16:19], 0 offset:16 ; 4-byte Folded Spill
	;; [unrolled: 5-line block ×4, first 2 shown]
	s_nop 0
	buffer_store_dword v13, off, s[16:19], 0 offset:36 ; 4-byte Folded Spill
	global_load_dwordx2 v[224:225], v[12:13], off
	s_and_saveexec_b64 s[6:7], s[0:1]
	s_cbranch_execz .LBB111_4
; %bb.2:
	s_waitcnt vmcnt(62)
	ds_write_b64 v36, v[114:115]
	ds_write2_b64 v37, v[168:169], v[222:223] offset0:1 offset1:2
	s_waitcnt vmcnt(61)
	ds_write2_b64 v37, v[166:167], v[220:221] offset0:3 offset1:4
	s_waitcnt vmcnt(59)
	;; [unrolled: 2-line block ×27, first 2 shown]
	ds_write_b64 v37, v[224:225] offset:440
	ds_read_b64 v[0:1], v36
	s_waitcnt lgkmcnt(0)
	v_cmp_neq_f64_e32 vcc, 0, v[0:1]
	s_and_b64 exec, exec, vcc
	s_cbranch_execz .LBB111_4
; %bb.3:
	v_div_scale_f64 v[2:3], s[10:11], v[0:1], v[0:1], 1.0
	v_rcp_f64_e32 v[4:5], v[2:3]
	v_div_scale_f64 v[6:7], vcc, 1.0, v[0:1], 1.0
	v_fma_f64 v[8:9], -v[2:3], v[4:5], 1.0
	v_fmac_f64_e32 v[4:5], v[4:5], v[8:9]
	v_fma_f64 v[8:9], -v[2:3], v[4:5], 1.0
	v_fmac_f64_e32 v[4:5], v[4:5], v[8:9]
	v_mul_f64 v[8:9], v[6:7], v[4:5]
	v_fma_f64 v[2:3], -v[2:3], v[8:9], v[6:7]
	v_div_fmas_f64 v[2:3], v[2:3], v[4:5], v[8:9]
	v_div_fixup_f64 v[0:1], v[2:3], v[0:1], 1.0
	ds_write_b64 v36, v[0:1]
.LBB111_4:
	s_or_b64 exec, exec, s[6:7]
	s_waitcnt lgkmcnt(0)
	s_barrier
	ds_read_b64 v[0:1], v36
	s_waitcnt lgkmcnt(0)
	buffer_store_dword v0, off, s[16:19], 0 offset:56 ; 4-byte Folded Spill
	s_nop 0
	buffer_store_dword v1, off, s[16:19], 0 offset:60 ; 4-byte Folded Spill
	s_and_saveexec_b64 s[6:7], s[2:3]
	s_cbranch_execz .LBB111_6
; %bb.5:
	ds_read2_b64 v[0:3], v37 offset0:1 offset1:2
	ds_read2_b64 v[4:7], v37 offset0:3 offset1:4
	buffer_load_dword v8, off, s[16:19], 0 offset:56 ; 4-byte Folded Reload
	buffer_load_dword v9, off, s[16:19], 0 offset:60 ; 4-byte Folded Reload
	s_waitcnt vmcnt(0)
	v_mul_f64 v[114:115], v[8:9], v[114:115]
	s_waitcnt lgkmcnt(1)
	v_fma_f64 v[168:169], -v[114:115], v[0:1], v[168:169]
	ds_read2_b64 v[8:11], v37 offset0:5 offset1:6
	v_fma_f64 v[222:223], -v[114:115], v[2:3], v[222:223]
	ds_read2_b64 v[0:3], v37 offset0:7 offset1:8
	s_waitcnt lgkmcnt(2)
	v_fma_f64 v[166:167], -v[114:115], v[4:5], v[166:167]
	v_fma_f64 v[220:221], -v[114:115], v[6:7], v[220:221]
	s_waitcnt lgkmcnt(1)
	v_fma_f64 v[164:165], -v[114:115], v[8:9], v[164:165]
	ds_read2_b64 v[4:7], v37 offset0:9 offset1:10
	v_fma_f64 v[218:219], -v[114:115], v[10:11], v[218:219]
	ds_read2_b64 v[8:11], v37 offset0:11 offset1:12
	s_waitcnt lgkmcnt(2)
	v_fma_f64 v[162:163], -v[114:115], v[0:1], v[162:163]
	v_fma_f64 v[216:217], -v[114:115], v[2:3], v[216:217]
	ds_read2_b64 v[0:3], v37 offset0:13 offset1:14
	s_waitcnt lgkmcnt(2)
	v_fma_f64 v[160:161], -v[114:115], v[4:5], v[160:161]
	v_fma_f64 v[214:215], -v[114:115], v[6:7], v[214:215]
	ds_read2_b64 v[4:7], v37 offset0:15 offset1:16
	s_waitcnt lgkmcnt(2)
	v_fma_f64 v[158:159], -v[114:115], v[8:9], v[158:159]
	v_fma_f64 v[212:213], -v[114:115], v[10:11], v[212:213]
	s_waitcnt lgkmcnt(1)
	v_fma_f64 v[156:157], -v[114:115], v[0:1], v[156:157]
	ds_read2_b64 v[8:11], v37 offset0:17 offset1:18
	v_fma_f64 v[210:211], -v[114:115], v[2:3], v[210:211]
	ds_read2_b64 v[0:3], v37 offset0:19 offset1:20
	s_waitcnt lgkmcnt(2)
	v_fma_f64 v[154:155], -v[114:115], v[4:5], v[154:155]
	v_fma_f64 v[208:209], -v[114:115], v[6:7], v[208:209]
	s_waitcnt lgkmcnt(1)
	v_fma_f64 v[152:153], -v[114:115], v[8:9], v[152:153]
	ds_read2_b64 v[4:7], v37 offset0:21 offset1:22
	v_fma_f64 v[206:207], -v[114:115], v[10:11], v[206:207]
	ds_read2_b64 v[8:11], v37 offset0:23 offset1:24
	s_waitcnt lgkmcnt(2)
	v_fma_f64 v[150:151], -v[114:115], v[0:1], v[150:151]
	v_fma_f64 v[204:205], -v[114:115], v[2:3], v[204:205]
	ds_read2_b64 v[0:3], v37 offset0:25 offset1:26
	s_waitcnt lgkmcnt(2)
	v_fma_f64 v[148:149], -v[114:115], v[4:5], v[148:149]
	v_fma_f64 v[202:203], -v[114:115], v[6:7], v[202:203]
	ds_read2_b64 v[4:7], v37 offset0:27 offset1:28
	s_waitcnt lgkmcnt(2)
	v_fma_f64 v[146:147], -v[114:115], v[8:9], v[146:147]
	v_fma_f64 v[200:201], -v[114:115], v[10:11], v[200:201]
	;; [unrolled: 24-line block ×4, first 2 shown]
	s_waitcnt lgkmcnt(1)
	v_fma_f64 v[120:121], -v[114:115], v[0:1], v[120:121]
	ds_read2_b64 v[8:11], v37 offset0:53 offset1:54
	ds_read_b64 v[0:1], v37 offset:440
	v_fma_f64 v[174:175], -v[114:115], v[2:3], v[174:175]
	s_waitcnt lgkmcnt(2)
	v_fma_f64 v[118:119], -v[114:115], v[4:5], v[118:119]
	v_fma_f64 v[172:173], -v[114:115], v[6:7], v[172:173]
	s_waitcnt lgkmcnt(1)
	v_fma_f64 v[116:117], -v[114:115], v[8:9], v[116:117]
	v_fma_f64 v[170:171], -v[114:115], v[10:11], v[170:171]
	s_waitcnt lgkmcnt(0)
	v_fma_f64 v[224:225], -v[114:115], v[0:1], v[224:225]
.LBB111_6:
	s_or_b64 exec, exec, s[6:7]
	v_cmp_eq_u32_e32 vcc, 1, v38
	s_waitcnt vmcnt(63) expcnt(7) lgkmcnt(15)
	s_barrier
	s_and_saveexec_b64 s[2:3], vcc
	s_cbranch_execz .LBB111_9
; %bb.7:
	v_mov_b32_e32 v0, v222
	v_mov_b32_e32 v1, v223
	;; [unrolled: 1-line block ×4, first 2 shown]
	ds_write_b64 v36, v[168:169]
	ds_write2_b64 v37, v[0:1], v[2:3] offset0:2 offset1:3
	v_mov_b32_e32 v0, v220
	v_mov_b32_e32 v1, v221
	s_waitcnt vmcnt(62)
	v_mov_b32_e32 v2, v164
	v_mov_b32_e32 v3, v165
	ds_write2_b64 v37, v[0:1], v[2:3] offset0:4 offset1:5
	s_waitcnt vmcnt(61)
	v_mov_b32_e32 v0, v218
	v_mov_b32_e32 v1, v219
	s_waitcnt vmcnt(60)
	v_mov_b32_e32 v2, v162
	v_mov_b32_e32 v3, v163
	ds_write2_b64 v37, v[0:1], v[2:3] offset0:6 offset1:7
	s_waitcnt vmcnt(59)
	v_mov_b32_e32 v0, v216
	v_mov_b32_e32 v1, v217
	s_waitcnt vmcnt(58)
	v_mov_b32_e32 v2, v160
	v_mov_b32_e32 v3, v161
	ds_write2_b64 v37, v[0:1], v[2:3] offset0:8 offset1:9
	s_waitcnt vmcnt(57)
	v_mov_b32_e32 v0, v214
	v_mov_b32_e32 v1, v215
	s_waitcnt vmcnt(56)
	v_mov_b32_e32 v2, v158
	v_mov_b32_e32 v3, v159
	ds_write2_b64 v37, v[0:1], v[2:3] offset0:10 offset1:11
	s_waitcnt vmcnt(55)
	v_mov_b32_e32 v0, v212
	v_mov_b32_e32 v1, v213
	s_waitcnt vmcnt(54)
	v_mov_b32_e32 v2, v156
	v_mov_b32_e32 v3, v157
	ds_write2_b64 v37, v[0:1], v[2:3] offset0:12 offset1:13
	s_waitcnt vmcnt(53)
	v_mov_b32_e32 v0, v210
	v_mov_b32_e32 v1, v211
	s_waitcnt vmcnt(52)
	v_mov_b32_e32 v2, v154
	v_mov_b32_e32 v3, v155
	ds_write2_b64 v37, v[0:1], v[2:3] offset0:14 offset1:15
	s_waitcnt vmcnt(51)
	v_mov_b32_e32 v0, v208
	v_mov_b32_e32 v1, v209
	s_waitcnt vmcnt(50)
	v_mov_b32_e32 v2, v152
	v_mov_b32_e32 v3, v153
	ds_write2_b64 v37, v[0:1], v[2:3] offset0:16 offset1:17
	s_waitcnt vmcnt(49)
	v_mov_b32_e32 v0, v206
	v_mov_b32_e32 v1, v207
	s_waitcnt vmcnt(48)
	v_mov_b32_e32 v2, v150
	v_mov_b32_e32 v3, v151
	ds_write2_b64 v37, v[0:1], v[2:3] offset0:18 offset1:19
	s_waitcnt vmcnt(47)
	v_mov_b32_e32 v0, v204
	v_mov_b32_e32 v1, v205
	s_waitcnt vmcnt(46)
	v_mov_b32_e32 v2, v148
	v_mov_b32_e32 v3, v149
	ds_write2_b64 v37, v[0:1], v[2:3] offset0:20 offset1:21
	s_waitcnt vmcnt(45)
	v_mov_b32_e32 v0, v202
	v_mov_b32_e32 v1, v203
	s_waitcnt vmcnt(44)
	v_mov_b32_e32 v2, v146
	v_mov_b32_e32 v3, v147
	ds_write2_b64 v37, v[0:1], v[2:3] offset0:22 offset1:23
	s_waitcnt vmcnt(43)
	v_mov_b32_e32 v0, v200
	v_mov_b32_e32 v1, v201
	s_waitcnt vmcnt(42)
	v_mov_b32_e32 v2, v144
	v_mov_b32_e32 v3, v145
	ds_write2_b64 v37, v[0:1], v[2:3] offset0:24 offset1:25
	s_waitcnt vmcnt(41)
	v_mov_b32_e32 v0, v198
	v_mov_b32_e32 v1, v199
	s_waitcnt vmcnt(40)
	v_mov_b32_e32 v2, v142
	v_mov_b32_e32 v3, v143
	ds_write2_b64 v37, v[0:1], v[2:3] offset0:26 offset1:27
	s_waitcnt vmcnt(39)
	v_mov_b32_e32 v0, v196
	v_mov_b32_e32 v1, v197
	s_waitcnt vmcnt(38)
	v_mov_b32_e32 v2, v140
	v_mov_b32_e32 v3, v141
	ds_write2_b64 v37, v[0:1], v[2:3] offset0:28 offset1:29
	s_waitcnt vmcnt(37)
	v_mov_b32_e32 v0, v194
	v_mov_b32_e32 v1, v195
	s_waitcnt vmcnt(36)
	v_mov_b32_e32 v2, v138
	v_mov_b32_e32 v3, v139
	ds_write2_b64 v37, v[0:1], v[2:3] offset0:30 offset1:31
	s_waitcnt vmcnt(35)
	v_mov_b32_e32 v0, v192
	v_mov_b32_e32 v1, v193
	s_waitcnt vmcnt(34)
	v_mov_b32_e32 v2, v136
	v_mov_b32_e32 v3, v137
	ds_write2_b64 v37, v[0:1], v[2:3] offset0:32 offset1:33
	s_waitcnt vmcnt(33)
	v_mov_b32_e32 v0, v190
	v_mov_b32_e32 v1, v191
	s_waitcnt vmcnt(32)
	v_mov_b32_e32 v2, v134
	v_mov_b32_e32 v3, v135
	ds_write2_b64 v37, v[0:1], v[2:3] offset0:34 offset1:35
	s_waitcnt vmcnt(31)
	v_mov_b32_e32 v0, v188
	v_mov_b32_e32 v1, v189
	s_waitcnt vmcnt(30)
	v_mov_b32_e32 v2, v132
	v_mov_b32_e32 v3, v133
	ds_write2_b64 v37, v[0:1], v[2:3] offset0:36 offset1:37
	s_waitcnt vmcnt(29)
	v_mov_b32_e32 v0, v186
	v_mov_b32_e32 v1, v187
	s_waitcnt vmcnt(28)
	v_mov_b32_e32 v2, v130
	v_mov_b32_e32 v3, v131
	ds_write2_b64 v37, v[0:1], v[2:3] offset0:38 offset1:39
	s_waitcnt vmcnt(27)
	v_mov_b32_e32 v0, v184
	v_mov_b32_e32 v1, v185
	s_waitcnt vmcnt(26)
	v_mov_b32_e32 v2, v128
	v_mov_b32_e32 v3, v129
	ds_write2_b64 v37, v[0:1], v[2:3] offset0:40 offset1:41
	s_waitcnt vmcnt(25)
	v_mov_b32_e32 v0, v182
	v_mov_b32_e32 v1, v183
	s_waitcnt vmcnt(24)
	v_mov_b32_e32 v2, v126
	v_mov_b32_e32 v3, v127
	ds_write2_b64 v37, v[0:1], v[2:3] offset0:42 offset1:43
	s_waitcnt vmcnt(23)
	v_mov_b32_e32 v0, v180
	v_mov_b32_e32 v1, v181
	s_waitcnt vmcnt(22)
	v_mov_b32_e32 v2, v124
	v_mov_b32_e32 v3, v125
	ds_write2_b64 v37, v[0:1], v[2:3] offset0:44 offset1:45
	s_waitcnt vmcnt(21)
	v_mov_b32_e32 v0, v178
	v_mov_b32_e32 v1, v179
	s_waitcnt vmcnt(20)
	v_mov_b32_e32 v2, v122
	v_mov_b32_e32 v3, v123
	ds_write2_b64 v37, v[0:1], v[2:3] offset0:46 offset1:47
	s_waitcnt vmcnt(19)
	v_mov_b32_e32 v0, v176
	v_mov_b32_e32 v1, v177
	s_waitcnt vmcnt(18)
	v_mov_b32_e32 v2, v120
	v_mov_b32_e32 v3, v121
	ds_write2_b64 v37, v[0:1], v[2:3] offset0:48 offset1:49
	s_waitcnt vmcnt(17)
	v_mov_b32_e32 v0, v174
	v_mov_b32_e32 v1, v175
	s_waitcnt vmcnt(14)
	v_mov_b32_e32 v2, v118
	v_mov_b32_e32 v3, v119
	ds_write2_b64 v37, v[0:1], v[2:3] offset0:50 offset1:51
	s_waitcnt vmcnt(11)
	v_mov_b32_e32 v0, v172
	v_mov_b32_e32 v1, v173
	s_waitcnt vmcnt(8)
	v_mov_b32_e32 v2, v116
	v_mov_b32_e32 v3, v117
	ds_write2_b64 v37, v[0:1], v[2:3] offset0:52 offset1:53
	s_waitcnt vmcnt(5)
	v_mov_b32_e32 v0, v170
	v_mov_b32_e32 v1, v171
	s_waitcnt vmcnt(2)
	ds_write2_b64 v37, v[0:1], v[224:225] offset0:54 offset1:55
	ds_read_b64 v[0:1], v36
	s_waitcnt lgkmcnt(0)
	v_cmp_neq_f64_e32 vcc, 0, v[0:1]
	s_and_b64 exec, exec, vcc
	s_cbranch_execz .LBB111_9
; %bb.8:
	v_div_scale_f64 v[2:3], s[6:7], v[0:1], v[0:1], 1.0
	v_rcp_f64_e32 v[4:5], v[2:3]
	v_div_scale_f64 v[6:7], vcc, 1.0, v[0:1], 1.0
	v_fma_f64 v[8:9], -v[2:3], v[4:5], 1.0
	v_fmac_f64_e32 v[4:5], v[4:5], v[8:9]
	v_fma_f64 v[8:9], -v[2:3], v[4:5], 1.0
	v_fmac_f64_e32 v[4:5], v[4:5], v[8:9]
	v_mul_f64 v[8:9], v[6:7], v[4:5]
	v_fma_f64 v[2:3], -v[2:3], v[8:9], v[6:7]
	v_div_fmas_f64 v[2:3], v[2:3], v[4:5], v[8:9]
	v_div_fixup_f64 v[0:1], v[2:3], v[0:1], 1.0
	ds_write_b64 v36, v[0:1]
.LBB111_9:
	s_or_b64 exec, exec, s[2:3]
	s_waitcnt lgkmcnt(0)
	s_barrier
	ds_read_b64 v[0:1], v36
	v_cmp_lt_u32_e32 vcc, 1, v38
	s_waitcnt lgkmcnt(0)
	buffer_store_dword v0, off, s[16:19], 0 offset:64 ; 4-byte Folded Spill
	s_nop 0
	buffer_store_dword v1, off, s[16:19], 0 offset:68 ; 4-byte Folded Spill
	s_and_saveexec_b64 s[2:3], vcc
	s_cbranch_execz .LBB111_11
; %bb.10:
	ds_read2_b64 v[0:3], v37 offset0:2 offset1:3
	ds_read2_b64 v[4:7], v37 offset0:4 offset1:5
	buffer_load_dword v8, off, s[16:19], 0 offset:64 ; 4-byte Folded Reload
	buffer_load_dword v9, off, s[16:19], 0 offset:68 ; 4-byte Folded Reload
	s_waitcnt vmcnt(0)
	v_mul_f64 v[168:169], v[8:9], v[168:169]
	ds_read2_b64 v[8:11], v37 offset0:6 offset1:7
	s_waitcnt lgkmcnt(2)
	v_fma_f64 v[222:223], -v[168:169], v[0:1], v[222:223]
	v_fma_f64 v[166:167], -v[168:169], v[2:3], v[166:167]
	ds_read2_b64 v[0:3], v37 offset0:8 offset1:9
	s_waitcnt lgkmcnt(2)
	v_fma_f64 v[220:221], -v[168:169], v[4:5], v[220:221]
	v_fma_f64 v[164:165], -v[168:169], v[6:7], v[164:165]
	s_waitcnt lgkmcnt(1)
	v_fma_f64 v[218:219], -v[168:169], v[8:9], v[218:219]
	ds_read2_b64 v[4:7], v37 offset0:10 offset1:11
	v_fma_f64 v[162:163], -v[168:169], v[10:11], v[162:163]
	ds_read2_b64 v[8:11], v37 offset0:12 offset1:13
	s_waitcnt lgkmcnt(2)
	v_fma_f64 v[216:217], -v[168:169], v[0:1], v[216:217]
	v_fma_f64 v[160:161], -v[168:169], v[2:3], v[160:161]
	s_waitcnt lgkmcnt(1)
	v_fma_f64 v[214:215], -v[168:169], v[4:5], v[214:215]
	ds_read2_b64 v[0:3], v37 offset0:14 offset1:15
	v_fma_f64 v[158:159], -v[168:169], v[6:7], v[158:159]
	ds_read2_b64 v[4:7], v37 offset0:16 offset1:17
	s_waitcnt lgkmcnt(2)
	v_fma_f64 v[212:213], -v[168:169], v[8:9], v[212:213]
	v_fma_f64 v[156:157], -v[168:169], v[10:11], v[156:157]
	ds_read2_b64 v[8:11], v37 offset0:18 offset1:19
	s_waitcnt lgkmcnt(2)
	v_fma_f64 v[210:211], -v[168:169], v[0:1], v[210:211]
	v_fma_f64 v[154:155], -v[168:169], v[2:3], v[154:155]
	ds_read2_b64 v[0:3], v37 offset0:20 offset1:21
	s_waitcnt lgkmcnt(2)
	v_fma_f64 v[208:209], -v[168:169], v[4:5], v[208:209]
	v_fma_f64 v[152:153], -v[168:169], v[6:7], v[152:153]
	s_waitcnt lgkmcnt(1)
	v_fma_f64 v[206:207], -v[168:169], v[8:9], v[206:207]
	ds_read2_b64 v[4:7], v37 offset0:22 offset1:23
	v_fma_f64 v[150:151], -v[168:169], v[10:11], v[150:151]
	ds_read2_b64 v[8:11], v37 offset0:24 offset1:25
	s_waitcnt lgkmcnt(2)
	v_fma_f64 v[204:205], -v[168:169], v[0:1], v[204:205]
	v_fma_f64 v[148:149], -v[168:169], v[2:3], v[148:149]
	s_waitcnt lgkmcnt(1)
	v_fma_f64 v[202:203], -v[168:169], v[4:5], v[202:203]
	ds_read2_b64 v[0:3], v37 offset0:26 offset1:27
	v_fma_f64 v[146:147], -v[168:169], v[6:7], v[146:147]
	ds_read2_b64 v[4:7], v37 offset0:28 offset1:29
	s_waitcnt lgkmcnt(2)
	v_fma_f64 v[200:201], -v[168:169], v[8:9], v[200:201]
	v_fma_f64 v[144:145], -v[168:169], v[10:11], v[144:145]
	;; [unrolled: 24-line block ×3, first 2 shown]
	ds_read2_b64 v[8:11], v37 offset0:42 offset1:43
	s_waitcnt lgkmcnt(2)
	v_fma_f64 v[186:187], -v[168:169], v[0:1], v[186:187]
	v_fma_f64 v[130:131], -v[168:169], v[2:3], v[130:131]
	ds_read2_b64 v[0:3], v37 offset0:44 offset1:45
	s_waitcnt lgkmcnt(2)
	v_fma_f64 v[184:185], -v[168:169], v[4:5], v[184:185]
	v_fma_f64 v[128:129], -v[168:169], v[6:7], v[128:129]
	s_waitcnt lgkmcnt(1)
	v_fma_f64 v[182:183], -v[168:169], v[8:9], v[182:183]
	ds_read2_b64 v[4:7], v37 offset0:46 offset1:47
	v_fma_f64 v[126:127], -v[168:169], v[10:11], v[126:127]
	ds_read2_b64 v[8:11], v37 offset0:48 offset1:49
	s_waitcnt lgkmcnt(2)
	v_fma_f64 v[180:181], -v[168:169], v[0:1], v[180:181]
	v_fma_f64 v[124:125], -v[168:169], v[2:3], v[124:125]
	s_waitcnt lgkmcnt(1)
	v_fma_f64 v[178:179], -v[168:169], v[4:5], v[178:179]
	v_fma_f64 v[122:123], -v[168:169], v[6:7], v[122:123]
	ds_read2_b64 v[0:3], v37 offset0:50 offset1:51
	ds_read2_b64 v[4:7], v37 offset0:52 offset1:53
	s_waitcnt lgkmcnt(2)
	v_fma_f64 v[176:177], -v[168:169], v[8:9], v[176:177]
	v_fma_f64 v[120:121], -v[168:169], v[10:11], v[120:121]
	ds_read2_b64 v[8:11], v37 offset0:54 offset1:55
	s_waitcnt lgkmcnt(2)
	v_fma_f64 v[174:175], -v[168:169], v[0:1], v[174:175]
	v_fma_f64 v[118:119], -v[168:169], v[2:3], v[118:119]
	s_waitcnt lgkmcnt(1)
	v_fma_f64 v[172:173], -v[168:169], v[4:5], v[172:173]
	v_fma_f64 v[116:117], -v[168:169], v[6:7], v[116:117]
	;; [unrolled: 3-line block ×3, first 2 shown]
.LBB111_11:
	s_or_b64 exec, exec, s[2:3]
	v_cmp_eq_u32_e32 vcc, 2, v38
	s_waitcnt vmcnt(63) expcnt(7) lgkmcnt(15)
	s_barrier
	s_and_saveexec_b64 s[2:3], vcc
	s_cbranch_execz .LBB111_14
; %bb.12:
	ds_write_b64 v36, v[222:223]
	ds_write2_b64 v37, v[166:167], v[220:221] offset0:3 offset1:4
	ds_write2_b64 v37, v[164:165], v[218:219] offset0:5 offset1:6
	s_waitcnt vmcnt(61)
	ds_write2_b64 v37, v[162:163], v[216:217] offset0:7 offset1:8
	s_waitcnt vmcnt(59)
	;; [unrolled: 2-line block ×25, first 2 shown]
	ds_write_b64 v37, v[224:225] offset:440
	ds_read_b64 v[0:1], v36
	s_waitcnt lgkmcnt(0)
	v_cmp_neq_f64_e32 vcc, 0, v[0:1]
	s_and_b64 exec, exec, vcc
	s_cbranch_execz .LBB111_14
; %bb.13:
	v_div_scale_f64 v[2:3], s[6:7], v[0:1], v[0:1], 1.0
	v_rcp_f64_e32 v[4:5], v[2:3]
	v_div_scale_f64 v[6:7], vcc, 1.0, v[0:1], 1.0
	v_fma_f64 v[8:9], -v[2:3], v[4:5], 1.0
	v_fmac_f64_e32 v[4:5], v[4:5], v[8:9]
	v_fma_f64 v[8:9], -v[2:3], v[4:5], 1.0
	v_fmac_f64_e32 v[4:5], v[4:5], v[8:9]
	v_mul_f64 v[8:9], v[6:7], v[4:5]
	v_fma_f64 v[2:3], -v[2:3], v[8:9], v[6:7]
	v_div_fmas_f64 v[2:3], v[2:3], v[4:5], v[8:9]
	v_div_fixup_f64 v[0:1], v[2:3], v[0:1], 1.0
	ds_write_b64 v36, v[0:1]
.LBB111_14:
	s_or_b64 exec, exec, s[2:3]
	s_waitcnt lgkmcnt(0)
	s_barrier
	ds_read_b64 v[0:1], v36
	v_cmp_lt_u32_e32 vcc, 2, v38
	s_waitcnt lgkmcnt(0)
	buffer_store_dword v0, off, s[16:19], 0 offset:72 ; 4-byte Folded Spill
	s_nop 0
	buffer_store_dword v1, off, s[16:19], 0 offset:76 ; 4-byte Folded Spill
	s_and_saveexec_b64 s[2:3], vcc
	s_cbranch_execz .LBB111_16
; %bb.15:
	ds_read2_b64 v[0:3], v37 offset0:3 offset1:4
	ds_read2_b64 v[4:7], v37 offset0:5 offset1:6
	buffer_load_dword v8, off, s[16:19], 0 offset:72 ; 4-byte Folded Reload
	buffer_load_dword v9, off, s[16:19], 0 offset:76 ; 4-byte Folded Reload
	s_waitcnt vmcnt(0)
	v_mul_f64 v[222:223], v[8:9], v[222:223]
	ds_read2_b64 v[8:11], v37 offset0:7 offset1:8
	s_waitcnt lgkmcnt(2)
	v_fma_f64 v[166:167], -v[222:223], v[0:1], v[166:167]
	v_fma_f64 v[220:221], -v[222:223], v[2:3], v[220:221]
	ds_read2_b64 v[0:3], v37 offset0:9 offset1:10
	s_waitcnt lgkmcnt(2)
	v_fma_f64 v[164:165], -v[222:223], v[4:5], v[164:165]
	v_fma_f64 v[218:219], -v[222:223], v[6:7], v[218:219]
	s_waitcnt lgkmcnt(1)
	v_fma_f64 v[162:163], -v[222:223], v[8:9], v[162:163]
	ds_read2_b64 v[4:7], v37 offset0:11 offset1:12
	v_fma_f64 v[216:217], -v[222:223], v[10:11], v[216:217]
	ds_read2_b64 v[8:11], v37 offset0:13 offset1:14
	s_waitcnt lgkmcnt(2)
	v_fma_f64 v[160:161], -v[222:223], v[0:1], v[160:161]
	v_fma_f64 v[214:215], -v[222:223], v[2:3], v[214:215]
	s_waitcnt lgkmcnt(1)
	v_fma_f64 v[158:159], -v[222:223], v[4:5], v[158:159]
	ds_read2_b64 v[0:3], v37 offset0:15 offset1:16
	v_fma_f64 v[212:213], -v[222:223], v[6:7], v[212:213]
	ds_read2_b64 v[4:7], v37 offset0:17 offset1:18
	s_waitcnt lgkmcnt(2)
	v_fma_f64 v[156:157], -v[222:223], v[8:9], v[156:157]
	v_fma_f64 v[210:211], -v[222:223], v[10:11], v[210:211]
	ds_read2_b64 v[8:11], v37 offset0:19 offset1:20
	s_waitcnt lgkmcnt(2)
	v_fma_f64 v[154:155], -v[222:223], v[0:1], v[154:155]
	v_fma_f64 v[208:209], -v[222:223], v[2:3], v[208:209]
	ds_read2_b64 v[0:3], v37 offset0:21 offset1:22
	s_waitcnt lgkmcnt(2)
	v_fma_f64 v[152:153], -v[222:223], v[4:5], v[152:153]
	v_fma_f64 v[206:207], -v[222:223], v[6:7], v[206:207]
	s_waitcnt lgkmcnt(1)
	v_fma_f64 v[150:151], -v[222:223], v[8:9], v[150:151]
	ds_read2_b64 v[4:7], v37 offset0:23 offset1:24
	v_fma_f64 v[204:205], -v[222:223], v[10:11], v[204:205]
	ds_read2_b64 v[8:11], v37 offset0:25 offset1:26
	s_waitcnt lgkmcnt(2)
	v_fma_f64 v[148:149], -v[222:223], v[0:1], v[148:149]
	v_fma_f64 v[202:203], -v[222:223], v[2:3], v[202:203]
	s_waitcnt lgkmcnt(1)
	v_fma_f64 v[146:147], -v[222:223], v[4:5], v[146:147]
	ds_read2_b64 v[0:3], v37 offset0:27 offset1:28
	v_fma_f64 v[200:201], -v[222:223], v[6:7], v[200:201]
	ds_read2_b64 v[4:7], v37 offset0:29 offset1:30
	s_waitcnt lgkmcnt(2)
	v_fma_f64 v[144:145], -v[222:223], v[8:9], v[144:145]
	v_fma_f64 v[198:199], -v[222:223], v[10:11], v[198:199]
	;; [unrolled: 24-line block ×3, first 2 shown]
	ds_read2_b64 v[8:11], v37 offset0:43 offset1:44
	s_waitcnt lgkmcnt(2)
	v_fma_f64 v[130:131], -v[222:223], v[0:1], v[130:131]
	v_fma_f64 v[184:185], -v[222:223], v[2:3], v[184:185]
	ds_read2_b64 v[0:3], v37 offset0:45 offset1:46
	s_waitcnt lgkmcnt(2)
	v_fma_f64 v[128:129], -v[222:223], v[4:5], v[128:129]
	v_fma_f64 v[182:183], -v[222:223], v[6:7], v[182:183]
	s_waitcnt lgkmcnt(1)
	v_fma_f64 v[126:127], -v[222:223], v[8:9], v[126:127]
	ds_read2_b64 v[4:7], v37 offset0:47 offset1:48
	v_fma_f64 v[180:181], -v[222:223], v[10:11], v[180:181]
	ds_read2_b64 v[8:11], v37 offset0:49 offset1:50
	s_waitcnt lgkmcnt(2)
	v_fma_f64 v[124:125], -v[222:223], v[0:1], v[124:125]
	v_fma_f64 v[178:179], -v[222:223], v[2:3], v[178:179]
	s_waitcnt lgkmcnt(1)
	v_fma_f64 v[122:123], -v[222:223], v[4:5], v[122:123]
	v_fma_f64 v[176:177], -v[222:223], v[6:7], v[176:177]
	ds_read2_b64 v[0:3], v37 offset0:51 offset1:52
	ds_read2_b64 v[4:7], v37 offset0:53 offset1:54
	s_waitcnt lgkmcnt(2)
	v_fma_f64 v[120:121], -v[222:223], v[8:9], v[120:121]
	ds_read_b64 v[8:9], v37 offset:440
	v_fma_f64 v[174:175], -v[222:223], v[10:11], v[174:175]
	s_waitcnt lgkmcnt(2)
	v_fma_f64 v[118:119], -v[222:223], v[0:1], v[118:119]
	v_fma_f64 v[172:173], -v[222:223], v[2:3], v[172:173]
	s_waitcnt lgkmcnt(1)
	v_fma_f64 v[116:117], -v[222:223], v[4:5], v[116:117]
	;; [unrolled: 3-line block ×3, first 2 shown]
.LBB111_16:
	s_or_b64 exec, exec, s[2:3]
	v_cmp_eq_u32_e32 vcc, 3, v38
	s_waitcnt vmcnt(63) expcnt(7) lgkmcnt(15)
	s_barrier
	s_and_saveexec_b64 s[2:3], vcc
	s_cbranch_execz .LBB111_19
; %bb.17:
	v_mov_b32_e32 v0, v220
	v_mov_b32_e32 v1, v221
	;; [unrolled: 1-line block ×4, first 2 shown]
	ds_write_b64 v36, v[166:167]
	ds_write2_b64 v37, v[0:1], v[2:3] offset0:4 offset1:5
	v_mov_b32_e32 v0, v218
	v_mov_b32_e32 v1, v219
	;; [unrolled: 1-line block ×4, first 2 shown]
	ds_write2_b64 v37, v[0:1], v[2:3] offset0:6 offset1:7
	v_mov_b32_e32 v0, v216
	v_mov_b32_e32 v1, v217
	s_waitcnt vmcnt(62)
	v_mov_b32_e32 v2, v160
	v_mov_b32_e32 v3, v161
	ds_write2_b64 v37, v[0:1], v[2:3] offset0:8 offset1:9
	s_waitcnt vmcnt(61)
	v_mov_b32_e32 v0, v214
	v_mov_b32_e32 v1, v215
	s_waitcnt vmcnt(60)
	v_mov_b32_e32 v2, v158
	v_mov_b32_e32 v3, v159
	ds_write2_b64 v37, v[0:1], v[2:3] offset0:10 offset1:11
	s_waitcnt vmcnt(59)
	;; [unrolled: 7-line block ×23, first 2 shown]
	v_mov_b32_e32 v0, v170
	v_mov_b32_e32 v1, v171
	s_waitcnt vmcnt(6)
	ds_write2_b64 v37, v[0:1], v[224:225] offset0:54 offset1:55
	ds_read_b64 v[0:1], v36
	s_waitcnt lgkmcnt(0)
	v_cmp_neq_f64_e32 vcc, 0, v[0:1]
	s_and_b64 exec, exec, vcc
	s_cbranch_execz .LBB111_19
; %bb.18:
	v_div_scale_f64 v[2:3], s[6:7], v[0:1], v[0:1], 1.0
	v_rcp_f64_e32 v[4:5], v[2:3]
	v_div_scale_f64 v[6:7], vcc, 1.0, v[0:1], 1.0
	v_fma_f64 v[8:9], -v[2:3], v[4:5], 1.0
	v_fmac_f64_e32 v[4:5], v[4:5], v[8:9]
	v_fma_f64 v[8:9], -v[2:3], v[4:5], 1.0
	v_fmac_f64_e32 v[4:5], v[4:5], v[8:9]
	v_mul_f64 v[8:9], v[6:7], v[4:5]
	v_fma_f64 v[2:3], -v[2:3], v[8:9], v[6:7]
	v_div_fmas_f64 v[2:3], v[2:3], v[4:5], v[8:9]
	v_div_fixup_f64 v[0:1], v[2:3], v[0:1], 1.0
	ds_write_b64 v36, v[0:1]
.LBB111_19:
	s_or_b64 exec, exec, s[2:3]
	s_waitcnt lgkmcnt(0)
	s_barrier
	ds_read_b64 v[0:1], v36
	v_cmp_lt_u32_e32 vcc, 3, v38
	s_waitcnt lgkmcnt(0)
	buffer_store_dword v0, off, s[16:19], 0 offset:80 ; 4-byte Folded Spill
	s_nop 0
	buffer_store_dword v1, off, s[16:19], 0 offset:84 ; 4-byte Folded Spill
	s_and_saveexec_b64 s[2:3], vcc
	s_cbranch_execz .LBB111_21
; %bb.20:
	ds_read2_b64 v[0:3], v37 offset0:4 offset1:5
	ds_read2_b64 v[4:7], v37 offset0:6 offset1:7
	buffer_load_dword v8, off, s[16:19], 0 offset:80 ; 4-byte Folded Reload
	buffer_load_dword v9, off, s[16:19], 0 offset:84 ; 4-byte Folded Reload
	s_waitcnt vmcnt(0)
	v_mul_f64 v[166:167], v[8:9], v[166:167]
	s_waitcnt lgkmcnt(1)
	v_fma_f64 v[220:221], -v[166:167], v[0:1], v[220:221]
	ds_read2_b64 v[8:11], v37 offset0:8 offset1:9
	v_fma_f64 v[164:165], -v[166:167], v[2:3], v[164:165]
	ds_read2_b64 v[0:3], v37 offset0:10 offset1:11
	s_waitcnt lgkmcnt(2)
	v_fma_f64 v[218:219], -v[166:167], v[4:5], v[218:219]
	v_fma_f64 v[162:163], -v[166:167], v[6:7], v[162:163]
	ds_read2_b64 v[4:7], v37 offset0:12 offset1:13
	s_waitcnt lgkmcnt(2)
	v_fma_f64 v[216:217], -v[166:167], v[8:9], v[216:217]
	v_fma_f64 v[160:161], -v[166:167], v[10:11], v[160:161]
	ds_read2_b64 v[8:11], v37 offset0:14 offset1:15
	s_waitcnt lgkmcnt(2)
	v_fma_f64 v[214:215], -v[166:167], v[0:1], v[214:215]
	v_fma_f64 v[158:159], -v[166:167], v[2:3], v[158:159]
	s_waitcnt lgkmcnt(1)
	v_fma_f64 v[212:213], -v[166:167], v[4:5], v[212:213]
	ds_read2_b64 v[0:3], v37 offset0:16 offset1:17
	v_fma_f64 v[156:157], -v[166:167], v[6:7], v[156:157]
	ds_read2_b64 v[4:7], v37 offset0:18 offset1:19
	s_waitcnt lgkmcnt(2)
	v_fma_f64 v[210:211], -v[166:167], v[8:9], v[210:211]
	v_fma_f64 v[154:155], -v[166:167], v[10:11], v[154:155]
	s_waitcnt lgkmcnt(1)
	v_fma_f64 v[208:209], -v[166:167], v[0:1], v[208:209]
	ds_read2_b64 v[8:11], v37 offset0:20 offset1:21
	v_fma_f64 v[152:153], -v[166:167], v[2:3], v[152:153]
	ds_read2_b64 v[0:3], v37 offset0:22 offset1:23
	s_waitcnt lgkmcnt(2)
	v_fma_f64 v[206:207], -v[166:167], v[4:5], v[206:207]
	v_fma_f64 v[150:151], -v[166:167], v[6:7], v[150:151]
	ds_read2_b64 v[4:7], v37 offset0:24 offset1:25
	s_waitcnt lgkmcnt(2)
	v_fma_f64 v[204:205], -v[166:167], v[8:9], v[204:205]
	v_fma_f64 v[148:149], -v[166:167], v[10:11], v[148:149]
	ds_read2_b64 v[8:11], v37 offset0:26 offset1:27
	s_waitcnt lgkmcnt(2)
	v_fma_f64 v[202:203], -v[166:167], v[0:1], v[202:203]
	v_fma_f64 v[146:147], -v[166:167], v[2:3], v[146:147]
	s_waitcnt lgkmcnt(1)
	v_fma_f64 v[200:201], -v[166:167], v[4:5], v[200:201]
	ds_read2_b64 v[0:3], v37 offset0:28 offset1:29
	v_fma_f64 v[144:145], -v[166:167], v[6:7], v[144:145]
	ds_read2_b64 v[4:7], v37 offset0:30 offset1:31
	s_waitcnt lgkmcnt(2)
	v_fma_f64 v[198:199], -v[166:167], v[8:9], v[198:199]
	v_fma_f64 v[142:143], -v[166:167], v[10:11], v[142:143]
	;; [unrolled: 24-line block ×3, first 2 shown]
	s_waitcnt lgkmcnt(1)
	v_fma_f64 v[184:185], -v[166:167], v[0:1], v[184:185]
	ds_read2_b64 v[8:11], v37 offset0:44 offset1:45
	v_fma_f64 v[128:129], -v[166:167], v[2:3], v[128:129]
	ds_read2_b64 v[0:3], v37 offset0:46 offset1:47
	s_waitcnt lgkmcnt(2)
	v_fma_f64 v[182:183], -v[166:167], v[4:5], v[182:183]
	v_fma_f64 v[126:127], -v[166:167], v[6:7], v[126:127]
	ds_read2_b64 v[4:7], v37 offset0:48 offset1:49
	s_waitcnt lgkmcnt(2)
	v_fma_f64 v[180:181], -v[166:167], v[8:9], v[180:181]
	v_fma_f64 v[124:125], -v[166:167], v[10:11], v[124:125]
	s_waitcnt lgkmcnt(1)
	v_fma_f64 v[178:179], -v[166:167], v[0:1], v[178:179]
	v_fma_f64 v[122:123], -v[166:167], v[2:3], v[122:123]
	ds_read2_b64 v[0:3], v37 offset0:50 offset1:51
	s_waitcnt lgkmcnt(1)
	v_fma_f64 v[176:177], -v[166:167], v[4:5], v[176:177]
	ds_read2_b64 v[8:11], v37 offset0:52 offset1:53
	v_fma_f64 v[120:121], -v[166:167], v[6:7], v[120:121]
	ds_read2_b64 v[4:7], v37 offset0:54 offset1:55
	s_waitcnt lgkmcnt(2)
	v_fma_f64 v[174:175], -v[166:167], v[0:1], v[174:175]
	v_fma_f64 v[118:119], -v[166:167], v[2:3], v[118:119]
	s_waitcnt lgkmcnt(1)
	v_fma_f64 v[172:173], -v[166:167], v[8:9], v[172:173]
	v_fma_f64 v[116:117], -v[166:167], v[10:11], v[116:117]
	s_waitcnt lgkmcnt(0)
	v_fma_f64 v[170:171], -v[166:167], v[4:5], v[170:171]
	v_fma_f64 v[224:225], -v[166:167], v[6:7], v[224:225]
.LBB111_21:
	s_or_b64 exec, exec, s[2:3]
	v_cmp_eq_u32_e32 vcc, 4, v38
	s_waitcnt vmcnt(63) expcnt(7) lgkmcnt(15)
	s_barrier
	s_and_saveexec_b64 s[2:3], vcc
	s_cbranch_execz .LBB111_24
; %bb.22:
	ds_write_b64 v36, v[220:221]
	ds_write2_b64 v37, v[164:165], v[218:219] offset0:5 offset1:6
	ds_write2_b64 v37, v[162:163], v[216:217] offset0:7 offset1:8
	;; [unrolled: 1-line block ×3, first 2 shown]
	s_waitcnt vmcnt(61)
	ds_write2_b64 v37, v[158:159], v[212:213] offset0:11 offset1:12
	s_waitcnt vmcnt(59)
	ds_write2_b64 v37, v[156:157], v[210:211] offset0:13 offset1:14
	s_waitcnt vmcnt(57)
	ds_write2_b64 v37, v[154:155], v[208:209] offset0:15 offset1:16
	s_waitcnt vmcnt(55)
	ds_write2_b64 v37, v[152:153], v[206:207] offset0:17 offset1:18
	s_waitcnt vmcnt(53)
	ds_write2_b64 v37, v[150:151], v[204:205] offset0:19 offset1:20
	s_waitcnt vmcnt(51)
	ds_write2_b64 v37, v[148:149], v[202:203] offset0:21 offset1:22
	s_waitcnt vmcnt(49)
	ds_write2_b64 v37, v[146:147], v[200:201] offset0:23 offset1:24
	s_waitcnt vmcnt(47)
	ds_write2_b64 v37, v[144:145], v[198:199] offset0:25 offset1:26
	s_waitcnt vmcnt(45)
	ds_write2_b64 v37, v[142:143], v[196:197] offset0:27 offset1:28
	s_waitcnt vmcnt(43)
	ds_write2_b64 v37, v[140:141], v[194:195] offset0:29 offset1:30
	s_waitcnt vmcnt(41)
	ds_write2_b64 v37, v[138:139], v[192:193] offset0:31 offset1:32
	s_waitcnt vmcnt(39)
	ds_write2_b64 v37, v[136:137], v[190:191] offset0:33 offset1:34
	s_waitcnt vmcnt(37)
	ds_write2_b64 v37, v[134:135], v[188:189] offset0:35 offset1:36
	s_waitcnt vmcnt(35)
	ds_write2_b64 v37, v[132:133], v[186:187] offset0:37 offset1:38
	s_waitcnt vmcnt(33)
	ds_write2_b64 v37, v[130:131], v[184:185] offset0:39 offset1:40
	s_waitcnt vmcnt(31)
	ds_write2_b64 v37, v[128:129], v[182:183] offset0:41 offset1:42
	s_waitcnt vmcnt(29)
	ds_write2_b64 v37, v[126:127], v[180:181] offset0:43 offset1:44
	s_waitcnt vmcnt(27)
	ds_write2_b64 v37, v[124:125], v[178:179] offset0:45 offset1:46
	s_waitcnt vmcnt(25)
	ds_write2_b64 v37, v[122:123], v[176:177] offset0:47 offset1:48
	s_waitcnt vmcnt(23)
	ds_write2_b64 v37, v[120:121], v[174:175] offset0:49 offset1:50
	s_waitcnt vmcnt(17)
	ds_write2_b64 v37, v[118:119], v[172:173] offset0:51 offset1:52
	s_waitcnt vmcnt(11)
	ds_write2_b64 v37, v[116:117], v[170:171] offset0:53 offset1:54
	s_waitcnt vmcnt(8)
	ds_write_b64 v37, v[224:225] offset:440
	ds_read_b64 v[0:1], v36
	s_waitcnt lgkmcnt(0)
	v_cmp_neq_f64_e32 vcc, 0, v[0:1]
	s_and_b64 exec, exec, vcc
	s_cbranch_execz .LBB111_24
; %bb.23:
	v_div_scale_f64 v[2:3], s[6:7], v[0:1], v[0:1], 1.0
	v_rcp_f64_e32 v[4:5], v[2:3]
	v_div_scale_f64 v[6:7], vcc, 1.0, v[0:1], 1.0
	v_fma_f64 v[8:9], -v[2:3], v[4:5], 1.0
	v_fmac_f64_e32 v[4:5], v[4:5], v[8:9]
	v_fma_f64 v[8:9], -v[2:3], v[4:5], 1.0
	v_fmac_f64_e32 v[4:5], v[4:5], v[8:9]
	v_mul_f64 v[8:9], v[6:7], v[4:5]
	v_fma_f64 v[2:3], -v[2:3], v[8:9], v[6:7]
	v_div_fmas_f64 v[2:3], v[2:3], v[4:5], v[8:9]
	v_div_fixup_f64 v[0:1], v[2:3], v[0:1], 1.0
	ds_write_b64 v36, v[0:1]
.LBB111_24:
	s_or_b64 exec, exec, s[2:3]
	s_waitcnt lgkmcnt(0)
	s_barrier
	ds_read_b64 v[0:1], v36
	v_cmp_lt_u32_e32 vcc, 4, v38
	s_waitcnt lgkmcnt(0)
	buffer_store_dword v0, off, s[16:19], 0 offset:88 ; 4-byte Folded Spill
	s_nop 0
	buffer_store_dword v1, off, s[16:19], 0 offset:92 ; 4-byte Folded Spill
	s_and_saveexec_b64 s[2:3], vcc
	s_cbranch_execz .LBB111_26
; %bb.25:
	ds_read2_b64 v[0:3], v37 offset0:5 offset1:6
	ds_read2_b64 v[4:7], v37 offset0:7 offset1:8
	buffer_load_dword v8, off, s[16:19], 0 offset:88 ; 4-byte Folded Reload
	buffer_load_dword v9, off, s[16:19], 0 offset:92 ; 4-byte Folded Reload
	s_waitcnt vmcnt(0)
	v_mul_f64 v[220:221], v[8:9], v[220:221]
	s_waitcnt lgkmcnt(1)
	v_fma_f64 v[164:165], -v[220:221], v[0:1], v[164:165]
	ds_read2_b64 v[8:11], v37 offset0:9 offset1:10
	v_fma_f64 v[218:219], -v[220:221], v[2:3], v[218:219]
	ds_read2_b64 v[0:3], v37 offset0:11 offset1:12
	s_waitcnt lgkmcnt(2)
	v_fma_f64 v[162:163], -v[220:221], v[4:5], v[162:163]
	v_fma_f64 v[216:217], -v[220:221], v[6:7], v[216:217]
	ds_read2_b64 v[4:7], v37 offset0:13 offset1:14
	s_waitcnt lgkmcnt(2)
	v_fma_f64 v[160:161], -v[220:221], v[8:9], v[160:161]
	v_fma_f64 v[214:215], -v[220:221], v[10:11], v[214:215]
	ds_read2_b64 v[8:11], v37 offset0:15 offset1:16
	s_waitcnt lgkmcnt(2)
	v_fma_f64 v[158:159], -v[220:221], v[0:1], v[158:159]
	v_fma_f64 v[212:213], -v[220:221], v[2:3], v[212:213]
	s_waitcnt lgkmcnt(1)
	v_fma_f64 v[156:157], -v[220:221], v[4:5], v[156:157]
	ds_read2_b64 v[0:3], v37 offset0:17 offset1:18
	v_fma_f64 v[210:211], -v[220:221], v[6:7], v[210:211]
	ds_read2_b64 v[4:7], v37 offset0:19 offset1:20
	s_waitcnt lgkmcnt(2)
	v_fma_f64 v[154:155], -v[220:221], v[8:9], v[154:155]
	v_fma_f64 v[208:209], -v[220:221], v[10:11], v[208:209]
	s_waitcnt lgkmcnt(1)
	v_fma_f64 v[152:153], -v[220:221], v[0:1], v[152:153]
	ds_read2_b64 v[8:11], v37 offset0:21 offset1:22
	v_fma_f64 v[206:207], -v[220:221], v[2:3], v[206:207]
	ds_read2_b64 v[0:3], v37 offset0:23 offset1:24
	s_waitcnt lgkmcnt(2)
	v_fma_f64 v[150:151], -v[220:221], v[4:5], v[150:151]
	v_fma_f64 v[204:205], -v[220:221], v[6:7], v[204:205]
	ds_read2_b64 v[4:7], v37 offset0:25 offset1:26
	s_waitcnt lgkmcnt(2)
	v_fma_f64 v[148:149], -v[220:221], v[8:9], v[148:149]
	v_fma_f64 v[202:203], -v[220:221], v[10:11], v[202:203]
	ds_read2_b64 v[8:11], v37 offset0:27 offset1:28
	s_waitcnt lgkmcnt(2)
	v_fma_f64 v[146:147], -v[220:221], v[0:1], v[146:147]
	v_fma_f64 v[200:201], -v[220:221], v[2:3], v[200:201]
	s_waitcnt lgkmcnt(1)
	v_fma_f64 v[144:145], -v[220:221], v[4:5], v[144:145]
	ds_read2_b64 v[0:3], v37 offset0:29 offset1:30
	v_fma_f64 v[198:199], -v[220:221], v[6:7], v[198:199]
	ds_read2_b64 v[4:7], v37 offset0:31 offset1:32
	s_waitcnt lgkmcnt(2)
	v_fma_f64 v[142:143], -v[220:221], v[8:9], v[142:143]
	v_fma_f64 v[196:197], -v[220:221], v[10:11], v[196:197]
	;; [unrolled: 24-line block ×3, first 2 shown]
	s_waitcnt lgkmcnt(1)
	v_fma_f64 v[128:129], -v[220:221], v[0:1], v[128:129]
	ds_read2_b64 v[8:11], v37 offset0:45 offset1:46
	v_fma_f64 v[182:183], -v[220:221], v[2:3], v[182:183]
	ds_read2_b64 v[0:3], v37 offset0:47 offset1:48
	s_waitcnt lgkmcnt(2)
	v_fma_f64 v[126:127], -v[220:221], v[4:5], v[126:127]
	v_fma_f64 v[180:181], -v[220:221], v[6:7], v[180:181]
	ds_read2_b64 v[4:7], v37 offset0:49 offset1:50
	s_waitcnt lgkmcnt(2)
	v_fma_f64 v[124:125], -v[220:221], v[8:9], v[124:125]
	v_fma_f64 v[178:179], -v[220:221], v[10:11], v[178:179]
	s_waitcnt lgkmcnt(1)
	v_fma_f64 v[122:123], -v[220:221], v[0:1], v[122:123]
	v_fma_f64 v[176:177], -v[220:221], v[2:3], v[176:177]
	ds_read2_b64 v[0:3], v37 offset0:51 offset1:52
	s_waitcnt lgkmcnt(1)
	v_fma_f64 v[120:121], -v[220:221], v[4:5], v[120:121]
	ds_read2_b64 v[8:11], v37 offset0:53 offset1:54
	ds_read_b64 v[4:5], v37 offset:440
	v_fma_f64 v[174:175], -v[220:221], v[6:7], v[174:175]
	s_waitcnt lgkmcnt(2)
	v_fma_f64 v[118:119], -v[220:221], v[0:1], v[118:119]
	v_fma_f64 v[172:173], -v[220:221], v[2:3], v[172:173]
	s_waitcnt lgkmcnt(1)
	v_fma_f64 v[116:117], -v[220:221], v[8:9], v[116:117]
	;; [unrolled: 3-line block ×3, first 2 shown]
.LBB111_26:
	s_or_b64 exec, exec, s[2:3]
	v_cmp_eq_u32_e32 vcc, 5, v38
	s_waitcnt vmcnt(63) expcnt(7) lgkmcnt(15)
	s_barrier
	s_and_saveexec_b64 s[2:3], vcc
	s_cbranch_execz .LBB111_29
; %bb.27:
	v_mov_b32_e32 v0, v218
	v_mov_b32_e32 v1, v219
	;; [unrolled: 1-line block ×4, first 2 shown]
	ds_write_b64 v36, v[164:165]
	ds_write2_b64 v37, v[0:1], v[2:3] offset0:6 offset1:7
	v_mov_b32_e32 v0, v216
	v_mov_b32_e32 v1, v217
	;; [unrolled: 1-line block ×4, first 2 shown]
	ds_write2_b64 v37, v[0:1], v[2:3] offset0:8 offset1:9
	v_mov_b32_e32 v0, v214
	v_mov_b32_e32 v1, v215
	;; [unrolled: 1-line block ×4, first 2 shown]
	ds_write2_b64 v37, v[0:1], v[2:3] offset0:10 offset1:11
	v_mov_b32_e32 v0, v212
	v_mov_b32_e32 v1, v213
	s_waitcnt vmcnt(62)
	v_mov_b32_e32 v2, v156
	v_mov_b32_e32 v3, v157
	ds_write2_b64 v37, v[0:1], v[2:3] offset0:12 offset1:13
	s_waitcnt vmcnt(61)
	v_mov_b32_e32 v0, v210
	v_mov_b32_e32 v1, v211
	s_waitcnt vmcnt(60)
	v_mov_b32_e32 v2, v154
	v_mov_b32_e32 v3, v155
	ds_write2_b64 v37, v[0:1], v[2:3] offset0:14 offset1:15
	s_waitcnt vmcnt(59)
	v_mov_b32_e32 v0, v208
	v_mov_b32_e32 v1, v209
	s_waitcnt vmcnt(58)
	v_mov_b32_e32 v2, v152
	v_mov_b32_e32 v3, v153
	ds_write2_b64 v37, v[0:1], v[2:3] offset0:16 offset1:17
	s_waitcnt vmcnt(57)
	v_mov_b32_e32 v0, v206
	v_mov_b32_e32 v1, v207
	s_waitcnt vmcnt(56)
	v_mov_b32_e32 v2, v150
	v_mov_b32_e32 v3, v151
	ds_write2_b64 v37, v[0:1], v[2:3] offset0:18 offset1:19
	s_waitcnt vmcnt(55)
	v_mov_b32_e32 v0, v204
	v_mov_b32_e32 v1, v205
	s_waitcnt vmcnt(54)
	v_mov_b32_e32 v2, v148
	v_mov_b32_e32 v3, v149
	ds_write2_b64 v37, v[0:1], v[2:3] offset0:20 offset1:21
	s_waitcnt vmcnt(53)
	v_mov_b32_e32 v0, v202
	v_mov_b32_e32 v1, v203
	s_waitcnt vmcnt(52)
	v_mov_b32_e32 v2, v146
	v_mov_b32_e32 v3, v147
	ds_write2_b64 v37, v[0:1], v[2:3] offset0:22 offset1:23
	s_waitcnt vmcnt(51)
	v_mov_b32_e32 v0, v200
	v_mov_b32_e32 v1, v201
	s_waitcnt vmcnt(50)
	v_mov_b32_e32 v2, v144
	v_mov_b32_e32 v3, v145
	ds_write2_b64 v37, v[0:1], v[2:3] offset0:24 offset1:25
	s_waitcnt vmcnt(49)
	v_mov_b32_e32 v0, v198
	v_mov_b32_e32 v1, v199
	s_waitcnt vmcnt(48)
	v_mov_b32_e32 v2, v142
	v_mov_b32_e32 v3, v143
	ds_write2_b64 v37, v[0:1], v[2:3] offset0:26 offset1:27
	s_waitcnt vmcnt(47)
	v_mov_b32_e32 v0, v196
	v_mov_b32_e32 v1, v197
	s_waitcnt vmcnt(46)
	v_mov_b32_e32 v2, v140
	v_mov_b32_e32 v3, v141
	ds_write2_b64 v37, v[0:1], v[2:3] offset0:28 offset1:29
	s_waitcnt vmcnt(45)
	v_mov_b32_e32 v0, v194
	v_mov_b32_e32 v1, v195
	s_waitcnt vmcnt(44)
	v_mov_b32_e32 v2, v138
	v_mov_b32_e32 v3, v139
	ds_write2_b64 v37, v[0:1], v[2:3] offset0:30 offset1:31
	s_waitcnt vmcnt(43)
	v_mov_b32_e32 v0, v192
	v_mov_b32_e32 v1, v193
	s_waitcnt vmcnt(42)
	v_mov_b32_e32 v2, v136
	v_mov_b32_e32 v3, v137
	ds_write2_b64 v37, v[0:1], v[2:3] offset0:32 offset1:33
	s_waitcnt vmcnt(41)
	v_mov_b32_e32 v0, v190
	v_mov_b32_e32 v1, v191
	s_waitcnt vmcnt(40)
	v_mov_b32_e32 v2, v134
	v_mov_b32_e32 v3, v135
	ds_write2_b64 v37, v[0:1], v[2:3] offset0:34 offset1:35
	s_waitcnt vmcnt(39)
	v_mov_b32_e32 v0, v188
	v_mov_b32_e32 v1, v189
	s_waitcnt vmcnt(38)
	v_mov_b32_e32 v2, v132
	v_mov_b32_e32 v3, v133
	ds_write2_b64 v37, v[0:1], v[2:3] offset0:36 offset1:37
	s_waitcnt vmcnt(37)
	v_mov_b32_e32 v0, v186
	v_mov_b32_e32 v1, v187
	s_waitcnt vmcnt(36)
	v_mov_b32_e32 v2, v130
	v_mov_b32_e32 v3, v131
	ds_write2_b64 v37, v[0:1], v[2:3] offset0:38 offset1:39
	s_waitcnt vmcnt(35)
	v_mov_b32_e32 v0, v184
	v_mov_b32_e32 v1, v185
	s_waitcnt vmcnt(34)
	v_mov_b32_e32 v2, v128
	v_mov_b32_e32 v3, v129
	ds_write2_b64 v37, v[0:1], v[2:3] offset0:40 offset1:41
	s_waitcnt vmcnt(33)
	v_mov_b32_e32 v0, v182
	v_mov_b32_e32 v1, v183
	s_waitcnt vmcnt(32)
	v_mov_b32_e32 v2, v126
	v_mov_b32_e32 v3, v127
	ds_write2_b64 v37, v[0:1], v[2:3] offset0:42 offset1:43
	s_waitcnt vmcnt(31)
	v_mov_b32_e32 v0, v180
	v_mov_b32_e32 v1, v181
	s_waitcnt vmcnt(30)
	v_mov_b32_e32 v2, v124
	v_mov_b32_e32 v3, v125
	ds_write2_b64 v37, v[0:1], v[2:3] offset0:44 offset1:45
	s_waitcnt vmcnt(29)
	v_mov_b32_e32 v0, v178
	v_mov_b32_e32 v1, v179
	s_waitcnt vmcnt(28)
	v_mov_b32_e32 v2, v122
	v_mov_b32_e32 v3, v123
	ds_write2_b64 v37, v[0:1], v[2:3] offset0:46 offset1:47
	s_waitcnt vmcnt(27)
	v_mov_b32_e32 v0, v176
	v_mov_b32_e32 v1, v177
	s_waitcnt vmcnt(26)
	v_mov_b32_e32 v2, v120
	v_mov_b32_e32 v3, v121
	ds_write2_b64 v37, v[0:1], v[2:3] offset0:48 offset1:49
	s_waitcnt vmcnt(25)
	v_mov_b32_e32 v0, v174
	v_mov_b32_e32 v1, v175
	s_waitcnt vmcnt(22)
	v_mov_b32_e32 v2, v118
	v_mov_b32_e32 v3, v119
	ds_write2_b64 v37, v[0:1], v[2:3] offset0:50 offset1:51
	s_waitcnt vmcnt(19)
	v_mov_b32_e32 v0, v172
	v_mov_b32_e32 v1, v173
	s_waitcnt vmcnt(16)
	v_mov_b32_e32 v2, v116
	v_mov_b32_e32 v3, v117
	ds_write2_b64 v37, v[0:1], v[2:3] offset0:52 offset1:53
	s_waitcnt vmcnt(13)
	v_mov_b32_e32 v0, v170
	v_mov_b32_e32 v1, v171
	s_waitcnt vmcnt(10)
	ds_write2_b64 v37, v[0:1], v[224:225] offset0:54 offset1:55
	ds_read_b64 v[0:1], v36
	s_waitcnt lgkmcnt(0)
	v_cmp_neq_f64_e32 vcc, 0, v[0:1]
	s_and_b64 exec, exec, vcc
	s_cbranch_execz .LBB111_29
; %bb.28:
	v_div_scale_f64 v[2:3], s[6:7], v[0:1], v[0:1], 1.0
	v_rcp_f64_e32 v[4:5], v[2:3]
	v_div_scale_f64 v[6:7], vcc, 1.0, v[0:1], 1.0
	v_fma_f64 v[8:9], -v[2:3], v[4:5], 1.0
	v_fmac_f64_e32 v[4:5], v[4:5], v[8:9]
	v_fma_f64 v[8:9], -v[2:3], v[4:5], 1.0
	v_fmac_f64_e32 v[4:5], v[4:5], v[8:9]
	v_mul_f64 v[8:9], v[6:7], v[4:5]
	v_fma_f64 v[2:3], -v[2:3], v[8:9], v[6:7]
	v_div_fmas_f64 v[2:3], v[2:3], v[4:5], v[8:9]
	v_div_fixup_f64 v[0:1], v[2:3], v[0:1], 1.0
	ds_write_b64 v36, v[0:1]
.LBB111_29:
	s_or_b64 exec, exec, s[2:3]
	s_waitcnt lgkmcnt(0)
	s_barrier
	ds_read_b64 v[0:1], v36
	v_cmp_lt_u32_e32 vcc, 5, v38
	s_waitcnt lgkmcnt(0)
	buffer_store_dword v0, off, s[16:19], 0 offset:96 ; 4-byte Folded Spill
	s_nop 0
	buffer_store_dword v1, off, s[16:19], 0 offset:100 ; 4-byte Folded Spill
	s_and_saveexec_b64 s[2:3], vcc
	s_cbranch_execz .LBB111_31
; %bb.30:
	ds_read2_b64 v[0:3], v37 offset0:6 offset1:7
	ds_read2_b64 v[4:7], v37 offset0:8 offset1:9
	buffer_load_dword v8, off, s[16:19], 0 offset:96 ; 4-byte Folded Reload
	buffer_load_dword v9, off, s[16:19], 0 offset:100 ; 4-byte Folded Reload
	s_waitcnt vmcnt(0)
	v_mul_f64 v[164:165], v[8:9], v[164:165]
	s_waitcnt lgkmcnt(1)
	v_fma_f64 v[218:219], -v[164:165], v[0:1], v[218:219]
	ds_read2_b64 v[8:11], v37 offset0:10 offset1:11
	v_fma_f64 v[162:163], -v[164:165], v[2:3], v[162:163]
	ds_read2_b64 v[0:3], v37 offset0:12 offset1:13
	s_waitcnt lgkmcnt(2)
	v_fma_f64 v[216:217], -v[164:165], v[4:5], v[216:217]
	v_fma_f64 v[160:161], -v[164:165], v[6:7], v[160:161]
	s_waitcnt lgkmcnt(1)
	v_fma_f64 v[214:215], -v[164:165], v[8:9], v[214:215]
	ds_read2_b64 v[4:7], v37 offset0:14 offset1:15
	v_fma_f64 v[158:159], -v[164:165], v[10:11], v[158:159]
	ds_read2_b64 v[8:11], v37 offset0:16 offset1:17
	s_waitcnt lgkmcnt(2)
	v_fma_f64 v[212:213], -v[164:165], v[0:1], v[212:213]
	v_fma_f64 v[156:157], -v[164:165], v[2:3], v[156:157]
	ds_read2_b64 v[0:3], v37 offset0:18 offset1:19
	s_waitcnt lgkmcnt(2)
	v_fma_f64 v[210:211], -v[164:165], v[4:5], v[210:211]
	v_fma_f64 v[154:155], -v[164:165], v[6:7], v[154:155]
	ds_read2_b64 v[4:7], v37 offset0:20 offset1:21
	s_waitcnt lgkmcnt(2)
	v_fma_f64 v[208:209], -v[164:165], v[8:9], v[208:209]
	v_fma_f64 v[152:153], -v[164:165], v[10:11], v[152:153]
	s_waitcnt lgkmcnt(1)
	v_fma_f64 v[206:207], -v[164:165], v[0:1], v[206:207]
	ds_read2_b64 v[8:11], v37 offset0:22 offset1:23
	v_fma_f64 v[150:151], -v[164:165], v[2:3], v[150:151]
	ds_read2_b64 v[0:3], v37 offset0:24 offset1:25
	s_waitcnt lgkmcnt(2)
	v_fma_f64 v[204:205], -v[164:165], v[4:5], v[204:205]
	v_fma_f64 v[148:149], -v[164:165], v[6:7], v[148:149]
	s_waitcnt lgkmcnt(1)
	v_fma_f64 v[202:203], -v[164:165], v[8:9], v[202:203]
	ds_read2_b64 v[4:7], v37 offset0:26 offset1:27
	v_fma_f64 v[146:147], -v[164:165], v[10:11], v[146:147]
	ds_read2_b64 v[8:11], v37 offset0:28 offset1:29
	s_waitcnt lgkmcnt(2)
	v_fma_f64 v[200:201], -v[164:165], v[0:1], v[200:201]
	v_fma_f64 v[144:145], -v[164:165], v[2:3], v[144:145]
	ds_read2_b64 v[0:3], v37 offset0:30 offset1:31
	s_waitcnt lgkmcnt(2)
	v_fma_f64 v[198:199], -v[164:165], v[4:5], v[198:199]
	v_fma_f64 v[142:143], -v[164:165], v[6:7], v[142:143]
	ds_read2_b64 v[4:7], v37 offset0:32 offset1:33
	s_waitcnt lgkmcnt(2)
	v_fma_f64 v[196:197], -v[164:165], v[8:9], v[196:197]
	v_fma_f64 v[140:141], -v[164:165], v[10:11], v[140:141]
	;; [unrolled: 24-line block ×3, first 2 shown]
	s_waitcnt lgkmcnt(1)
	v_fma_f64 v[182:183], -v[164:165], v[0:1], v[182:183]
	ds_read2_b64 v[8:11], v37 offset0:46 offset1:47
	v_fma_f64 v[126:127], -v[164:165], v[2:3], v[126:127]
	ds_read2_b64 v[0:3], v37 offset0:48 offset1:49
	s_waitcnt lgkmcnt(2)
	v_fma_f64 v[180:181], -v[164:165], v[4:5], v[180:181]
	v_fma_f64 v[124:125], -v[164:165], v[6:7], v[124:125]
	s_waitcnt lgkmcnt(1)
	v_fma_f64 v[178:179], -v[164:165], v[8:9], v[178:179]
	v_fma_f64 v[122:123], -v[164:165], v[10:11], v[122:123]
	ds_read2_b64 v[4:7], v37 offset0:50 offset1:51
	ds_read2_b64 v[8:11], v37 offset0:52 offset1:53
	s_waitcnt lgkmcnt(2)
	v_fma_f64 v[176:177], -v[164:165], v[0:1], v[176:177]
	v_fma_f64 v[120:121], -v[164:165], v[2:3], v[120:121]
	ds_read2_b64 v[0:3], v37 offset0:54 offset1:55
	s_waitcnt lgkmcnt(2)
	v_fma_f64 v[174:175], -v[164:165], v[4:5], v[174:175]
	v_fma_f64 v[118:119], -v[164:165], v[6:7], v[118:119]
	s_waitcnt lgkmcnt(1)
	v_fma_f64 v[172:173], -v[164:165], v[8:9], v[172:173]
	v_fma_f64 v[116:117], -v[164:165], v[10:11], v[116:117]
	;; [unrolled: 3-line block ×3, first 2 shown]
.LBB111_31:
	s_or_b64 exec, exec, s[2:3]
	v_cmp_eq_u32_e32 vcc, 6, v38
	s_waitcnt vmcnt(63) expcnt(7) lgkmcnt(15)
	s_barrier
	s_and_saveexec_b64 s[2:3], vcc
	s_cbranch_execz .LBB111_34
; %bb.32:
	ds_write_b64 v36, v[218:219]
	ds_write2_b64 v37, v[162:163], v[216:217] offset0:7 offset1:8
	ds_write2_b64 v37, v[160:161], v[214:215] offset0:9 offset1:10
	;; [unrolled: 1-line block ×4, first 2 shown]
	s_waitcnt vmcnt(61)
	ds_write2_b64 v37, v[154:155], v[208:209] offset0:15 offset1:16
	s_waitcnt vmcnt(59)
	ds_write2_b64 v37, v[152:153], v[206:207] offset0:17 offset1:18
	;; [unrolled: 2-line block ×20, first 2 shown]
	s_waitcnt vmcnt(12)
	ds_write_b64 v37, v[224:225] offset:440
	ds_read_b64 v[0:1], v36
	s_waitcnt lgkmcnt(0)
	v_cmp_neq_f64_e32 vcc, 0, v[0:1]
	s_and_b64 exec, exec, vcc
	s_cbranch_execz .LBB111_34
; %bb.33:
	v_div_scale_f64 v[2:3], s[6:7], v[0:1], v[0:1], 1.0
	v_rcp_f64_e32 v[4:5], v[2:3]
	v_div_scale_f64 v[6:7], vcc, 1.0, v[0:1], 1.0
	v_fma_f64 v[8:9], -v[2:3], v[4:5], 1.0
	v_fmac_f64_e32 v[4:5], v[4:5], v[8:9]
	v_fma_f64 v[8:9], -v[2:3], v[4:5], 1.0
	v_fmac_f64_e32 v[4:5], v[4:5], v[8:9]
	v_mul_f64 v[8:9], v[6:7], v[4:5]
	v_fma_f64 v[2:3], -v[2:3], v[8:9], v[6:7]
	v_div_fmas_f64 v[2:3], v[2:3], v[4:5], v[8:9]
	v_div_fixup_f64 v[0:1], v[2:3], v[0:1], 1.0
	ds_write_b64 v36, v[0:1]
.LBB111_34:
	s_or_b64 exec, exec, s[2:3]
	s_waitcnt lgkmcnt(0)
	s_barrier
	ds_read_b64 v[0:1], v36
	v_cmp_lt_u32_e32 vcc, 6, v38
	s_waitcnt lgkmcnt(0)
	buffer_store_dword v0, off, s[16:19], 0 offset:104 ; 4-byte Folded Spill
	s_nop 0
	buffer_store_dword v1, off, s[16:19], 0 offset:108 ; 4-byte Folded Spill
	s_and_saveexec_b64 s[2:3], vcc
	s_cbranch_execz .LBB111_36
; %bb.35:
	ds_read2_b64 v[0:3], v37 offset0:7 offset1:8
	ds_read2_b64 v[4:7], v37 offset0:9 offset1:10
	buffer_load_dword v8, off, s[16:19], 0 offset:104 ; 4-byte Folded Reload
	buffer_load_dword v9, off, s[16:19], 0 offset:108 ; 4-byte Folded Reload
	s_waitcnt vmcnt(0)
	v_mul_f64 v[218:219], v[8:9], v[218:219]
	s_waitcnt lgkmcnt(1)
	v_fma_f64 v[162:163], -v[218:219], v[0:1], v[162:163]
	ds_read2_b64 v[8:11], v37 offset0:11 offset1:12
	v_fma_f64 v[216:217], -v[218:219], v[2:3], v[216:217]
	ds_read2_b64 v[0:3], v37 offset0:13 offset1:14
	s_waitcnt lgkmcnt(2)
	v_fma_f64 v[160:161], -v[218:219], v[4:5], v[160:161]
	v_fma_f64 v[214:215], -v[218:219], v[6:7], v[214:215]
	s_waitcnt lgkmcnt(1)
	v_fma_f64 v[158:159], -v[218:219], v[8:9], v[158:159]
	ds_read2_b64 v[4:7], v37 offset0:15 offset1:16
	v_fma_f64 v[212:213], -v[218:219], v[10:11], v[212:213]
	ds_read2_b64 v[8:11], v37 offset0:17 offset1:18
	s_waitcnt lgkmcnt(2)
	v_fma_f64 v[156:157], -v[218:219], v[0:1], v[156:157]
	v_fma_f64 v[210:211], -v[218:219], v[2:3], v[210:211]
	ds_read2_b64 v[0:3], v37 offset0:19 offset1:20
	s_waitcnt lgkmcnt(2)
	v_fma_f64 v[154:155], -v[218:219], v[4:5], v[154:155]
	v_fma_f64 v[208:209], -v[218:219], v[6:7], v[208:209]
	ds_read2_b64 v[4:7], v37 offset0:21 offset1:22
	s_waitcnt lgkmcnt(2)
	v_fma_f64 v[152:153], -v[218:219], v[8:9], v[152:153]
	v_fma_f64 v[206:207], -v[218:219], v[10:11], v[206:207]
	s_waitcnt lgkmcnt(1)
	v_fma_f64 v[150:151], -v[218:219], v[0:1], v[150:151]
	ds_read2_b64 v[8:11], v37 offset0:23 offset1:24
	v_fma_f64 v[204:205], -v[218:219], v[2:3], v[204:205]
	ds_read2_b64 v[0:3], v37 offset0:25 offset1:26
	s_waitcnt lgkmcnt(2)
	v_fma_f64 v[148:149], -v[218:219], v[4:5], v[148:149]
	v_fma_f64 v[202:203], -v[218:219], v[6:7], v[202:203]
	s_waitcnt lgkmcnt(1)
	v_fma_f64 v[146:147], -v[218:219], v[8:9], v[146:147]
	ds_read2_b64 v[4:7], v37 offset0:27 offset1:28
	v_fma_f64 v[200:201], -v[218:219], v[10:11], v[200:201]
	ds_read2_b64 v[8:11], v37 offset0:29 offset1:30
	s_waitcnt lgkmcnt(2)
	v_fma_f64 v[144:145], -v[218:219], v[0:1], v[144:145]
	v_fma_f64 v[198:199], -v[218:219], v[2:3], v[198:199]
	ds_read2_b64 v[0:3], v37 offset0:31 offset1:32
	s_waitcnt lgkmcnt(2)
	v_fma_f64 v[142:143], -v[218:219], v[4:5], v[142:143]
	v_fma_f64 v[196:197], -v[218:219], v[6:7], v[196:197]
	ds_read2_b64 v[4:7], v37 offset0:33 offset1:34
	s_waitcnt lgkmcnt(2)
	v_fma_f64 v[140:141], -v[218:219], v[8:9], v[140:141]
	v_fma_f64 v[194:195], -v[218:219], v[10:11], v[194:195]
	;; [unrolled: 24-line block ×3, first 2 shown]
	s_waitcnt lgkmcnt(1)
	v_fma_f64 v[126:127], -v[218:219], v[0:1], v[126:127]
	ds_read2_b64 v[8:11], v37 offset0:47 offset1:48
	v_fma_f64 v[180:181], -v[218:219], v[2:3], v[180:181]
	ds_read2_b64 v[0:3], v37 offset0:49 offset1:50
	s_waitcnt lgkmcnt(2)
	v_fma_f64 v[124:125], -v[218:219], v[4:5], v[124:125]
	v_fma_f64 v[178:179], -v[218:219], v[6:7], v[178:179]
	s_waitcnt lgkmcnt(1)
	v_fma_f64 v[122:123], -v[218:219], v[8:9], v[122:123]
	v_fma_f64 v[176:177], -v[218:219], v[10:11], v[176:177]
	ds_read2_b64 v[4:7], v37 offset0:51 offset1:52
	ds_read2_b64 v[8:11], v37 offset0:53 offset1:54
	s_waitcnt lgkmcnt(2)
	v_fma_f64 v[120:121], -v[218:219], v[0:1], v[120:121]
	ds_read_b64 v[0:1], v37 offset:440
	v_fma_f64 v[174:175], -v[218:219], v[2:3], v[174:175]
	s_waitcnt lgkmcnt(2)
	v_fma_f64 v[118:119], -v[218:219], v[4:5], v[118:119]
	v_fma_f64 v[172:173], -v[218:219], v[6:7], v[172:173]
	s_waitcnt lgkmcnt(1)
	v_fma_f64 v[116:117], -v[218:219], v[8:9], v[116:117]
	;; [unrolled: 3-line block ×3, first 2 shown]
.LBB111_36:
	s_or_b64 exec, exec, s[2:3]
	v_cmp_eq_u32_e32 vcc, 7, v38
	s_waitcnt vmcnt(63) expcnt(7) lgkmcnt(15)
	s_barrier
	s_and_saveexec_b64 s[2:3], vcc
	s_cbranch_execz .LBB111_39
; %bb.37:
	v_mov_b32_e32 v0, v216
	v_mov_b32_e32 v1, v217
	;; [unrolled: 1-line block ×4, first 2 shown]
	ds_write_b64 v36, v[162:163]
	ds_write2_b64 v37, v[0:1], v[2:3] offset0:8 offset1:9
	v_mov_b32_e32 v0, v214
	v_mov_b32_e32 v1, v215
	v_mov_b32_e32 v2, v158
	v_mov_b32_e32 v3, v159
	ds_write2_b64 v37, v[0:1], v[2:3] offset0:10 offset1:11
	v_mov_b32_e32 v0, v212
	v_mov_b32_e32 v1, v213
	v_mov_b32_e32 v2, v156
	v_mov_b32_e32 v3, v157
	;; [unrolled: 5-line block ×3, first 2 shown]
	ds_write2_b64 v37, v[0:1], v[2:3] offset0:14 offset1:15
	v_mov_b32_e32 v0, v208
	v_mov_b32_e32 v1, v209
	s_waitcnt vmcnt(62)
	v_mov_b32_e32 v2, v152
	v_mov_b32_e32 v3, v153
	ds_write2_b64 v37, v[0:1], v[2:3] offset0:16 offset1:17
	s_waitcnt vmcnt(61)
	v_mov_b32_e32 v0, v206
	v_mov_b32_e32 v1, v207
	s_waitcnt vmcnt(60)
	v_mov_b32_e32 v2, v150
	v_mov_b32_e32 v3, v151
	ds_write2_b64 v37, v[0:1], v[2:3] offset0:18 offset1:19
	s_waitcnt vmcnt(59)
	;; [unrolled: 7-line block ×19, first 2 shown]
	v_mov_b32_e32 v0, v170
	v_mov_b32_e32 v1, v171
	s_waitcnt vmcnt(14)
	ds_write2_b64 v37, v[0:1], v[224:225] offset0:54 offset1:55
	ds_read_b64 v[0:1], v36
	s_waitcnt lgkmcnt(0)
	v_cmp_neq_f64_e32 vcc, 0, v[0:1]
	s_and_b64 exec, exec, vcc
	s_cbranch_execz .LBB111_39
; %bb.38:
	v_div_scale_f64 v[2:3], s[6:7], v[0:1], v[0:1], 1.0
	v_rcp_f64_e32 v[4:5], v[2:3]
	v_div_scale_f64 v[6:7], vcc, 1.0, v[0:1], 1.0
	v_fma_f64 v[8:9], -v[2:3], v[4:5], 1.0
	v_fmac_f64_e32 v[4:5], v[4:5], v[8:9]
	v_fma_f64 v[8:9], -v[2:3], v[4:5], 1.0
	v_fmac_f64_e32 v[4:5], v[4:5], v[8:9]
	v_mul_f64 v[8:9], v[6:7], v[4:5]
	v_fma_f64 v[2:3], -v[2:3], v[8:9], v[6:7]
	v_div_fmas_f64 v[2:3], v[2:3], v[4:5], v[8:9]
	v_div_fixup_f64 v[0:1], v[2:3], v[0:1], 1.0
	ds_write_b64 v36, v[0:1]
.LBB111_39:
	s_or_b64 exec, exec, s[2:3]
	s_waitcnt lgkmcnt(0)
	s_barrier
	ds_read_b64 v[0:1], v36
	v_cmp_lt_u32_e32 vcc, 7, v38
	s_waitcnt lgkmcnt(0)
	buffer_store_dword v0, off, s[16:19], 0 offset:112 ; 4-byte Folded Spill
	s_nop 0
	buffer_store_dword v1, off, s[16:19], 0 offset:116 ; 4-byte Folded Spill
	s_and_saveexec_b64 s[2:3], vcc
	s_cbranch_execz .LBB111_41
; %bb.40:
	buffer_load_dword v0, off, s[16:19], 0 offset:112 ; 4-byte Folded Reload
	buffer_load_dword v1, off, s[16:19], 0 offset:116 ; 4-byte Folded Reload
	s_waitcnt vmcnt(0)
	v_mul_f64 v[162:163], v[0:1], v[162:163]
	ds_read2_b64 v[0:3], v37 offset0:8 offset1:9
	s_waitcnt lgkmcnt(0)
	v_fma_f64 v[216:217], -v[162:163], v[0:1], v[216:217]
	v_fma_f64 v[160:161], -v[162:163], v[2:3], v[160:161]
	ds_read2_b64 v[0:3], v37 offset0:10 offset1:11
	s_waitcnt lgkmcnt(0)
	v_fma_f64 v[214:215], -v[162:163], v[0:1], v[214:215]
	v_fma_f64 v[158:159], -v[162:163], v[2:3], v[158:159]
	;; [unrolled: 4-line block ×24, first 2 shown]
.LBB111_41:
	s_or_b64 exec, exec, s[2:3]
	v_cmp_eq_u32_e32 vcc, 8, v38
	s_waitcnt vmcnt(63) expcnt(7) lgkmcnt(15)
	s_barrier
	s_and_saveexec_b64 s[2:3], vcc
	s_cbranch_execz .LBB111_44
; %bb.42:
	ds_write_b64 v36, v[216:217]
	ds_write2_b64 v37, v[160:161], v[214:215] offset0:9 offset1:10
	ds_write2_b64 v37, v[158:159], v[212:213] offset0:11 offset1:12
	;; [unrolled: 1-line block ×5, first 2 shown]
	s_waitcnt vmcnt(61)
	ds_write2_b64 v37, v[150:151], v[204:205] offset0:19 offset1:20
	s_waitcnt vmcnt(59)
	ds_write2_b64 v37, v[148:149], v[202:203] offset0:21 offset1:22
	;; [unrolled: 2-line block ×18, first 2 shown]
	s_waitcnt vmcnt(16)
	ds_write_b64 v37, v[224:225] offset:440
	ds_read_b64 v[0:1], v36
	s_waitcnt lgkmcnt(0)
	v_cmp_neq_f64_e32 vcc, 0, v[0:1]
	s_and_b64 exec, exec, vcc
	s_cbranch_execz .LBB111_44
; %bb.43:
	v_div_scale_f64 v[2:3], s[6:7], v[0:1], v[0:1], 1.0
	v_rcp_f64_e32 v[4:5], v[2:3]
	v_div_scale_f64 v[6:7], vcc, 1.0, v[0:1], 1.0
	v_fma_f64 v[8:9], -v[2:3], v[4:5], 1.0
	v_fmac_f64_e32 v[4:5], v[4:5], v[8:9]
	v_fma_f64 v[8:9], -v[2:3], v[4:5], 1.0
	v_fmac_f64_e32 v[4:5], v[4:5], v[8:9]
	v_mul_f64 v[8:9], v[6:7], v[4:5]
	v_fma_f64 v[2:3], -v[2:3], v[8:9], v[6:7]
	v_div_fmas_f64 v[2:3], v[2:3], v[4:5], v[8:9]
	v_div_fixup_f64 v[0:1], v[2:3], v[0:1], 1.0
	ds_write_b64 v36, v[0:1]
.LBB111_44:
	s_or_b64 exec, exec, s[2:3]
	s_waitcnt lgkmcnt(0)
	s_barrier
	ds_read_b64 v[0:1], v36
	v_cmp_lt_u32_e32 vcc, 8, v38
	s_waitcnt lgkmcnt(0)
	buffer_store_dword v0, off, s[16:19], 0 offset:120 ; 4-byte Folded Spill
	s_nop 0
	buffer_store_dword v1, off, s[16:19], 0 offset:124 ; 4-byte Folded Spill
	s_and_saveexec_b64 s[2:3], vcc
	s_cbranch_execz .LBB111_46
; %bb.45:
	buffer_load_dword v0, off, s[16:19], 0 offset:120 ; 4-byte Folded Reload
	buffer_load_dword v1, off, s[16:19], 0 offset:124 ; 4-byte Folded Reload
	s_waitcnt vmcnt(0)
	v_mul_f64 v[216:217], v[0:1], v[216:217]
	ds_read2_b64 v[0:3], v37 offset0:9 offset1:10
	s_waitcnt lgkmcnt(0)
	v_fma_f64 v[160:161], -v[216:217], v[0:1], v[160:161]
	v_fma_f64 v[214:215], -v[216:217], v[2:3], v[214:215]
	ds_read2_b64 v[0:3], v37 offset0:11 offset1:12
	s_waitcnt lgkmcnt(0)
	v_fma_f64 v[158:159], -v[216:217], v[0:1], v[158:159]
	v_fma_f64 v[212:213], -v[216:217], v[2:3], v[212:213]
	;; [unrolled: 4-line block ×22, first 2 shown]
	ds_read2_b64 v[0:3], v37 offset0:53 offset1:54
	s_waitcnt lgkmcnt(0)
	v_fma_f64 v[116:117], -v[216:217], v[0:1], v[116:117]
	ds_read_b64 v[0:1], v37 offset:440
	v_fma_f64 v[170:171], -v[216:217], v[2:3], v[170:171]
	s_waitcnt lgkmcnt(0)
	v_fma_f64 v[224:225], -v[216:217], v[0:1], v[224:225]
.LBB111_46:
	s_or_b64 exec, exec, s[2:3]
	v_cmp_eq_u32_e32 vcc, 9, v38
	s_waitcnt vmcnt(63) expcnt(7) lgkmcnt(15)
	s_barrier
	s_and_saveexec_b64 s[2:3], vcc
	s_cbranch_execz .LBB111_49
; %bb.47:
	v_mov_b32_e32 v0, v214
	v_mov_b32_e32 v1, v215
	;; [unrolled: 1-line block ×4, first 2 shown]
	ds_write_b64 v36, v[160:161]
	ds_write2_b64 v37, v[0:1], v[2:3] offset0:10 offset1:11
	v_mov_b32_e32 v0, v212
	v_mov_b32_e32 v1, v213
	v_mov_b32_e32 v2, v156
	v_mov_b32_e32 v3, v157
	ds_write2_b64 v37, v[0:1], v[2:3] offset0:12 offset1:13
	v_mov_b32_e32 v0, v210
	v_mov_b32_e32 v1, v211
	v_mov_b32_e32 v2, v154
	v_mov_b32_e32 v3, v155
	;; [unrolled: 5-line block ×4, first 2 shown]
	ds_write2_b64 v37, v[0:1], v[2:3] offset0:18 offset1:19
	v_mov_b32_e32 v0, v204
	v_mov_b32_e32 v1, v205
	s_waitcnt vmcnt(62)
	v_mov_b32_e32 v2, v148
	v_mov_b32_e32 v3, v149
	ds_write2_b64 v37, v[0:1], v[2:3] offset0:20 offset1:21
	s_waitcnt vmcnt(61)
	v_mov_b32_e32 v0, v202
	v_mov_b32_e32 v1, v203
	s_waitcnt vmcnt(60)
	v_mov_b32_e32 v2, v146
	v_mov_b32_e32 v3, v147
	ds_write2_b64 v37, v[0:1], v[2:3] offset0:22 offset1:23
	s_waitcnt vmcnt(59)
	v_mov_b32_e32 v0, v200
	v_mov_b32_e32 v1, v201
	s_waitcnt vmcnt(58)
	v_mov_b32_e32 v2, v144
	v_mov_b32_e32 v3, v145
	ds_write2_b64 v37, v[0:1], v[2:3] offset0:24 offset1:25
	s_waitcnt vmcnt(57)
	v_mov_b32_e32 v0, v198
	v_mov_b32_e32 v1, v199
	s_waitcnt vmcnt(56)
	v_mov_b32_e32 v2, v142
	v_mov_b32_e32 v3, v143
	ds_write2_b64 v37, v[0:1], v[2:3] offset0:26 offset1:27
	s_waitcnt vmcnt(55)
	v_mov_b32_e32 v0, v196
	v_mov_b32_e32 v1, v197
	s_waitcnt vmcnt(54)
	v_mov_b32_e32 v2, v140
	v_mov_b32_e32 v3, v141
	ds_write2_b64 v37, v[0:1], v[2:3] offset0:28 offset1:29
	s_waitcnt vmcnt(53)
	v_mov_b32_e32 v0, v194
	v_mov_b32_e32 v1, v195
	s_waitcnt vmcnt(52)
	v_mov_b32_e32 v2, v138
	v_mov_b32_e32 v3, v139
	ds_write2_b64 v37, v[0:1], v[2:3] offset0:30 offset1:31
	s_waitcnt vmcnt(51)
	v_mov_b32_e32 v0, v192
	v_mov_b32_e32 v1, v193
	s_waitcnt vmcnt(50)
	v_mov_b32_e32 v2, v136
	v_mov_b32_e32 v3, v137
	ds_write2_b64 v37, v[0:1], v[2:3] offset0:32 offset1:33
	s_waitcnt vmcnt(49)
	v_mov_b32_e32 v0, v190
	v_mov_b32_e32 v1, v191
	s_waitcnt vmcnt(48)
	v_mov_b32_e32 v2, v134
	v_mov_b32_e32 v3, v135
	ds_write2_b64 v37, v[0:1], v[2:3] offset0:34 offset1:35
	s_waitcnt vmcnt(47)
	v_mov_b32_e32 v0, v188
	v_mov_b32_e32 v1, v189
	s_waitcnt vmcnt(46)
	v_mov_b32_e32 v2, v132
	v_mov_b32_e32 v3, v133
	ds_write2_b64 v37, v[0:1], v[2:3] offset0:36 offset1:37
	s_waitcnt vmcnt(45)
	v_mov_b32_e32 v0, v186
	v_mov_b32_e32 v1, v187
	s_waitcnt vmcnt(44)
	v_mov_b32_e32 v2, v130
	v_mov_b32_e32 v3, v131
	ds_write2_b64 v37, v[0:1], v[2:3] offset0:38 offset1:39
	s_waitcnt vmcnt(43)
	v_mov_b32_e32 v0, v184
	v_mov_b32_e32 v1, v185
	s_waitcnt vmcnt(42)
	v_mov_b32_e32 v2, v128
	v_mov_b32_e32 v3, v129
	ds_write2_b64 v37, v[0:1], v[2:3] offset0:40 offset1:41
	s_waitcnt vmcnt(41)
	v_mov_b32_e32 v0, v182
	v_mov_b32_e32 v1, v183
	s_waitcnt vmcnt(40)
	v_mov_b32_e32 v2, v126
	v_mov_b32_e32 v3, v127
	ds_write2_b64 v37, v[0:1], v[2:3] offset0:42 offset1:43
	s_waitcnt vmcnt(39)
	v_mov_b32_e32 v0, v180
	v_mov_b32_e32 v1, v181
	s_waitcnt vmcnt(38)
	v_mov_b32_e32 v2, v124
	v_mov_b32_e32 v3, v125
	ds_write2_b64 v37, v[0:1], v[2:3] offset0:44 offset1:45
	s_waitcnt vmcnt(37)
	v_mov_b32_e32 v0, v178
	v_mov_b32_e32 v1, v179
	s_waitcnt vmcnt(36)
	v_mov_b32_e32 v2, v122
	v_mov_b32_e32 v3, v123
	ds_write2_b64 v37, v[0:1], v[2:3] offset0:46 offset1:47
	s_waitcnt vmcnt(35)
	v_mov_b32_e32 v0, v176
	v_mov_b32_e32 v1, v177
	s_waitcnt vmcnt(34)
	v_mov_b32_e32 v2, v120
	v_mov_b32_e32 v3, v121
	ds_write2_b64 v37, v[0:1], v[2:3] offset0:48 offset1:49
	s_waitcnt vmcnt(33)
	v_mov_b32_e32 v0, v174
	v_mov_b32_e32 v1, v175
	s_waitcnt vmcnt(30)
	v_mov_b32_e32 v2, v118
	v_mov_b32_e32 v3, v119
	ds_write2_b64 v37, v[0:1], v[2:3] offset0:50 offset1:51
	s_waitcnt vmcnt(27)
	v_mov_b32_e32 v0, v172
	v_mov_b32_e32 v1, v173
	s_waitcnt vmcnt(24)
	v_mov_b32_e32 v2, v116
	v_mov_b32_e32 v3, v117
	ds_write2_b64 v37, v[0:1], v[2:3] offset0:52 offset1:53
	s_waitcnt vmcnt(21)
	v_mov_b32_e32 v0, v170
	v_mov_b32_e32 v1, v171
	s_waitcnt vmcnt(18)
	ds_write2_b64 v37, v[0:1], v[224:225] offset0:54 offset1:55
	ds_read_b64 v[0:1], v36
	s_waitcnt lgkmcnt(0)
	v_cmp_neq_f64_e32 vcc, 0, v[0:1]
	s_and_b64 exec, exec, vcc
	s_cbranch_execz .LBB111_49
; %bb.48:
	v_div_scale_f64 v[2:3], s[6:7], v[0:1], v[0:1], 1.0
	v_rcp_f64_e32 v[4:5], v[2:3]
	v_div_scale_f64 v[6:7], vcc, 1.0, v[0:1], 1.0
	v_fma_f64 v[8:9], -v[2:3], v[4:5], 1.0
	v_fmac_f64_e32 v[4:5], v[4:5], v[8:9]
	v_fma_f64 v[8:9], -v[2:3], v[4:5], 1.0
	v_fmac_f64_e32 v[4:5], v[4:5], v[8:9]
	v_mul_f64 v[8:9], v[6:7], v[4:5]
	v_fma_f64 v[2:3], -v[2:3], v[8:9], v[6:7]
	v_div_fmas_f64 v[2:3], v[2:3], v[4:5], v[8:9]
	v_div_fixup_f64 v[0:1], v[2:3], v[0:1], 1.0
	ds_write_b64 v36, v[0:1]
.LBB111_49:
	s_or_b64 exec, exec, s[2:3]
	s_waitcnt lgkmcnt(0)
	s_barrier
	ds_read_b64 v[0:1], v36
	v_cmp_lt_u32_e32 vcc, 9, v38
	s_waitcnt lgkmcnt(0)
	buffer_store_dword v0, off, s[16:19], 0 offset:128 ; 4-byte Folded Spill
	s_nop 0
	buffer_store_dword v1, off, s[16:19], 0 offset:132 ; 4-byte Folded Spill
	s_and_saveexec_b64 s[2:3], vcc
	s_cbranch_execz .LBB111_51
; %bb.50:
	buffer_load_dword v0, off, s[16:19], 0 offset:128 ; 4-byte Folded Reload
	buffer_load_dword v1, off, s[16:19], 0 offset:132 ; 4-byte Folded Reload
	s_waitcnt vmcnt(0)
	v_mul_f64 v[160:161], v[0:1], v[160:161]
	ds_read2_b64 v[0:3], v37 offset0:10 offset1:11
	s_waitcnt lgkmcnt(0)
	v_fma_f64 v[214:215], -v[160:161], v[0:1], v[214:215]
	v_fma_f64 v[158:159], -v[160:161], v[2:3], v[158:159]
	ds_read2_b64 v[0:3], v37 offset0:12 offset1:13
	s_waitcnt lgkmcnt(0)
	v_fma_f64 v[212:213], -v[160:161], v[0:1], v[212:213]
	v_fma_f64 v[156:157], -v[160:161], v[2:3], v[156:157]
	;; [unrolled: 4-line block ×23, first 2 shown]
.LBB111_51:
	s_or_b64 exec, exec, s[2:3]
	v_cmp_eq_u32_e32 vcc, 10, v38
	s_waitcnt vmcnt(63) expcnt(7) lgkmcnt(15)
	s_barrier
	s_and_saveexec_b64 s[2:3], vcc
	s_cbranch_execz .LBB111_54
; %bb.52:
	ds_write_b64 v36, v[214:215]
	ds_write2_b64 v37, v[158:159], v[212:213] offset0:11 offset1:12
	ds_write2_b64 v37, v[156:157], v[210:211] offset0:13 offset1:14
	;; [unrolled: 1-line block ×6, first 2 shown]
	s_waitcnt vmcnt(61)
	ds_write2_b64 v37, v[146:147], v[200:201] offset0:23 offset1:24
	s_waitcnt vmcnt(59)
	ds_write2_b64 v37, v[144:145], v[198:199] offset0:25 offset1:26
	;; [unrolled: 2-line block ×16, first 2 shown]
	s_waitcnt vmcnt(20)
	ds_write_b64 v37, v[224:225] offset:440
	ds_read_b64 v[0:1], v36
	s_waitcnt lgkmcnt(0)
	v_cmp_neq_f64_e32 vcc, 0, v[0:1]
	s_and_b64 exec, exec, vcc
	s_cbranch_execz .LBB111_54
; %bb.53:
	v_div_scale_f64 v[2:3], s[6:7], v[0:1], v[0:1], 1.0
	v_rcp_f64_e32 v[4:5], v[2:3]
	v_div_scale_f64 v[6:7], vcc, 1.0, v[0:1], 1.0
	v_fma_f64 v[8:9], -v[2:3], v[4:5], 1.0
	v_fmac_f64_e32 v[4:5], v[4:5], v[8:9]
	v_fma_f64 v[8:9], -v[2:3], v[4:5], 1.0
	v_fmac_f64_e32 v[4:5], v[4:5], v[8:9]
	v_mul_f64 v[8:9], v[6:7], v[4:5]
	v_fma_f64 v[2:3], -v[2:3], v[8:9], v[6:7]
	v_div_fmas_f64 v[2:3], v[2:3], v[4:5], v[8:9]
	v_div_fixup_f64 v[0:1], v[2:3], v[0:1], 1.0
	ds_write_b64 v36, v[0:1]
.LBB111_54:
	s_or_b64 exec, exec, s[2:3]
	s_waitcnt lgkmcnt(0)
	s_barrier
	ds_read_b64 v[0:1], v36
	v_cmp_lt_u32_e32 vcc, 10, v38
	s_waitcnt lgkmcnt(0)
	buffer_store_dword v0, off, s[16:19], 0 offset:136 ; 4-byte Folded Spill
	s_nop 0
	buffer_store_dword v1, off, s[16:19], 0 offset:140 ; 4-byte Folded Spill
	s_and_saveexec_b64 s[2:3], vcc
	s_cbranch_execz .LBB111_56
; %bb.55:
	buffer_load_dword v0, off, s[16:19], 0 offset:136 ; 4-byte Folded Reload
	buffer_load_dword v1, off, s[16:19], 0 offset:140 ; 4-byte Folded Reload
	s_waitcnt vmcnt(0)
	v_mul_f64 v[214:215], v[0:1], v[214:215]
	ds_read2_b64 v[0:3], v37 offset0:11 offset1:12
	s_waitcnt lgkmcnt(0)
	v_fma_f64 v[158:159], -v[214:215], v[0:1], v[158:159]
	v_fma_f64 v[212:213], -v[214:215], v[2:3], v[212:213]
	ds_read2_b64 v[0:3], v37 offset0:13 offset1:14
	s_waitcnt lgkmcnt(0)
	v_fma_f64 v[156:157], -v[214:215], v[0:1], v[156:157]
	v_fma_f64 v[210:211], -v[214:215], v[2:3], v[210:211]
	;; [unrolled: 4-line block ×21, first 2 shown]
	ds_read2_b64 v[0:3], v37 offset0:53 offset1:54
	s_waitcnt lgkmcnt(0)
	v_fma_f64 v[116:117], -v[214:215], v[0:1], v[116:117]
	ds_read_b64 v[0:1], v37 offset:440
	v_fma_f64 v[170:171], -v[214:215], v[2:3], v[170:171]
	s_waitcnt lgkmcnt(0)
	v_fma_f64 v[224:225], -v[214:215], v[0:1], v[224:225]
.LBB111_56:
	s_or_b64 exec, exec, s[2:3]
	v_cmp_eq_u32_e32 vcc, 11, v38
	s_waitcnt vmcnt(63) expcnt(7) lgkmcnt(15)
	s_barrier
	s_and_saveexec_b64 s[2:3], vcc
	s_cbranch_execz .LBB111_59
; %bb.57:
	v_mov_b32_e32 v0, v212
	v_mov_b32_e32 v1, v213
	;; [unrolled: 1-line block ×4, first 2 shown]
	ds_write_b64 v36, v[158:159]
	ds_write2_b64 v37, v[0:1], v[2:3] offset0:12 offset1:13
	v_mov_b32_e32 v0, v210
	v_mov_b32_e32 v1, v211
	v_mov_b32_e32 v2, v154
	v_mov_b32_e32 v3, v155
	ds_write2_b64 v37, v[0:1], v[2:3] offset0:14 offset1:15
	v_mov_b32_e32 v0, v208
	v_mov_b32_e32 v1, v209
	v_mov_b32_e32 v2, v152
	v_mov_b32_e32 v3, v153
	;; [unrolled: 5-line block ×5, first 2 shown]
	ds_write2_b64 v37, v[0:1], v[2:3] offset0:22 offset1:23
	v_mov_b32_e32 v0, v200
	v_mov_b32_e32 v1, v201
	s_waitcnt vmcnt(62)
	v_mov_b32_e32 v2, v144
	v_mov_b32_e32 v3, v145
	ds_write2_b64 v37, v[0:1], v[2:3] offset0:24 offset1:25
	s_waitcnt vmcnt(61)
	v_mov_b32_e32 v0, v198
	v_mov_b32_e32 v1, v199
	s_waitcnt vmcnt(60)
	v_mov_b32_e32 v2, v142
	v_mov_b32_e32 v3, v143
	ds_write2_b64 v37, v[0:1], v[2:3] offset0:26 offset1:27
	s_waitcnt vmcnt(59)
	;; [unrolled: 7-line block ×15, first 2 shown]
	v_mov_b32_e32 v0, v170
	v_mov_b32_e32 v1, v171
	s_waitcnt vmcnt(22)
	ds_write2_b64 v37, v[0:1], v[224:225] offset0:54 offset1:55
	ds_read_b64 v[0:1], v36
	s_waitcnt lgkmcnt(0)
	v_cmp_neq_f64_e32 vcc, 0, v[0:1]
	s_and_b64 exec, exec, vcc
	s_cbranch_execz .LBB111_59
; %bb.58:
	v_div_scale_f64 v[2:3], s[6:7], v[0:1], v[0:1], 1.0
	v_rcp_f64_e32 v[4:5], v[2:3]
	v_div_scale_f64 v[6:7], vcc, 1.0, v[0:1], 1.0
	v_fma_f64 v[8:9], -v[2:3], v[4:5], 1.0
	v_fmac_f64_e32 v[4:5], v[4:5], v[8:9]
	v_fma_f64 v[8:9], -v[2:3], v[4:5], 1.0
	v_fmac_f64_e32 v[4:5], v[4:5], v[8:9]
	v_mul_f64 v[8:9], v[6:7], v[4:5]
	v_fma_f64 v[2:3], -v[2:3], v[8:9], v[6:7]
	v_div_fmas_f64 v[2:3], v[2:3], v[4:5], v[8:9]
	v_div_fixup_f64 v[0:1], v[2:3], v[0:1], 1.0
	ds_write_b64 v36, v[0:1]
.LBB111_59:
	s_or_b64 exec, exec, s[2:3]
	s_waitcnt lgkmcnt(0)
	s_barrier
	ds_read_b64 v[0:1], v36
	v_cmp_lt_u32_e32 vcc, 11, v38
	s_waitcnt lgkmcnt(0)
	buffer_store_dword v0, off, s[16:19], 0 offset:144 ; 4-byte Folded Spill
	s_nop 0
	buffer_store_dword v1, off, s[16:19], 0 offset:148 ; 4-byte Folded Spill
	s_and_saveexec_b64 s[2:3], vcc
	s_cbranch_execz .LBB111_61
; %bb.60:
	buffer_load_dword v0, off, s[16:19], 0 offset:144 ; 4-byte Folded Reload
	buffer_load_dword v1, off, s[16:19], 0 offset:148 ; 4-byte Folded Reload
	s_waitcnt vmcnt(0)
	v_mul_f64 v[158:159], v[0:1], v[158:159]
	ds_read2_b64 v[0:3], v37 offset0:12 offset1:13
	s_waitcnt lgkmcnt(0)
	v_fma_f64 v[212:213], -v[158:159], v[0:1], v[212:213]
	v_fma_f64 v[156:157], -v[158:159], v[2:3], v[156:157]
	ds_read2_b64 v[0:3], v37 offset0:14 offset1:15
	s_waitcnt lgkmcnt(0)
	v_fma_f64 v[210:211], -v[158:159], v[0:1], v[210:211]
	v_fma_f64 v[154:155], -v[158:159], v[2:3], v[154:155]
	;; [unrolled: 4-line block ×22, first 2 shown]
.LBB111_61:
	s_or_b64 exec, exec, s[2:3]
	v_cmp_eq_u32_e32 vcc, 12, v38
	s_waitcnt vmcnt(63) expcnt(7) lgkmcnt(15)
	s_barrier
	s_and_saveexec_b64 s[2:3], vcc
	s_cbranch_execz .LBB111_64
; %bb.62:
	ds_write_b64 v36, v[212:213]
	ds_write2_b64 v37, v[156:157], v[210:211] offset0:13 offset1:14
	ds_write2_b64 v37, v[154:155], v[208:209] offset0:15 offset1:16
	;; [unrolled: 1-line block ×7, first 2 shown]
	s_waitcnt vmcnt(61)
	ds_write2_b64 v37, v[142:143], v[196:197] offset0:27 offset1:28
	s_waitcnt vmcnt(59)
	ds_write2_b64 v37, v[140:141], v[194:195] offset0:29 offset1:30
	;; [unrolled: 2-line block ×14, first 2 shown]
	s_waitcnt vmcnt(24)
	ds_write_b64 v37, v[224:225] offset:440
	ds_read_b64 v[0:1], v36
	s_waitcnt lgkmcnt(0)
	v_cmp_neq_f64_e32 vcc, 0, v[0:1]
	s_and_b64 exec, exec, vcc
	s_cbranch_execz .LBB111_64
; %bb.63:
	v_div_scale_f64 v[2:3], s[6:7], v[0:1], v[0:1], 1.0
	v_rcp_f64_e32 v[4:5], v[2:3]
	v_div_scale_f64 v[6:7], vcc, 1.0, v[0:1], 1.0
	v_fma_f64 v[8:9], -v[2:3], v[4:5], 1.0
	v_fmac_f64_e32 v[4:5], v[4:5], v[8:9]
	v_fma_f64 v[8:9], -v[2:3], v[4:5], 1.0
	v_fmac_f64_e32 v[4:5], v[4:5], v[8:9]
	v_mul_f64 v[8:9], v[6:7], v[4:5]
	v_fma_f64 v[2:3], -v[2:3], v[8:9], v[6:7]
	v_div_fmas_f64 v[2:3], v[2:3], v[4:5], v[8:9]
	v_div_fixup_f64 v[0:1], v[2:3], v[0:1], 1.0
	ds_write_b64 v36, v[0:1]
.LBB111_64:
	s_or_b64 exec, exec, s[2:3]
	s_waitcnt lgkmcnt(0)
	s_barrier
	ds_read_b64 v[0:1], v36
	v_cmp_lt_u32_e32 vcc, 12, v38
	s_waitcnt lgkmcnt(0)
	buffer_store_dword v0, off, s[16:19], 0 offset:152 ; 4-byte Folded Spill
	s_nop 0
	buffer_store_dword v1, off, s[16:19], 0 offset:156 ; 4-byte Folded Spill
	s_and_saveexec_b64 s[2:3], vcc
	s_cbranch_execz .LBB111_66
; %bb.65:
	buffer_load_dword v0, off, s[16:19], 0 offset:152 ; 4-byte Folded Reload
	buffer_load_dword v1, off, s[16:19], 0 offset:156 ; 4-byte Folded Reload
	s_waitcnt vmcnt(0)
	v_mul_f64 v[212:213], v[0:1], v[212:213]
	ds_read2_b64 v[0:3], v37 offset0:13 offset1:14
	s_waitcnt lgkmcnt(0)
	v_fma_f64 v[156:157], -v[212:213], v[0:1], v[156:157]
	v_fma_f64 v[210:211], -v[212:213], v[2:3], v[210:211]
	ds_read2_b64 v[0:3], v37 offset0:15 offset1:16
	s_waitcnt lgkmcnt(0)
	v_fma_f64 v[154:155], -v[212:213], v[0:1], v[154:155]
	v_fma_f64 v[208:209], -v[212:213], v[2:3], v[208:209]
	;; [unrolled: 4-line block ×20, first 2 shown]
	ds_read2_b64 v[0:3], v37 offset0:53 offset1:54
	s_waitcnt lgkmcnt(0)
	v_fma_f64 v[116:117], -v[212:213], v[0:1], v[116:117]
	ds_read_b64 v[0:1], v37 offset:440
	v_fma_f64 v[170:171], -v[212:213], v[2:3], v[170:171]
	s_waitcnt lgkmcnt(0)
	v_fma_f64 v[224:225], -v[212:213], v[0:1], v[224:225]
.LBB111_66:
	s_or_b64 exec, exec, s[2:3]
	v_cmp_eq_u32_e32 vcc, 13, v38
	s_waitcnt vmcnt(63) expcnt(7) lgkmcnt(15)
	s_barrier
	s_and_saveexec_b64 s[2:3], vcc
	s_cbranch_execz .LBB111_69
; %bb.67:
	v_mov_b32_e32 v0, v210
	v_mov_b32_e32 v1, v211
	;; [unrolled: 1-line block ×4, first 2 shown]
	ds_write_b64 v36, v[156:157]
	ds_write2_b64 v37, v[0:1], v[2:3] offset0:14 offset1:15
	v_mov_b32_e32 v0, v208
	v_mov_b32_e32 v1, v209
	v_mov_b32_e32 v2, v152
	v_mov_b32_e32 v3, v153
	ds_write2_b64 v37, v[0:1], v[2:3] offset0:16 offset1:17
	v_mov_b32_e32 v0, v206
	v_mov_b32_e32 v1, v207
	v_mov_b32_e32 v2, v150
	v_mov_b32_e32 v3, v151
	;; [unrolled: 5-line block ×6, first 2 shown]
	ds_write2_b64 v37, v[0:1], v[2:3] offset0:26 offset1:27
	v_mov_b32_e32 v0, v196
	v_mov_b32_e32 v1, v197
	s_waitcnt vmcnt(62)
	v_mov_b32_e32 v2, v140
	v_mov_b32_e32 v3, v141
	ds_write2_b64 v37, v[0:1], v[2:3] offset0:28 offset1:29
	s_waitcnt vmcnt(61)
	v_mov_b32_e32 v0, v194
	v_mov_b32_e32 v1, v195
	s_waitcnt vmcnt(60)
	v_mov_b32_e32 v2, v138
	v_mov_b32_e32 v3, v139
	ds_write2_b64 v37, v[0:1], v[2:3] offset0:30 offset1:31
	s_waitcnt vmcnt(59)
	;; [unrolled: 7-line block ×13, first 2 shown]
	v_mov_b32_e32 v0, v170
	v_mov_b32_e32 v1, v171
	s_waitcnt vmcnt(26)
	ds_write2_b64 v37, v[0:1], v[224:225] offset0:54 offset1:55
	ds_read_b64 v[0:1], v36
	s_waitcnt lgkmcnt(0)
	v_cmp_neq_f64_e32 vcc, 0, v[0:1]
	s_and_b64 exec, exec, vcc
	s_cbranch_execz .LBB111_69
; %bb.68:
	v_div_scale_f64 v[2:3], s[6:7], v[0:1], v[0:1], 1.0
	v_rcp_f64_e32 v[4:5], v[2:3]
	v_div_scale_f64 v[6:7], vcc, 1.0, v[0:1], 1.0
	v_fma_f64 v[8:9], -v[2:3], v[4:5], 1.0
	v_fmac_f64_e32 v[4:5], v[4:5], v[8:9]
	v_fma_f64 v[8:9], -v[2:3], v[4:5], 1.0
	v_fmac_f64_e32 v[4:5], v[4:5], v[8:9]
	v_mul_f64 v[8:9], v[6:7], v[4:5]
	v_fma_f64 v[2:3], -v[2:3], v[8:9], v[6:7]
	v_div_fmas_f64 v[2:3], v[2:3], v[4:5], v[8:9]
	v_div_fixup_f64 v[0:1], v[2:3], v[0:1], 1.0
	ds_write_b64 v36, v[0:1]
.LBB111_69:
	s_or_b64 exec, exec, s[2:3]
	s_waitcnt lgkmcnt(0)
	s_barrier
	ds_read_b64 v[0:1], v36
	v_cmp_lt_u32_e32 vcc, 13, v38
	s_waitcnt lgkmcnt(0)
	buffer_store_dword v0, off, s[16:19], 0 offset:160 ; 4-byte Folded Spill
	s_nop 0
	buffer_store_dword v1, off, s[16:19], 0 offset:164 ; 4-byte Folded Spill
	s_and_saveexec_b64 s[2:3], vcc
	s_cbranch_execz .LBB111_71
; %bb.70:
	buffer_load_dword v0, off, s[16:19], 0 offset:160 ; 4-byte Folded Reload
	buffer_load_dword v1, off, s[16:19], 0 offset:164 ; 4-byte Folded Reload
	s_waitcnt vmcnt(0)
	v_mul_f64 v[156:157], v[0:1], v[156:157]
	ds_read2_b64 v[0:3], v37 offset0:14 offset1:15
	s_waitcnt lgkmcnt(0)
	v_fma_f64 v[210:211], -v[156:157], v[0:1], v[210:211]
	v_fma_f64 v[154:155], -v[156:157], v[2:3], v[154:155]
	ds_read2_b64 v[0:3], v37 offset0:16 offset1:17
	s_waitcnt lgkmcnt(0)
	v_fma_f64 v[208:209], -v[156:157], v[0:1], v[208:209]
	v_fma_f64 v[152:153], -v[156:157], v[2:3], v[152:153]
	ds_read2_b64 v[0:3], v37 offset0:18 offset1:19
	s_waitcnt lgkmcnt(0)
	v_fma_f64 v[206:207], -v[156:157], v[0:1], v[206:207]
	v_fma_f64 v[150:151], -v[156:157], v[2:3], v[150:151]
	ds_read2_b64 v[0:3], v37 offset0:20 offset1:21
	s_waitcnt lgkmcnt(0)
	v_fma_f64 v[204:205], -v[156:157], v[0:1], v[204:205]
	v_fma_f64 v[148:149], -v[156:157], v[2:3], v[148:149]
	ds_read2_b64 v[0:3], v37 offset0:22 offset1:23
	s_waitcnt lgkmcnt(0)
	v_fma_f64 v[202:203], -v[156:157], v[0:1], v[202:203]
	v_fma_f64 v[146:147], -v[156:157], v[2:3], v[146:147]
	ds_read2_b64 v[0:3], v37 offset0:24 offset1:25
	s_waitcnt lgkmcnt(0)
	v_fma_f64 v[200:201], -v[156:157], v[0:1], v[200:201]
	v_fma_f64 v[144:145], -v[156:157], v[2:3], v[144:145]
	ds_read2_b64 v[0:3], v37 offset0:26 offset1:27
	s_waitcnt lgkmcnt(0)
	v_fma_f64 v[198:199], -v[156:157], v[0:1], v[198:199]
	v_fma_f64 v[142:143], -v[156:157], v[2:3], v[142:143]
	ds_read2_b64 v[0:3], v37 offset0:28 offset1:29
	s_waitcnt lgkmcnt(0)
	v_fma_f64 v[196:197], -v[156:157], v[0:1], v[196:197]
	v_fma_f64 v[140:141], -v[156:157], v[2:3], v[140:141]
	ds_read2_b64 v[0:3], v37 offset0:30 offset1:31
	s_waitcnt lgkmcnt(0)
	v_fma_f64 v[194:195], -v[156:157], v[0:1], v[194:195]
	v_fma_f64 v[138:139], -v[156:157], v[2:3], v[138:139]
	ds_read2_b64 v[0:3], v37 offset0:32 offset1:33
	s_waitcnt lgkmcnt(0)
	v_fma_f64 v[192:193], -v[156:157], v[0:1], v[192:193]
	v_fma_f64 v[136:137], -v[156:157], v[2:3], v[136:137]
	ds_read2_b64 v[0:3], v37 offset0:34 offset1:35
	s_waitcnt lgkmcnt(0)
	v_fma_f64 v[190:191], -v[156:157], v[0:1], v[190:191]
	v_fma_f64 v[134:135], -v[156:157], v[2:3], v[134:135]
	ds_read2_b64 v[0:3], v37 offset0:36 offset1:37
	s_waitcnt lgkmcnt(0)
	v_fma_f64 v[188:189], -v[156:157], v[0:1], v[188:189]
	v_fma_f64 v[132:133], -v[156:157], v[2:3], v[132:133]
	ds_read2_b64 v[0:3], v37 offset0:38 offset1:39
	s_waitcnt lgkmcnt(0)
	v_fma_f64 v[186:187], -v[156:157], v[0:1], v[186:187]
	v_fma_f64 v[130:131], -v[156:157], v[2:3], v[130:131]
	ds_read2_b64 v[0:3], v37 offset0:40 offset1:41
	s_waitcnt lgkmcnt(0)
	v_fma_f64 v[184:185], -v[156:157], v[0:1], v[184:185]
	v_fma_f64 v[128:129], -v[156:157], v[2:3], v[128:129]
	ds_read2_b64 v[0:3], v37 offset0:42 offset1:43
	s_waitcnt lgkmcnt(0)
	v_fma_f64 v[182:183], -v[156:157], v[0:1], v[182:183]
	v_fma_f64 v[126:127], -v[156:157], v[2:3], v[126:127]
	ds_read2_b64 v[0:3], v37 offset0:44 offset1:45
	s_waitcnt lgkmcnt(0)
	v_fma_f64 v[180:181], -v[156:157], v[0:1], v[180:181]
	v_fma_f64 v[124:125], -v[156:157], v[2:3], v[124:125]
	ds_read2_b64 v[0:3], v37 offset0:46 offset1:47
	s_waitcnt lgkmcnt(0)
	v_fma_f64 v[178:179], -v[156:157], v[0:1], v[178:179]
	v_fma_f64 v[122:123], -v[156:157], v[2:3], v[122:123]
	ds_read2_b64 v[0:3], v37 offset0:48 offset1:49
	s_waitcnt lgkmcnt(0)
	v_fma_f64 v[176:177], -v[156:157], v[0:1], v[176:177]
	v_fma_f64 v[120:121], -v[156:157], v[2:3], v[120:121]
	ds_read2_b64 v[0:3], v37 offset0:50 offset1:51
	s_waitcnt lgkmcnt(0)
	v_fma_f64 v[174:175], -v[156:157], v[0:1], v[174:175]
	v_fma_f64 v[118:119], -v[156:157], v[2:3], v[118:119]
	ds_read2_b64 v[0:3], v37 offset0:52 offset1:53
	s_waitcnt lgkmcnt(0)
	v_fma_f64 v[172:173], -v[156:157], v[0:1], v[172:173]
	v_fma_f64 v[116:117], -v[156:157], v[2:3], v[116:117]
	ds_read2_b64 v[0:3], v37 offset0:54 offset1:55
	s_waitcnt lgkmcnt(0)
	v_fma_f64 v[170:171], -v[156:157], v[0:1], v[170:171]
	v_fma_f64 v[224:225], -v[156:157], v[2:3], v[224:225]
.LBB111_71:
	s_or_b64 exec, exec, s[2:3]
	v_cmp_eq_u32_e32 vcc, 14, v38
	s_waitcnt vmcnt(63) expcnt(7) lgkmcnt(15)
	s_barrier
	s_and_saveexec_b64 s[2:3], vcc
	s_cbranch_execz .LBB111_74
; %bb.72:
	ds_write_b64 v36, v[210:211]
	ds_write2_b64 v37, v[154:155], v[208:209] offset0:15 offset1:16
	ds_write2_b64 v37, v[152:153], v[206:207] offset0:17 offset1:18
	;; [unrolled: 1-line block ×8, first 2 shown]
	s_waitcnt vmcnt(61)
	ds_write2_b64 v37, v[138:139], v[192:193] offset0:31 offset1:32
	s_waitcnt vmcnt(59)
	ds_write2_b64 v37, v[136:137], v[190:191] offset0:33 offset1:34
	;; [unrolled: 2-line block ×12, first 2 shown]
	s_waitcnt vmcnt(28)
	ds_write_b64 v37, v[224:225] offset:440
	ds_read_b64 v[0:1], v36
	s_waitcnt lgkmcnt(0)
	v_cmp_neq_f64_e32 vcc, 0, v[0:1]
	s_and_b64 exec, exec, vcc
	s_cbranch_execz .LBB111_74
; %bb.73:
	v_div_scale_f64 v[2:3], s[6:7], v[0:1], v[0:1], 1.0
	v_rcp_f64_e32 v[4:5], v[2:3]
	v_div_scale_f64 v[6:7], vcc, 1.0, v[0:1], 1.0
	v_fma_f64 v[8:9], -v[2:3], v[4:5], 1.0
	v_fmac_f64_e32 v[4:5], v[4:5], v[8:9]
	v_fma_f64 v[8:9], -v[2:3], v[4:5], 1.0
	v_fmac_f64_e32 v[4:5], v[4:5], v[8:9]
	v_mul_f64 v[8:9], v[6:7], v[4:5]
	v_fma_f64 v[2:3], -v[2:3], v[8:9], v[6:7]
	v_div_fmas_f64 v[2:3], v[2:3], v[4:5], v[8:9]
	v_div_fixup_f64 v[0:1], v[2:3], v[0:1], 1.0
	ds_write_b64 v36, v[0:1]
.LBB111_74:
	s_or_b64 exec, exec, s[2:3]
	s_waitcnt lgkmcnt(0)
	s_barrier
	ds_read_b64 v[0:1], v36
	v_cmp_lt_u32_e32 vcc, 14, v38
	s_waitcnt lgkmcnt(0)
	buffer_store_dword v0, off, s[16:19], 0 offset:168 ; 4-byte Folded Spill
	s_nop 0
	buffer_store_dword v1, off, s[16:19], 0 offset:172 ; 4-byte Folded Spill
	s_and_saveexec_b64 s[2:3], vcc
	s_cbranch_execz .LBB111_76
; %bb.75:
	buffer_load_dword v0, off, s[16:19], 0 offset:168 ; 4-byte Folded Reload
	buffer_load_dword v1, off, s[16:19], 0 offset:172 ; 4-byte Folded Reload
	s_waitcnt vmcnt(0)
	v_mul_f64 v[210:211], v[0:1], v[210:211]
	ds_read2_b64 v[0:3], v37 offset0:15 offset1:16
	s_waitcnt lgkmcnt(0)
	v_fma_f64 v[154:155], -v[210:211], v[0:1], v[154:155]
	v_fma_f64 v[208:209], -v[210:211], v[2:3], v[208:209]
	ds_read2_b64 v[0:3], v37 offset0:17 offset1:18
	s_waitcnt lgkmcnt(0)
	v_fma_f64 v[152:153], -v[210:211], v[0:1], v[152:153]
	v_fma_f64 v[206:207], -v[210:211], v[2:3], v[206:207]
	;; [unrolled: 4-line block ×19, first 2 shown]
	ds_read2_b64 v[0:3], v37 offset0:53 offset1:54
	s_waitcnt lgkmcnt(0)
	v_fma_f64 v[116:117], -v[210:211], v[0:1], v[116:117]
	ds_read_b64 v[0:1], v37 offset:440
	v_fma_f64 v[170:171], -v[210:211], v[2:3], v[170:171]
	s_waitcnt lgkmcnt(0)
	v_fma_f64 v[224:225], -v[210:211], v[0:1], v[224:225]
.LBB111_76:
	s_or_b64 exec, exec, s[2:3]
	v_cmp_eq_u32_e32 vcc, 15, v38
	s_waitcnt vmcnt(63) expcnt(7) lgkmcnt(15)
	s_barrier
	s_and_saveexec_b64 s[2:3], vcc
	s_cbranch_execz .LBB111_79
; %bb.77:
	v_mov_b32_e32 v0, v208
	v_mov_b32_e32 v1, v209
	;; [unrolled: 1-line block ×4, first 2 shown]
	ds_write_b64 v36, v[154:155]
	ds_write2_b64 v37, v[0:1], v[2:3] offset0:16 offset1:17
	v_mov_b32_e32 v0, v206
	v_mov_b32_e32 v1, v207
	v_mov_b32_e32 v2, v150
	v_mov_b32_e32 v3, v151
	ds_write2_b64 v37, v[0:1], v[2:3] offset0:18 offset1:19
	v_mov_b32_e32 v0, v204
	v_mov_b32_e32 v1, v205
	v_mov_b32_e32 v2, v148
	v_mov_b32_e32 v3, v149
	;; [unrolled: 5-line block ×7, first 2 shown]
	ds_write2_b64 v37, v[0:1], v[2:3] offset0:30 offset1:31
	v_mov_b32_e32 v0, v192
	v_mov_b32_e32 v1, v193
	s_waitcnt vmcnt(62)
	v_mov_b32_e32 v2, v136
	v_mov_b32_e32 v3, v137
	ds_write2_b64 v37, v[0:1], v[2:3] offset0:32 offset1:33
	s_waitcnt vmcnt(61)
	v_mov_b32_e32 v0, v190
	v_mov_b32_e32 v1, v191
	s_waitcnt vmcnt(60)
	v_mov_b32_e32 v2, v134
	v_mov_b32_e32 v3, v135
	ds_write2_b64 v37, v[0:1], v[2:3] offset0:34 offset1:35
	s_waitcnt vmcnt(59)
	;; [unrolled: 7-line block ×11, first 2 shown]
	v_mov_b32_e32 v0, v170
	v_mov_b32_e32 v1, v171
	s_waitcnt vmcnt(30)
	ds_write2_b64 v37, v[0:1], v[224:225] offset0:54 offset1:55
	ds_read_b64 v[0:1], v36
	s_waitcnt lgkmcnt(0)
	v_cmp_neq_f64_e32 vcc, 0, v[0:1]
	s_and_b64 exec, exec, vcc
	s_cbranch_execz .LBB111_79
; %bb.78:
	v_div_scale_f64 v[2:3], s[6:7], v[0:1], v[0:1], 1.0
	v_rcp_f64_e32 v[4:5], v[2:3]
	v_div_scale_f64 v[6:7], vcc, 1.0, v[0:1], 1.0
	v_fma_f64 v[8:9], -v[2:3], v[4:5], 1.0
	v_fmac_f64_e32 v[4:5], v[4:5], v[8:9]
	v_fma_f64 v[8:9], -v[2:3], v[4:5], 1.0
	v_fmac_f64_e32 v[4:5], v[4:5], v[8:9]
	v_mul_f64 v[8:9], v[6:7], v[4:5]
	v_fma_f64 v[2:3], -v[2:3], v[8:9], v[6:7]
	v_div_fmas_f64 v[2:3], v[2:3], v[4:5], v[8:9]
	v_div_fixup_f64 v[0:1], v[2:3], v[0:1], 1.0
	ds_write_b64 v36, v[0:1]
.LBB111_79:
	s_or_b64 exec, exec, s[2:3]
	s_waitcnt lgkmcnt(0)
	s_barrier
	ds_read_b64 v[0:1], v36
	v_cmp_lt_u32_e32 vcc, 15, v38
	s_waitcnt lgkmcnt(0)
	buffer_store_dword v0, off, s[16:19], 0 offset:176 ; 4-byte Folded Spill
	s_nop 0
	buffer_store_dword v1, off, s[16:19], 0 offset:180 ; 4-byte Folded Spill
	s_and_saveexec_b64 s[2:3], vcc
	s_cbranch_execz .LBB111_81
; %bb.80:
	buffer_load_dword v0, off, s[16:19], 0 offset:176 ; 4-byte Folded Reload
	buffer_load_dword v1, off, s[16:19], 0 offset:180 ; 4-byte Folded Reload
	s_waitcnt vmcnt(0)
	v_mul_f64 v[154:155], v[0:1], v[154:155]
	ds_read2_b64 v[0:3], v37 offset0:16 offset1:17
	s_waitcnt lgkmcnt(0)
	v_fma_f64 v[208:209], -v[154:155], v[0:1], v[208:209]
	v_fma_f64 v[152:153], -v[154:155], v[2:3], v[152:153]
	ds_read2_b64 v[0:3], v37 offset0:18 offset1:19
	s_waitcnt lgkmcnt(0)
	v_fma_f64 v[206:207], -v[154:155], v[0:1], v[206:207]
	v_fma_f64 v[150:151], -v[154:155], v[2:3], v[150:151]
	;; [unrolled: 4-line block ×20, first 2 shown]
.LBB111_81:
	s_or_b64 exec, exec, s[2:3]
	v_cmp_eq_u32_e32 vcc, 16, v38
	s_waitcnt vmcnt(63) expcnt(7) lgkmcnt(15)
	s_barrier
	s_and_saveexec_b64 s[2:3], vcc
	s_cbranch_execz .LBB111_84
; %bb.82:
	ds_write_b64 v36, v[208:209]
	ds_write2_b64 v37, v[152:153], v[206:207] offset0:17 offset1:18
	ds_write2_b64 v37, v[150:151], v[204:205] offset0:19 offset1:20
	;; [unrolled: 1-line block ×9, first 2 shown]
	s_waitcnt vmcnt(61)
	ds_write2_b64 v37, v[134:135], v[188:189] offset0:35 offset1:36
	s_waitcnt vmcnt(59)
	ds_write2_b64 v37, v[132:133], v[186:187] offset0:37 offset1:38
	;; [unrolled: 2-line block ×10, first 2 shown]
	s_waitcnt vmcnt(32)
	ds_write_b64 v37, v[224:225] offset:440
	ds_read_b64 v[0:1], v36
	s_waitcnt lgkmcnt(0)
	v_cmp_neq_f64_e32 vcc, 0, v[0:1]
	s_and_b64 exec, exec, vcc
	s_cbranch_execz .LBB111_84
; %bb.83:
	v_div_scale_f64 v[2:3], s[6:7], v[0:1], v[0:1], 1.0
	v_rcp_f64_e32 v[4:5], v[2:3]
	v_div_scale_f64 v[6:7], vcc, 1.0, v[0:1], 1.0
	v_fma_f64 v[8:9], -v[2:3], v[4:5], 1.0
	v_fmac_f64_e32 v[4:5], v[4:5], v[8:9]
	v_fma_f64 v[8:9], -v[2:3], v[4:5], 1.0
	v_fmac_f64_e32 v[4:5], v[4:5], v[8:9]
	v_mul_f64 v[8:9], v[6:7], v[4:5]
	v_fma_f64 v[2:3], -v[2:3], v[8:9], v[6:7]
	v_div_fmas_f64 v[2:3], v[2:3], v[4:5], v[8:9]
	v_div_fixup_f64 v[0:1], v[2:3], v[0:1], 1.0
	ds_write_b64 v36, v[0:1]
.LBB111_84:
	s_or_b64 exec, exec, s[2:3]
	s_waitcnt lgkmcnt(0)
	s_barrier
	ds_read_b64 v[0:1], v36
	v_cmp_lt_u32_e32 vcc, 16, v38
	s_waitcnt lgkmcnt(0)
	buffer_store_dword v0, off, s[16:19], 0 offset:184 ; 4-byte Folded Spill
	s_nop 0
	buffer_store_dword v1, off, s[16:19], 0 offset:188 ; 4-byte Folded Spill
	s_and_saveexec_b64 s[2:3], vcc
	s_cbranch_execz .LBB111_86
; %bb.85:
	buffer_load_dword v0, off, s[16:19], 0 offset:184 ; 4-byte Folded Reload
	buffer_load_dword v1, off, s[16:19], 0 offset:188 ; 4-byte Folded Reload
	s_waitcnt vmcnt(0)
	v_mul_f64 v[208:209], v[0:1], v[208:209]
	ds_read2_b64 v[0:3], v37 offset0:17 offset1:18
	s_waitcnt lgkmcnt(0)
	v_fma_f64 v[152:153], -v[208:209], v[0:1], v[152:153]
	v_fma_f64 v[206:207], -v[208:209], v[2:3], v[206:207]
	ds_read2_b64 v[0:3], v37 offset0:19 offset1:20
	s_waitcnt lgkmcnt(0)
	v_fma_f64 v[150:151], -v[208:209], v[0:1], v[150:151]
	v_fma_f64 v[204:205], -v[208:209], v[2:3], v[204:205]
	;; [unrolled: 4-line block ×18, first 2 shown]
	ds_read2_b64 v[0:3], v37 offset0:53 offset1:54
	s_waitcnt lgkmcnt(0)
	v_fma_f64 v[116:117], -v[208:209], v[0:1], v[116:117]
	ds_read_b64 v[0:1], v37 offset:440
	v_fma_f64 v[170:171], -v[208:209], v[2:3], v[170:171]
	s_waitcnt lgkmcnt(0)
	v_fma_f64 v[224:225], -v[208:209], v[0:1], v[224:225]
.LBB111_86:
	s_or_b64 exec, exec, s[2:3]
	v_cmp_eq_u32_e32 vcc, 17, v38
	s_waitcnt vmcnt(63) expcnt(7) lgkmcnt(15)
	s_barrier
	s_and_saveexec_b64 s[2:3], vcc
	s_cbranch_execz .LBB111_89
; %bb.87:
	v_mov_b32_e32 v0, v206
	v_mov_b32_e32 v1, v207
	;; [unrolled: 1-line block ×4, first 2 shown]
	ds_write_b64 v36, v[152:153]
	ds_write2_b64 v37, v[0:1], v[2:3] offset0:18 offset1:19
	v_mov_b32_e32 v0, v204
	v_mov_b32_e32 v1, v205
	v_mov_b32_e32 v2, v148
	v_mov_b32_e32 v3, v149
	ds_write2_b64 v37, v[0:1], v[2:3] offset0:20 offset1:21
	v_mov_b32_e32 v0, v202
	v_mov_b32_e32 v1, v203
	v_mov_b32_e32 v2, v146
	v_mov_b32_e32 v3, v147
	;; [unrolled: 5-line block ×8, first 2 shown]
	ds_write2_b64 v37, v[0:1], v[2:3] offset0:34 offset1:35
	v_mov_b32_e32 v0, v188
	v_mov_b32_e32 v1, v189
	s_waitcnt vmcnt(62)
	v_mov_b32_e32 v2, v132
	v_mov_b32_e32 v3, v133
	ds_write2_b64 v37, v[0:1], v[2:3] offset0:36 offset1:37
	s_waitcnt vmcnt(61)
	v_mov_b32_e32 v0, v186
	v_mov_b32_e32 v1, v187
	s_waitcnt vmcnt(60)
	v_mov_b32_e32 v2, v130
	v_mov_b32_e32 v3, v131
	ds_write2_b64 v37, v[0:1], v[2:3] offset0:38 offset1:39
	s_waitcnt vmcnt(59)
	;; [unrolled: 7-line block ×9, first 2 shown]
	v_mov_b32_e32 v0, v170
	v_mov_b32_e32 v1, v171
	s_waitcnt vmcnt(34)
	ds_write2_b64 v37, v[0:1], v[224:225] offset0:54 offset1:55
	ds_read_b64 v[0:1], v36
	s_waitcnt lgkmcnt(0)
	v_cmp_neq_f64_e32 vcc, 0, v[0:1]
	s_and_b64 exec, exec, vcc
	s_cbranch_execz .LBB111_89
; %bb.88:
	v_div_scale_f64 v[2:3], s[6:7], v[0:1], v[0:1], 1.0
	v_rcp_f64_e32 v[4:5], v[2:3]
	v_div_scale_f64 v[6:7], vcc, 1.0, v[0:1], 1.0
	v_fma_f64 v[8:9], -v[2:3], v[4:5], 1.0
	v_fmac_f64_e32 v[4:5], v[4:5], v[8:9]
	v_fma_f64 v[8:9], -v[2:3], v[4:5], 1.0
	v_fmac_f64_e32 v[4:5], v[4:5], v[8:9]
	v_mul_f64 v[8:9], v[6:7], v[4:5]
	v_fma_f64 v[2:3], -v[2:3], v[8:9], v[6:7]
	v_div_fmas_f64 v[2:3], v[2:3], v[4:5], v[8:9]
	v_div_fixup_f64 v[0:1], v[2:3], v[0:1], 1.0
	ds_write_b64 v36, v[0:1]
.LBB111_89:
	s_or_b64 exec, exec, s[2:3]
	s_waitcnt lgkmcnt(0)
	s_barrier
	ds_read_b64 v[0:1], v36
	v_cmp_lt_u32_e32 vcc, 17, v38
	s_waitcnt lgkmcnt(0)
	buffer_store_dword v0, off, s[16:19], 0 offset:192 ; 4-byte Folded Spill
	s_nop 0
	buffer_store_dword v1, off, s[16:19], 0 offset:196 ; 4-byte Folded Spill
	s_and_saveexec_b64 s[2:3], vcc
	s_cbranch_execz .LBB111_91
; %bb.90:
	buffer_load_dword v0, off, s[16:19], 0 offset:192 ; 4-byte Folded Reload
	buffer_load_dword v1, off, s[16:19], 0 offset:196 ; 4-byte Folded Reload
	s_waitcnt vmcnt(0)
	v_mul_f64 v[152:153], v[0:1], v[152:153]
	ds_read2_b64 v[0:3], v37 offset0:18 offset1:19
	s_waitcnt lgkmcnt(0)
	v_fma_f64 v[206:207], -v[152:153], v[0:1], v[206:207]
	v_fma_f64 v[150:151], -v[152:153], v[2:3], v[150:151]
	ds_read2_b64 v[0:3], v37 offset0:20 offset1:21
	s_waitcnt lgkmcnt(0)
	v_fma_f64 v[204:205], -v[152:153], v[0:1], v[204:205]
	v_fma_f64 v[148:149], -v[152:153], v[2:3], v[148:149]
	;; [unrolled: 4-line block ×19, first 2 shown]
.LBB111_91:
	s_or_b64 exec, exec, s[2:3]
	v_cmp_eq_u32_e32 vcc, 18, v38
	s_waitcnt vmcnt(63) expcnt(7) lgkmcnt(15)
	s_barrier
	s_and_saveexec_b64 s[2:3], vcc
	s_cbranch_execz .LBB111_94
; %bb.92:
	ds_write_b64 v36, v[206:207]
	ds_write2_b64 v37, v[150:151], v[204:205] offset0:19 offset1:20
	ds_write2_b64 v37, v[148:149], v[202:203] offset0:21 offset1:22
	;; [unrolled: 1-line block ×10, first 2 shown]
	s_waitcnt vmcnt(61)
	ds_write2_b64 v37, v[130:131], v[184:185] offset0:39 offset1:40
	s_waitcnt vmcnt(59)
	ds_write2_b64 v37, v[128:129], v[182:183] offset0:41 offset1:42
	;; [unrolled: 2-line block ×8, first 2 shown]
	s_waitcnt vmcnt(36)
	ds_write_b64 v37, v[224:225] offset:440
	ds_read_b64 v[0:1], v36
	s_waitcnt lgkmcnt(0)
	v_cmp_neq_f64_e32 vcc, 0, v[0:1]
	s_and_b64 exec, exec, vcc
	s_cbranch_execz .LBB111_94
; %bb.93:
	v_div_scale_f64 v[2:3], s[6:7], v[0:1], v[0:1], 1.0
	v_rcp_f64_e32 v[4:5], v[2:3]
	v_div_scale_f64 v[6:7], vcc, 1.0, v[0:1], 1.0
	v_fma_f64 v[8:9], -v[2:3], v[4:5], 1.0
	v_fmac_f64_e32 v[4:5], v[4:5], v[8:9]
	v_fma_f64 v[8:9], -v[2:3], v[4:5], 1.0
	v_fmac_f64_e32 v[4:5], v[4:5], v[8:9]
	v_mul_f64 v[8:9], v[6:7], v[4:5]
	v_fma_f64 v[2:3], -v[2:3], v[8:9], v[6:7]
	v_div_fmas_f64 v[2:3], v[2:3], v[4:5], v[8:9]
	v_div_fixup_f64 v[0:1], v[2:3], v[0:1], 1.0
	ds_write_b64 v36, v[0:1]
.LBB111_94:
	s_or_b64 exec, exec, s[2:3]
	s_waitcnt lgkmcnt(0)
	s_barrier
	ds_read_b64 v[0:1], v36
	v_cmp_lt_u32_e32 vcc, 18, v38
	s_waitcnt lgkmcnt(0)
	buffer_store_dword v0, off, s[16:19], 0 offset:200 ; 4-byte Folded Spill
	s_nop 0
	buffer_store_dword v1, off, s[16:19], 0 offset:204 ; 4-byte Folded Spill
	s_and_saveexec_b64 s[2:3], vcc
	s_cbranch_execz .LBB111_96
; %bb.95:
	buffer_load_dword v0, off, s[16:19], 0 offset:200 ; 4-byte Folded Reload
	buffer_load_dword v1, off, s[16:19], 0 offset:204 ; 4-byte Folded Reload
	s_waitcnt vmcnt(0)
	v_mul_f64 v[206:207], v[0:1], v[206:207]
	ds_read2_b64 v[0:3], v37 offset0:19 offset1:20
	s_waitcnt lgkmcnt(0)
	v_fma_f64 v[150:151], -v[206:207], v[0:1], v[150:151]
	v_fma_f64 v[204:205], -v[206:207], v[2:3], v[204:205]
	ds_read2_b64 v[0:3], v37 offset0:21 offset1:22
	s_waitcnt lgkmcnt(0)
	v_fma_f64 v[148:149], -v[206:207], v[0:1], v[148:149]
	v_fma_f64 v[202:203], -v[206:207], v[2:3], v[202:203]
	;; [unrolled: 4-line block ×17, first 2 shown]
	ds_read2_b64 v[0:3], v37 offset0:53 offset1:54
	s_waitcnt lgkmcnt(0)
	v_fma_f64 v[116:117], -v[206:207], v[0:1], v[116:117]
	ds_read_b64 v[0:1], v37 offset:440
	v_fma_f64 v[170:171], -v[206:207], v[2:3], v[170:171]
	s_waitcnt lgkmcnt(0)
	v_fma_f64 v[224:225], -v[206:207], v[0:1], v[224:225]
.LBB111_96:
	s_or_b64 exec, exec, s[2:3]
	v_cmp_eq_u32_e32 vcc, 19, v38
	s_waitcnt vmcnt(63) expcnt(7) lgkmcnt(15)
	s_barrier
	s_and_saveexec_b64 s[2:3], vcc
	s_cbranch_execz .LBB111_99
; %bb.97:
	v_mov_b32_e32 v0, v204
	v_mov_b32_e32 v1, v205
	;; [unrolled: 1-line block ×4, first 2 shown]
	ds_write_b64 v36, v[150:151]
	ds_write2_b64 v37, v[0:1], v[2:3] offset0:20 offset1:21
	v_mov_b32_e32 v0, v202
	v_mov_b32_e32 v1, v203
	v_mov_b32_e32 v2, v146
	v_mov_b32_e32 v3, v147
	ds_write2_b64 v37, v[0:1], v[2:3] offset0:22 offset1:23
	v_mov_b32_e32 v0, v200
	v_mov_b32_e32 v1, v201
	v_mov_b32_e32 v2, v144
	v_mov_b32_e32 v3, v145
	;; [unrolled: 5-line block ×9, first 2 shown]
	ds_write2_b64 v37, v[0:1], v[2:3] offset0:38 offset1:39
	v_mov_b32_e32 v0, v184
	v_mov_b32_e32 v1, v185
	s_waitcnt vmcnt(62)
	v_mov_b32_e32 v2, v128
	v_mov_b32_e32 v3, v129
	ds_write2_b64 v37, v[0:1], v[2:3] offset0:40 offset1:41
	s_waitcnt vmcnt(61)
	v_mov_b32_e32 v0, v182
	v_mov_b32_e32 v1, v183
	s_waitcnt vmcnt(60)
	v_mov_b32_e32 v2, v126
	v_mov_b32_e32 v3, v127
	ds_write2_b64 v37, v[0:1], v[2:3] offset0:42 offset1:43
	s_waitcnt vmcnt(59)
	;; [unrolled: 7-line block ×7, first 2 shown]
	v_mov_b32_e32 v0, v170
	v_mov_b32_e32 v1, v171
	s_waitcnt vmcnt(38)
	ds_write2_b64 v37, v[0:1], v[224:225] offset0:54 offset1:55
	ds_read_b64 v[0:1], v36
	s_waitcnt lgkmcnt(0)
	v_cmp_neq_f64_e32 vcc, 0, v[0:1]
	s_and_b64 exec, exec, vcc
	s_cbranch_execz .LBB111_99
; %bb.98:
	v_div_scale_f64 v[2:3], s[6:7], v[0:1], v[0:1], 1.0
	v_rcp_f64_e32 v[4:5], v[2:3]
	v_div_scale_f64 v[6:7], vcc, 1.0, v[0:1], 1.0
	v_fma_f64 v[8:9], -v[2:3], v[4:5], 1.0
	v_fmac_f64_e32 v[4:5], v[4:5], v[8:9]
	v_fma_f64 v[8:9], -v[2:3], v[4:5], 1.0
	v_fmac_f64_e32 v[4:5], v[4:5], v[8:9]
	v_mul_f64 v[8:9], v[6:7], v[4:5]
	v_fma_f64 v[2:3], -v[2:3], v[8:9], v[6:7]
	v_div_fmas_f64 v[2:3], v[2:3], v[4:5], v[8:9]
	v_div_fixup_f64 v[0:1], v[2:3], v[0:1], 1.0
	ds_write_b64 v36, v[0:1]
.LBB111_99:
	s_or_b64 exec, exec, s[2:3]
	s_waitcnt lgkmcnt(0)
	s_barrier
	ds_read_b64 v[0:1], v36
	v_cmp_lt_u32_e32 vcc, 19, v38
	s_waitcnt lgkmcnt(0)
	buffer_store_dword v0, off, s[16:19], 0 offset:208 ; 4-byte Folded Spill
	s_nop 0
	buffer_store_dword v1, off, s[16:19], 0 offset:212 ; 4-byte Folded Spill
	s_and_saveexec_b64 s[2:3], vcc
	s_cbranch_execz .LBB111_101
; %bb.100:
	buffer_load_dword v0, off, s[16:19], 0 offset:208 ; 4-byte Folded Reload
	buffer_load_dword v1, off, s[16:19], 0 offset:212 ; 4-byte Folded Reload
	s_waitcnt vmcnt(0)
	v_mul_f64 v[150:151], v[0:1], v[150:151]
	ds_read2_b64 v[0:3], v37 offset0:20 offset1:21
	s_waitcnt lgkmcnt(0)
	v_fma_f64 v[204:205], -v[150:151], v[0:1], v[204:205]
	v_fma_f64 v[148:149], -v[150:151], v[2:3], v[148:149]
	ds_read2_b64 v[0:3], v37 offset0:22 offset1:23
	s_waitcnt lgkmcnt(0)
	v_fma_f64 v[202:203], -v[150:151], v[0:1], v[202:203]
	v_fma_f64 v[146:147], -v[150:151], v[2:3], v[146:147]
	;; [unrolled: 4-line block ×18, first 2 shown]
.LBB111_101:
	s_or_b64 exec, exec, s[2:3]
	v_cmp_eq_u32_e32 vcc, 20, v38
	s_waitcnt vmcnt(63) expcnt(7) lgkmcnt(15)
	s_barrier
	s_and_saveexec_b64 s[2:3], vcc
	s_cbranch_execz .LBB111_104
; %bb.102:
	ds_write_b64 v36, v[204:205]
	ds_write2_b64 v37, v[148:149], v[202:203] offset0:21 offset1:22
	ds_write2_b64 v37, v[146:147], v[200:201] offset0:23 offset1:24
	;; [unrolled: 1-line block ×11, first 2 shown]
	s_waitcnt vmcnt(61)
	ds_write2_b64 v37, v[126:127], v[180:181] offset0:43 offset1:44
	s_waitcnt vmcnt(59)
	ds_write2_b64 v37, v[124:125], v[178:179] offset0:45 offset1:46
	;; [unrolled: 2-line block ×6, first 2 shown]
	s_waitcnt vmcnt(40)
	ds_write_b64 v37, v[224:225] offset:440
	ds_read_b64 v[0:1], v36
	s_waitcnt lgkmcnt(0)
	v_cmp_neq_f64_e32 vcc, 0, v[0:1]
	s_and_b64 exec, exec, vcc
	s_cbranch_execz .LBB111_104
; %bb.103:
	v_div_scale_f64 v[2:3], s[6:7], v[0:1], v[0:1], 1.0
	v_rcp_f64_e32 v[4:5], v[2:3]
	v_div_scale_f64 v[6:7], vcc, 1.0, v[0:1], 1.0
	v_fma_f64 v[8:9], -v[2:3], v[4:5], 1.0
	v_fmac_f64_e32 v[4:5], v[4:5], v[8:9]
	v_fma_f64 v[8:9], -v[2:3], v[4:5], 1.0
	v_fmac_f64_e32 v[4:5], v[4:5], v[8:9]
	v_mul_f64 v[8:9], v[6:7], v[4:5]
	v_fma_f64 v[2:3], -v[2:3], v[8:9], v[6:7]
	v_div_fmas_f64 v[2:3], v[2:3], v[4:5], v[8:9]
	v_div_fixup_f64 v[0:1], v[2:3], v[0:1], 1.0
	ds_write_b64 v36, v[0:1]
.LBB111_104:
	s_or_b64 exec, exec, s[2:3]
	s_waitcnt lgkmcnt(0)
	s_barrier
	ds_read_b64 v[0:1], v36
	v_cmp_lt_u32_e32 vcc, 20, v38
	s_waitcnt lgkmcnt(0)
	buffer_store_dword v0, off, s[16:19], 0 offset:216 ; 4-byte Folded Spill
	s_nop 0
	buffer_store_dword v1, off, s[16:19], 0 offset:220 ; 4-byte Folded Spill
	s_and_saveexec_b64 s[2:3], vcc
	s_cbranch_execz .LBB111_106
; %bb.105:
	buffer_load_dword v0, off, s[16:19], 0 offset:216 ; 4-byte Folded Reload
	buffer_load_dword v1, off, s[16:19], 0 offset:220 ; 4-byte Folded Reload
	s_waitcnt vmcnt(0)
	v_mul_f64 v[204:205], v[0:1], v[204:205]
	ds_read2_b64 v[0:3], v37 offset0:21 offset1:22
	s_waitcnt lgkmcnt(0)
	v_fma_f64 v[148:149], -v[204:205], v[0:1], v[148:149]
	v_fma_f64 v[202:203], -v[204:205], v[2:3], v[202:203]
	ds_read2_b64 v[0:3], v37 offset0:23 offset1:24
	s_waitcnt lgkmcnt(0)
	v_fma_f64 v[146:147], -v[204:205], v[0:1], v[146:147]
	v_fma_f64 v[200:201], -v[204:205], v[2:3], v[200:201]
	;; [unrolled: 4-line block ×16, first 2 shown]
	ds_read2_b64 v[0:3], v37 offset0:53 offset1:54
	s_waitcnt lgkmcnt(0)
	v_fma_f64 v[116:117], -v[204:205], v[0:1], v[116:117]
	ds_read_b64 v[0:1], v37 offset:440
	v_fma_f64 v[170:171], -v[204:205], v[2:3], v[170:171]
	s_waitcnt lgkmcnt(0)
	v_fma_f64 v[224:225], -v[204:205], v[0:1], v[224:225]
.LBB111_106:
	s_or_b64 exec, exec, s[2:3]
	v_cmp_eq_u32_e32 vcc, 21, v38
	s_waitcnt vmcnt(63) expcnt(7) lgkmcnt(15)
	s_barrier
	s_and_saveexec_b64 s[2:3], vcc
	s_cbranch_execz .LBB111_109
; %bb.107:
	v_mov_b32_e32 v0, v202
	v_mov_b32_e32 v1, v203
	;; [unrolled: 1-line block ×4, first 2 shown]
	ds_write_b64 v36, v[148:149]
	ds_write2_b64 v37, v[0:1], v[2:3] offset0:22 offset1:23
	v_mov_b32_e32 v0, v200
	v_mov_b32_e32 v1, v201
	v_mov_b32_e32 v2, v144
	v_mov_b32_e32 v3, v145
	ds_write2_b64 v37, v[0:1], v[2:3] offset0:24 offset1:25
	v_mov_b32_e32 v0, v198
	v_mov_b32_e32 v1, v199
	v_mov_b32_e32 v2, v142
	v_mov_b32_e32 v3, v143
	;; [unrolled: 5-line block ×10, first 2 shown]
	ds_write2_b64 v37, v[0:1], v[2:3] offset0:42 offset1:43
	v_mov_b32_e32 v0, v180
	v_mov_b32_e32 v1, v181
	s_waitcnt vmcnt(62)
	v_mov_b32_e32 v2, v124
	v_mov_b32_e32 v3, v125
	ds_write2_b64 v37, v[0:1], v[2:3] offset0:44 offset1:45
	s_waitcnt vmcnt(61)
	v_mov_b32_e32 v0, v178
	v_mov_b32_e32 v1, v179
	s_waitcnt vmcnt(60)
	v_mov_b32_e32 v2, v122
	v_mov_b32_e32 v3, v123
	ds_write2_b64 v37, v[0:1], v[2:3] offset0:46 offset1:47
	s_waitcnt vmcnt(59)
	;; [unrolled: 7-line block ×5, first 2 shown]
	v_mov_b32_e32 v0, v170
	v_mov_b32_e32 v1, v171
	s_waitcnt vmcnt(42)
	ds_write2_b64 v37, v[0:1], v[224:225] offset0:54 offset1:55
	ds_read_b64 v[0:1], v36
	s_waitcnt lgkmcnt(0)
	v_cmp_neq_f64_e32 vcc, 0, v[0:1]
	s_and_b64 exec, exec, vcc
	s_cbranch_execz .LBB111_109
; %bb.108:
	v_div_scale_f64 v[2:3], s[6:7], v[0:1], v[0:1], 1.0
	v_rcp_f64_e32 v[4:5], v[2:3]
	v_div_scale_f64 v[6:7], vcc, 1.0, v[0:1], 1.0
	v_fma_f64 v[8:9], -v[2:3], v[4:5], 1.0
	v_fmac_f64_e32 v[4:5], v[4:5], v[8:9]
	v_fma_f64 v[8:9], -v[2:3], v[4:5], 1.0
	v_fmac_f64_e32 v[4:5], v[4:5], v[8:9]
	v_mul_f64 v[8:9], v[6:7], v[4:5]
	v_fma_f64 v[2:3], -v[2:3], v[8:9], v[6:7]
	v_div_fmas_f64 v[2:3], v[2:3], v[4:5], v[8:9]
	v_div_fixup_f64 v[0:1], v[2:3], v[0:1], 1.0
	ds_write_b64 v36, v[0:1]
.LBB111_109:
	s_or_b64 exec, exec, s[2:3]
	s_waitcnt lgkmcnt(0)
	s_barrier
	ds_read_b64 v[0:1], v36
	v_cmp_lt_u32_e32 vcc, 21, v38
	s_waitcnt lgkmcnt(0)
	buffer_store_dword v0, off, s[16:19], 0 offset:224 ; 4-byte Folded Spill
	s_nop 0
	buffer_store_dword v1, off, s[16:19], 0 offset:228 ; 4-byte Folded Spill
	s_and_saveexec_b64 s[2:3], vcc
	s_cbranch_execz .LBB111_111
; %bb.110:
	buffer_load_dword v0, off, s[16:19], 0 offset:224 ; 4-byte Folded Reload
	buffer_load_dword v1, off, s[16:19], 0 offset:228 ; 4-byte Folded Reload
	s_waitcnt vmcnt(0)
	v_mul_f64 v[148:149], v[0:1], v[148:149]
	ds_read2_b64 v[0:3], v37 offset0:22 offset1:23
	s_waitcnt lgkmcnt(0)
	v_fma_f64 v[202:203], -v[148:149], v[0:1], v[202:203]
	v_fma_f64 v[146:147], -v[148:149], v[2:3], v[146:147]
	ds_read2_b64 v[0:3], v37 offset0:24 offset1:25
	s_waitcnt lgkmcnt(0)
	v_fma_f64 v[200:201], -v[148:149], v[0:1], v[200:201]
	v_fma_f64 v[144:145], -v[148:149], v[2:3], v[144:145]
	;; [unrolled: 4-line block ×17, first 2 shown]
.LBB111_111:
	s_or_b64 exec, exec, s[2:3]
	v_cmp_eq_u32_e32 vcc, 22, v38
	s_waitcnt vmcnt(63) expcnt(7) lgkmcnt(15)
	s_barrier
	s_and_saveexec_b64 s[2:3], vcc
	s_cbranch_execz .LBB111_114
; %bb.112:
	ds_write_b64 v36, v[202:203]
	ds_write2_b64 v37, v[146:147], v[200:201] offset0:23 offset1:24
	ds_write2_b64 v37, v[144:145], v[198:199] offset0:25 offset1:26
	;; [unrolled: 1-line block ×12, first 2 shown]
	s_waitcnt vmcnt(61)
	ds_write2_b64 v37, v[122:123], v[176:177] offset0:47 offset1:48
	s_waitcnt vmcnt(59)
	ds_write2_b64 v37, v[120:121], v[174:175] offset0:49 offset1:50
	;; [unrolled: 2-line block ×4, first 2 shown]
	s_waitcnt vmcnt(44)
	ds_write_b64 v37, v[224:225] offset:440
	ds_read_b64 v[0:1], v36
	s_waitcnt lgkmcnt(0)
	v_cmp_neq_f64_e32 vcc, 0, v[0:1]
	s_and_b64 exec, exec, vcc
	s_cbranch_execz .LBB111_114
; %bb.113:
	v_div_scale_f64 v[2:3], s[6:7], v[0:1], v[0:1], 1.0
	v_rcp_f64_e32 v[4:5], v[2:3]
	v_div_scale_f64 v[6:7], vcc, 1.0, v[0:1], 1.0
	v_fma_f64 v[8:9], -v[2:3], v[4:5], 1.0
	v_fmac_f64_e32 v[4:5], v[4:5], v[8:9]
	v_fma_f64 v[8:9], -v[2:3], v[4:5], 1.0
	v_fmac_f64_e32 v[4:5], v[4:5], v[8:9]
	v_mul_f64 v[8:9], v[6:7], v[4:5]
	v_fma_f64 v[2:3], -v[2:3], v[8:9], v[6:7]
	v_div_fmas_f64 v[2:3], v[2:3], v[4:5], v[8:9]
	v_div_fixup_f64 v[0:1], v[2:3], v[0:1], 1.0
	ds_write_b64 v36, v[0:1]
.LBB111_114:
	s_or_b64 exec, exec, s[2:3]
	s_waitcnt lgkmcnt(0)
	s_barrier
	ds_read_b64 v[0:1], v36
	v_cmp_lt_u32_e32 vcc, 22, v38
	s_waitcnt lgkmcnt(0)
	buffer_store_dword v0, off, s[16:19], 0 offset:232 ; 4-byte Folded Spill
	s_nop 0
	buffer_store_dword v1, off, s[16:19], 0 offset:236 ; 4-byte Folded Spill
	s_and_saveexec_b64 s[2:3], vcc
	s_cbranch_execz .LBB111_116
; %bb.115:
	buffer_load_dword v0, off, s[16:19], 0 offset:232 ; 4-byte Folded Reload
	buffer_load_dword v1, off, s[16:19], 0 offset:236 ; 4-byte Folded Reload
	s_waitcnt vmcnt(0)
	v_mul_f64 v[202:203], v[0:1], v[202:203]
	ds_read2_b64 v[0:3], v37 offset0:23 offset1:24
	s_waitcnt lgkmcnt(0)
	v_fma_f64 v[146:147], -v[202:203], v[0:1], v[146:147]
	v_fma_f64 v[200:201], -v[202:203], v[2:3], v[200:201]
	ds_read2_b64 v[0:3], v37 offset0:25 offset1:26
	s_waitcnt lgkmcnt(0)
	v_fma_f64 v[144:145], -v[202:203], v[0:1], v[144:145]
	v_fma_f64 v[198:199], -v[202:203], v[2:3], v[198:199]
	;; [unrolled: 4-line block ×15, first 2 shown]
	ds_read2_b64 v[0:3], v37 offset0:53 offset1:54
	s_waitcnt lgkmcnt(0)
	v_fma_f64 v[116:117], -v[202:203], v[0:1], v[116:117]
	ds_read_b64 v[0:1], v37 offset:440
	v_fma_f64 v[170:171], -v[202:203], v[2:3], v[170:171]
	s_waitcnt lgkmcnt(0)
	v_fma_f64 v[224:225], -v[202:203], v[0:1], v[224:225]
.LBB111_116:
	s_or_b64 exec, exec, s[2:3]
	v_cmp_eq_u32_e32 vcc, 23, v38
	s_waitcnt vmcnt(63) expcnt(7) lgkmcnt(15)
	s_barrier
	s_and_saveexec_b64 s[2:3], vcc
	s_cbranch_execz .LBB111_119
; %bb.117:
	v_mov_b32_e32 v0, v200
	v_mov_b32_e32 v1, v201
	;; [unrolled: 1-line block ×4, first 2 shown]
	ds_write_b64 v36, v[146:147]
	ds_write2_b64 v37, v[0:1], v[2:3] offset0:24 offset1:25
	v_mov_b32_e32 v0, v198
	v_mov_b32_e32 v1, v199
	v_mov_b32_e32 v2, v142
	v_mov_b32_e32 v3, v143
	ds_write2_b64 v37, v[0:1], v[2:3] offset0:26 offset1:27
	v_mov_b32_e32 v0, v196
	v_mov_b32_e32 v1, v197
	v_mov_b32_e32 v2, v140
	v_mov_b32_e32 v3, v141
	;; [unrolled: 5-line block ×11, first 2 shown]
	ds_write2_b64 v37, v[0:1], v[2:3] offset0:46 offset1:47
	v_mov_b32_e32 v0, v176
	v_mov_b32_e32 v1, v177
	s_waitcnt vmcnt(62)
	v_mov_b32_e32 v2, v120
	v_mov_b32_e32 v3, v121
	ds_write2_b64 v37, v[0:1], v[2:3] offset0:48 offset1:49
	s_waitcnt vmcnt(61)
	v_mov_b32_e32 v0, v174
	v_mov_b32_e32 v1, v175
	s_waitcnt vmcnt(58)
	v_mov_b32_e32 v2, v118
	v_mov_b32_e32 v3, v119
	ds_write2_b64 v37, v[0:1], v[2:3] offset0:50 offset1:51
	s_waitcnt vmcnt(55)
	;; [unrolled: 7-line block ×3, first 2 shown]
	v_mov_b32_e32 v0, v170
	v_mov_b32_e32 v1, v171
	s_waitcnt vmcnt(46)
	ds_write2_b64 v37, v[0:1], v[224:225] offset0:54 offset1:55
	ds_read_b64 v[0:1], v36
	s_waitcnt lgkmcnt(0)
	v_cmp_neq_f64_e32 vcc, 0, v[0:1]
	s_and_b64 exec, exec, vcc
	s_cbranch_execz .LBB111_119
; %bb.118:
	v_div_scale_f64 v[2:3], s[6:7], v[0:1], v[0:1], 1.0
	v_rcp_f64_e32 v[4:5], v[2:3]
	v_div_scale_f64 v[6:7], vcc, 1.0, v[0:1], 1.0
	v_fma_f64 v[8:9], -v[2:3], v[4:5], 1.0
	v_fmac_f64_e32 v[4:5], v[4:5], v[8:9]
	v_fma_f64 v[8:9], -v[2:3], v[4:5], 1.0
	v_fmac_f64_e32 v[4:5], v[4:5], v[8:9]
	v_mul_f64 v[8:9], v[6:7], v[4:5]
	v_fma_f64 v[2:3], -v[2:3], v[8:9], v[6:7]
	v_div_fmas_f64 v[2:3], v[2:3], v[4:5], v[8:9]
	v_div_fixup_f64 v[0:1], v[2:3], v[0:1], 1.0
	ds_write_b64 v36, v[0:1]
.LBB111_119:
	s_or_b64 exec, exec, s[2:3]
	s_waitcnt lgkmcnt(0)
	s_barrier
	ds_read_b64 v[0:1], v36
	v_cmp_lt_u32_e32 vcc, 23, v38
	s_waitcnt lgkmcnt(0)
	buffer_store_dword v0, off, s[16:19], 0 offset:240 ; 4-byte Folded Spill
	s_nop 0
	buffer_store_dword v1, off, s[16:19], 0 offset:244 ; 4-byte Folded Spill
	s_and_saveexec_b64 s[2:3], vcc
	s_cbranch_execz .LBB111_121
; %bb.120:
	buffer_load_dword v0, off, s[16:19], 0 offset:240 ; 4-byte Folded Reload
	buffer_load_dword v1, off, s[16:19], 0 offset:244 ; 4-byte Folded Reload
	s_waitcnt vmcnt(0)
	v_mul_f64 v[146:147], v[0:1], v[146:147]
	ds_read2_b64 v[0:3], v37 offset0:24 offset1:25
	s_waitcnt lgkmcnt(0)
	v_fma_f64 v[200:201], -v[146:147], v[0:1], v[200:201]
	v_fma_f64 v[144:145], -v[146:147], v[2:3], v[144:145]
	ds_read2_b64 v[0:3], v37 offset0:26 offset1:27
	s_waitcnt lgkmcnt(0)
	v_fma_f64 v[198:199], -v[146:147], v[0:1], v[198:199]
	v_fma_f64 v[142:143], -v[146:147], v[2:3], v[142:143]
	;; [unrolled: 4-line block ×16, first 2 shown]
.LBB111_121:
	s_or_b64 exec, exec, s[2:3]
	v_cmp_eq_u32_e32 vcc, 24, v38
	s_waitcnt vmcnt(63) expcnt(7) lgkmcnt(15)
	s_barrier
	s_and_saveexec_b64 s[2:3], vcc
	s_cbranch_execz .LBB111_124
; %bb.122:
	ds_write_b64 v36, v[200:201]
	ds_write2_b64 v37, v[144:145], v[198:199] offset0:25 offset1:26
	ds_write2_b64 v37, v[142:143], v[196:197] offset0:27 offset1:28
	;; [unrolled: 1-line block ×13, first 2 shown]
	s_waitcnt vmcnt(57)
	ds_write2_b64 v37, v[118:119], v[172:173] offset0:51 offset1:52
	s_waitcnt vmcnt(51)
	ds_write2_b64 v37, v[116:117], v[170:171] offset0:53 offset1:54
	s_waitcnt vmcnt(48)
	ds_write_b64 v37, v[224:225] offset:440
	ds_read_b64 v[0:1], v36
	s_waitcnt lgkmcnt(0)
	v_cmp_neq_f64_e32 vcc, 0, v[0:1]
	s_and_b64 exec, exec, vcc
	s_cbranch_execz .LBB111_124
; %bb.123:
	v_div_scale_f64 v[2:3], s[6:7], v[0:1], v[0:1], 1.0
	v_rcp_f64_e32 v[4:5], v[2:3]
	v_div_scale_f64 v[6:7], vcc, 1.0, v[0:1], 1.0
	v_fma_f64 v[8:9], -v[2:3], v[4:5], 1.0
	v_fmac_f64_e32 v[4:5], v[4:5], v[8:9]
	v_fma_f64 v[8:9], -v[2:3], v[4:5], 1.0
	v_fmac_f64_e32 v[4:5], v[4:5], v[8:9]
	v_mul_f64 v[8:9], v[6:7], v[4:5]
	v_fma_f64 v[2:3], -v[2:3], v[8:9], v[6:7]
	v_div_fmas_f64 v[2:3], v[2:3], v[4:5], v[8:9]
	v_div_fixup_f64 v[0:1], v[2:3], v[0:1], 1.0
	ds_write_b64 v36, v[0:1]
.LBB111_124:
	s_or_b64 exec, exec, s[2:3]
	s_waitcnt lgkmcnt(0)
	s_barrier
	ds_read_b64 v[0:1], v36
	v_cmp_lt_u32_e32 vcc, 24, v38
	s_waitcnt lgkmcnt(0)
	buffer_store_dword v0, off, s[16:19], 0 offset:248 ; 4-byte Folded Spill
	s_nop 0
	buffer_store_dword v1, off, s[16:19], 0 offset:252 ; 4-byte Folded Spill
	s_and_saveexec_b64 s[2:3], vcc
	s_cbranch_execz .LBB111_126
; %bb.125:
	buffer_load_dword v0, off, s[16:19], 0 offset:248 ; 4-byte Folded Reload
	buffer_load_dword v1, off, s[16:19], 0 offset:252 ; 4-byte Folded Reload
	s_waitcnt vmcnt(0)
	v_mul_f64 v[200:201], v[0:1], v[200:201]
	ds_read2_b64 v[0:3], v37 offset0:25 offset1:26
	s_waitcnt lgkmcnt(0)
	v_fma_f64 v[144:145], -v[200:201], v[0:1], v[144:145]
	v_fma_f64 v[198:199], -v[200:201], v[2:3], v[198:199]
	ds_read2_b64 v[0:3], v37 offset0:27 offset1:28
	s_waitcnt lgkmcnt(0)
	v_fma_f64 v[142:143], -v[200:201], v[0:1], v[142:143]
	v_fma_f64 v[196:197], -v[200:201], v[2:3], v[196:197]
	;; [unrolled: 4-line block ×14, first 2 shown]
	ds_read2_b64 v[0:3], v37 offset0:53 offset1:54
	s_waitcnt lgkmcnt(0)
	v_fma_f64 v[116:117], -v[200:201], v[0:1], v[116:117]
	ds_read_b64 v[0:1], v37 offset:440
	v_fma_f64 v[170:171], -v[200:201], v[2:3], v[170:171]
	s_waitcnt lgkmcnt(0)
	v_fma_f64 v[224:225], -v[200:201], v[0:1], v[224:225]
.LBB111_126:
	s_or_b64 exec, exec, s[2:3]
	v_cmp_eq_u32_e32 vcc, 25, v38
	s_waitcnt vmcnt(63) expcnt(7) lgkmcnt(15)
	s_barrier
	s_and_saveexec_b64 s[2:3], vcc
	s_cbranch_execz .LBB111_129
; %bb.127:
	v_mov_b32_e32 v0, v198
	v_mov_b32_e32 v1, v199
	;; [unrolled: 1-line block ×4, first 2 shown]
	ds_write_b64 v36, v[144:145]
	ds_write2_b64 v37, v[0:1], v[2:3] offset0:26 offset1:27
	v_mov_b32_e32 v0, v196
	v_mov_b32_e32 v1, v197
	v_mov_b32_e32 v2, v140
	v_mov_b32_e32 v3, v141
	ds_write2_b64 v37, v[0:1], v[2:3] offset0:28 offset1:29
	v_mov_b32_e32 v0, v194
	v_mov_b32_e32 v1, v195
	v_mov_b32_e32 v2, v138
	v_mov_b32_e32 v3, v139
	;; [unrolled: 5-line block ×11, first 2 shown]
	ds_write2_b64 v37, v[0:1], v[2:3] offset0:48 offset1:49
	v_mov_b32_e32 v0, v174
	v_mov_b32_e32 v1, v175
	s_waitcnt vmcnt(62)
	v_mov_b32_e32 v2, v118
	v_mov_b32_e32 v3, v119
	ds_write2_b64 v37, v[0:1], v[2:3] offset0:50 offset1:51
	s_waitcnt vmcnt(59)
	v_mov_b32_e32 v0, v172
	v_mov_b32_e32 v1, v173
	s_waitcnt vmcnt(56)
	v_mov_b32_e32 v2, v116
	v_mov_b32_e32 v3, v117
	ds_write2_b64 v37, v[0:1], v[2:3] offset0:52 offset1:53
	s_waitcnt vmcnt(53)
	v_mov_b32_e32 v0, v170
	v_mov_b32_e32 v1, v171
	s_waitcnt vmcnt(50)
	ds_write2_b64 v37, v[0:1], v[224:225] offset0:54 offset1:55
	ds_read_b64 v[0:1], v36
	s_waitcnt lgkmcnt(0)
	v_cmp_neq_f64_e32 vcc, 0, v[0:1]
	s_and_b64 exec, exec, vcc
	s_cbranch_execz .LBB111_129
; %bb.128:
	v_div_scale_f64 v[2:3], s[6:7], v[0:1], v[0:1], 1.0
	v_rcp_f64_e32 v[4:5], v[2:3]
	v_div_scale_f64 v[6:7], vcc, 1.0, v[0:1], 1.0
	v_fma_f64 v[8:9], -v[2:3], v[4:5], 1.0
	v_fmac_f64_e32 v[4:5], v[4:5], v[8:9]
	v_fma_f64 v[8:9], -v[2:3], v[4:5], 1.0
	v_fmac_f64_e32 v[4:5], v[4:5], v[8:9]
	v_mul_f64 v[8:9], v[6:7], v[4:5]
	v_fma_f64 v[2:3], -v[2:3], v[8:9], v[6:7]
	v_div_fmas_f64 v[2:3], v[2:3], v[4:5], v[8:9]
	v_div_fixup_f64 v[0:1], v[2:3], v[0:1], 1.0
	ds_write_b64 v36, v[0:1]
.LBB111_129:
	s_or_b64 exec, exec, s[2:3]
	s_waitcnt lgkmcnt(0)
	s_barrier
	ds_read_b64 v[0:1], v36
	v_cmp_lt_u32_e32 vcc, 25, v38
	s_waitcnt lgkmcnt(0)
	buffer_store_dword v0, off, s[16:19], 0 offset:256 ; 4-byte Folded Spill
	s_nop 0
	buffer_store_dword v1, off, s[16:19], 0 offset:260 ; 4-byte Folded Spill
	s_and_saveexec_b64 s[2:3], vcc
	s_cbranch_execz .LBB111_131
; %bb.130:
	buffer_load_dword v0, off, s[16:19], 0 offset:256 ; 4-byte Folded Reload
	buffer_load_dword v1, off, s[16:19], 0 offset:260 ; 4-byte Folded Reload
	s_waitcnt vmcnt(0)
	v_mul_f64 v[144:145], v[0:1], v[144:145]
	ds_read2_b64 v[0:3], v37 offset0:26 offset1:27
	s_waitcnt lgkmcnt(0)
	v_fma_f64 v[198:199], -v[144:145], v[0:1], v[198:199]
	v_fma_f64 v[142:143], -v[144:145], v[2:3], v[142:143]
	ds_read2_b64 v[0:3], v37 offset0:28 offset1:29
	s_waitcnt lgkmcnt(0)
	v_fma_f64 v[196:197], -v[144:145], v[0:1], v[196:197]
	v_fma_f64 v[140:141], -v[144:145], v[2:3], v[140:141]
	ds_read2_b64 v[0:3], v37 offset0:30 offset1:31
	s_waitcnt lgkmcnt(0)
	v_fma_f64 v[194:195], -v[144:145], v[0:1], v[194:195]
	v_fma_f64 v[138:139], -v[144:145], v[2:3], v[138:139]
	ds_read2_b64 v[0:3], v37 offset0:32 offset1:33
	s_waitcnt lgkmcnt(0)
	v_fma_f64 v[192:193], -v[144:145], v[0:1], v[192:193]
	v_fma_f64 v[136:137], -v[144:145], v[2:3], v[136:137]
	ds_read2_b64 v[0:3], v37 offset0:34 offset1:35
	s_waitcnt lgkmcnt(0)
	v_fma_f64 v[190:191], -v[144:145], v[0:1], v[190:191]
	v_fma_f64 v[134:135], -v[144:145], v[2:3], v[134:135]
	ds_read2_b64 v[0:3], v37 offset0:36 offset1:37
	s_waitcnt lgkmcnt(0)
	v_fma_f64 v[188:189], -v[144:145], v[0:1], v[188:189]
	v_fma_f64 v[132:133], -v[144:145], v[2:3], v[132:133]
	ds_read2_b64 v[0:3], v37 offset0:38 offset1:39
	s_waitcnt lgkmcnt(0)
	v_fma_f64 v[186:187], -v[144:145], v[0:1], v[186:187]
	v_fma_f64 v[130:131], -v[144:145], v[2:3], v[130:131]
	ds_read2_b64 v[0:3], v37 offset0:40 offset1:41
	s_waitcnt lgkmcnt(0)
	v_fma_f64 v[184:185], -v[144:145], v[0:1], v[184:185]
	v_fma_f64 v[128:129], -v[144:145], v[2:3], v[128:129]
	ds_read2_b64 v[0:3], v37 offset0:42 offset1:43
	s_waitcnt lgkmcnt(0)
	v_fma_f64 v[182:183], -v[144:145], v[0:1], v[182:183]
	v_fma_f64 v[126:127], -v[144:145], v[2:3], v[126:127]
	ds_read2_b64 v[0:3], v37 offset0:44 offset1:45
	s_waitcnt lgkmcnt(0)
	v_fma_f64 v[180:181], -v[144:145], v[0:1], v[180:181]
	v_fma_f64 v[124:125], -v[144:145], v[2:3], v[124:125]
	ds_read2_b64 v[0:3], v37 offset0:46 offset1:47
	s_waitcnt lgkmcnt(0)
	v_fma_f64 v[178:179], -v[144:145], v[0:1], v[178:179]
	v_fma_f64 v[122:123], -v[144:145], v[2:3], v[122:123]
	ds_read2_b64 v[0:3], v37 offset0:48 offset1:49
	s_waitcnt lgkmcnt(0)
	v_fma_f64 v[176:177], -v[144:145], v[0:1], v[176:177]
	v_fma_f64 v[120:121], -v[144:145], v[2:3], v[120:121]
	ds_read2_b64 v[0:3], v37 offset0:50 offset1:51
	s_waitcnt lgkmcnt(0)
	v_fma_f64 v[174:175], -v[144:145], v[0:1], v[174:175]
	v_fma_f64 v[118:119], -v[144:145], v[2:3], v[118:119]
	ds_read2_b64 v[0:3], v37 offset0:52 offset1:53
	s_waitcnt lgkmcnt(0)
	v_fma_f64 v[172:173], -v[144:145], v[0:1], v[172:173]
	v_fma_f64 v[116:117], -v[144:145], v[2:3], v[116:117]
	ds_read2_b64 v[0:3], v37 offset0:54 offset1:55
	s_waitcnt lgkmcnt(0)
	v_fma_f64 v[170:171], -v[144:145], v[0:1], v[170:171]
	v_fma_f64 v[224:225], -v[144:145], v[2:3], v[224:225]
.LBB111_131:
	s_or_b64 exec, exec, s[2:3]
	v_cmp_eq_u32_e32 vcc, 26, v38
	s_waitcnt vmcnt(63) expcnt(7) lgkmcnt(15)
	s_barrier
	s_and_saveexec_b64 s[2:3], vcc
	s_cbranch_execz .LBB111_134
; %bb.132:
	ds_write_b64 v36, v[198:199]
	ds_write2_b64 v37, v[142:143], v[196:197] offset0:27 offset1:28
	ds_write2_b64 v37, v[140:141], v[194:195] offset0:29 offset1:30
	ds_write2_b64 v37, v[138:139], v[192:193] offset0:31 offset1:32
	ds_write2_b64 v37, v[136:137], v[190:191] offset0:33 offset1:34
	ds_write2_b64 v37, v[134:135], v[188:189] offset0:35 offset1:36
	ds_write2_b64 v37, v[132:133], v[186:187] offset0:37 offset1:38
	ds_write2_b64 v37, v[130:131], v[184:185] offset0:39 offset1:40
	ds_write2_b64 v37, v[128:129], v[182:183] offset0:41 offset1:42
	ds_write2_b64 v37, v[126:127], v[180:181] offset0:43 offset1:44
	ds_write2_b64 v37, v[124:125], v[178:179] offset0:45 offset1:46
	ds_write2_b64 v37, v[122:123], v[176:177] offset0:47 offset1:48
	ds_write2_b64 v37, v[120:121], v[174:175] offset0:49 offset1:50
	s_waitcnt vmcnt(61)
	ds_write2_b64 v37, v[118:119], v[172:173] offset0:51 offset1:52
	s_waitcnt vmcnt(55)
	ds_write2_b64 v37, v[116:117], v[170:171] offset0:53 offset1:54
	s_waitcnt vmcnt(52)
	ds_write_b64 v37, v[224:225] offset:440
	ds_read_b64 v[0:1], v36
	s_waitcnt lgkmcnt(0)
	v_cmp_neq_f64_e32 vcc, 0, v[0:1]
	s_and_b64 exec, exec, vcc
	s_cbranch_execz .LBB111_134
; %bb.133:
	v_div_scale_f64 v[2:3], s[6:7], v[0:1], v[0:1], 1.0
	v_rcp_f64_e32 v[4:5], v[2:3]
	v_div_scale_f64 v[6:7], vcc, 1.0, v[0:1], 1.0
	v_fma_f64 v[8:9], -v[2:3], v[4:5], 1.0
	v_fmac_f64_e32 v[4:5], v[4:5], v[8:9]
	v_fma_f64 v[8:9], -v[2:3], v[4:5], 1.0
	v_fmac_f64_e32 v[4:5], v[4:5], v[8:9]
	v_mul_f64 v[8:9], v[6:7], v[4:5]
	v_fma_f64 v[2:3], -v[2:3], v[8:9], v[6:7]
	v_div_fmas_f64 v[2:3], v[2:3], v[4:5], v[8:9]
	v_div_fixup_f64 v[0:1], v[2:3], v[0:1], 1.0
	ds_write_b64 v36, v[0:1]
.LBB111_134:
	s_or_b64 exec, exec, s[2:3]
	s_waitcnt lgkmcnt(0)
	s_barrier
	ds_read_b64 v[0:1], v36
	v_cmp_lt_u32_e32 vcc, 26, v38
	s_waitcnt lgkmcnt(0)
	buffer_store_dword v0, off, s[16:19], 0 offset:264 ; 4-byte Folded Spill
	s_nop 0
	buffer_store_dword v1, off, s[16:19], 0 offset:268 ; 4-byte Folded Spill
	s_and_saveexec_b64 s[2:3], vcc
	s_cbranch_execz .LBB111_136
; %bb.135:
	buffer_load_dword v0, off, s[16:19], 0 offset:264 ; 4-byte Folded Reload
	buffer_load_dword v1, off, s[16:19], 0 offset:268 ; 4-byte Folded Reload
	s_waitcnt vmcnt(0)
	v_mul_f64 v[198:199], v[0:1], v[198:199]
	ds_read2_b64 v[0:3], v37 offset0:27 offset1:28
	s_waitcnt lgkmcnt(0)
	v_fma_f64 v[142:143], -v[198:199], v[0:1], v[142:143]
	v_fma_f64 v[196:197], -v[198:199], v[2:3], v[196:197]
	ds_read2_b64 v[0:3], v37 offset0:29 offset1:30
	s_waitcnt lgkmcnt(0)
	v_fma_f64 v[140:141], -v[198:199], v[0:1], v[140:141]
	v_fma_f64 v[194:195], -v[198:199], v[2:3], v[194:195]
	;; [unrolled: 4-line block ×13, first 2 shown]
	ds_read2_b64 v[0:3], v37 offset0:53 offset1:54
	s_waitcnt lgkmcnt(0)
	v_fma_f64 v[116:117], -v[198:199], v[0:1], v[116:117]
	ds_read_b64 v[0:1], v37 offset:440
	v_fma_f64 v[170:171], -v[198:199], v[2:3], v[170:171]
	s_waitcnt lgkmcnt(0)
	v_fma_f64 v[224:225], -v[198:199], v[0:1], v[224:225]
.LBB111_136:
	s_or_b64 exec, exec, s[2:3]
	v_cmp_eq_u32_e32 vcc, 27, v38
	s_waitcnt vmcnt(63) expcnt(7) lgkmcnt(15)
	s_barrier
	s_and_saveexec_b64 s[2:3], vcc
	s_cbranch_execz .LBB111_139
; %bb.137:
	v_mov_b32_e32 v0, v196
	v_mov_b32_e32 v1, v197
	;; [unrolled: 1-line block ×4, first 2 shown]
	ds_write_b64 v36, v[142:143]
	ds_write2_b64 v37, v[0:1], v[2:3] offset0:28 offset1:29
	v_mov_b32_e32 v0, v194
	v_mov_b32_e32 v1, v195
	v_mov_b32_e32 v2, v138
	v_mov_b32_e32 v3, v139
	ds_write2_b64 v37, v[0:1], v[2:3] offset0:30 offset1:31
	v_mov_b32_e32 v0, v192
	v_mov_b32_e32 v1, v193
	v_mov_b32_e32 v2, v136
	v_mov_b32_e32 v3, v137
	;; [unrolled: 5-line block ×11, first 2 shown]
	ds_write2_b64 v37, v[0:1], v[2:3] offset0:50 offset1:51
	v_mov_b32_e32 v0, v172
	v_mov_b32_e32 v1, v173
	s_waitcnt vmcnt(60)
	v_mov_b32_e32 v2, v116
	v_mov_b32_e32 v3, v117
	ds_write2_b64 v37, v[0:1], v[2:3] offset0:52 offset1:53
	s_waitcnt vmcnt(57)
	v_mov_b32_e32 v0, v170
	v_mov_b32_e32 v1, v171
	s_waitcnt vmcnt(54)
	ds_write2_b64 v37, v[0:1], v[224:225] offset0:54 offset1:55
	ds_read_b64 v[0:1], v36
	s_waitcnt lgkmcnt(0)
	v_cmp_neq_f64_e32 vcc, 0, v[0:1]
	s_and_b64 exec, exec, vcc
	s_cbranch_execz .LBB111_139
; %bb.138:
	v_div_scale_f64 v[2:3], s[6:7], v[0:1], v[0:1], 1.0
	v_rcp_f64_e32 v[4:5], v[2:3]
	v_div_scale_f64 v[6:7], vcc, 1.0, v[0:1], 1.0
	v_fma_f64 v[8:9], -v[2:3], v[4:5], 1.0
	v_fmac_f64_e32 v[4:5], v[4:5], v[8:9]
	v_fma_f64 v[8:9], -v[2:3], v[4:5], 1.0
	v_fmac_f64_e32 v[4:5], v[4:5], v[8:9]
	v_mul_f64 v[8:9], v[6:7], v[4:5]
	v_fma_f64 v[2:3], -v[2:3], v[8:9], v[6:7]
	v_div_fmas_f64 v[2:3], v[2:3], v[4:5], v[8:9]
	v_div_fixup_f64 v[0:1], v[2:3], v[0:1], 1.0
	ds_write_b64 v36, v[0:1]
.LBB111_139:
	s_or_b64 exec, exec, s[2:3]
	s_waitcnt lgkmcnt(0)
	s_barrier
	ds_read_b64 v[0:1], v36
	v_cmp_lt_u32_e32 vcc, 27, v38
	s_waitcnt lgkmcnt(0)
	buffer_store_dword v0, off, s[16:19], 0 offset:272 ; 4-byte Folded Spill
	s_nop 0
	buffer_store_dword v1, off, s[16:19], 0 offset:276 ; 4-byte Folded Spill
	s_and_saveexec_b64 s[2:3], vcc
	s_cbranch_execz .LBB111_141
; %bb.140:
	buffer_load_dword v0, off, s[16:19], 0 offset:272 ; 4-byte Folded Reload
	buffer_load_dword v1, off, s[16:19], 0 offset:276 ; 4-byte Folded Reload
	s_waitcnt vmcnt(0)
	v_mul_f64 v[142:143], v[0:1], v[142:143]
	ds_read2_b64 v[0:3], v37 offset0:28 offset1:29
	s_waitcnt lgkmcnt(0)
	v_fma_f64 v[196:197], -v[142:143], v[0:1], v[196:197]
	v_fma_f64 v[140:141], -v[142:143], v[2:3], v[140:141]
	ds_read2_b64 v[0:3], v37 offset0:30 offset1:31
	s_waitcnt lgkmcnt(0)
	v_fma_f64 v[194:195], -v[142:143], v[0:1], v[194:195]
	v_fma_f64 v[138:139], -v[142:143], v[2:3], v[138:139]
	;; [unrolled: 4-line block ×14, first 2 shown]
.LBB111_141:
	s_or_b64 exec, exec, s[2:3]
	v_cmp_eq_u32_e32 vcc, 28, v38
	s_waitcnt vmcnt(63) expcnt(7) lgkmcnt(15)
	s_barrier
	s_and_saveexec_b64 s[2:3], vcc
	s_cbranch_execz .LBB111_144
; %bb.142:
	ds_write_b64 v36, v[196:197]
	ds_write2_b64 v37, v[140:141], v[194:195] offset0:29 offset1:30
	ds_write2_b64 v37, v[138:139], v[192:193] offset0:31 offset1:32
	;; [unrolled: 1-line block ×12, first 2 shown]
	s_waitcnt vmcnt(59)
	ds_write2_b64 v37, v[116:117], v[170:171] offset0:53 offset1:54
	s_waitcnt vmcnt(56)
	ds_write_b64 v37, v[224:225] offset:440
	ds_read_b64 v[0:1], v36
	s_waitcnt lgkmcnt(0)
	v_cmp_neq_f64_e32 vcc, 0, v[0:1]
	s_and_b64 exec, exec, vcc
	s_cbranch_execz .LBB111_144
; %bb.143:
	v_div_scale_f64 v[2:3], s[6:7], v[0:1], v[0:1], 1.0
	v_rcp_f64_e32 v[4:5], v[2:3]
	v_div_scale_f64 v[6:7], vcc, 1.0, v[0:1], 1.0
	v_fma_f64 v[8:9], -v[2:3], v[4:5], 1.0
	v_fmac_f64_e32 v[4:5], v[4:5], v[8:9]
	v_fma_f64 v[8:9], -v[2:3], v[4:5], 1.0
	v_fmac_f64_e32 v[4:5], v[4:5], v[8:9]
	v_mul_f64 v[8:9], v[6:7], v[4:5]
	v_fma_f64 v[2:3], -v[2:3], v[8:9], v[6:7]
	v_div_fmas_f64 v[2:3], v[2:3], v[4:5], v[8:9]
	v_div_fixup_f64 v[0:1], v[2:3], v[0:1], 1.0
	ds_write_b64 v36, v[0:1]
.LBB111_144:
	s_or_b64 exec, exec, s[2:3]
	s_waitcnt lgkmcnt(0)
	s_barrier
	ds_read_b64 v[0:1], v36
	v_cmp_lt_u32_e32 vcc, 28, v38
	s_waitcnt lgkmcnt(0)
	buffer_store_dword v0, off, s[16:19], 0 offset:280 ; 4-byte Folded Spill
	s_nop 0
	buffer_store_dword v1, off, s[16:19], 0 offset:284 ; 4-byte Folded Spill
	s_and_saveexec_b64 s[2:3], vcc
	s_cbranch_execz .LBB111_146
; %bb.145:
	buffer_load_dword v0, off, s[16:19], 0 offset:280 ; 4-byte Folded Reload
	buffer_load_dword v1, off, s[16:19], 0 offset:284 ; 4-byte Folded Reload
	s_waitcnt vmcnt(0)
	v_mul_f64 v[196:197], v[0:1], v[196:197]
	ds_read2_b64 v[0:3], v37 offset0:29 offset1:30
	s_waitcnt lgkmcnt(0)
	v_fma_f64 v[140:141], -v[196:197], v[0:1], v[140:141]
	v_fma_f64 v[194:195], -v[196:197], v[2:3], v[194:195]
	ds_read2_b64 v[0:3], v37 offset0:31 offset1:32
	s_waitcnt lgkmcnt(0)
	v_fma_f64 v[138:139], -v[196:197], v[0:1], v[138:139]
	v_fma_f64 v[192:193], -v[196:197], v[2:3], v[192:193]
	;; [unrolled: 4-line block ×12, first 2 shown]
	ds_read2_b64 v[0:3], v37 offset0:53 offset1:54
	s_waitcnt lgkmcnt(0)
	v_fma_f64 v[116:117], -v[196:197], v[0:1], v[116:117]
	ds_read_b64 v[0:1], v37 offset:440
	v_fma_f64 v[170:171], -v[196:197], v[2:3], v[170:171]
	s_waitcnt lgkmcnt(0)
	v_fma_f64 v[224:225], -v[196:197], v[0:1], v[224:225]
.LBB111_146:
	s_or_b64 exec, exec, s[2:3]
	v_cmp_eq_u32_e32 vcc, 29, v38
	s_waitcnt vmcnt(63) expcnt(7) lgkmcnt(15)
	s_barrier
	s_and_saveexec_b64 s[2:3], vcc
	s_cbranch_execz .LBB111_149
; %bb.147:
	v_mov_b32_e32 v0, v194
	v_mov_b32_e32 v1, v195
	;; [unrolled: 1-line block ×4, first 2 shown]
	ds_write_b64 v36, v[140:141]
	ds_write2_b64 v37, v[0:1], v[2:3] offset0:30 offset1:31
	v_mov_b32_e32 v0, v192
	v_mov_b32_e32 v1, v193
	v_mov_b32_e32 v2, v136
	v_mov_b32_e32 v3, v137
	ds_write2_b64 v37, v[0:1], v[2:3] offset0:32 offset1:33
	v_mov_b32_e32 v0, v190
	v_mov_b32_e32 v1, v191
	v_mov_b32_e32 v2, v134
	v_mov_b32_e32 v3, v135
	ds_write2_b64 v37, v[0:1], v[2:3] offset0:34 offset1:35
	v_mov_b32_e32 v0, v188
	v_mov_b32_e32 v1, v189
	v_mov_b32_e32 v2, v132
	v_mov_b32_e32 v3, v133
	ds_write2_b64 v37, v[0:1], v[2:3] offset0:36 offset1:37
	v_mov_b32_e32 v0, v186
	v_mov_b32_e32 v1, v187
	v_mov_b32_e32 v2, v130
	v_mov_b32_e32 v3, v131
	ds_write2_b64 v37, v[0:1], v[2:3] offset0:38 offset1:39
	v_mov_b32_e32 v0, v184
	v_mov_b32_e32 v1, v185
	v_mov_b32_e32 v2, v128
	v_mov_b32_e32 v3, v129
	ds_write2_b64 v37, v[0:1], v[2:3] offset0:40 offset1:41
	v_mov_b32_e32 v0, v182
	v_mov_b32_e32 v1, v183
	v_mov_b32_e32 v2, v126
	v_mov_b32_e32 v3, v127
	ds_write2_b64 v37, v[0:1], v[2:3] offset0:42 offset1:43
	v_mov_b32_e32 v0, v180
	v_mov_b32_e32 v1, v181
	v_mov_b32_e32 v2, v124
	v_mov_b32_e32 v3, v125
	ds_write2_b64 v37, v[0:1], v[2:3] offset0:44 offset1:45
	v_mov_b32_e32 v0, v178
	v_mov_b32_e32 v1, v179
	v_mov_b32_e32 v2, v122
	v_mov_b32_e32 v3, v123
	ds_write2_b64 v37, v[0:1], v[2:3] offset0:46 offset1:47
	v_mov_b32_e32 v0, v176
	v_mov_b32_e32 v1, v177
	v_mov_b32_e32 v2, v120
	v_mov_b32_e32 v3, v121
	ds_write2_b64 v37, v[0:1], v[2:3] offset0:48 offset1:49
	v_mov_b32_e32 v0, v174
	v_mov_b32_e32 v1, v175
	v_mov_b32_e32 v2, v118
	v_mov_b32_e32 v3, v119
	ds_write2_b64 v37, v[0:1], v[2:3] offset0:50 offset1:51
	v_mov_b32_e32 v0, v172
	v_mov_b32_e32 v1, v173
	v_mov_b32_e32 v2, v116
	v_mov_b32_e32 v3, v117
	ds_write2_b64 v37, v[0:1], v[2:3] offset0:52 offset1:53
	s_waitcnt vmcnt(61)
	v_mov_b32_e32 v0, v170
	v_mov_b32_e32 v1, v171
	s_waitcnt vmcnt(58)
	ds_write2_b64 v37, v[0:1], v[224:225] offset0:54 offset1:55
	ds_read_b64 v[0:1], v36
	s_waitcnt lgkmcnt(0)
	v_cmp_neq_f64_e32 vcc, 0, v[0:1]
	s_and_b64 exec, exec, vcc
	s_cbranch_execz .LBB111_149
; %bb.148:
	v_div_scale_f64 v[2:3], s[6:7], v[0:1], v[0:1], 1.0
	v_rcp_f64_e32 v[4:5], v[2:3]
	v_div_scale_f64 v[6:7], vcc, 1.0, v[0:1], 1.0
	v_fma_f64 v[8:9], -v[2:3], v[4:5], 1.0
	v_fmac_f64_e32 v[4:5], v[4:5], v[8:9]
	v_fma_f64 v[8:9], -v[2:3], v[4:5], 1.0
	v_fmac_f64_e32 v[4:5], v[4:5], v[8:9]
	v_mul_f64 v[8:9], v[6:7], v[4:5]
	v_fma_f64 v[2:3], -v[2:3], v[8:9], v[6:7]
	v_div_fmas_f64 v[2:3], v[2:3], v[4:5], v[8:9]
	v_div_fixup_f64 v[0:1], v[2:3], v[0:1], 1.0
	ds_write_b64 v36, v[0:1]
.LBB111_149:
	s_or_b64 exec, exec, s[2:3]
	s_waitcnt lgkmcnt(0)
	s_barrier
	ds_read_b64 v[0:1], v36
	v_cmp_lt_u32_e32 vcc, 29, v38
	s_waitcnt lgkmcnt(0)
	buffer_store_dword v0, off, s[16:19], 0 offset:288 ; 4-byte Folded Spill
	s_nop 0
	buffer_store_dword v1, off, s[16:19], 0 offset:292 ; 4-byte Folded Spill
	s_and_saveexec_b64 s[2:3], vcc
	s_cbranch_execz .LBB111_151
; %bb.150:
	buffer_load_dword v0, off, s[16:19], 0 offset:288 ; 4-byte Folded Reload
	buffer_load_dword v1, off, s[16:19], 0 offset:292 ; 4-byte Folded Reload
	s_waitcnt vmcnt(0)
	v_mul_f64 v[140:141], v[0:1], v[140:141]
	ds_read2_b64 v[0:3], v37 offset0:30 offset1:31
	s_waitcnt lgkmcnt(0)
	v_fma_f64 v[194:195], -v[140:141], v[0:1], v[194:195]
	v_fma_f64 v[138:139], -v[140:141], v[2:3], v[138:139]
	ds_read2_b64 v[0:3], v37 offset0:32 offset1:33
	s_waitcnt lgkmcnt(0)
	v_fma_f64 v[192:193], -v[140:141], v[0:1], v[192:193]
	v_fma_f64 v[136:137], -v[140:141], v[2:3], v[136:137]
	;; [unrolled: 4-line block ×13, first 2 shown]
.LBB111_151:
	s_or_b64 exec, exec, s[2:3]
	v_cmp_eq_u32_e32 vcc, 30, v38
	s_waitcnt vmcnt(63) expcnt(7) lgkmcnt(15)
	s_barrier
	s_and_saveexec_b64 s[2:3], vcc
	s_cbranch_execz .LBB111_154
; %bb.152:
	ds_write_b64 v36, v[194:195]
	ds_write2_b64 v37, v[138:139], v[192:193] offset0:31 offset1:32
	ds_write2_b64 v37, v[136:137], v[190:191] offset0:33 offset1:34
	;; [unrolled: 1-line block ×12, first 2 shown]
	s_waitcnt vmcnt(60)
	ds_write_b64 v37, v[224:225] offset:440
	ds_read_b64 v[0:1], v36
	s_waitcnt lgkmcnt(0)
	v_cmp_neq_f64_e32 vcc, 0, v[0:1]
	s_and_b64 exec, exec, vcc
	s_cbranch_execz .LBB111_154
; %bb.153:
	v_div_scale_f64 v[2:3], s[6:7], v[0:1], v[0:1], 1.0
	v_rcp_f64_e32 v[4:5], v[2:3]
	v_div_scale_f64 v[6:7], vcc, 1.0, v[0:1], 1.0
	v_fma_f64 v[8:9], -v[2:3], v[4:5], 1.0
	v_fmac_f64_e32 v[4:5], v[4:5], v[8:9]
	v_fma_f64 v[8:9], -v[2:3], v[4:5], 1.0
	v_fmac_f64_e32 v[4:5], v[4:5], v[8:9]
	v_mul_f64 v[8:9], v[6:7], v[4:5]
	v_fma_f64 v[2:3], -v[2:3], v[8:9], v[6:7]
	v_div_fmas_f64 v[2:3], v[2:3], v[4:5], v[8:9]
	v_div_fixup_f64 v[0:1], v[2:3], v[0:1], 1.0
	ds_write_b64 v36, v[0:1]
.LBB111_154:
	s_or_b64 exec, exec, s[2:3]
	s_waitcnt lgkmcnt(0)
	s_barrier
	ds_read_b64 v[0:1], v36
	v_cmp_lt_u32_e32 vcc, 30, v38
	s_waitcnt lgkmcnt(0)
	buffer_store_dword v0, off, s[16:19], 0 offset:296 ; 4-byte Folded Spill
	s_nop 0
	buffer_store_dword v1, off, s[16:19], 0 offset:300 ; 4-byte Folded Spill
	s_and_saveexec_b64 s[2:3], vcc
	s_cbranch_execz .LBB111_156
; %bb.155:
	buffer_load_dword v0, off, s[16:19], 0 offset:296 ; 4-byte Folded Reload
	buffer_load_dword v1, off, s[16:19], 0 offset:300 ; 4-byte Folded Reload
	s_waitcnt vmcnt(0)
	v_mul_f64 v[194:195], v[0:1], v[194:195]
	ds_read2_b64 v[0:3], v37 offset0:31 offset1:32
	s_waitcnt lgkmcnt(0)
	v_fma_f64 v[138:139], -v[194:195], v[0:1], v[138:139]
	v_fma_f64 v[192:193], -v[194:195], v[2:3], v[192:193]
	ds_read2_b64 v[0:3], v37 offset0:33 offset1:34
	s_waitcnt lgkmcnt(0)
	v_fma_f64 v[136:137], -v[194:195], v[0:1], v[136:137]
	v_fma_f64 v[190:191], -v[194:195], v[2:3], v[190:191]
	;; [unrolled: 4-line block ×11, first 2 shown]
	ds_read2_b64 v[0:3], v37 offset0:53 offset1:54
	s_waitcnt lgkmcnt(0)
	v_fma_f64 v[116:117], -v[194:195], v[0:1], v[116:117]
	ds_read_b64 v[0:1], v37 offset:440
	v_fma_f64 v[170:171], -v[194:195], v[2:3], v[170:171]
	s_waitcnt lgkmcnt(0)
	v_fma_f64 v[224:225], -v[194:195], v[0:1], v[224:225]
.LBB111_156:
	s_or_b64 exec, exec, s[2:3]
	v_cmp_eq_u32_e32 vcc, 31, v38
	s_waitcnt vmcnt(63) expcnt(7) lgkmcnt(15)
	s_barrier
	s_and_saveexec_b64 s[2:3], vcc
	s_cbranch_execz .LBB111_159
; %bb.157:
	v_mov_b32_e32 v0, v192
	v_mov_b32_e32 v1, v193
	v_mov_b32_e32 v2, v136
	v_mov_b32_e32 v3, v137
	ds_write_b64 v36, v[138:139]
	ds_write2_b64 v37, v[0:1], v[2:3] offset0:32 offset1:33
	v_mov_b32_e32 v0, v190
	v_mov_b32_e32 v1, v191
	v_mov_b32_e32 v2, v134
	v_mov_b32_e32 v3, v135
	ds_write2_b64 v37, v[0:1], v[2:3] offset0:34 offset1:35
	v_mov_b32_e32 v0, v188
	v_mov_b32_e32 v1, v189
	v_mov_b32_e32 v2, v132
	v_mov_b32_e32 v3, v133
	;; [unrolled: 5-line block ×10, first 2 shown]
	ds_write2_b64 v37, v[0:1], v[2:3] offset0:52 offset1:53
	v_mov_b32_e32 v0, v170
	v_mov_b32_e32 v1, v171
	s_waitcnt vmcnt(62)
	ds_write2_b64 v37, v[0:1], v[224:225] offset0:54 offset1:55
	ds_read_b64 v[0:1], v36
	s_waitcnt lgkmcnt(0)
	v_cmp_neq_f64_e32 vcc, 0, v[0:1]
	s_and_b64 exec, exec, vcc
	s_cbranch_execz .LBB111_159
; %bb.158:
	v_div_scale_f64 v[2:3], s[6:7], v[0:1], v[0:1], 1.0
	v_rcp_f64_e32 v[4:5], v[2:3]
	v_div_scale_f64 v[6:7], vcc, 1.0, v[0:1], 1.0
	v_fma_f64 v[8:9], -v[2:3], v[4:5], 1.0
	v_fmac_f64_e32 v[4:5], v[4:5], v[8:9]
	v_fma_f64 v[8:9], -v[2:3], v[4:5], 1.0
	v_fmac_f64_e32 v[4:5], v[4:5], v[8:9]
	v_mul_f64 v[8:9], v[6:7], v[4:5]
	v_fma_f64 v[2:3], -v[2:3], v[8:9], v[6:7]
	v_div_fmas_f64 v[2:3], v[2:3], v[4:5], v[8:9]
	v_div_fixup_f64 v[0:1], v[2:3], v[0:1], 1.0
	ds_write_b64 v36, v[0:1]
.LBB111_159:
	s_or_b64 exec, exec, s[2:3]
	s_waitcnt lgkmcnt(0)
	s_barrier
	ds_read_b64 v[0:1], v36
	v_cmp_lt_u32_e32 vcc, 31, v38
	s_waitcnt lgkmcnt(0)
	buffer_store_dword v0, off, s[16:19], 0 offset:304 ; 4-byte Folded Spill
	s_nop 0
	buffer_store_dword v1, off, s[16:19], 0 offset:308 ; 4-byte Folded Spill
	s_and_saveexec_b64 s[2:3], vcc
	s_cbranch_execz .LBB111_161
; %bb.160:
	buffer_load_dword v0, off, s[16:19], 0 offset:304 ; 4-byte Folded Reload
	buffer_load_dword v1, off, s[16:19], 0 offset:308 ; 4-byte Folded Reload
	s_waitcnt vmcnt(0)
	v_mul_f64 v[138:139], v[0:1], v[138:139]
	ds_read2_b64 v[0:3], v37 offset0:32 offset1:33
	s_waitcnt lgkmcnt(0)
	v_fma_f64 v[192:193], -v[138:139], v[0:1], v[192:193]
	v_fma_f64 v[136:137], -v[138:139], v[2:3], v[136:137]
	ds_read2_b64 v[0:3], v37 offset0:34 offset1:35
	s_waitcnt lgkmcnt(0)
	v_fma_f64 v[190:191], -v[138:139], v[0:1], v[190:191]
	v_fma_f64 v[134:135], -v[138:139], v[2:3], v[134:135]
	;; [unrolled: 4-line block ×12, first 2 shown]
.LBB111_161:
	s_or_b64 exec, exec, s[2:3]
	v_cmp_eq_u32_e32 vcc, 32, v38
	s_waitcnt vmcnt(63) expcnt(7) lgkmcnt(15)
	s_barrier
	s_and_saveexec_b64 s[2:3], vcc
	s_cbranch_execz .LBB111_164
; %bb.162:
	ds_write_b64 v36, v[192:193]
	ds_write2_b64 v37, v[136:137], v[190:191] offset0:33 offset1:34
	ds_write2_b64 v37, v[134:135], v[188:189] offset0:35 offset1:36
	;; [unrolled: 1-line block ×11, first 2 shown]
	ds_write_b64 v37, v[224:225] offset:440
	ds_read_b64 v[0:1], v36
	s_waitcnt lgkmcnt(0)
	v_cmp_neq_f64_e32 vcc, 0, v[0:1]
	s_and_b64 exec, exec, vcc
	s_cbranch_execz .LBB111_164
; %bb.163:
	v_div_scale_f64 v[2:3], s[6:7], v[0:1], v[0:1], 1.0
	v_rcp_f64_e32 v[4:5], v[2:3]
	v_div_scale_f64 v[6:7], vcc, 1.0, v[0:1], 1.0
	v_fma_f64 v[8:9], -v[2:3], v[4:5], 1.0
	v_fmac_f64_e32 v[4:5], v[4:5], v[8:9]
	v_fma_f64 v[8:9], -v[2:3], v[4:5], 1.0
	v_fmac_f64_e32 v[4:5], v[4:5], v[8:9]
	v_mul_f64 v[8:9], v[6:7], v[4:5]
	v_fma_f64 v[2:3], -v[2:3], v[8:9], v[6:7]
	v_div_fmas_f64 v[2:3], v[2:3], v[4:5], v[8:9]
	v_div_fixup_f64 v[0:1], v[2:3], v[0:1], 1.0
	ds_write_b64 v36, v[0:1]
.LBB111_164:
	s_or_b64 exec, exec, s[2:3]
	s_waitcnt lgkmcnt(0)
	s_barrier
	ds_read_b64 v[2:3], v36
	v_cmp_lt_u32_e32 vcc, 32, v38
	s_and_saveexec_b64 s[2:3], vcc
	s_cbranch_execz .LBB111_166
; %bb.165:
	ds_read2_b64 v[4:7], v37 offset0:33 offset1:34
	ds_read_b64 v[0:1], v37 offset:440
	s_waitcnt lgkmcnt(2)
	v_mul_f64 v[192:193], v[2:3], v[192:193]
	s_waitcnt lgkmcnt(1)
	v_fma_f64 v[136:137], -v[192:193], v[4:5], v[136:137]
	v_fma_f64 v[190:191], -v[192:193], v[6:7], v[190:191]
	ds_read2_b64 v[4:7], v37 offset0:35 offset1:36
	s_waitcnt lgkmcnt(1)
	v_fma_f64 v[224:225], -v[192:193], v[0:1], v[224:225]
	s_waitcnt lgkmcnt(0)
	v_fma_f64 v[134:135], -v[192:193], v[4:5], v[134:135]
	v_fma_f64 v[188:189], -v[192:193], v[6:7], v[188:189]
	ds_read2_b64 v[4:7], v37 offset0:37 offset1:38
	s_waitcnt lgkmcnt(0)
	v_fma_f64 v[132:133], -v[192:193], v[4:5], v[132:133]
	v_fma_f64 v[186:187], -v[192:193], v[6:7], v[186:187]
	ds_read2_b64 v[4:7], v37 offset0:39 offset1:40
	;; [unrolled: 4-line block ×9, first 2 shown]
	s_waitcnt lgkmcnt(0)
	v_fma_f64 v[116:117], -v[192:193], v[4:5], v[116:117]
	v_fma_f64 v[170:171], -v[192:193], v[6:7], v[170:171]
.LBB111_166:
	s_or_b64 exec, exec, s[2:3]
	v_cmp_eq_u32_e32 vcc, 33, v38
	s_waitcnt lgkmcnt(0)
	s_barrier
	s_and_saveexec_b64 s[2:3], vcc
	s_cbranch_execz .LBB111_169
; %bb.167:
	v_mov_b32_e32 v0, v190
	v_mov_b32_e32 v1, v191
	v_mov_b32_e32 v4, v134
	v_mov_b32_e32 v5, v135
	ds_write_b64 v36, v[136:137]
	ds_write2_b64 v37, v[0:1], v[4:5] offset0:34 offset1:35
	v_mov_b32_e32 v0, v188
	v_mov_b32_e32 v1, v189
	v_mov_b32_e32 v4, v132
	v_mov_b32_e32 v5, v133
	ds_write2_b64 v37, v[0:1], v[4:5] offset0:36 offset1:37
	v_mov_b32_e32 v0, v186
	v_mov_b32_e32 v1, v187
	v_mov_b32_e32 v4, v130
	v_mov_b32_e32 v5, v131
	;; [unrolled: 5-line block ×9, first 2 shown]
	ds_write2_b64 v37, v[0:1], v[4:5] offset0:52 offset1:53
	v_mov_b32_e32 v0, v170
	v_mov_b32_e32 v1, v171
	ds_write2_b64 v37, v[0:1], v[224:225] offset0:54 offset1:55
	ds_read_b64 v[0:1], v36
	s_waitcnt lgkmcnt(0)
	v_cmp_neq_f64_e32 vcc, 0, v[0:1]
	s_and_b64 exec, exec, vcc
	s_cbranch_execz .LBB111_169
; %bb.168:
	v_div_scale_f64 v[4:5], s[6:7], v[0:1], v[0:1], 1.0
	v_rcp_f64_e32 v[6:7], v[4:5]
	v_div_scale_f64 v[8:9], vcc, 1.0, v[0:1], 1.0
	v_fma_f64 v[10:11], -v[4:5], v[6:7], 1.0
	v_fmac_f64_e32 v[6:7], v[6:7], v[10:11]
	v_fma_f64 v[10:11], -v[4:5], v[6:7], 1.0
	v_fmac_f64_e32 v[6:7], v[6:7], v[10:11]
	v_mul_f64 v[10:11], v[8:9], v[6:7]
	v_fma_f64 v[4:5], -v[4:5], v[10:11], v[8:9]
	v_div_fmas_f64 v[4:5], v[4:5], v[6:7], v[10:11]
	v_div_fixup_f64 v[0:1], v[4:5], v[0:1], 1.0
	ds_write_b64 v36, v[0:1]
.LBB111_169:
	s_or_b64 exec, exec, s[2:3]
	s_waitcnt lgkmcnt(0)
	s_barrier
	ds_read_b64 v[0:1], v36
	v_cmp_lt_u32_e32 vcc, 33, v38
	s_and_saveexec_b64 s[2:3], vcc
	s_cbranch_execz .LBB111_171
; %bb.170:
	ds_read2_b64 v[4:7], v37 offset0:34 offset1:35
	s_waitcnt lgkmcnt(1)
	v_mul_f64 v[136:137], v[0:1], v[136:137]
	s_waitcnt lgkmcnt(0)
	v_fma_f64 v[190:191], -v[136:137], v[4:5], v[190:191]
	v_fma_f64 v[134:135], -v[136:137], v[6:7], v[134:135]
	ds_read2_b64 v[4:7], v37 offset0:36 offset1:37
	s_waitcnt lgkmcnt(0)
	v_fma_f64 v[188:189], -v[136:137], v[4:5], v[188:189]
	v_fma_f64 v[132:133], -v[136:137], v[6:7], v[132:133]
	ds_read2_b64 v[4:7], v37 offset0:38 offset1:39
	;; [unrolled: 4-line block ×10, first 2 shown]
	s_waitcnt lgkmcnt(0)
	v_fma_f64 v[170:171], -v[136:137], v[4:5], v[170:171]
	v_fma_f64 v[224:225], -v[136:137], v[6:7], v[224:225]
.LBB111_171:
	s_or_b64 exec, exec, s[2:3]
	v_cmp_eq_u32_e32 vcc, 34, v38
	s_waitcnt lgkmcnt(0)
	buffer_store_dword v0, off, s[16:19], 0 offset:336 ; 4-byte Folded Spill
	s_nop 0
	buffer_store_dword v1, off, s[16:19], 0 offset:340 ; 4-byte Folded Spill
	s_waitcnt vmcnt(63) expcnt(7) lgkmcnt(15)
	s_barrier
	s_and_saveexec_b64 s[2:3], vcc
	s_cbranch_execz .LBB111_174
; %bb.172:
	ds_write_b64 v36, v[190:191]
	ds_write2_b64 v37, v[134:135], v[188:189] offset0:35 offset1:36
	ds_write2_b64 v37, v[132:133], v[186:187] offset0:37 offset1:38
	;; [unrolled: 1-line block ×10, first 2 shown]
	ds_write_b64 v37, v[224:225] offset:440
	ds_read_b64 v[0:1], v36
	s_waitcnt lgkmcnt(0)
	v_cmp_neq_f64_e32 vcc, 0, v[0:1]
	s_and_b64 exec, exec, vcc
	s_cbranch_execz .LBB111_174
; %bb.173:
	v_div_scale_f64 v[4:5], s[6:7], v[0:1], v[0:1], 1.0
	v_rcp_f64_e32 v[6:7], v[4:5]
	v_div_scale_f64 v[8:9], vcc, 1.0, v[0:1], 1.0
	v_fma_f64 v[10:11], -v[4:5], v[6:7], 1.0
	v_fmac_f64_e32 v[6:7], v[6:7], v[10:11]
	v_fma_f64 v[10:11], -v[4:5], v[6:7], 1.0
	v_fmac_f64_e32 v[6:7], v[6:7], v[10:11]
	v_mul_f64 v[10:11], v[8:9], v[6:7]
	v_fma_f64 v[4:5], -v[4:5], v[10:11], v[8:9]
	v_div_fmas_f64 v[4:5], v[4:5], v[6:7], v[10:11]
	v_div_fixup_f64 v[0:1], v[4:5], v[0:1], 1.0
	ds_write_b64 v36, v[0:1]
.LBB111_174:
	s_or_b64 exec, exec, s[2:3]
	s_waitcnt lgkmcnt(0)
	s_barrier
	ds_read_b64 v[0:1], v36
	v_cmp_lt_u32_e32 vcc, 34, v38
	s_waitcnt lgkmcnt(0)
	buffer_store_dword v0, off, s[16:19], 0 offset:312 ; 4-byte Folded Spill
	s_nop 0
	buffer_store_dword v1, off, s[16:19], 0 offset:316 ; 4-byte Folded Spill
	s_and_saveexec_b64 s[2:3], vcc
	s_cbranch_execz .LBB111_176
; %bb.175:
	buffer_load_dword v0, off, s[16:19], 0 offset:312 ; 4-byte Folded Reload
	buffer_load_dword v1, off, s[16:19], 0 offset:316 ; 4-byte Folded Reload
	ds_read2_b64 v[4:7], v37 offset0:35 offset1:36
	s_waitcnt vmcnt(0)
	v_mul_f64 v[190:191], v[0:1], v[190:191]
	ds_read_b64 v[0:1], v37 offset:440
	s_waitcnt lgkmcnt(1)
	v_fma_f64 v[134:135], -v[190:191], v[4:5], v[134:135]
	v_fma_f64 v[188:189], -v[190:191], v[6:7], v[188:189]
	ds_read2_b64 v[4:7], v37 offset0:37 offset1:38
	s_waitcnt lgkmcnt(1)
	v_fma_f64 v[224:225], -v[190:191], v[0:1], v[224:225]
	s_waitcnt lgkmcnt(0)
	v_fma_f64 v[132:133], -v[190:191], v[4:5], v[132:133]
	v_fma_f64 v[186:187], -v[190:191], v[6:7], v[186:187]
	ds_read2_b64 v[4:7], v37 offset0:39 offset1:40
	s_waitcnt lgkmcnt(0)
	v_fma_f64 v[130:131], -v[190:191], v[4:5], v[130:131]
	v_fma_f64 v[184:185], -v[190:191], v[6:7], v[184:185]
	ds_read2_b64 v[4:7], v37 offset0:41 offset1:42
	;; [unrolled: 4-line block ×8, first 2 shown]
	s_waitcnt lgkmcnt(0)
	v_fma_f64 v[116:117], -v[190:191], v[4:5], v[116:117]
	v_fma_f64 v[170:171], -v[190:191], v[6:7], v[170:171]
.LBB111_176:
	s_or_b64 exec, exec, s[2:3]
	v_cmp_eq_u32_e32 vcc, 35, v38
	s_waitcnt vmcnt(63) expcnt(7) lgkmcnt(15)
	s_barrier
	s_and_saveexec_b64 s[2:3], vcc
	s_cbranch_execz .LBB111_179
; %bb.177:
	v_mov_b32_e32 v0, v188
	v_mov_b32_e32 v1, v189
	;; [unrolled: 1-line block ×4, first 2 shown]
	ds_write_b64 v36, v[134:135]
	ds_write2_b64 v37, v[0:1], v[4:5] offset0:36 offset1:37
	v_mov_b32_e32 v0, v186
	v_mov_b32_e32 v1, v187
	v_mov_b32_e32 v4, v130
	v_mov_b32_e32 v5, v131
	ds_write2_b64 v37, v[0:1], v[4:5] offset0:38 offset1:39
	v_mov_b32_e32 v0, v184
	v_mov_b32_e32 v1, v185
	v_mov_b32_e32 v4, v128
	v_mov_b32_e32 v5, v129
	;; [unrolled: 5-line block ×8, first 2 shown]
	ds_write2_b64 v37, v[0:1], v[4:5] offset0:52 offset1:53
	v_mov_b32_e32 v0, v170
	v_mov_b32_e32 v1, v171
	ds_write2_b64 v37, v[0:1], v[224:225] offset0:54 offset1:55
	ds_read_b64 v[0:1], v36
	s_waitcnt lgkmcnt(0)
	v_cmp_neq_f64_e32 vcc, 0, v[0:1]
	s_and_b64 exec, exec, vcc
	s_cbranch_execz .LBB111_179
; %bb.178:
	v_div_scale_f64 v[4:5], s[6:7], v[0:1], v[0:1], 1.0
	v_rcp_f64_e32 v[6:7], v[4:5]
	v_div_scale_f64 v[8:9], vcc, 1.0, v[0:1], 1.0
	v_fma_f64 v[10:11], -v[4:5], v[6:7], 1.0
	v_fmac_f64_e32 v[6:7], v[6:7], v[10:11]
	v_fma_f64 v[10:11], -v[4:5], v[6:7], 1.0
	v_fmac_f64_e32 v[6:7], v[6:7], v[10:11]
	v_mul_f64 v[10:11], v[8:9], v[6:7]
	v_fma_f64 v[4:5], -v[4:5], v[10:11], v[8:9]
	v_div_fmas_f64 v[4:5], v[4:5], v[6:7], v[10:11]
	v_div_fixup_f64 v[0:1], v[4:5], v[0:1], 1.0
	ds_write_b64 v36, v[0:1]
.LBB111_179:
	s_or_b64 exec, exec, s[2:3]
	s_waitcnt lgkmcnt(0)
	s_barrier
	ds_read_b64 v[0:1], v36
	v_cmp_lt_u32_e32 vcc, 35, v38
	s_and_saveexec_b64 s[2:3], vcc
	s_cbranch_execz .LBB111_181
; %bb.180:
	ds_read2_b64 v[4:7], v37 offset0:36 offset1:37
	s_waitcnt lgkmcnt(1)
	v_mul_f64 v[134:135], v[0:1], v[134:135]
	s_waitcnt lgkmcnt(0)
	v_fma_f64 v[188:189], -v[134:135], v[4:5], v[188:189]
	v_fma_f64 v[132:133], -v[134:135], v[6:7], v[132:133]
	ds_read2_b64 v[4:7], v37 offset0:38 offset1:39
	s_waitcnt lgkmcnt(0)
	v_fma_f64 v[186:187], -v[134:135], v[4:5], v[186:187]
	v_fma_f64 v[130:131], -v[134:135], v[6:7], v[130:131]
	ds_read2_b64 v[4:7], v37 offset0:40 offset1:41
	;; [unrolled: 4-line block ×9, first 2 shown]
	s_waitcnt lgkmcnt(0)
	v_fma_f64 v[170:171], -v[134:135], v[4:5], v[170:171]
	v_fma_f64 v[224:225], -v[134:135], v[6:7], v[224:225]
.LBB111_181:
	s_or_b64 exec, exec, s[2:3]
	v_cmp_eq_u32_e32 vcc, 36, v38
	s_waitcnt lgkmcnt(0)
	buffer_store_dword v0, off, s[16:19], 0 offset:344 ; 4-byte Folded Spill
	s_nop 0
	buffer_store_dword v1, off, s[16:19], 0 offset:348 ; 4-byte Folded Spill
	s_waitcnt vmcnt(63) expcnt(7) lgkmcnt(15)
	s_barrier
	s_and_saveexec_b64 s[2:3], vcc
	s_cbranch_execz .LBB111_184
; %bb.182:
	ds_write_b64 v36, v[188:189]
	ds_write2_b64 v37, v[132:133], v[186:187] offset0:37 offset1:38
	ds_write2_b64 v37, v[130:131], v[184:185] offset0:39 offset1:40
	;; [unrolled: 1-line block ×9, first 2 shown]
	ds_write_b64 v37, v[224:225] offset:440
	ds_read_b64 v[0:1], v36
	s_waitcnt lgkmcnt(0)
	v_cmp_neq_f64_e32 vcc, 0, v[0:1]
	s_and_b64 exec, exec, vcc
	s_cbranch_execz .LBB111_184
; %bb.183:
	v_div_scale_f64 v[4:5], s[6:7], v[0:1], v[0:1], 1.0
	v_rcp_f64_e32 v[6:7], v[4:5]
	v_div_scale_f64 v[8:9], vcc, 1.0, v[0:1], 1.0
	v_fma_f64 v[10:11], -v[4:5], v[6:7], 1.0
	v_fmac_f64_e32 v[6:7], v[6:7], v[10:11]
	v_fma_f64 v[10:11], -v[4:5], v[6:7], 1.0
	v_fmac_f64_e32 v[6:7], v[6:7], v[10:11]
	v_mul_f64 v[10:11], v[8:9], v[6:7]
	v_fma_f64 v[4:5], -v[4:5], v[10:11], v[8:9]
	v_div_fmas_f64 v[4:5], v[4:5], v[6:7], v[10:11]
	v_div_fixup_f64 v[0:1], v[4:5], v[0:1], 1.0
	ds_write_b64 v36, v[0:1]
.LBB111_184:
	s_or_b64 exec, exec, s[2:3]
	s_waitcnt lgkmcnt(0)
	s_barrier
	ds_read_b64 v[0:1], v36
	v_cmp_lt_u32_e32 vcc, 36, v38
	s_waitcnt lgkmcnt(0)
	buffer_store_dword v0, off, s[16:19], 0 offset:320 ; 4-byte Folded Spill
	s_nop 0
	buffer_store_dword v1, off, s[16:19], 0 offset:324 ; 4-byte Folded Spill
	s_and_saveexec_b64 s[2:3], vcc
	s_cbranch_execz .LBB111_186
; %bb.185:
	buffer_load_dword v0, off, s[16:19], 0 offset:320 ; 4-byte Folded Reload
	buffer_load_dword v1, off, s[16:19], 0 offset:324 ; 4-byte Folded Reload
	ds_read2_b64 v[4:7], v37 offset0:37 offset1:38
	s_waitcnt vmcnt(0)
	v_mul_f64 v[188:189], v[0:1], v[188:189]
	ds_read_b64 v[0:1], v37 offset:440
	s_waitcnt lgkmcnt(1)
	v_fma_f64 v[132:133], -v[188:189], v[4:5], v[132:133]
	v_fma_f64 v[186:187], -v[188:189], v[6:7], v[186:187]
	ds_read2_b64 v[4:7], v37 offset0:39 offset1:40
	s_waitcnt lgkmcnt(1)
	v_fma_f64 v[224:225], -v[188:189], v[0:1], v[224:225]
	s_waitcnt lgkmcnt(0)
	v_fma_f64 v[130:131], -v[188:189], v[4:5], v[130:131]
	v_fma_f64 v[184:185], -v[188:189], v[6:7], v[184:185]
	ds_read2_b64 v[4:7], v37 offset0:41 offset1:42
	s_waitcnt lgkmcnt(0)
	v_fma_f64 v[128:129], -v[188:189], v[4:5], v[128:129]
	v_fma_f64 v[182:183], -v[188:189], v[6:7], v[182:183]
	ds_read2_b64 v[4:7], v37 offset0:43 offset1:44
	;; [unrolled: 4-line block ×7, first 2 shown]
	s_waitcnt lgkmcnt(0)
	v_fma_f64 v[116:117], -v[188:189], v[4:5], v[116:117]
	v_fma_f64 v[170:171], -v[188:189], v[6:7], v[170:171]
.LBB111_186:
	s_or_b64 exec, exec, s[2:3]
	v_cmp_eq_u32_e32 vcc, 37, v38
	s_waitcnt vmcnt(63) expcnt(7) lgkmcnt(15)
	s_barrier
	s_and_saveexec_b64 s[2:3], vcc
	s_cbranch_execz .LBB111_189
; %bb.187:
	v_mov_b32_e32 v0, v186
	v_mov_b32_e32 v1, v187
	;; [unrolled: 1-line block ×4, first 2 shown]
	ds_write_b64 v36, v[132:133]
	ds_write2_b64 v37, v[0:1], v[4:5] offset0:38 offset1:39
	v_mov_b32_e32 v0, v184
	v_mov_b32_e32 v1, v185
	v_mov_b32_e32 v4, v128
	v_mov_b32_e32 v5, v129
	ds_write2_b64 v37, v[0:1], v[4:5] offset0:40 offset1:41
	v_mov_b32_e32 v0, v182
	v_mov_b32_e32 v1, v183
	v_mov_b32_e32 v4, v126
	v_mov_b32_e32 v5, v127
	;; [unrolled: 5-line block ×7, first 2 shown]
	ds_write2_b64 v37, v[0:1], v[4:5] offset0:52 offset1:53
	v_mov_b32_e32 v0, v170
	v_mov_b32_e32 v1, v171
	ds_write2_b64 v37, v[0:1], v[224:225] offset0:54 offset1:55
	ds_read_b64 v[0:1], v36
	s_waitcnt lgkmcnt(0)
	v_cmp_neq_f64_e32 vcc, 0, v[0:1]
	s_and_b64 exec, exec, vcc
	s_cbranch_execz .LBB111_189
; %bb.188:
	v_div_scale_f64 v[4:5], s[6:7], v[0:1], v[0:1], 1.0
	v_rcp_f64_e32 v[6:7], v[4:5]
	v_div_scale_f64 v[8:9], vcc, 1.0, v[0:1], 1.0
	v_fma_f64 v[10:11], -v[4:5], v[6:7], 1.0
	v_fmac_f64_e32 v[6:7], v[6:7], v[10:11]
	v_fma_f64 v[10:11], -v[4:5], v[6:7], 1.0
	v_fmac_f64_e32 v[6:7], v[6:7], v[10:11]
	v_mul_f64 v[10:11], v[8:9], v[6:7]
	v_fma_f64 v[4:5], -v[4:5], v[10:11], v[8:9]
	v_div_fmas_f64 v[4:5], v[4:5], v[6:7], v[10:11]
	v_div_fixup_f64 v[0:1], v[4:5], v[0:1], 1.0
	ds_write_b64 v36, v[0:1]
.LBB111_189:
	s_or_b64 exec, exec, s[2:3]
	s_waitcnt lgkmcnt(0)
	s_barrier
	ds_read_b64 v[0:1], v36
	v_cmp_lt_u32_e32 vcc, 37, v38
	s_and_saveexec_b64 s[2:3], vcc
	s_cbranch_execz .LBB111_191
; %bb.190:
	ds_read2_b64 v[4:7], v37 offset0:38 offset1:39
	s_waitcnt lgkmcnt(1)
	v_mul_f64 v[132:133], v[0:1], v[132:133]
	s_waitcnt lgkmcnt(0)
	v_fma_f64 v[186:187], -v[132:133], v[4:5], v[186:187]
	v_fma_f64 v[130:131], -v[132:133], v[6:7], v[130:131]
	ds_read2_b64 v[4:7], v37 offset0:40 offset1:41
	s_waitcnt lgkmcnt(0)
	v_fma_f64 v[184:185], -v[132:133], v[4:5], v[184:185]
	v_fma_f64 v[128:129], -v[132:133], v[6:7], v[128:129]
	ds_read2_b64 v[4:7], v37 offset0:42 offset1:43
	;; [unrolled: 4-line block ×8, first 2 shown]
	s_waitcnt lgkmcnt(0)
	v_fma_f64 v[170:171], -v[132:133], v[4:5], v[170:171]
	v_fma_f64 v[224:225], -v[132:133], v[6:7], v[224:225]
.LBB111_191:
	s_or_b64 exec, exec, s[2:3]
	v_cmp_eq_u32_e32 vcc, 38, v38
	s_waitcnt lgkmcnt(0)
	buffer_store_dword v0, off, s[16:19], 0 offset:352 ; 4-byte Folded Spill
	s_nop 0
	buffer_store_dword v1, off, s[16:19], 0 offset:356 ; 4-byte Folded Spill
	s_waitcnt vmcnt(63) expcnt(7) lgkmcnt(15)
	s_barrier
	s_and_saveexec_b64 s[2:3], vcc
	s_cbranch_execz .LBB111_194
; %bb.192:
	ds_write_b64 v36, v[186:187]
	ds_write2_b64 v37, v[130:131], v[184:185] offset0:39 offset1:40
	ds_write2_b64 v37, v[128:129], v[182:183] offset0:41 offset1:42
	;; [unrolled: 1-line block ×8, first 2 shown]
	ds_write_b64 v37, v[224:225] offset:440
	ds_read_b64 v[0:1], v36
	s_waitcnt lgkmcnt(0)
	v_cmp_neq_f64_e32 vcc, 0, v[0:1]
	s_and_b64 exec, exec, vcc
	s_cbranch_execz .LBB111_194
; %bb.193:
	v_div_scale_f64 v[4:5], s[6:7], v[0:1], v[0:1], 1.0
	v_rcp_f64_e32 v[6:7], v[4:5]
	v_div_scale_f64 v[8:9], vcc, 1.0, v[0:1], 1.0
	v_fma_f64 v[10:11], -v[4:5], v[6:7], 1.0
	v_fmac_f64_e32 v[6:7], v[6:7], v[10:11]
	v_fma_f64 v[10:11], -v[4:5], v[6:7], 1.0
	v_fmac_f64_e32 v[6:7], v[6:7], v[10:11]
	v_mul_f64 v[10:11], v[8:9], v[6:7]
	v_fma_f64 v[4:5], -v[4:5], v[10:11], v[8:9]
	v_div_fmas_f64 v[4:5], v[4:5], v[6:7], v[10:11]
	v_div_fixup_f64 v[0:1], v[4:5], v[0:1], 1.0
	ds_write_b64 v36, v[0:1]
.LBB111_194:
	s_or_b64 exec, exec, s[2:3]
	s_waitcnt lgkmcnt(0)
	s_barrier
	ds_read_b64 v[0:1], v36
	v_cmp_lt_u32_e32 vcc, 38, v38
	s_waitcnt lgkmcnt(0)
	buffer_store_dword v0, off, s[16:19], 0 offset:328 ; 4-byte Folded Spill
	s_nop 0
	buffer_store_dword v1, off, s[16:19], 0 offset:332 ; 4-byte Folded Spill
	s_and_saveexec_b64 s[2:3], vcc
	s_cbranch_execz .LBB111_196
; %bb.195:
	buffer_load_dword v0, off, s[16:19], 0 offset:328 ; 4-byte Folded Reload
	buffer_load_dword v1, off, s[16:19], 0 offset:332 ; 4-byte Folded Reload
	ds_read2_b64 v[4:7], v37 offset0:39 offset1:40
	s_waitcnt vmcnt(0)
	v_mul_f64 v[186:187], v[0:1], v[186:187]
	s_waitcnt lgkmcnt(0)
	v_fma_f64 v[130:131], -v[186:187], v[4:5], v[130:131]
	v_fma_f64 v[184:185], -v[186:187], v[6:7], v[184:185]
	ds_read2_b64 v[4:7], v37 offset0:41 offset1:42
	s_waitcnt lgkmcnt(0)
	v_fma_f64 v[128:129], -v[186:187], v[4:5], v[128:129]
	v_fma_f64 v[182:183], -v[186:187], v[6:7], v[182:183]
	ds_read2_b64 v[4:7], v37 offset0:43 offset1:44
	;; [unrolled: 4-line block ×7, first 2 shown]
	s_waitcnt lgkmcnt(0)
	v_fma_f64 v[116:117], -v[186:187], v[4:5], v[116:117]
	ds_read_b64 v[4:5], v37 offset:440
	v_fma_f64 v[170:171], -v[186:187], v[6:7], v[170:171]
	s_waitcnt lgkmcnt(0)
	v_fma_f64 v[224:225], -v[186:187], v[4:5], v[224:225]
.LBB111_196:
	s_or_b64 exec, exec, s[2:3]
	v_cmp_eq_u32_e32 vcc, 39, v38
	s_waitcnt vmcnt(63) expcnt(7) lgkmcnt(15)
	s_barrier
	s_and_saveexec_b64 s[2:3], vcc
	s_cbranch_execz .LBB111_199
; %bb.197:
	v_mov_b32_e32 v4, v184
	v_mov_b32_e32 v5, v185
	;; [unrolled: 1-line block ×4, first 2 shown]
	ds_write_b64 v36, v[130:131]
	ds_write2_b64 v37, v[4:5], v[6:7] offset0:40 offset1:41
	v_mov_b32_e32 v4, v182
	v_mov_b32_e32 v5, v183
	v_mov_b32_e32 v6, v126
	v_mov_b32_e32 v7, v127
	ds_write2_b64 v37, v[4:5], v[6:7] offset0:42 offset1:43
	v_mov_b32_e32 v4, v180
	v_mov_b32_e32 v5, v181
	v_mov_b32_e32 v6, v124
	v_mov_b32_e32 v7, v125
	;; [unrolled: 5-line block ×6, first 2 shown]
	ds_write2_b64 v37, v[4:5], v[6:7] offset0:52 offset1:53
	v_mov_b32_e32 v4, v170
	v_mov_b32_e32 v5, v171
	ds_write2_b64 v37, v[4:5], v[224:225] offset0:54 offset1:55
	ds_read_b64 v[4:5], v36
	s_waitcnt lgkmcnt(0)
	v_cmp_neq_f64_e32 vcc, 0, v[4:5]
	s_and_b64 exec, exec, vcc
	s_cbranch_execz .LBB111_199
; %bb.198:
	v_div_scale_f64 v[6:7], s[6:7], v[4:5], v[4:5], 1.0
	v_rcp_f64_e32 v[8:9], v[6:7]
	v_div_scale_f64 v[10:11], vcc, 1.0, v[4:5], 1.0
	v_fma_f64 v[12:13], -v[6:7], v[8:9], 1.0
	v_fmac_f64_e32 v[8:9], v[8:9], v[12:13]
	v_fma_f64 v[12:13], -v[6:7], v[8:9], 1.0
	v_fmac_f64_e32 v[8:9], v[8:9], v[12:13]
	v_mul_f64 v[12:13], v[10:11], v[8:9]
	v_fma_f64 v[6:7], -v[6:7], v[12:13], v[10:11]
	v_div_fmas_f64 v[6:7], v[6:7], v[8:9], v[12:13]
	v_div_fixup_f64 v[4:5], v[6:7], v[4:5], 1.0
	ds_write_b64 v36, v[4:5]
.LBB111_199:
	s_or_b64 exec, exec, s[2:3]
	s_waitcnt lgkmcnt(0)
	s_barrier
	ds_read_b64 v[4:5], v36
	v_cmp_lt_u32_e32 vcc, 39, v38
	s_and_saveexec_b64 s[2:3], vcc
	s_cbranch_execz .LBB111_201
; %bb.200:
	ds_read2_b64 v[6:9], v37 offset0:40 offset1:41
	s_waitcnt lgkmcnt(1)
	v_mul_f64 v[130:131], v[4:5], v[130:131]
	s_waitcnt lgkmcnt(0)
	v_fma_f64 v[184:185], -v[130:131], v[6:7], v[184:185]
	v_fma_f64 v[128:129], -v[130:131], v[8:9], v[128:129]
	ds_read2_b64 v[6:9], v37 offset0:42 offset1:43
	s_waitcnt lgkmcnt(0)
	v_fma_f64 v[182:183], -v[130:131], v[6:7], v[182:183]
	v_fma_f64 v[126:127], -v[130:131], v[8:9], v[126:127]
	ds_read2_b64 v[6:9], v37 offset0:44 offset1:45
	;; [unrolled: 4-line block ×7, first 2 shown]
	s_waitcnt lgkmcnt(0)
	v_fma_f64 v[170:171], -v[130:131], v[6:7], v[170:171]
	v_fma_f64 v[224:225], -v[130:131], v[8:9], v[224:225]
.LBB111_201:
	s_or_b64 exec, exec, s[2:3]
	v_cmp_eq_u32_e32 vcc, 40, v38
	s_waitcnt lgkmcnt(0)
	s_barrier
	s_and_saveexec_b64 s[2:3], vcc
	s_cbranch_execz .LBB111_204
; %bb.202:
	ds_write_b64 v36, v[184:185]
	ds_write2_b64 v37, v[128:129], v[182:183] offset0:41 offset1:42
	ds_write2_b64 v37, v[126:127], v[180:181] offset0:43 offset1:44
	;; [unrolled: 1-line block ×7, first 2 shown]
	ds_write_b64 v37, v[224:225] offset:440
	ds_read_b64 v[6:7], v36
	s_waitcnt lgkmcnt(0)
	v_cmp_neq_f64_e32 vcc, 0, v[6:7]
	s_and_b64 exec, exec, vcc
	s_cbranch_execz .LBB111_204
; %bb.203:
	v_div_scale_f64 v[8:9], s[6:7], v[6:7], v[6:7], 1.0
	v_rcp_f64_e32 v[10:11], v[8:9]
	v_div_scale_f64 v[12:13], vcc, 1.0, v[6:7], 1.0
	v_fma_f64 v[14:15], -v[8:9], v[10:11], 1.0
	v_fmac_f64_e32 v[10:11], v[10:11], v[14:15]
	v_fma_f64 v[14:15], -v[8:9], v[10:11], 1.0
	v_fmac_f64_e32 v[10:11], v[10:11], v[14:15]
	v_mul_f64 v[14:15], v[12:13], v[10:11]
	v_fma_f64 v[8:9], -v[8:9], v[14:15], v[12:13]
	v_div_fmas_f64 v[8:9], v[8:9], v[10:11], v[14:15]
	v_div_fixup_f64 v[6:7], v[8:9], v[6:7], 1.0
	ds_write_b64 v36, v[6:7]
.LBB111_204:
	s_or_b64 exec, exec, s[2:3]
	s_waitcnt lgkmcnt(0)
	s_barrier
	ds_read_b64 v[6:7], v36
	v_cmp_lt_u32_e32 vcc, 40, v38
	s_and_saveexec_b64 s[2:3], vcc
	s_cbranch_execz .LBB111_206
; %bb.205:
	ds_read2_b64 v[8:11], v37 offset0:41 offset1:42
	s_waitcnt lgkmcnt(1)
	v_mul_f64 v[184:185], v[6:7], v[184:185]
	s_waitcnt lgkmcnt(0)
	v_fma_f64 v[128:129], -v[184:185], v[8:9], v[128:129]
	v_fma_f64 v[182:183], -v[184:185], v[10:11], v[182:183]
	ds_read2_b64 v[8:11], v37 offset0:43 offset1:44
	s_waitcnt lgkmcnt(0)
	v_fma_f64 v[126:127], -v[184:185], v[8:9], v[126:127]
	v_fma_f64 v[180:181], -v[184:185], v[10:11], v[180:181]
	ds_read2_b64 v[8:11], v37 offset0:45 offset1:46
	;; [unrolled: 4-line block ×6, first 2 shown]
	s_waitcnt lgkmcnt(0)
	v_fma_f64 v[116:117], -v[184:185], v[8:9], v[116:117]
	ds_read_b64 v[8:9], v37 offset:440
	v_fma_f64 v[170:171], -v[184:185], v[10:11], v[170:171]
	s_waitcnt lgkmcnt(0)
	v_fma_f64 v[224:225], -v[184:185], v[8:9], v[224:225]
.LBB111_206:
	s_or_b64 exec, exec, s[2:3]
	v_cmp_eq_u32_e32 vcc, 41, v38
	s_waitcnt lgkmcnt(0)
	s_barrier
	s_and_saveexec_b64 s[2:3], vcc
	s_cbranch_execz .LBB111_209
; %bb.207:
	v_mov_b32_e32 v8, v182
	v_mov_b32_e32 v9, v183
	;; [unrolled: 1-line block ×4, first 2 shown]
	ds_write_b64 v36, v[128:129]
	ds_write2_b64 v37, v[8:9], v[10:11] offset0:42 offset1:43
	v_mov_b32_e32 v8, v180
	v_mov_b32_e32 v9, v181
	v_mov_b32_e32 v10, v124
	v_mov_b32_e32 v11, v125
	ds_write2_b64 v37, v[8:9], v[10:11] offset0:44 offset1:45
	v_mov_b32_e32 v8, v178
	v_mov_b32_e32 v9, v179
	v_mov_b32_e32 v10, v122
	v_mov_b32_e32 v11, v123
	;; [unrolled: 5-line block ×5, first 2 shown]
	ds_write2_b64 v37, v[8:9], v[10:11] offset0:52 offset1:53
	v_mov_b32_e32 v8, v170
	v_mov_b32_e32 v9, v171
	ds_write2_b64 v37, v[8:9], v[224:225] offset0:54 offset1:55
	ds_read_b64 v[8:9], v36
	s_waitcnt lgkmcnt(0)
	v_cmp_neq_f64_e32 vcc, 0, v[8:9]
	s_and_b64 exec, exec, vcc
	s_cbranch_execz .LBB111_209
; %bb.208:
	v_div_scale_f64 v[10:11], s[6:7], v[8:9], v[8:9], 1.0
	v_rcp_f64_e32 v[12:13], v[10:11]
	v_div_scale_f64 v[14:15], vcc, 1.0, v[8:9], 1.0
	v_fma_f64 v[16:17], -v[10:11], v[12:13], 1.0
	v_fmac_f64_e32 v[12:13], v[12:13], v[16:17]
	v_fma_f64 v[16:17], -v[10:11], v[12:13], 1.0
	v_fmac_f64_e32 v[12:13], v[12:13], v[16:17]
	v_mul_f64 v[16:17], v[14:15], v[12:13]
	v_fma_f64 v[10:11], -v[10:11], v[16:17], v[14:15]
	v_div_fmas_f64 v[10:11], v[10:11], v[12:13], v[16:17]
	v_div_fixup_f64 v[8:9], v[10:11], v[8:9], 1.0
	ds_write_b64 v36, v[8:9]
.LBB111_209:
	s_or_b64 exec, exec, s[2:3]
	s_waitcnt lgkmcnt(0)
	s_barrier
	ds_read_b64 v[8:9], v36
	v_cmp_lt_u32_e32 vcc, 41, v38
	s_and_saveexec_b64 s[2:3], vcc
	s_cbranch_execz .LBB111_211
; %bb.210:
	ds_read2_b64 v[10:13], v37 offset0:42 offset1:43
	s_waitcnt lgkmcnt(1)
	v_mul_f64 v[128:129], v[8:9], v[128:129]
	s_waitcnt lgkmcnt(0)
	v_fma_f64 v[182:183], -v[128:129], v[10:11], v[182:183]
	v_fma_f64 v[126:127], -v[128:129], v[12:13], v[126:127]
	ds_read2_b64 v[10:13], v37 offset0:44 offset1:45
	s_waitcnt lgkmcnt(0)
	v_fma_f64 v[180:181], -v[128:129], v[10:11], v[180:181]
	v_fma_f64 v[124:125], -v[128:129], v[12:13], v[124:125]
	ds_read2_b64 v[10:13], v37 offset0:46 offset1:47
	;; [unrolled: 4-line block ×6, first 2 shown]
	s_waitcnt lgkmcnt(0)
	v_fma_f64 v[170:171], -v[128:129], v[10:11], v[170:171]
	v_fma_f64 v[224:225], -v[128:129], v[12:13], v[224:225]
.LBB111_211:
	s_or_b64 exec, exec, s[2:3]
	v_cmp_eq_u32_e32 vcc, 42, v38
	s_waitcnt lgkmcnt(0)
	s_barrier
	s_and_saveexec_b64 s[2:3], vcc
	s_cbranch_execz .LBB111_214
; %bb.212:
	ds_write_b64 v36, v[182:183]
	ds_write2_b64 v37, v[126:127], v[180:181] offset0:43 offset1:44
	ds_write2_b64 v37, v[124:125], v[178:179] offset0:45 offset1:46
	;; [unrolled: 1-line block ×6, first 2 shown]
	ds_write_b64 v37, v[224:225] offset:440
	ds_read_b64 v[10:11], v36
	s_waitcnt lgkmcnt(0)
	v_cmp_neq_f64_e32 vcc, 0, v[10:11]
	s_and_b64 exec, exec, vcc
	s_cbranch_execz .LBB111_214
; %bb.213:
	v_div_scale_f64 v[12:13], s[6:7], v[10:11], v[10:11], 1.0
	v_rcp_f64_e32 v[14:15], v[12:13]
	v_div_scale_f64 v[16:17], vcc, 1.0, v[10:11], 1.0
	v_fma_f64 v[18:19], -v[12:13], v[14:15], 1.0
	v_fmac_f64_e32 v[14:15], v[14:15], v[18:19]
	v_fma_f64 v[18:19], -v[12:13], v[14:15], 1.0
	v_fmac_f64_e32 v[14:15], v[14:15], v[18:19]
	v_mul_f64 v[18:19], v[16:17], v[14:15]
	v_fma_f64 v[12:13], -v[12:13], v[18:19], v[16:17]
	v_div_fmas_f64 v[12:13], v[12:13], v[14:15], v[18:19]
	v_div_fixup_f64 v[10:11], v[12:13], v[10:11], 1.0
	ds_write_b64 v36, v[10:11]
.LBB111_214:
	s_or_b64 exec, exec, s[2:3]
	s_waitcnt lgkmcnt(0)
	s_barrier
	ds_read_b64 v[10:11], v36
	v_cmp_lt_u32_e32 vcc, 42, v38
	s_and_saveexec_b64 s[2:3], vcc
	s_cbranch_execz .LBB111_216
; %bb.215:
	ds_read2_b64 v[12:15], v37 offset0:43 offset1:44
	s_waitcnt lgkmcnt(1)
	v_mul_f64 v[182:183], v[10:11], v[182:183]
	s_waitcnt lgkmcnt(0)
	v_fma_f64 v[126:127], -v[182:183], v[12:13], v[126:127]
	v_fma_f64 v[180:181], -v[182:183], v[14:15], v[180:181]
	ds_read2_b64 v[12:15], v37 offset0:45 offset1:46
	s_waitcnt lgkmcnt(0)
	v_fma_f64 v[124:125], -v[182:183], v[12:13], v[124:125]
	v_fma_f64 v[178:179], -v[182:183], v[14:15], v[178:179]
	ds_read2_b64 v[12:15], v37 offset0:47 offset1:48
	;; [unrolled: 4-line block ×5, first 2 shown]
	s_waitcnt lgkmcnt(0)
	v_fma_f64 v[116:117], -v[182:183], v[12:13], v[116:117]
	ds_read_b64 v[12:13], v37 offset:440
	v_fma_f64 v[170:171], -v[182:183], v[14:15], v[170:171]
	s_waitcnt lgkmcnt(0)
	v_fma_f64 v[224:225], -v[182:183], v[12:13], v[224:225]
.LBB111_216:
	s_or_b64 exec, exec, s[2:3]
	v_cmp_eq_u32_e32 vcc, 43, v38
	s_waitcnt lgkmcnt(0)
	s_barrier
	s_and_saveexec_b64 s[2:3], vcc
	s_cbranch_execz .LBB111_219
; %bb.217:
	v_mov_b32_e32 v12, v180
	v_mov_b32_e32 v13, v181
	v_mov_b32_e32 v14, v124
	v_mov_b32_e32 v15, v125
	ds_write_b64 v36, v[126:127]
	ds_write2_b64 v37, v[12:13], v[14:15] offset0:44 offset1:45
	v_mov_b32_e32 v12, v178
	v_mov_b32_e32 v13, v179
	v_mov_b32_e32 v14, v122
	v_mov_b32_e32 v15, v123
	ds_write2_b64 v37, v[12:13], v[14:15] offset0:46 offset1:47
	v_mov_b32_e32 v12, v176
	v_mov_b32_e32 v13, v177
	v_mov_b32_e32 v14, v120
	v_mov_b32_e32 v15, v121
	;; [unrolled: 5-line block ×4, first 2 shown]
	ds_write2_b64 v37, v[12:13], v[14:15] offset0:52 offset1:53
	v_mov_b32_e32 v12, v170
	v_mov_b32_e32 v13, v171
	ds_write2_b64 v37, v[12:13], v[224:225] offset0:54 offset1:55
	ds_read_b64 v[12:13], v36
	s_waitcnt lgkmcnt(0)
	v_cmp_neq_f64_e32 vcc, 0, v[12:13]
	s_and_b64 exec, exec, vcc
	s_cbranch_execz .LBB111_219
; %bb.218:
	v_div_scale_f64 v[14:15], s[6:7], v[12:13], v[12:13], 1.0
	v_rcp_f64_e32 v[16:17], v[14:15]
	v_div_scale_f64 v[18:19], vcc, 1.0, v[12:13], 1.0
	v_fma_f64 v[20:21], -v[14:15], v[16:17], 1.0
	v_fmac_f64_e32 v[16:17], v[16:17], v[20:21]
	v_fma_f64 v[20:21], -v[14:15], v[16:17], 1.0
	v_fmac_f64_e32 v[16:17], v[16:17], v[20:21]
	v_mul_f64 v[20:21], v[18:19], v[16:17]
	v_fma_f64 v[14:15], -v[14:15], v[20:21], v[18:19]
	v_div_fmas_f64 v[14:15], v[14:15], v[16:17], v[20:21]
	v_div_fixup_f64 v[12:13], v[14:15], v[12:13], 1.0
	ds_write_b64 v36, v[12:13]
.LBB111_219:
	s_or_b64 exec, exec, s[2:3]
	s_waitcnt lgkmcnt(0)
	s_barrier
	ds_read_b64 v[12:13], v36
	v_cmp_lt_u32_e32 vcc, 43, v38
	s_and_saveexec_b64 s[2:3], vcc
	s_cbranch_execz .LBB111_221
; %bb.220:
	ds_read2_b64 v[14:17], v37 offset0:44 offset1:45
	s_waitcnt lgkmcnt(1)
	v_mul_f64 v[126:127], v[12:13], v[126:127]
	s_waitcnt lgkmcnt(0)
	v_fma_f64 v[180:181], -v[126:127], v[14:15], v[180:181]
	v_fma_f64 v[124:125], -v[126:127], v[16:17], v[124:125]
	ds_read2_b64 v[14:17], v37 offset0:46 offset1:47
	s_waitcnt lgkmcnt(0)
	v_fma_f64 v[178:179], -v[126:127], v[14:15], v[178:179]
	v_fma_f64 v[122:123], -v[126:127], v[16:17], v[122:123]
	ds_read2_b64 v[14:17], v37 offset0:48 offset1:49
	;; [unrolled: 4-line block ×5, first 2 shown]
	s_waitcnt lgkmcnt(0)
	v_fma_f64 v[170:171], -v[126:127], v[14:15], v[170:171]
	v_fma_f64 v[224:225], -v[126:127], v[16:17], v[224:225]
.LBB111_221:
	s_or_b64 exec, exec, s[2:3]
	v_cmp_eq_u32_e32 vcc, 44, v38
	s_waitcnt lgkmcnt(0)
	s_barrier
	s_and_saveexec_b64 s[2:3], vcc
	s_cbranch_execz .LBB111_224
; %bb.222:
	ds_write_b64 v36, v[180:181]
	ds_write2_b64 v37, v[124:125], v[178:179] offset0:45 offset1:46
	ds_write2_b64 v37, v[122:123], v[176:177] offset0:47 offset1:48
	;; [unrolled: 1-line block ×5, first 2 shown]
	ds_write_b64 v37, v[224:225] offset:440
	ds_read_b64 v[14:15], v36
	s_waitcnt lgkmcnt(0)
	v_cmp_neq_f64_e32 vcc, 0, v[14:15]
	s_and_b64 exec, exec, vcc
	s_cbranch_execz .LBB111_224
; %bb.223:
	v_div_scale_f64 v[16:17], s[6:7], v[14:15], v[14:15], 1.0
	v_rcp_f64_e32 v[18:19], v[16:17]
	v_div_scale_f64 v[20:21], vcc, 1.0, v[14:15], 1.0
	v_fma_f64 v[22:23], -v[16:17], v[18:19], 1.0
	v_fmac_f64_e32 v[18:19], v[18:19], v[22:23]
	v_fma_f64 v[22:23], -v[16:17], v[18:19], 1.0
	v_fmac_f64_e32 v[18:19], v[18:19], v[22:23]
	v_mul_f64 v[22:23], v[20:21], v[18:19]
	v_fma_f64 v[16:17], -v[16:17], v[22:23], v[20:21]
	v_div_fmas_f64 v[16:17], v[16:17], v[18:19], v[22:23]
	v_div_fixup_f64 v[14:15], v[16:17], v[14:15], 1.0
	ds_write_b64 v36, v[14:15]
.LBB111_224:
	s_or_b64 exec, exec, s[2:3]
	s_waitcnt lgkmcnt(0)
	s_barrier
	ds_read_b64 v[14:15], v36
	v_cmp_lt_u32_e32 vcc, 44, v38
	s_and_saveexec_b64 s[2:3], vcc
	s_cbranch_execz .LBB111_226
; %bb.225:
	ds_read2_b64 v[16:19], v37 offset0:45 offset1:46
	s_waitcnt lgkmcnt(1)
	v_mul_f64 v[180:181], v[14:15], v[180:181]
	s_waitcnt lgkmcnt(0)
	v_fma_f64 v[124:125], -v[180:181], v[16:17], v[124:125]
	v_fma_f64 v[178:179], -v[180:181], v[18:19], v[178:179]
	ds_read2_b64 v[16:19], v37 offset0:47 offset1:48
	s_waitcnt lgkmcnt(0)
	v_fma_f64 v[122:123], -v[180:181], v[16:17], v[122:123]
	v_fma_f64 v[176:177], -v[180:181], v[18:19], v[176:177]
	ds_read2_b64 v[16:19], v37 offset0:49 offset1:50
	;; [unrolled: 4-line block ×4, first 2 shown]
	s_waitcnt lgkmcnt(0)
	v_fma_f64 v[116:117], -v[180:181], v[16:17], v[116:117]
	ds_read_b64 v[16:17], v37 offset:440
	v_fma_f64 v[170:171], -v[180:181], v[18:19], v[170:171]
	s_waitcnt lgkmcnt(0)
	v_fma_f64 v[224:225], -v[180:181], v[16:17], v[224:225]
.LBB111_226:
	s_or_b64 exec, exec, s[2:3]
	v_cmp_eq_u32_e32 vcc, 45, v38
	s_waitcnt lgkmcnt(0)
	s_barrier
	s_and_saveexec_b64 s[2:3], vcc
	s_cbranch_execz .LBB111_229
; %bb.227:
	v_mov_b32_e32 v16, v178
	v_mov_b32_e32 v17, v179
	;; [unrolled: 1-line block ×4, first 2 shown]
	ds_write_b64 v36, v[124:125]
	ds_write2_b64 v37, v[16:17], v[18:19] offset0:46 offset1:47
	v_mov_b32_e32 v16, v176
	v_mov_b32_e32 v17, v177
	v_mov_b32_e32 v18, v120
	v_mov_b32_e32 v19, v121
	ds_write2_b64 v37, v[16:17], v[18:19] offset0:48 offset1:49
	v_mov_b32_e32 v16, v174
	v_mov_b32_e32 v17, v175
	v_mov_b32_e32 v18, v118
	v_mov_b32_e32 v19, v119
	ds_write2_b64 v37, v[16:17], v[18:19] offset0:50 offset1:51
	v_mov_b32_e32 v16, v172
	v_mov_b32_e32 v17, v173
	v_mov_b32_e32 v18, v116
	v_mov_b32_e32 v19, v117
	ds_write2_b64 v37, v[16:17], v[18:19] offset0:52 offset1:53
	v_mov_b32_e32 v16, v170
	v_mov_b32_e32 v17, v171
	ds_write2_b64 v37, v[16:17], v[224:225] offset0:54 offset1:55
	ds_read_b64 v[16:17], v36
	s_waitcnt lgkmcnt(0)
	v_cmp_neq_f64_e32 vcc, 0, v[16:17]
	s_and_b64 exec, exec, vcc
	s_cbranch_execz .LBB111_229
; %bb.228:
	v_div_scale_f64 v[18:19], s[6:7], v[16:17], v[16:17], 1.0
	v_rcp_f64_e32 v[20:21], v[18:19]
	v_div_scale_f64 v[22:23], vcc, 1.0, v[16:17], 1.0
	v_fma_f64 v[24:25], -v[18:19], v[20:21], 1.0
	v_fmac_f64_e32 v[20:21], v[20:21], v[24:25]
	v_fma_f64 v[24:25], -v[18:19], v[20:21], 1.0
	v_fmac_f64_e32 v[20:21], v[20:21], v[24:25]
	v_mul_f64 v[24:25], v[22:23], v[20:21]
	v_fma_f64 v[18:19], -v[18:19], v[24:25], v[22:23]
	v_div_fmas_f64 v[18:19], v[18:19], v[20:21], v[24:25]
	v_div_fixup_f64 v[16:17], v[18:19], v[16:17], 1.0
	ds_write_b64 v36, v[16:17]
.LBB111_229:
	s_or_b64 exec, exec, s[2:3]
	s_waitcnt lgkmcnt(0)
	s_barrier
	ds_read_b64 v[16:17], v36
	v_cmp_lt_u32_e32 vcc, 45, v38
	s_and_saveexec_b64 s[2:3], vcc
	s_cbranch_execz .LBB111_231
; %bb.230:
	ds_read2_b64 v[18:21], v37 offset0:46 offset1:47
	s_waitcnt lgkmcnt(1)
	v_mul_f64 v[124:125], v[16:17], v[124:125]
	s_waitcnt lgkmcnt(0)
	v_fma_f64 v[178:179], -v[124:125], v[18:19], v[178:179]
	v_fma_f64 v[122:123], -v[124:125], v[20:21], v[122:123]
	ds_read2_b64 v[18:21], v37 offset0:48 offset1:49
	s_waitcnt lgkmcnt(0)
	v_fma_f64 v[176:177], -v[124:125], v[18:19], v[176:177]
	v_fma_f64 v[120:121], -v[124:125], v[20:21], v[120:121]
	ds_read2_b64 v[18:21], v37 offset0:50 offset1:51
	;; [unrolled: 4-line block ×4, first 2 shown]
	s_waitcnt lgkmcnt(0)
	v_fma_f64 v[170:171], -v[124:125], v[18:19], v[170:171]
	v_fma_f64 v[224:225], -v[124:125], v[20:21], v[224:225]
.LBB111_231:
	s_or_b64 exec, exec, s[2:3]
	v_cmp_eq_u32_e32 vcc, 46, v38
	s_waitcnt lgkmcnt(0)
	s_barrier
	s_and_saveexec_b64 s[2:3], vcc
	s_cbranch_execz .LBB111_234
; %bb.232:
	ds_write_b64 v36, v[178:179]
	ds_write2_b64 v37, v[122:123], v[176:177] offset0:47 offset1:48
	ds_write2_b64 v37, v[120:121], v[174:175] offset0:49 offset1:50
	ds_write2_b64 v37, v[118:119], v[172:173] offset0:51 offset1:52
	ds_write2_b64 v37, v[116:117], v[170:171] offset0:53 offset1:54
	ds_write_b64 v37, v[224:225] offset:440
	ds_read_b64 v[18:19], v36
	s_waitcnt lgkmcnt(0)
	v_cmp_neq_f64_e32 vcc, 0, v[18:19]
	s_and_b64 exec, exec, vcc
	s_cbranch_execz .LBB111_234
; %bb.233:
	v_div_scale_f64 v[20:21], s[6:7], v[18:19], v[18:19], 1.0
	v_rcp_f64_e32 v[22:23], v[20:21]
	v_div_scale_f64 v[24:25], vcc, 1.0, v[18:19], 1.0
	v_fma_f64 v[26:27], -v[20:21], v[22:23], 1.0
	v_fmac_f64_e32 v[22:23], v[22:23], v[26:27]
	v_fma_f64 v[26:27], -v[20:21], v[22:23], 1.0
	v_fmac_f64_e32 v[22:23], v[22:23], v[26:27]
	v_mul_f64 v[26:27], v[24:25], v[22:23]
	v_fma_f64 v[20:21], -v[20:21], v[26:27], v[24:25]
	v_div_fmas_f64 v[20:21], v[20:21], v[22:23], v[26:27]
	v_div_fixup_f64 v[18:19], v[20:21], v[18:19], 1.0
	ds_write_b64 v36, v[18:19]
.LBB111_234:
	s_or_b64 exec, exec, s[2:3]
	s_waitcnt lgkmcnt(0)
	s_barrier
	ds_read_b64 v[18:19], v36
	v_cmp_lt_u32_e32 vcc, 46, v38
	s_and_saveexec_b64 s[2:3], vcc
	s_cbranch_execz .LBB111_236
; %bb.235:
	ds_read2_b64 v[20:23], v37 offset0:47 offset1:48
	s_waitcnt lgkmcnt(1)
	v_mul_f64 v[178:179], v[18:19], v[178:179]
	s_waitcnt lgkmcnt(0)
	v_fma_f64 v[122:123], -v[178:179], v[20:21], v[122:123]
	v_fma_f64 v[176:177], -v[178:179], v[22:23], v[176:177]
	ds_read2_b64 v[20:23], v37 offset0:49 offset1:50
	s_waitcnt lgkmcnt(0)
	v_fma_f64 v[120:121], -v[178:179], v[20:21], v[120:121]
	v_fma_f64 v[174:175], -v[178:179], v[22:23], v[174:175]
	ds_read2_b64 v[20:23], v37 offset0:51 offset1:52
	;; [unrolled: 4-line block ×3, first 2 shown]
	s_waitcnt lgkmcnt(0)
	v_fma_f64 v[116:117], -v[178:179], v[20:21], v[116:117]
	ds_read_b64 v[20:21], v37 offset:440
	v_fma_f64 v[170:171], -v[178:179], v[22:23], v[170:171]
	s_waitcnt lgkmcnt(0)
	v_fma_f64 v[224:225], -v[178:179], v[20:21], v[224:225]
.LBB111_236:
	s_or_b64 exec, exec, s[2:3]
	v_cmp_eq_u32_e32 vcc, 47, v38
	s_waitcnt lgkmcnt(0)
	s_barrier
	s_and_saveexec_b64 s[2:3], vcc
	s_cbranch_execz .LBB111_239
; %bb.237:
	v_mov_b32_e32 v20, v176
	v_mov_b32_e32 v21, v177
	;; [unrolled: 1-line block ×4, first 2 shown]
	ds_write_b64 v36, v[122:123]
	ds_write2_b64 v37, v[20:21], v[22:23] offset0:48 offset1:49
	v_mov_b32_e32 v20, v174
	v_mov_b32_e32 v21, v175
	;; [unrolled: 1-line block ×4, first 2 shown]
	ds_write2_b64 v37, v[20:21], v[22:23] offset0:50 offset1:51
	v_mov_b32_e32 v20, v172
	v_mov_b32_e32 v21, v173
	;; [unrolled: 1-line block ×4, first 2 shown]
	ds_write2_b64 v37, v[20:21], v[22:23] offset0:52 offset1:53
	v_mov_b32_e32 v20, v170
	v_mov_b32_e32 v21, v171
	ds_write2_b64 v37, v[20:21], v[224:225] offset0:54 offset1:55
	ds_read_b64 v[20:21], v36
	s_waitcnt lgkmcnt(0)
	v_cmp_neq_f64_e32 vcc, 0, v[20:21]
	s_and_b64 exec, exec, vcc
	s_cbranch_execz .LBB111_239
; %bb.238:
	v_div_scale_f64 v[22:23], s[6:7], v[20:21], v[20:21], 1.0
	v_rcp_f64_e32 v[24:25], v[22:23]
	v_div_scale_f64 v[26:27], vcc, 1.0, v[20:21], 1.0
	v_fma_f64 v[28:29], -v[22:23], v[24:25], 1.0
	v_fmac_f64_e32 v[24:25], v[24:25], v[28:29]
	v_fma_f64 v[28:29], -v[22:23], v[24:25], 1.0
	v_fmac_f64_e32 v[24:25], v[24:25], v[28:29]
	v_mul_f64 v[28:29], v[26:27], v[24:25]
	v_fma_f64 v[22:23], -v[22:23], v[28:29], v[26:27]
	v_div_fmas_f64 v[22:23], v[22:23], v[24:25], v[28:29]
	v_div_fixup_f64 v[20:21], v[22:23], v[20:21], 1.0
	ds_write_b64 v36, v[20:21]
.LBB111_239:
	s_or_b64 exec, exec, s[2:3]
	s_waitcnt lgkmcnt(0)
	s_barrier
	ds_read_b64 v[20:21], v36
	v_cmp_lt_u32_e32 vcc, 47, v38
	s_and_saveexec_b64 s[2:3], vcc
	s_cbranch_execz .LBB111_241
; %bb.240:
	ds_read2_b64 v[22:25], v37 offset0:48 offset1:49
	s_waitcnt lgkmcnt(1)
	v_mul_f64 v[122:123], v[20:21], v[122:123]
	s_waitcnt lgkmcnt(0)
	v_fma_f64 v[176:177], -v[122:123], v[22:23], v[176:177]
	v_fma_f64 v[120:121], -v[122:123], v[24:25], v[120:121]
	ds_read2_b64 v[22:25], v37 offset0:50 offset1:51
	s_waitcnt lgkmcnt(0)
	v_fma_f64 v[174:175], -v[122:123], v[22:23], v[174:175]
	v_fma_f64 v[118:119], -v[122:123], v[24:25], v[118:119]
	ds_read2_b64 v[22:25], v37 offset0:52 offset1:53
	;; [unrolled: 4-line block ×3, first 2 shown]
	s_waitcnt lgkmcnt(0)
	v_fma_f64 v[170:171], -v[122:123], v[22:23], v[170:171]
	v_fma_f64 v[224:225], -v[122:123], v[24:25], v[224:225]
.LBB111_241:
	s_or_b64 exec, exec, s[2:3]
	v_cmp_eq_u32_e32 vcc, 48, v38
	s_waitcnt lgkmcnt(0)
	s_barrier
	s_and_saveexec_b64 s[2:3], vcc
	s_cbranch_execz .LBB111_244
; %bb.242:
	ds_write_b64 v36, v[176:177]
	ds_write2_b64 v37, v[120:121], v[174:175] offset0:49 offset1:50
	ds_write2_b64 v37, v[118:119], v[172:173] offset0:51 offset1:52
	;; [unrolled: 1-line block ×3, first 2 shown]
	ds_write_b64 v37, v[224:225] offset:440
	ds_read_b64 v[22:23], v36
	s_waitcnt lgkmcnt(0)
	v_cmp_neq_f64_e32 vcc, 0, v[22:23]
	s_and_b64 exec, exec, vcc
	s_cbranch_execz .LBB111_244
; %bb.243:
	v_div_scale_f64 v[24:25], s[6:7], v[22:23], v[22:23], 1.0
	v_rcp_f64_e32 v[26:27], v[24:25]
	v_div_scale_f64 v[28:29], vcc, 1.0, v[22:23], 1.0
	v_fma_f64 v[30:31], -v[24:25], v[26:27], 1.0
	v_fmac_f64_e32 v[26:27], v[26:27], v[30:31]
	v_fma_f64 v[30:31], -v[24:25], v[26:27], 1.0
	v_fmac_f64_e32 v[26:27], v[26:27], v[30:31]
	v_mul_f64 v[30:31], v[28:29], v[26:27]
	v_fma_f64 v[24:25], -v[24:25], v[30:31], v[28:29]
	v_div_fmas_f64 v[24:25], v[24:25], v[26:27], v[30:31]
	v_div_fixup_f64 v[22:23], v[24:25], v[22:23], 1.0
	ds_write_b64 v36, v[22:23]
.LBB111_244:
	s_or_b64 exec, exec, s[2:3]
	s_waitcnt lgkmcnt(0)
	s_barrier
	ds_read_b64 v[22:23], v36
	v_cmp_lt_u32_e32 vcc, 48, v38
	s_and_saveexec_b64 s[2:3], vcc
	s_cbranch_execz .LBB111_246
; %bb.245:
	ds_read2_b64 v[24:27], v37 offset0:49 offset1:50
	s_waitcnt lgkmcnt(1)
	v_mul_f64 v[176:177], v[22:23], v[176:177]
	s_waitcnt lgkmcnt(0)
	v_fma_f64 v[120:121], -v[176:177], v[24:25], v[120:121]
	v_fma_f64 v[174:175], -v[176:177], v[26:27], v[174:175]
	ds_read2_b64 v[24:27], v37 offset0:51 offset1:52
	s_waitcnt lgkmcnt(0)
	v_fma_f64 v[118:119], -v[176:177], v[24:25], v[118:119]
	v_fma_f64 v[172:173], -v[176:177], v[26:27], v[172:173]
	ds_read2_b64 v[24:27], v37 offset0:53 offset1:54
	s_waitcnt lgkmcnt(0)
	v_fma_f64 v[116:117], -v[176:177], v[24:25], v[116:117]
	ds_read_b64 v[24:25], v37 offset:440
	v_fma_f64 v[170:171], -v[176:177], v[26:27], v[170:171]
	s_waitcnt lgkmcnt(0)
	v_fma_f64 v[224:225], -v[176:177], v[24:25], v[224:225]
.LBB111_246:
	s_or_b64 exec, exec, s[2:3]
	v_cmp_eq_u32_e32 vcc, 49, v38
	s_waitcnt lgkmcnt(0)
	s_barrier
	s_and_saveexec_b64 s[2:3], vcc
	s_cbranch_execz .LBB111_249
; %bb.247:
	v_mov_b32_e32 v24, v174
	v_mov_b32_e32 v25, v175
	;; [unrolled: 1-line block ×4, first 2 shown]
	ds_write_b64 v36, v[120:121]
	ds_write2_b64 v37, v[24:25], v[26:27] offset0:50 offset1:51
	v_mov_b32_e32 v24, v172
	v_mov_b32_e32 v25, v173
	v_mov_b32_e32 v26, v116
	v_mov_b32_e32 v27, v117
	ds_write2_b64 v37, v[24:25], v[26:27] offset0:52 offset1:53
	v_mov_b32_e32 v24, v170
	v_mov_b32_e32 v25, v171
	ds_write2_b64 v37, v[24:25], v[224:225] offset0:54 offset1:55
	ds_read_b64 v[24:25], v36
	s_waitcnt lgkmcnt(0)
	v_cmp_neq_f64_e32 vcc, 0, v[24:25]
	s_and_b64 exec, exec, vcc
	s_cbranch_execz .LBB111_249
; %bb.248:
	v_div_scale_f64 v[26:27], s[6:7], v[24:25], v[24:25], 1.0
	v_rcp_f64_e32 v[28:29], v[26:27]
	v_div_scale_f64 v[30:31], vcc, 1.0, v[24:25], 1.0
	v_fma_f64 v[32:33], -v[26:27], v[28:29], 1.0
	v_fmac_f64_e32 v[28:29], v[28:29], v[32:33]
	v_fma_f64 v[32:33], -v[26:27], v[28:29], 1.0
	v_fmac_f64_e32 v[28:29], v[28:29], v[32:33]
	v_mul_f64 v[32:33], v[30:31], v[28:29]
	v_fma_f64 v[26:27], -v[26:27], v[32:33], v[30:31]
	v_div_fmas_f64 v[26:27], v[26:27], v[28:29], v[32:33]
	v_div_fixup_f64 v[24:25], v[26:27], v[24:25], 1.0
	ds_write_b64 v36, v[24:25]
.LBB111_249:
	s_or_b64 exec, exec, s[2:3]
	s_waitcnt lgkmcnt(0)
	s_barrier
	ds_read_b64 v[24:25], v36
	v_cmp_lt_u32_e32 vcc, 49, v38
	s_and_saveexec_b64 s[2:3], vcc
	s_cbranch_execz .LBB111_251
; %bb.250:
	ds_read2_b64 v[26:29], v37 offset0:50 offset1:51
	s_waitcnt lgkmcnt(1)
	v_mul_f64 v[120:121], v[24:25], v[120:121]
	s_waitcnt lgkmcnt(0)
	v_fma_f64 v[174:175], -v[120:121], v[26:27], v[174:175]
	v_fma_f64 v[118:119], -v[120:121], v[28:29], v[118:119]
	ds_read2_b64 v[26:29], v37 offset0:52 offset1:53
	s_waitcnt lgkmcnt(0)
	v_fma_f64 v[172:173], -v[120:121], v[26:27], v[172:173]
	v_fma_f64 v[116:117], -v[120:121], v[28:29], v[116:117]
	ds_read2_b64 v[26:29], v37 offset0:54 offset1:55
	s_waitcnt lgkmcnt(0)
	v_fma_f64 v[170:171], -v[120:121], v[26:27], v[170:171]
	v_fma_f64 v[224:225], -v[120:121], v[28:29], v[224:225]
.LBB111_251:
	s_or_b64 exec, exec, s[2:3]
	v_cmp_eq_u32_e32 vcc, 50, v38
	s_waitcnt lgkmcnt(0)
	s_barrier
	s_and_saveexec_b64 s[2:3], vcc
	s_cbranch_execz .LBB111_254
; %bb.252:
	ds_write_b64 v36, v[174:175]
	ds_write2_b64 v37, v[118:119], v[172:173] offset0:51 offset1:52
	ds_write2_b64 v37, v[116:117], v[170:171] offset0:53 offset1:54
	ds_write_b64 v37, v[224:225] offset:440
	ds_read_b64 v[26:27], v36
	s_waitcnt lgkmcnt(0)
	v_cmp_neq_f64_e32 vcc, 0, v[26:27]
	s_and_b64 exec, exec, vcc
	s_cbranch_execz .LBB111_254
; %bb.253:
	v_div_scale_f64 v[28:29], s[6:7], v[26:27], v[26:27], 1.0
	v_rcp_f64_e32 v[30:31], v[28:29]
	v_div_scale_f64 v[32:33], vcc, 1.0, v[26:27], 1.0
	v_fma_f64 v[34:35], -v[28:29], v[30:31], 1.0
	v_fmac_f64_e32 v[30:31], v[30:31], v[34:35]
	v_fma_f64 v[34:35], -v[28:29], v[30:31], 1.0
	v_fmac_f64_e32 v[30:31], v[30:31], v[34:35]
	v_mul_f64 v[34:35], v[32:33], v[30:31]
	v_fma_f64 v[28:29], -v[28:29], v[34:35], v[32:33]
	v_div_fmas_f64 v[28:29], v[28:29], v[30:31], v[34:35]
	v_div_fixup_f64 v[26:27], v[28:29], v[26:27], 1.0
	ds_write_b64 v36, v[26:27]
.LBB111_254:
	s_or_b64 exec, exec, s[2:3]
	s_waitcnt lgkmcnt(0)
	s_barrier
	ds_read_b64 v[26:27], v36
	v_cmp_lt_u32_e32 vcc, 50, v38
	s_and_saveexec_b64 s[2:3], vcc
	s_cbranch_execz .LBB111_256
; %bb.255:
	ds_read2_b64 v[28:31], v37 offset0:51 offset1:52
	s_waitcnt lgkmcnt(1)
	v_mul_f64 v[174:175], v[26:27], v[174:175]
	s_waitcnt lgkmcnt(0)
	v_fma_f64 v[118:119], -v[174:175], v[28:29], v[118:119]
	v_fma_f64 v[172:173], -v[174:175], v[30:31], v[172:173]
	ds_read2_b64 v[28:31], v37 offset0:53 offset1:54
	s_waitcnt lgkmcnt(0)
	v_fma_f64 v[116:117], -v[174:175], v[28:29], v[116:117]
	ds_read_b64 v[28:29], v37 offset:440
	v_fma_f64 v[170:171], -v[174:175], v[30:31], v[170:171]
	s_waitcnt lgkmcnt(0)
	v_fma_f64 v[224:225], -v[174:175], v[28:29], v[224:225]
.LBB111_256:
	s_or_b64 exec, exec, s[2:3]
	v_cmp_eq_u32_e32 vcc, 51, v38
	s_waitcnt lgkmcnt(0)
	s_barrier
	s_and_saveexec_b64 s[2:3], vcc
	s_cbranch_execz .LBB111_259
; %bb.257:
	v_mov_b32_e32 v28, v172
	v_mov_b32_e32 v29, v173
	v_mov_b32_e32 v30, v116
	v_mov_b32_e32 v31, v117
	ds_write_b64 v36, v[118:119]
	ds_write2_b64 v37, v[28:29], v[30:31] offset0:52 offset1:53
	v_mov_b32_e32 v28, v170
	v_mov_b32_e32 v29, v171
	ds_write2_b64 v37, v[28:29], v[224:225] offset0:54 offset1:55
	ds_read_b64 v[28:29], v36
	s_waitcnt lgkmcnt(0)
	v_cmp_neq_f64_e32 vcc, 0, v[28:29]
	s_and_b64 exec, exec, vcc
	s_cbranch_execz .LBB111_259
; %bb.258:
	v_div_scale_f64 v[30:31], s[6:7], v[28:29], v[28:29], 1.0
	v_rcp_f64_e32 v[32:33], v[30:31]
	v_div_scale_f64 v[34:35], vcc, 1.0, v[28:29], 1.0
	v_fma_f64 v[40:41], -v[30:31], v[32:33], 1.0
	v_fmac_f64_e32 v[32:33], v[32:33], v[40:41]
	v_fma_f64 v[40:41], -v[30:31], v[32:33], 1.0
	v_fmac_f64_e32 v[32:33], v[32:33], v[40:41]
	v_mul_f64 v[40:41], v[34:35], v[32:33]
	v_fma_f64 v[30:31], -v[30:31], v[40:41], v[34:35]
	v_div_fmas_f64 v[30:31], v[30:31], v[32:33], v[40:41]
	v_div_fixup_f64 v[28:29], v[30:31], v[28:29], 1.0
	ds_write_b64 v36, v[28:29]
.LBB111_259:
	s_or_b64 exec, exec, s[2:3]
	s_waitcnt lgkmcnt(0)
	s_barrier
	ds_read_b64 v[28:29], v36
	v_cmp_lt_u32_e32 vcc, 51, v38
	s_and_saveexec_b64 s[2:3], vcc
	s_cbranch_execz .LBB111_261
; %bb.260:
	ds_read2_b64 v[30:33], v37 offset0:52 offset1:53
	s_waitcnt lgkmcnt(1)
	v_mul_f64 v[118:119], v[28:29], v[118:119]
	s_waitcnt lgkmcnt(0)
	v_fma_f64 v[172:173], -v[118:119], v[30:31], v[172:173]
	v_fma_f64 v[116:117], -v[118:119], v[32:33], v[116:117]
	ds_read2_b64 v[30:33], v37 offset0:54 offset1:55
	s_waitcnt lgkmcnt(0)
	v_fma_f64 v[170:171], -v[118:119], v[30:31], v[170:171]
	v_fma_f64 v[224:225], -v[118:119], v[32:33], v[224:225]
.LBB111_261:
	s_or_b64 exec, exec, s[2:3]
	v_cmp_eq_u32_e32 vcc, 52, v38
	s_waitcnt lgkmcnt(0)
	s_barrier
	s_and_saveexec_b64 s[2:3], vcc
	s_cbranch_execz .LBB111_264
; %bb.262:
	ds_write_b64 v36, v[172:173]
	ds_write2_b64 v37, v[116:117], v[170:171] offset0:53 offset1:54
	ds_write_b64 v37, v[224:225] offset:440
	ds_read_b64 v[30:31], v36
	s_waitcnt lgkmcnt(0)
	v_cmp_neq_f64_e32 vcc, 0, v[30:31]
	s_and_b64 exec, exec, vcc
	s_cbranch_execz .LBB111_264
; %bb.263:
	v_div_scale_f64 v[32:33], s[6:7], v[30:31], v[30:31], 1.0
	v_rcp_f64_e32 v[34:35], v[32:33]
	v_div_scale_f64 v[40:41], vcc, 1.0, v[30:31], 1.0
	v_fma_f64 v[42:43], -v[32:33], v[34:35], 1.0
	v_fmac_f64_e32 v[34:35], v[34:35], v[42:43]
	v_fma_f64 v[42:43], -v[32:33], v[34:35], 1.0
	v_fmac_f64_e32 v[34:35], v[34:35], v[42:43]
	v_mul_f64 v[42:43], v[40:41], v[34:35]
	v_fma_f64 v[32:33], -v[32:33], v[42:43], v[40:41]
	v_div_fmas_f64 v[32:33], v[32:33], v[34:35], v[42:43]
	v_div_fixup_f64 v[30:31], v[32:33], v[30:31], 1.0
	ds_write_b64 v36, v[30:31]
.LBB111_264:
	s_or_b64 exec, exec, s[2:3]
	s_waitcnt lgkmcnt(0)
	s_barrier
	ds_read_b64 v[30:31], v36
	v_cmp_lt_u32_e32 vcc, 52, v38
	s_and_saveexec_b64 s[2:3], vcc
	s_cbranch_execz .LBB111_266
; %bb.265:
	ds_read2_b64 v[32:35], v37 offset0:53 offset1:54
	s_waitcnt lgkmcnt(1)
	v_mul_f64 v[172:173], v[30:31], v[172:173]
	s_waitcnt lgkmcnt(0)
	v_fma_f64 v[116:117], -v[172:173], v[32:33], v[116:117]
	ds_read_b64 v[32:33], v37 offset:440
	v_fma_f64 v[170:171], -v[172:173], v[34:35], v[170:171]
	s_waitcnt lgkmcnt(0)
	v_fma_f64 v[224:225], -v[172:173], v[32:33], v[224:225]
.LBB111_266:
	s_or_b64 exec, exec, s[2:3]
	v_cmp_eq_u32_e32 vcc, 53, v38
	s_waitcnt lgkmcnt(0)
	s_barrier
	s_and_saveexec_b64 s[2:3], vcc
	s_cbranch_execz .LBB111_269
; %bb.267:
	v_mov_b32_e32 v32, v170
	v_mov_b32_e32 v33, v171
	ds_write_b64 v36, v[116:117]
	ds_write2_b64 v37, v[32:33], v[224:225] offset0:54 offset1:55
	ds_read_b64 v[32:33], v36
	s_waitcnt lgkmcnt(0)
	v_cmp_neq_f64_e32 vcc, 0, v[32:33]
	s_and_b64 exec, exec, vcc
	s_cbranch_execz .LBB111_269
; %bb.268:
	v_div_scale_f64 v[34:35], s[6:7], v[32:33], v[32:33], 1.0
	v_rcp_f64_e32 v[40:41], v[34:35]
	v_pk_mov_b32 v[0:1], v[2:3], v[2:3] op_sel:[0,1]
	v_pk_mov_b32 v[2:3], v[44:45], v[44:45] op_sel:[0,1]
	v_div_scale_f64 v[42:43], vcc, 1.0, v[32:33], 1.0
	v_fma_f64 v[44:45], -v[34:35], v[40:41], 1.0
	v_fmac_f64_e32 v[40:41], v[40:41], v[44:45]
	v_fma_f64 v[44:45], -v[34:35], v[40:41], 1.0
	v_fmac_f64_e32 v[40:41], v[40:41], v[44:45]
	v_mul_f64 v[44:45], v[42:43], v[40:41]
	v_fma_f64 v[34:35], -v[34:35], v[44:45], v[42:43]
	v_div_fmas_f64 v[34:35], v[34:35], v[40:41], v[44:45]
	v_pk_mov_b32 v[44:45], v[2:3], v[2:3] op_sel:[0,1]
	v_pk_mov_b32 v[2:3], v[0:1], v[0:1] op_sel:[0,1]
	v_div_fixup_f64 v[32:33], v[34:35], v[32:33], 1.0
	ds_write_b64 v36, v[32:33]
.LBB111_269:
	s_or_b64 exec, exec, s[2:3]
	s_waitcnt lgkmcnt(0)
	s_barrier
	ds_read_b64 v[32:33], v36
	v_cmp_lt_u32_e32 vcc, 53, v38
	s_and_saveexec_b64 s[2:3], vcc
	s_cbranch_execz .LBB111_271
; %bb.270:
	ds_read2_b64 v[40:43], v37 offset0:54 offset1:55
	s_waitcnt lgkmcnt(1)
	v_mul_f64 v[116:117], v[32:33], v[116:117]
	s_waitcnt lgkmcnt(0)
	v_fma_f64 v[170:171], -v[116:117], v[40:41], v[170:171]
	v_fma_f64 v[224:225], -v[116:117], v[42:43], v[224:225]
.LBB111_271:
	s_or_b64 exec, exec, s[2:3]
	v_cmp_eq_u32_e32 vcc, 54, v38
	s_waitcnt lgkmcnt(0)
	s_barrier
	s_and_saveexec_b64 s[2:3], vcc
	s_cbranch_execz .LBB111_274
; %bb.272:
	ds_write_b64 v36, v[170:171]
	ds_write_b64 v37, v[224:225] offset:440
	ds_read_b64 v[34:35], v36
	s_waitcnt lgkmcnt(0)
	v_cmp_neq_f64_e32 vcc, 0, v[34:35]
	s_and_b64 exec, exec, vcc
	s_cbranch_execz .LBB111_274
; %bb.273:
	v_div_scale_f64 v[40:41], s[6:7], v[34:35], v[34:35], 1.0
	v_rcp_f64_e32 v[42:43], v[40:41]
	buffer_store_dword v36, off, s[16:19], 0 offset:360 ; 4-byte Folded Spill
	v_mov_b32_e32 v36, v38
	v_pk_mov_b32 v[38:39], v[150:151], v[150:151] op_sel:[0,1]
	v_pk_mov_b32 v[150:151], v[206:207], v[206:207] op_sel:[0,1]
	;; [unrolled: 1-line block ×74, first 2 shown]
	v_fma_f64 v[46:47], -v[40:41], v[42:43], 1.0
	v_fmac_f64_e32 v[42:43], v[42:43], v[46:47]
	v_fma_f64 v[46:47], -v[40:41], v[42:43], 1.0
	v_pk_mov_b32 v[0:1], v[238:239], v[238:239] op_sel:[0,1]
	v_pk_mov_b32 v[238:239], v[236:237], v[236:237] op_sel:[0,1]
	v_pk_mov_b32 v[236:237], v[234:235], v[234:235] op_sel:[0,1]
	v_pk_mov_b32 v[234:235], v[232:233], v[232:233] op_sel:[0,1]
	v_pk_mov_b32 v[232:233], v[230:231], v[230:231] op_sel:[0,1]
	v_pk_mov_b32 v[230:231], v[44:45], v[44:45] op_sel:[0,1]
	v_div_scale_f64 v[44:45], vcc, 1.0, v[34:35], 1.0
	v_fmac_f64_e32 v[42:43], v[42:43], v[46:47]
	v_mul_f64 v[46:47], v[44:45], v[42:43]
	v_fma_f64 v[40:41], -v[40:41], v[46:47], v[44:45]
	s_nop 0
	v_div_fmas_f64 v[40:41], v[40:41], v[42:43], v[46:47]
	v_pk_mov_b32 v[46:47], v[50:51], v[50:51] op_sel:[0,1]
	v_pk_mov_b32 v[50:51], v[52:53], v[52:53] op_sel:[0,1]
	v_pk_mov_b32 v[52:53], v[54:55], v[54:55] op_sel:[0,1]
	v_pk_mov_b32 v[54:55], v[56:57], v[56:57] op_sel:[0,1]
	v_pk_mov_b32 v[56:57], v[58:59], v[58:59] op_sel:[0,1]
	v_pk_mov_b32 v[58:59], v[60:61], v[60:61] op_sel:[0,1]
	v_pk_mov_b32 v[60:61], v[62:63], v[62:63] op_sel:[0,1]
	v_pk_mov_b32 v[62:63], v[64:65], v[64:65] op_sel:[0,1]
	v_pk_mov_b32 v[64:65], v[66:67], v[66:67] op_sel:[0,1]
	v_pk_mov_b32 v[66:67], v[68:69], v[68:69] op_sel:[0,1]
	v_pk_mov_b32 v[68:69], v[70:71], v[70:71] op_sel:[0,1]
	v_pk_mov_b32 v[70:71], v[72:73], v[72:73] op_sel:[0,1]
	v_pk_mov_b32 v[72:73], v[74:75], v[74:75] op_sel:[0,1]
	v_pk_mov_b32 v[74:75], v[76:77], v[76:77] op_sel:[0,1]
	v_pk_mov_b32 v[76:77], v[78:79], v[78:79] op_sel:[0,1]
	v_pk_mov_b32 v[78:79], v[80:81], v[80:81] op_sel:[0,1]
	v_pk_mov_b32 v[80:81], v[82:83], v[82:83] op_sel:[0,1]
	v_pk_mov_b32 v[82:83], v[84:85], v[84:85] op_sel:[0,1]
	v_pk_mov_b32 v[84:85], v[86:87], v[86:87] op_sel:[0,1]
	v_pk_mov_b32 v[86:87], v[88:89], v[88:89] op_sel:[0,1]
	v_pk_mov_b32 v[88:89], v[90:91], v[90:91] op_sel:[0,1]
	v_pk_mov_b32 v[90:91], v[92:93], v[92:93] op_sel:[0,1]
	v_pk_mov_b32 v[92:93], v[94:95], v[94:95] op_sel:[0,1]
	v_pk_mov_b32 v[94:95], v[96:97], v[96:97] op_sel:[0,1]
	v_pk_mov_b32 v[96:97], v[98:99], v[98:99] op_sel:[0,1]
	v_pk_mov_b32 v[98:99], v[100:101], v[100:101] op_sel:[0,1]
	v_pk_mov_b32 v[100:101], v[102:103], v[102:103] op_sel:[0,1]
	v_pk_mov_b32 v[102:103], v[104:105], v[104:105] op_sel:[0,1]
	v_pk_mov_b32 v[104:105], v[106:107], v[106:107] op_sel:[0,1]
	v_pk_mov_b32 v[106:107], v[108:109], v[108:109] op_sel:[0,1]
	v_pk_mov_b32 v[108:109], v[240:241], v[240:241] op_sel:[0,1]
	v_pk_mov_b32 v[240:241], v[112:113], v[112:113] op_sel:[0,1]
	v_pk_mov_b32 v[112:113], v[242:243], v[242:243] op_sel:[0,1]
	v_pk_mov_b32 v[242:243], v[244:245], v[244:245] op_sel:[0,1]
	v_pk_mov_b32 v[244:245], v[246:247], v[246:247] op_sel:[0,1]
	v_pk_mov_b32 v[246:247], v[248:249], v[248:249] op_sel:[0,1]
	v_pk_mov_b32 v[248:249], v[250:251], v[250:251] op_sel:[0,1]
	v_pk_mov_b32 v[250:251], v[110:111], v[110:111] op_sel:[0,1]
	v_pk_mov_b32 v[110:111], v[252:253], v[252:253] op_sel:[0,1]
	v_pk_mov_b32 v[252:253], v[254:255], v[254:255] op_sel:[0,1]
	v_pk_mov_b32 v[254:255], v[226:227], v[226:227] op_sel:[0,1]
	v_pk_mov_b32 v[226:227], v[228:229], v[228:229] op_sel:[0,1]
	v_pk_mov_b32 v[228:229], v[2:3], v[2:3] op_sel:[0,1]
	v_pk_mov_b32 v[2:3], v[4:5], v[4:5] op_sel:[0,1]
	v_pk_mov_b32 v[4:5], v[6:7], v[6:7] op_sel:[0,1]
	v_pk_mov_b32 v[6:7], v[8:9], v[8:9] op_sel:[0,1]
	v_pk_mov_b32 v[8:9], v[10:11], v[10:11] op_sel:[0,1]
	v_pk_mov_b32 v[10:11], v[12:13], v[12:13] op_sel:[0,1]
	v_pk_mov_b32 v[12:13], v[14:15], v[14:15] op_sel:[0,1]
	v_pk_mov_b32 v[14:15], v[114:115], v[114:115] op_sel:[0,1]
	v_pk_mov_b32 v[114:115], v[168:169], v[168:169] op_sel:[0,1]
	v_pk_mov_b32 v[168:169], v[222:223], v[222:223] op_sel:[0,1]
	v_pk_mov_b32 v[222:223], v[16:17], v[16:17] op_sel:[0,1]
	v_pk_mov_b32 v[16:17], v[166:167], v[166:167] op_sel:[0,1]
	v_pk_mov_b32 v[166:167], v[220:221], v[220:221] op_sel:[0,1]
	v_pk_mov_b32 v[220:221], v[164:165], v[164:165] op_sel:[0,1]
	v_pk_mov_b32 v[164:165], v[218:219], v[218:219] op_sel:[0,1]
	v_pk_mov_b32 v[218:219], v[18:19], v[18:19] op_sel:[0,1]
	v_pk_mov_b32 v[18:19], v[162:163], v[162:163] op_sel:[0,1]
	v_pk_mov_b32 v[162:163], v[216:217], v[216:217] op_sel:[0,1]
	v_pk_mov_b32 v[216:217], v[160:161], v[160:161] op_sel:[0,1]
	v_pk_mov_b32 v[160:161], v[214:215], v[214:215] op_sel:[0,1]
	v_pk_mov_b32 v[214:215], v[158:159], v[158:159] op_sel:[0,1]
	v_pk_mov_b32 v[158:159], v[20:21], v[20:21] op_sel:[0,1]
	v_pk_mov_b32 v[20:21], v[212:213], v[212:213] op_sel:[0,1]
	v_pk_mov_b32 v[212:213], v[156:157], v[156:157] op_sel:[0,1]
	v_pk_mov_b32 v[156:157], v[210:211], v[210:211] op_sel:[0,1]
	v_pk_mov_b32 v[210:211], v[154:155], v[154:155] op_sel:[0,1]
	v_pk_mov_b32 v[154:155], v[208:209], v[208:209] op_sel:[0,1]
	v_pk_mov_b32 v[208:209], v[152:153], v[152:153] op_sel:[0,1]
	v_pk_mov_b32 v[152:153], v[22:23], v[22:23] op_sel:[0,1]
	v_pk_mov_b32 v[22:23], v[206:207], v[206:207] op_sel:[0,1]
	v_pk_mov_b32 v[206:207], v[150:151], v[150:151] op_sel:[0,1]
	v_pk_mov_b32 v[150:151], v[38:39], v[38:39] op_sel:[0,1]
	v_mov_b32_e32 v38, v36
	buffer_load_dword v36, off, s[16:19], 0 offset:360 ; 4-byte Folded Reload
	v_pk_mov_b32 v[44:45], v[230:231], v[230:231] op_sel:[0,1]
	v_pk_mov_b32 v[230:231], v[232:233], v[232:233] op_sel:[0,1]
	;; [unrolled: 1-line block ×6, first 2 shown]
	v_div_fixup_f64 v[34:35], v[40:41], v[34:35], 1.0
	s_waitcnt vmcnt(0)
	ds_write_b64 v36, v[34:35]
.LBB111_274:
	s_or_b64 exec, exec, s[2:3]
	s_waitcnt lgkmcnt(0)
	s_barrier
	ds_read_b64 v[34:35], v36
	v_cmp_lt_u32_e32 vcc, 54, v38
	s_and_saveexec_b64 s[2:3], vcc
	s_cbranch_execz .LBB111_276
; %bb.275:
	ds_read_b64 v[40:41], v37 offset:440
	s_waitcnt lgkmcnt(1)
	v_mul_f64 v[170:171], v[34:35], v[170:171]
	s_waitcnt lgkmcnt(0)
	v_fma_f64 v[224:225], -v[170:171], v[40:41], v[224:225]
.LBB111_276:
	s_or_b64 exec, exec, s[2:3]
	v_cmp_eq_u32_e32 vcc, 55, v38
	s_waitcnt lgkmcnt(0)
	s_barrier
	s_and_saveexec_b64 s[2:3], vcc
	s_cbranch_execz .LBB111_279
; %bb.277:
	v_cmp_neq_f64_e32 vcc, 0, v[224:225]
	ds_write_b64 v36, v[224:225]
	s_and_b64 exec, exec, vcc
	s_cbranch_execz .LBB111_279
; %bb.278:
	v_div_scale_f64 v[40:41], s[6:7], v[224:225], v[224:225], 1.0
	v_rcp_f64_e32 v[42:43], v[40:41]
	v_mov_b32_e32 v37, v38
	v_pk_mov_b32 v[38:39], v[150:151], v[150:151] op_sel:[0,1]
	v_pk_mov_b32 v[150:151], v[206:207], v[206:207] op_sel:[0,1]
	;; [unrolled: 1-line block ×75, first 2 shown]
	v_fma_f64 v[46:47], -v[40:41], v[42:43], 1.0
	v_fmac_f64_e32 v[42:43], v[42:43], v[46:47]
	v_fma_f64 v[46:47], -v[40:41], v[42:43], 1.0
	v_pk_mov_b32 v[0:1], v[238:239], v[238:239] op_sel:[0,1]
	v_pk_mov_b32 v[238:239], v[236:237], v[236:237] op_sel:[0,1]
	;; [unrolled: 1-line block ×6, first 2 shown]
	v_div_scale_f64 v[44:45], vcc, 1.0, v[224:225], 1.0
	v_fmac_f64_e32 v[42:43], v[42:43], v[46:47]
	v_mul_f64 v[46:47], v[44:45], v[42:43]
	v_fma_f64 v[40:41], -v[40:41], v[46:47], v[44:45]
	s_nop 0
	v_div_fmas_f64 v[40:41], v[40:41], v[42:43], v[46:47]
	v_pk_mov_b32 v[44:45], v[230:231], v[230:231] op_sel:[0,1]
	v_pk_mov_b32 v[230:231], v[232:233], v[232:233] op_sel:[0,1]
	;; [unrolled: 1-line block ×81, first 2 shown]
	v_mov_b32_e32 v38, v37
	v_div_fixup_f64 v[40:41], v[40:41], v[224:225], 1.0
	ds_write_b64 v36, v[40:41]
.LBB111_279:
	s_or_b64 exec, exec, s[2:3]
	s_waitcnt lgkmcnt(0)
	s_barrier
	ds_read_b64 v[36:37], v36
	s_waitcnt lgkmcnt(0)
	s_barrier
	s_and_saveexec_b64 s[2:3], s[0:1]
	s_cbranch_execz .LBB111_282
; %bb.280:
	buffer_load_dword v0, off, s[16:19], 0 offset:56 ; 4-byte Folded Reload
	buffer_load_dword v1, off, s[16:19], 0 offset:60 ; 4-byte Folded Reload
	s_load_dwordx2 s[4:5], s[4:5], 0x28
	s_waitcnt lgkmcnt(0)
	v_mov_b32_e32 v40, s5
	s_waitcnt vmcnt(0)
	v_cmp_eq_f64_e32 vcc, 0, v[0:1]
	buffer_load_dword v0, off, s[16:19], 0 offset:64 ; 4-byte Folded Reload
	buffer_load_dword v1, off, s[16:19], 0 offset:68 ; 4-byte Folded Reload
	v_cndmask_b32_e64 v39, 0, 1, vcc
	s_waitcnt vmcnt(0)
	v_cmp_neq_f64_e64 s[0:1], 0, v[0:1]
	buffer_load_dword v0, off, s[16:19], 0 offset:72 ; 4-byte Folded Reload
	buffer_load_dword v1, off, s[16:19], 0 offset:76 ; 4-byte Folded Reload
	s_or_b64 vcc, s[0:1], vcc
	v_cndmask_b32_e32 v39, 2, v39, vcc
	v_cmp_eq_u32_e64 s[0:1], 0, v39
	s_waitcnt vmcnt(0)
	v_cmp_eq_f64_e32 vcc, 0, v[0:1]
	buffer_load_dword v0, off, s[16:19], 0 offset:80 ; 4-byte Folded Reload
	buffer_load_dword v1, off, s[16:19], 0 offset:84 ; 4-byte Folded Reload
	s_and_b64 s[0:1], vcc, s[0:1]
	v_cndmask_b32_e64 v39, v39, 3, s[0:1]
	v_cmp_eq_u32_e64 s[0:1], 0, v39
	s_waitcnt vmcnt(0)
	v_cmp_eq_f64_e32 vcc, 0, v[0:1]
	buffer_load_dword v0, off, s[16:19], 0 offset:88 ; 4-byte Folded Reload
	buffer_load_dword v1, off, s[16:19], 0 offset:92 ; 4-byte Folded Reload
	s_and_b64 s[0:1], vcc, s[0:1]
	v_cndmask_b32_e64 v39, v39, 4, s[0:1]
	;; [unrolled: 7-line block ×30, first 2 shown]
	v_cmp_eq_f64_e32 vcc, 0, v[2:3]
	v_cmp_eq_u32_e64 s[0:1], 0, v39
	s_and_b64 s[0:1], vcc, s[0:1]
	v_cndmask_b32_e64 v2, v39, 33, s[0:1]
	v_cmp_eq_u32_e64 s[0:1], 0, v2
	s_waitcnt vmcnt(0)
	v_cmp_eq_f64_e32 vcc, 0, v[0:1]
	buffer_load_dword v0, off, s[16:19], 0 offset:312 ; 4-byte Folded Reload
	buffer_load_dword v1, off, s[16:19], 0 offset:316 ; 4-byte Folded Reload
	s_and_b64 s[0:1], vcc, s[0:1]
	v_cndmask_b32_e64 v2, v2, 34, s[0:1]
	v_cmp_eq_u32_e64 s[0:1], 0, v2
	s_waitcnt vmcnt(0)
	v_cmp_eq_f64_e32 vcc, 0, v[0:1]
	buffer_load_dword v0, off, s[16:19], 0 offset:344 ; 4-byte Folded Reload
	buffer_load_dword v1, off, s[16:19], 0 offset:348 ; 4-byte Folded Reload
	;; [unrolled: 7-line block ×3, first 2 shown]
	s_and_b64 s[0:1], vcc, s[0:1]
	v_cndmask_b32_e64 v39, v2, 36, s[0:1]
	v_lshlrev_b64 v[2:3], 2, v[46:47]
	v_add_co_u32_e64 v2, s[0:1], s4, v2
	v_addc_co_u32_e64 v3, s[0:1], v40, v3, s[0:1]
	global_load_dword v40, v[2:3], off
	v_cmp_eq_u32_e64 s[0:1], 0, v39
	s_waitcnt vmcnt(1)
	v_cmp_eq_f64_e32 vcc, 0, v[0:1]
	buffer_load_dword v0, off, s[16:19], 0 offset:352 ; 4-byte Folded Reload
	buffer_load_dword v1, off, s[16:19], 0 offset:356 ; 4-byte Folded Reload
	s_and_b64 s[0:1], vcc, s[0:1]
	v_cndmask_b32_e64 v39, v39, 37, s[0:1]
	v_cmp_eq_u32_e64 s[0:1], 0, v39
	s_waitcnt vmcnt(0)
	v_cmp_eq_f64_e32 vcc, 0, v[0:1]
	buffer_load_dword v0, off, s[16:19], 0 offset:328 ; 4-byte Folded Reload
	buffer_load_dword v1, off, s[16:19], 0 offset:332 ; 4-byte Folded Reload
	s_and_b64 s[0:1], vcc, s[0:1]
	v_cndmask_b32_e64 v39, v39, 38, s[0:1]
	v_cmp_eq_u32_e64 s[0:1], 0, v39
	s_waitcnt vmcnt(0)
	v_cmp_eq_f64_e32 vcc, 0, v[0:1]
	s_and_b64 s[0:1], vcc, s[0:1]
	v_cndmask_b32_e64 v0, v39, 39, s[0:1]
	v_cmp_eq_f64_e32 vcc, 0, v[4:5]
	v_cmp_eq_u32_e64 s[0:1], 0, v0
	s_and_b64 s[0:1], vcc, s[0:1]
	v_cndmask_b32_e64 v0, v0, 40, s[0:1]
	v_cmp_eq_f64_e32 vcc, 0, v[6:7]
	v_cmp_eq_u32_e64 s[0:1], 0, v0
	;; [unrolled: 4-line block ×17, first 2 shown]
	s_and_b64 s[0:1], vcc, s[0:1]
	v_cndmask_b32_e64 v0, v0, 56, s[0:1]
	v_cmp_eq_u32_e32 vcc, 0, v40
	v_cmp_ne_u32_e64 s[0:1], 0, v0
	s_and_b64 s[0:1], vcc, s[0:1]
	s_and_b64 exec, exec, s[0:1]
	s_cbranch_execz .LBB111_282
; %bb.281:
	v_add_u32_e32 v0, s9, v0
	global_store_dword v[2:3], v0, off
.LBB111_282:
	s_or_b64 exec, exec, s[2:3]
	buffer_load_dword v2, off, s[16:19], 0 offset:40 ; 4-byte Folded Reload
	buffer_load_dword v3, off, s[16:19], 0 offset:44 ; 4-byte Folded Reload
	v_mul_f64 v[0:1], v[36:37], v[224:225]
	v_cmp_lt_u32_e32 vcc, 55, v38
	v_cndmask_b32_e32 v1, v225, v1, vcc
	v_cndmask_b32_e32 v0, v224, v0, vcc
	s_waitcnt vmcnt(0)
	global_store_dwordx2 v[2:3], v[114:115], off
	buffer_load_dword v2, off, s[16:19], 0 offset:48 ; 4-byte Folded Reload
	s_nop 0
	buffer_load_dword v3, off, s[16:19], 0 offset:52 ; 4-byte Folded Reload
	s_waitcnt vmcnt(0)
	global_store_dwordx2 v[2:3], v[168:169], off
	global_store_dwordx2 v[48:49], v[222:223], off
	;; [unrolled: 1-line block ×50, first 2 shown]
	buffer_load_dword v2, off, s[16:19], 0  ; 4-byte Folded Reload
	buffer_load_dword v3, off, s[16:19], 0 offset:4 ; 4-byte Folded Reload
	s_waitcnt vmcnt(0)
	global_store_dwordx2 v[2:3], v[118:119], off
	buffer_load_dword v2, off, s[16:19], 0 offset:8 ; 4-byte Folded Reload
	s_nop 0
	buffer_load_dword v3, off, s[16:19], 0 offset:12 ; 4-byte Folded Reload
	s_waitcnt vmcnt(0)
	global_store_dwordx2 v[2:3], v[172:173], off
	buffer_load_dword v2, off, s[16:19], 0 offset:16 ; 4-byte Folded Reload
	s_nop 0
	;; [unrolled: 5-line block ×4, first 2 shown]
	buffer_load_dword v3, off, s[16:19], 0 offset:36 ; 4-byte Folded Reload
	s_waitcnt vmcnt(0)
	global_store_dwordx2 v[2:3], v[0:1], off
.LBB111_283:
	s_endpgm
	.section	.rodata,"a",@progbits
	.p2align	6, 0x0
	.amdhsa_kernel _ZN9rocsolver6v33100L23getf2_npvt_small_kernelILi56EdiiPKPdEEvT1_T3_lS5_lPT2_S5_S5_
		.amdhsa_group_segment_fixed_size 0
		.amdhsa_private_segment_fixed_size 368
		.amdhsa_kernarg_size 312
		.amdhsa_user_sgpr_count 6
		.amdhsa_user_sgpr_private_segment_buffer 1
		.amdhsa_user_sgpr_dispatch_ptr 0
		.amdhsa_user_sgpr_queue_ptr 0
		.amdhsa_user_sgpr_kernarg_segment_ptr 1
		.amdhsa_user_sgpr_dispatch_id 0
		.amdhsa_user_sgpr_flat_scratch_init 0
		.amdhsa_user_sgpr_kernarg_preload_length 0
		.amdhsa_user_sgpr_kernarg_preload_offset 0
		.amdhsa_user_sgpr_private_segment_size 0
		.amdhsa_uses_dynamic_stack 0
		.amdhsa_system_sgpr_private_segment_wavefront_offset 1
		.amdhsa_system_sgpr_workgroup_id_x 1
		.amdhsa_system_sgpr_workgroup_id_y 1
		.amdhsa_system_sgpr_workgroup_id_z 0
		.amdhsa_system_sgpr_workgroup_info 0
		.amdhsa_system_vgpr_workitem_id 1
		.amdhsa_next_free_vgpr 256
		.amdhsa_next_free_sgpr 20
		.amdhsa_accum_offset 256
		.amdhsa_reserve_vcc 1
		.amdhsa_reserve_flat_scratch 0
		.amdhsa_float_round_mode_32 0
		.amdhsa_float_round_mode_16_64 0
		.amdhsa_float_denorm_mode_32 3
		.amdhsa_float_denorm_mode_16_64 3
		.amdhsa_dx10_clamp 1
		.amdhsa_ieee_mode 1
		.amdhsa_fp16_overflow 0
		.amdhsa_tg_split 0
		.amdhsa_exception_fp_ieee_invalid_op 0
		.amdhsa_exception_fp_denorm_src 0
		.amdhsa_exception_fp_ieee_div_zero 0
		.amdhsa_exception_fp_ieee_overflow 0
		.amdhsa_exception_fp_ieee_underflow 0
		.amdhsa_exception_fp_ieee_inexact 0
		.amdhsa_exception_int_div_zero 0
	.end_amdhsa_kernel
	.section	.text._ZN9rocsolver6v33100L23getf2_npvt_small_kernelILi56EdiiPKPdEEvT1_T3_lS5_lPT2_S5_S5_,"axG",@progbits,_ZN9rocsolver6v33100L23getf2_npvt_small_kernelILi56EdiiPKPdEEvT1_T3_lS5_lPT2_S5_S5_,comdat
.Lfunc_end111:
	.size	_ZN9rocsolver6v33100L23getf2_npvt_small_kernelILi56EdiiPKPdEEvT1_T3_lS5_lPT2_S5_S5_, .Lfunc_end111-_ZN9rocsolver6v33100L23getf2_npvt_small_kernelILi56EdiiPKPdEEvT1_T3_lS5_lPT2_S5_S5_
                                        ; -- End function
	.section	.AMDGPU.csdata,"",@progbits
; Kernel info:
; codeLenInByte = 55404
; NumSgprs: 24
; NumVgprs: 256
; NumAgprs: 0
; TotalNumVgprs: 256
; ScratchSize: 368
; MemoryBound: 0
; FloatMode: 240
; IeeeMode: 1
; LDSByteSize: 0 bytes/workgroup (compile time only)
; SGPRBlocks: 2
; VGPRBlocks: 31
; NumSGPRsForWavesPerEU: 24
; NumVGPRsForWavesPerEU: 256
; AccumOffset: 256
; Occupancy: 2
; WaveLimiterHint : 1
; COMPUTE_PGM_RSRC2:SCRATCH_EN: 1
; COMPUTE_PGM_RSRC2:USER_SGPR: 6
; COMPUTE_PGM_RSRC2:TRAP_HANDLER: 0
; COMPUTE_PGM_RSRC2:TGID_X_EN: 1
; COMPUTE_PGM_RSRC2:TGID_Y_EN: 1
; COMPUTE_PGM_RSRC2:TGID_Z_EN: 0
; COMPUTE_PGM_RSRC2:TIDIG_COMP_CNT: 1
; COMPUTE_PGM_RSRC3_GFX90A:ACCUM_OFFSET: 63
; COMPUTE_PGM_RSRC3_GFX90A:TG_SPLIT: 0
	.section	.text._ZN9rocsolver6v33100L18getf2_small_kernelILi57EdiiPKPdEEvT1_T3_lS5_lPS5_llPT2_S5_S5_S7_l,"axG",@progbits,_ZN9rocsolver6v33100L18getf2_small_kernelILi57EdiiPKPdEEvT1_T3_lS5_lPS5_llPT2_S5_S5_S7_l,comdat
	.globl	_ZN9rocsolver6v33100L18getf2_small_kernelILi57EdiiPKPdEEvT1_T3_lS5_lPS5_llPT2_S5_S5_S7_l ; -- Begin function _ZN9rocsolver6v33100L18getf2_small_kernelILi57EdiiPKPdEEvT1_T3_lS5_lPS5_llPT2_S5_S5_S7_l
	.p2align	8
	.type	_ZN9rocsolver6v33100L18getf2_small_kernelILi57EdiiPKPdEEvT1_T3_lS5_lPS5_llPT2_S5_S5_S7_l,@function
_ZN9rocsolver6v33100L18getf2_small_kernelILi57EdiiPKPdEEvT1_T3_lS5_lPS5_llPT2_S5_S5_S7_l: ; @_ZN9rocsolver6v33100L18getf2_small_kernelILi57EdiiPKPdEEvT1_T3_lS5_lPS5_llPT2_S5_S5_S7_l
; %bb.0:
	s_load_dword s0, s[4:5], 0x6c
	s_load_dwordx2 s[12:13], s[4:5], 0x48
	v_bfe_u32 v118, v0, 10, 10
	s_waitcnt lgkmcnt(0)
	s_lshr_b32 s0, s0, 16
	s_mul_i32 s7, s7, s0
	v_add_u32_e32 v2, s7, v118
	v_cmp_gt_i32_e32 vcc, s12, v2
	s_and_saveexec_b64 s[0:1], vcc
	s_cbranch_execz .LBB112_966
; %bb.1:
	s_load_dwordx4 s[0:3], s[4:5], 0x8
	s_load_dwordx4 s[8:11], s[4:5], 0x50
	v_ashrrev_i32_e32 v3, 31, v2
	v_lshlrev_b64 v[4:5], 3, v[2:3]
	s_waitcnt lgkmcnt(0)
	v_mov_b32_e32 v1, s1
	v_add_co_u32_e32 v4, vcc, s0, v4
	v_addc_co_u32_e32 v5, vcc, v1, v5, vcc
	global_load_dwordx2 v[6:7], v[4:5], off
	s_cmp_eq_u64 s[8:9], 0
	s_cselect_b64 s[6:7], -1, 0
	s_and_b64 vcc, exec, s[6:7]
	v_pk_mov_b32 v[4:5], 0, 0
	s_cbranch_vccnz .LBB112_3
; %bb.2:
	v_mul_lo_u32 v1, v3, s10
	v_mul_lo_u32 v8, v2, s11
	v_mad_u64_u32 v[4:5], s[0:1], v2, s10, 0
	v_add3_u32 v5, v5, v8, v1
	v_lshlrev_b64 v[4:5], 2, v[4:5]
	v_mov_b32_e32 v1, s9
	v_add_co_u32_e32 v4, vcc, s8, v4
	v_addc_co_u32_e32 v5, vcc, v1, v5, vcc
.LBB112_3:
	s_load_dword s8, s[4:5], 0x18
	s_load_dword s18, s[4:5], 0x0
	s_lshl_b64 s[0:1], s[2:3], 3
	v_and_b32_e32 v126, 0x3ff, v0
	v_mov_b32_e32 v1, s1
	s_waitcnt lgkmcnt(0)
	s_add_i32 s12, s8, s8
	s_waitcnt vmcnt(0)
	v_add_co_u32_e32 v124, vcc, s0, v6
	v_add_u32_e32 v6, s12, v126
	v_addc_co_u32_e32 v125, vcc, v7, v1, vcc
	v_ashrrev_i32_e32 v7, 31, v6
	v_lshlrev_b64 v[0:1], 3, v[6:7]
	v_add_u32_e32 v6, s8, v6
	v_add_co_u32_e32 v0, vcc, v124, v0
	v_ashrrev_i32_e32 v7, 31, v6
	v_addc_co_u32_e32 v1, vcc, v125, v1, vcc
	v_lshlrev_b64 v[8:9], 3, v[6:7]
	v_add_u32_e32 v10, s8, v6
	v_add_co_u32_e32 v8, vcc, v124, v8
	v_ashrrev_i32_e32 v11, 31, v10
	v_addc_co_u32_e32 v9, vcc, v125, v9, vcc
	;; [unrolled: 5-line block ×54, first 2 shown]
	v_lshlrev_b64 v[30:31], 3, v[30:31]
	v_add_co_u32_e32 v178, vcc, v124, v30
	v_addc_co_u32_e32 v179, vcc, v125, v31, vcc
	v_lshlrev_b32_e32 v119, 3, v126
	v_add_co_u32_e32 v30, vcc, v124, v119
	s_ashr_i32 s9, s8, 31
	v_addc_co_u32_e32 v31, vcc, 0, v125, vcc
	s_lshl_b64 s[10:11], s[8:9], 3
	v_mov_b32_e32 v59, s11
	v_add_co_u32_e32 v58, vcc, s10, v30
	v_addc_co_u32_e32 v59, vcc, v31, v59, vcc
	s_max_i32 s0, s18, 57
	global_load_dwordx2 v[114:115], v[30:31], off
	global_load_dwordx2 v[112:113], v[58:59], off
                                        ; kill: killed $vgpr30 killed $vgpr31
                                        ; kill: killed $vgpr58 killed $vgpr59
	global_load_dwordx2 v[110:111], v[0:1], off
	global_load_dwordx2 v[108:109], v[8:9], off
                                        ; kill: killed $vgpr0 killed $vgpr1
                                        ; kill: killed $vgpr8 killed $vgpr9
	global_load_dwordx2 v[106:107], v[6:7], off
	global_load_dwordx2 v[104:105], v[10:11], off
                                        ; kill: killed $vgpr6 killed $vgpr7
                                        ; kill: killed $vgpr10 killed $vgpr11
	global_load_dwordx2 v[102:103], v[12:13], off
	global_load_dwordx2 v[100:101], v[14:15], off
                                        ; kill: killed $vgpr14 killed $vgpr15
                                        ; kill: killed $vgpr12 killed $vgpr13
	global_load_dwordx2 v[98:99], v[16:17], off
	global_load_dwordx2 v[96:97], v[18:19], off
                                        ; kill: killed $vgpr18 killed $vgpr19
                                        ; kill: killed $vgpr16 killed $vgpr17
	global_load_dwordx2 v[94:95], v[20:21], off
	global_load_dwordx2 v[92:93], v[22:23], off
                                        ; kill: killed $vgpr22 killed $vgpr23
                                        ; kill: killed $vgpr20 killed $vgpr21
	global_load_dwordx2 v[90:91], v[24:25], off
	global_load_dwordx2 v[88:89], v[26:27], off
                                        ; kill: killed $vgpr26 killed $vgpr27
                                        ; kill: killed $vgpr24 killed $vgpr25
	global_load_dwordx2 v[86:87], v[28:29], off
	global_load_dwordx2 v[84:85], v[32:33], off
                                        ; kill: killed $vgpr32 killed $vgpr33
                                        ; kill: killed $vgpr28 killed $vgpr29
	global_load_dwordx2 v[82:83], v[34:35], off
	global_load_dwordx2 v[80:81], v[36:37], off
                                        ; kill: killed $vgpr36 killed $vgpr37
                                        ; kill: killed $vgpr34 killed $vgpr35
	global_load_dwordx2 v[78:79], v[38:39], off
	global_load_dwordx2 v[76:77], v[40:41], off
                                        ; kill: killed $vgpr40 killed $vgpr41
                                        ; kill: killed $vgpr38 killed $vgpr39
	global_load_dwordx2 v[74:75], v[42:43], off
	global_load_dwordx2 v[72:73], v[44:45], off
                                        ; kill: killed $vgpr44 killed $vgpr45
                                        ; kill: killed $vgpr42 killed $vgpr43
	global_load_dwordx2 v[70:71], v[46:47], off
	global_load_dwordx2 v[68:69], v[48:49], off
                                        ; kill: killed $vgpr48 killed $vgpr49
                                        ; kill: killed $vgpr46 killed $vgpr47
	global_load_dwordx2 v[66:67], v[50:51], off
	global_load_dwordx2 v[64:65], v[52:53], off
                                        ; kill: killed $vgpr50 killed $vgpr51
                                        ; kill: killed $vgpr52 killed $vgpr53
	global_load_dwordx2 v[62:63], v[54:55], off
	global_load_dwordx2 v[60:61], v[56:57], off
                                        ; kill: killed $vgpr54 killed $vgpr55
                                        ; kill: killed $vgpr56 killed $vgpr57
	global_load_dwordx2 v[58:59], v[116:117], off
	s_nop 0
	global_load_dwordx2 v[56:57], v[120:121], off
                                        ; kill: killed $vgpr116 killed $vgpr117
                                        ; kill: killed $vgpr120 killed $vgpr121
	global_load_dwordx2 v[54:55], v[122:123], off
	global_load_dwordx2 v[52:53], v[128:129], off
                                        ; kill: killed $vgpr122 killed $vgpr123
                                        ; kill: killed $vgpr128 killed $vgpr129
	global_load_dwordx2 v[50:51], v[130:131], off
	global_load_dwordx2 v[48:49], v[132:133], off
                                        ; kill: killed $vgpr130 killed $vgpr131
                                        ; kill: killed $vgpr132 killed $vgpr133
	global_load_dwordx2 v[46:47], v[134:135], off
	global_load_dwordx2 v[44:45], v[136:137], off
                                        ; kill: killed $vgpr134 killed $vgpr135
                                        ; kill: killed $vgpr136 killed $vgpr137
	global_load_dwordx2 v[42:43], v[138:139], off
	global_load_dwordx2 v[40:41], v[140:141], off
                                        ; kill: killed $vgpr138 killed $vgpr139
                                        ; kill: killed $vgpr140 killed $vgpr141
	global_load_dwordx2 v[38:39], v[142:143], off
	global_load_dwordx2 v[36:37], v[144:145], off
                                        ; kill: killed $vgpr144 killed $vgpr145
                                        ; kill: killed $vgpr142 killed $vgpr143
	global_load_dwordx2 v[34:35], v[146:147], off
	global_load_dwordx2 v[32:33], v[148:149], off
                                        ; kill: killed $vgpr148 killed $vgpr149
                                        ; kill: killed $vgpr146 killed $vgpr147
	global_load_dwordx2 v[30:31], v[150:151], off
	global_load_dwordx2 v[28:29], v[152:153], off
                                        ; kill: killed $vgpr152 killed $vgpr153
                                        ; kill: killed $vgpr150 killed $vgpr151
	global_load_dwordx2 v[26:27], v[154:155], off
	global_load_dwordx2 v[24:25], v[156:157], off
                                        ; kill: killed $vgpr156 killed $vgpr157
                                        ; kill: killed $vgpr154 killed $vgpr155
	global_load_dwordx2 v[22:23], v[158:159], off
	global_load_dwordx2 v[20:21], v[160:161], off
                                        ; kill: killed $vgpr160 killed $vgpr161
                                        ; kill: killed $vgpr158 killed $vgpr159
	global_load_dwordx2 v[18:19], v[162:163], off
	global_load_dwordx2 v[16:17], v[164:165], off
                                        ; kill: killed $vgpr164 killed $vgpr165
                                        ; kill: killed $vgpr162 killed $vgpr163
	global_load_dwordx2 v[14:15], v[166:167], off
	global_load_dwordx2 v[12:13], v[168:169], off
                                        ; kill: killed $vgpr168 killed $vgpr169
                                        ; kill: killed $vgpr166 killed $vgpr167
	global_load_dwordx2 v[10:11], v[170:171], off
	global_load_dwordx2 v[8:9], v[172:173], off
                                        ; kill: killed $vgpr172 killed $vgpr173
                                        ; kill: killed $vgpr170 killed $vgpr171
	global_load_dwordx2 v[6:7], v[174:175], off
	global_load_dwordx2 v[0:1], v[176:177], off
                                        ; kill: killed $vgpr176 killed $vgpr177
                                        ; kill: killed $vgpr174 killed $vgpr175
	global_load_dwordx2 v[116:117], v[178:179], off
	v_mul_lo_u32 v120, s0, v118
	v_lshl_add_u32 v122, v120, 3, 0
	v_add_u32_e32 v118, v122, v119
	s_waitcnt vmcnt(56)
	ds_write_b64 v118, v[114:115]
	s_waitcnt lgkmcnt(0)
	s_barrier
	ds_read_b64 v[118:119], v122
	s_cmp_lt_i32 s18, 2
	v_lshlrev_b32_e32 v127, 3, v120
	v_mov_b32_e32 v120, 0
	s_cbranch_scc1 .LBB112_6
; %bb.4:
	v_add3_u32 v121, v127, 0, 8
	s_mov_b32 s0, 1
	v_mov_b32_e32 v120, 0
.LBB112_5:                              ; =>This Inner Loop Header: Depth=1
	ds_read_b64 v[128:129], v121
	v_mov_b32_e32 v123, s0
	s_add_i32 s0, s0, 1
	v_add_u32_e32 v121, 8, v121
	s_cmp_eq_u32 s18, s0
	s_waitcnt lgkmcnt(0)
	v_cmp_lt_f64_e64 vcc, |v[118:119]|, |v[128:129]|
	v_cndmask_b32_e32 v119, v119, v129, vcc
	v_cndmask_b32_e32 v118, v118, v128, vcc
	;; [unrolled: 1-line block ×3, first 2 shown]
	s_cbranch_scc0 .LBB112_5
.LBB112_6:
	v_cmp_ne_u32_e32 vcc, v126, v120
                                        ; implicit-def: $vgpr123
	s_and_saveexec_b64 s[0:1], vcc
	s_xor_b64 s[0:1], exec, s[0:1]
	s_cbranch_execz .LBB112_12
; %bb.7:
	v_cmp_eq_u32_e32 vcc, 0, v126
	s_and_saveexec_b64 s[2:3], vcc
	s_cbranch_execz .LBB112_11
; %bb.8:
	v_cmp_ne_u32_e32 vcc, 0, v120
	s_xor_b64 s[14:15], s[6:7], -1
	s_and_b64 s[16:17], s[14:15], vcc
	s_and_saveexec_b64 s[14:15], s[16:17]
	s_cbranch_execz .LBB112_10
; %bb.9:
	v_ashrrev_i32_e32 v121, 31, v120
	v_lshlrev_b64 v[128:129], 2, v[120:121]
	v_add_co_u32_e32 v128, vcc, v4, v128
	v_addc_co_u32_e32 v129, vcc, v5, v129, vcc
	flat_load_dword v121, v[128:129]
	flat_load_dword v123, v[4:5]
	s_waitcnt vmcnt(0) lgkmcnt(0)
	flat_store_dword v[4:5], v121
	flat_store_dword v[128:129], v123
.LBB112_10:
	s_or_b64 exec, exec, s[14:15]
	v_mov_b32_e32 v126, v120
.LBB112_11:
	s_or_b64 exec, exec, s[2:3]
	v_mov_b32_e32 v123, v126
                                        ; implicit-def: $vgpr126
.LBB112_12:
	s_or_saveexec_b64 s[0:1], s[0:1]
	v_mov_b32_e32 v121, v123
	s_xor_b64 exec, exec, s[0:1]
	s_cbranch_execz .LBB112_14
; %bb.13:
	v_mov_b32_e32 v123, 0
	v_mov_b32_e32 v121, v126
	s_waitcnt vmcnt(0)
	ds_write2_b64 v122, v[112:113], v[110:111] offset0:1 offset1:2
	ds_write2_b64 v122, v[108:109], v[106:107] offset0:3 offset1:4
	;; [unrolled: 1-line block ×28, first 2 shown]
.LBB112_14:
	s_or_b64 exec, exec, s[0:1]
	s_waitcnt lgkmcnt(0)
	v_cmp_eq_f64_e64 s[0:1], 0, v[118:119]
	v_cmp_lt_i32_e32 vcc, 0, v123
	s_barrier
	s_and_saveexec_b64 s[2:3], vcc
	s_cbranch_execz .LBB112_16
; %bb.15:
	v_div_scale_f64 v[128:129], s[14:15], v[118:119], v[118:119], 1.0
	v_rcp_f64_e32 v[130:131], v[128:129]
	v_div_scale_f64 v[132:133], vcc, 1.0, v[118:119], 1.0
	ds_read2_b64 v[136:139], v122 offset0:5 offset1:6
	v_fma_f64 v[134:135], -v[128:129], v[130:131], 1.0
	v_fmac_f64_e32 v[130:131], v[130:131], v[134:135]
	v_fma_f64 v[134:135], -v[128:129], v[130:131], 1.0
	v_fmac_f64_e32 v[130:131], v[130:131], v[134:135]
	v_mul_f64 v[134:135], v[132:133], v[130:131]
	v_fma_f64 v[128:129], -v[128:129], v[134:135], v[132:133]
	v_div_fmas_f64 v[128:129], v[128:129], v[130:131], v[134:135]
	v_div_fixup_f64 v[132:133], v[128:129], v[118:119], 1.0
	ds_read2_b64 v[128:131], v122 offset0:1 offset1:2
	v_cndmask_b32_e64 v119, v133, v119, s[0:1]
	v_cndmask_b32_e64 v118, v132, v118, s[0:1]
	ds_read2_b64 v[132:135], v122 offset0:3 offset1:4
	v_mul_f64 v[114:115], v[118:119], v[114:115]
	s_waitcnt vmcnt(0) lgkmcnt(0)
	v_fma_f64 v[112:113], -v[114:115], v[128:129], v[112:113]
	v_fma_f64 v[110:111], -v[114:115], v[130:131], v[110:111]
	ds_read2_b64 v[128:131], v122 offset0:7 offset1:8
	v_fma_f64 v[108:109], -v[114:115], v[132:133], v[108:109]
	v_fma_f64 v[106:107], -v[114:115], v[134:135], v[106:107]
	;; [unrolled: 1-line block ×3, first 2 shown]
	ds_read2_b64 v[132:135], v122 offset0:9 offset1:10
	v_fma_f64 v[102:103], -v[114:115], v[138:139], v[102:103]
	ds_read2_b64 v[136:139], v122 offset0:11 offset1:12
	s_waitcnt lgkmcnt(2)
	v_fma_f64 v[100:101], -v[114:115], v[128:129], v[100:101]
	v_fma_f64 v[98:99], -v[114:115], v[130:131], v[98:99]
	ds_read2_b64 v[128:131], v122 offset0:13 offset1:14
	s_waitcnt lgkmcnt(2)
	v_fma_f64 v[96:97], -v[114:115], v[132:133], v[96:97]
	v_fma_f64 v[94:95], -v[114:115], v[134:135], v[94:95]
	ds_read2_b64 v[132:135], v122 offset0:15 offset1:16
	s_waitcnt lgkmcnt(2)
	v_fma_f64 v[92:93], -v[114:115], v[136:137], v[92:93]
	v_fma_f64 v[90:91], -v[114:115], v[138:139], v[90:91]
	s_waitcnt lgkmcnt(1)
	v_fma_f64 v[88:89], -v[114:115], v[128:129], v[88:89]
	ds_read2_b64 v[136:139], v122 offset0:17 offset1:18
	v_fma_f64 v[86:87], -v[114:115], v[130:131], v[86:87]
	ds_read2_b64 v[128:131], v122 offset0:19 offset1:20
	s_waitcnt lgkmcnt(2)
	v_fma_f64 v[84:85], -v[114:115], v[132:133], v[84:85]
	v_fma_f64 v[82:83], -v[114:115], v[134:135], v[82:83]
	s_waitcnt lgkmcnt(1)
	v_fma_f64 v[80:81], -v[114:115], v[136:137], v[80:81]
	ds_read2_b64 v[132:135], v122 offset0:21 offset1:22
	v_fma_f64 v[78:79], -v[114:115], v[138:139], v[78:79]
	ds_read2_b64 v[136:139], v122 offset0:23 offset1:24
	s_waitcnt lgkmcnt(2)
	v_fma_f64 v[76:77], -v[114:115], v[128:129], v[76:77]
	v_fma_f64 v[74:75], -v[114:115], v[130:131], v[74:75]
	ds_read2_b64 v[128:131], v122 offset0:25 offset1:26
	s_waitcnt lgkmcnt(2)
	v_fma_f64 v[72:73], -v[114:115], v[132:133], v[72:73]
	v_fma_f64 v[70:71], -v[114:115], v[134:135], v[70:71]
	ds_read2_b64 v[132:135], v122 offset0:27 offset1:28
	s_waitcnt lgkmcnt(2)
	v_fma_f64 v[68:69], -v[114:115], v[136:137], v[68:69]
	v_fma_f64 v[66:67], -v[114:115], v[138:139], v[66:67]
	s_waitcnt lgkmcnt(1)
	v_fma_f64 v[64:65], -v[114:115], v[128:129], v[64:65]
	ds_read2_b64 v[136:139], v122 offset0:29 offset1:30
	v_fma_f64 v[62:63], -v[114:115], v[130:131], v[62:63]
	ds_read2_b64 v[128:131], v122 offset0:31 offset1:32
	s_waitcnt lgkmcnt(2)
	v_fma_f64 v[60:61], -v[114:115], v[132:133], v[60:61]
	v_fma_f64 v[58:59], -v[114:115], v[134:135], v[58:59]
	s_waitcnt lgkmcnt(1)
	v_fma_f64 v[56:57], -v[114:115], v[136:137], v[56:57]
	;; [unrolled: 24-line block ×4, first 2 shown]
	v_fma_f64 v[6:7], -v[114:115], v[138:139], v[6:7]
	s_waitcnt lgkmcnt(0)
	v_fma_f64 v[0:1], -v[114:115], v[128:129], v[0:1]
	v_fma_f64 v[116:117], -v[114:115], v[130:131], v[116:117]
.LBB112_16:
	s_or_b64 exec, exec, s[2:3]
	v_lshl_add_u32 v118, v123, 3, v122
	s_barrier
	s_waitcnt vmcnt(0)
	ds_write_b64 v118, v[112:113]
	s_waitcnt lgkmcnt(0)
	s_barrier
	ds_read_b64 v[118:119], v122 offset:8
	s_cmp_lt_i32 s18, 3
	v_mov_b32_e32 v120, 1
	s_cbranch_scc1 .LBB112_19
; %bb.17:
	v_add3_u32 v126, v127, 0, 16
	s_mov_b32 s2, 2
	v_mov_b32_e32 v120, 1
.LBB112_18:                             ; =>This Inner Loop Header: Depth=1
	ds_read_b64 v[128:129], v126
	v_mov_b32_e32 v130, s2
	s_add_i32 s2, s2, 1
	v_add_u32_e32 v126, 8, v126
	s_cmp_lg_u32 s18, s2
	s_waitcnt lgkmcnt(0)
	v_cmp_lt_f64_e64 vcc, |v[118:119]|, |v[128:129]|
	v_cndmask_b32_e32 v119, v119, v129, vcc
	v_cndmask_b32_e32 v118, v118, v128, vcc
	;; [unrolled: 1-line block ×3, first 2 shown]
	s_cbranch_scc1 .LBB112_18
.LBB112_19:
	v_cmp_ne_u32_e32 vcc, v123, v120
	s_and_saveexec_b64 s[2:3], vcc
	s_xor_b64 s[2:3], exec, s[2:3]
	s_cbranch_execz .LBB112_25
; %bb.20:
	v_cmp_eq_u32_e32 vcc, 1, v123
	s_and_saveexec_b64 s[14:15], vcc
	s_cbranch_execz .LBB112_24
; %bb.21:
	v_cmp_ne_u32_e32 vcc, 1, v120
	s_xor_b64 s[16:17], s[6:7], -1
	s_and_b64 s[20:21], s[16:17], vcc
	s_and_saveexec_b64 s[16:17], s[20:21]
	s_cbranch_execz .LBB112_23
; %bb.22:
	v_ashrrev_i32_e32 v121, 31, v120
	v_lshlrev_b64 v[128:129], 2, v[120:121]
	v_add_co_u32_e32 v128, vcc, v4, v128
	v_addc_co_u32_e32 v129, vcc, v5, v129, vcc
	flat_load_dword v121, v[128:129]
	flat_load_dword v123, v[4:5] offset:4
	s_waitcnt vmcnt(0) lgkmcnt(0)
	flat_store_dword v[4:5], v121 offset:4
	flat_store_dword v[128:129], v123
.LBB112_23:
	s_or_b64 exec, exec, s[16:17]
	v_mov_b32_e32 v121, v120
	v_mov_b32_e32 v123, v120
.LBB112_24:
	s_or_b64 exec, exec, s[14:15]
.LBB112_25:
	s_andn2_saveexec_b64 s[2:3], s[2:3]
	s_cbranch_execz .LBB112_27
; %bb.26:
	v_mov_b32_e32 v128, v110
	v_mov_b32_e32 v129, v111
	v_mov_b32_e32 v130, v108
	v_mov_b32_e32 v131, v109
	ds_write2_b64 v122, v[128:129], v[130:131] offset0:2 offset1:3
	v_mov_b32_e32 v128, v106
	v_mov_b32_e32 v129, v107
	v_mov_b32_e32 v130, v104
	v_mov_b32_e32 v131, v105
	ds_write2_b64 v122, v[128:129], v[130:131] offset0:4 offset1:5
	v_mov_b32_e32 v128, v102
	v_mov_b32_e32 v129, v103
	v_mov_b32_e32 v130, v100
	v_mov_b32_e32 v131, v101
	ds_write2_b64 v122, v[128:129], v[130:131] offset0:6 offset1:7
	v_mov_b32_e32 v128, v98
	v_mov_b32_e32 v129, v99
	v_mov_b32_e32 v130, v96
	v_mov_b32_e32 v131, v97
	ds_write2_b64 v122, v[128:129], v[130:131] offset0:8 offset1:9
	v_mov_b32_e32 v128, v94
	v_mov_b32_e32 v129, v95
	v_mov_b32_e32 v130, v92
	v_mov_b32_e32 v131, v93
	ds_write2_b64 v122, v[128:129], v[130:131] offset0:10 offset1:11
	v_mov_b32_e32 v128, v90
	v_mov_b32_e32 v129, v91
	v_mov_b32_e32 v130, v88
	v_mov_b32_e32 v131, v89
	ds_write2_b64 v122, v[128:129], v[130:131] offset0:12 offset1:13
	v_mov_b32_e32 v128, v86
	v_mov_b32_e32 v129, v87
	v_mov_b32_e32 v130, v84
	v_mov_b32_e32 v131, v85
	ds_write2_b64 v122, v[128:129], v[130:131] offset0:14 offset1:15
	v_mov_b32_e32 v128, v82
	v_mov_b32_e32 v129, v83
	v_mov_b32_e32 v130, v80
	v_mov_b32_e32 v131, v81
	ds_write2_b64 v122, v[128:129], v[130:131] offset0:16 offset1:17
	v_mov_b32_e32 v128, v78
	v_mov_b32_e32 v129, v79
	v_mov_b32_e32 v130, v76
	v_mov_b32_e32 v131, v77
	ds_write2_b64 v122, v[128:129], v[130:131] offset0:18 offset1:19
	v_mov_b32_e32 v128, v74
	v_mov_b32_e32 v129, v75
	v_mov_b32_e32 v130, v72
	v_mov_b32_e32 v131, v73
	ds_write2_b64 v122, v[128:129], v[130:131] offset0:20 offset1:21
	v_mov_b32_e32 v128, v70
	v_mov_b32_e32 v129, v71
	v_mov_b32_e32 v130, v68
	v_mov_b32_e32 v131, v69
	ds_write2_b64 v122, v[128:129], v[130:131] offset0:22 offset1:23
	v_mov_b32_e32 v128, v66
	v_mov_b32_e32 v129, v67
	v_mov_b32_e32 v130, v64
	v_mov_b32_e32 v131, v65
	ds_write2_b64 v122, v[128:129], v[130:131] offset0:24 offset1:25
	v_mov_b32_e32 v128, v62
	v_mov_b32_e32 v129, v63
	v_mov_b32_e32 v130, v60
	v_mov_b32_e32 v131, v61
	ds_write2_b64 v122, v[128:129], v[130:131] offset0:26 offset1:27
	v_mov_b32_e32 v128, v58
	v_mov_b32_e32 v129, v59
	v_mov_b32_e32 v130, v56
	v_mov_b32_e32 v131, v57
	ds_write2_b64 v122, v[128:129], v[130:131] offset0:28 offset1:29
	v_mov_b32_e32 v128, v54
	v_mov_b32_e32 v129, v55
	v_mov_b32_e32 v130, v52
	v_mov_b32_e32 v131, v53
	ds_write2_b64 v122, v[128:129], v[130:131] offset0:30 offset1:31
	v_mov_b32_e32 v128, v50
	v_mov_b32_e32 v129, v51
	v_mov_b32_e32 v130, v48
	v_mov_b32_e32 v131, v49
	ds_write2_b64 v122, v[128:129], v[130:131] offset0:32 offset1:33
	v_mov_b32_e32 v128, v46
	v_mov_b32_e32 v129, v47
	v_mov_b32_e32 v130, v44
	v_mov_b32_e32 v131, v45
	ds_write2_b64 v122, v[128:129], v[130:131] offset0:34 offset1:35
	v_mov_b32_e32 v128, v42
	v_mov_b32_e32 v129, v43
	v_mov_b32_e32 v130, v40
	v_mov_b32_e32 v131, v41
	ds_write2_b64 v122, v[128:129], v[130:131] offset0:36 offset1:37
	v_mov_b32_e32 v128, v38
	v_mov_b32_e32 v129, v39
	v_mov_b32_e32 v130, v36
	v_mov_b32_e32 v131, v37
	ds_write2_b64 v122, v[128:129], v[130:131] offset0:38 offset1:39
	v_mov_b32_e32 v128, v34
	v_mov_b32_e32 v129, v35
	v_mov_b32_e32 v130, v32
	v_mov_b32_e32 v131, v33
	ds_write2_b64 v122, v[128:129], v[130:131] offset0:40 offset1:41
	v_mov_b32_e32 v128, v30
	v_mov_b32_e32 v129, v31
	v_mov_b32_e32 v130, v28
	v_mov_b32_e32 v131, v29
	ds_write2_b64 v122, v[128:129], v[130:131] offset0:42 offset1:43
	v_mov_b32_e32 v128, v26
	v_mov_b32_e32 v129, v27
	v_mov_b32_e32 v130, v24
	v_mov_b32_e32 v131, v25
	ds_write2_b64 v122, v[128:129], v[130:131] offset0:44 offset1:45
	v_mov_b32_e32 v128, v22
	v_mov_b32_e32 v129, v23
	v_mov_b32_e32 v130, v20
	v_mov_b32_e32 v131, v21
	ds_write2_b64 v122, v[128:129], v[130:131] offset0:46 offset1:47
	v_mov_b32_e32 v128, v18
	v_mov_b32_e32 v129, v19
	v_mov_b32_e32 v130, v16
	v_mov_b32_e32 v131, v17
	ds_write2_b64 v122, v[128:129], v[130:131] offset0:48 offset1:49
	v_mov_b32_e32 v128, v14
	v_mov_b32_e32 v129, v15
	v_mov_b32_e32 v130, v12
	v_mov_b32_e32 v131, v13
	ds_write2_b64 v122, v[128:129], v[130:131] offset0:50 offset1:51
	v_mov_b32_e32 v128, v10
	v_mov_b32_e32 v129, v11
	v_mov_b32_e32 v130, v8
	v_mov_b32_e32 v131, v9
	ds_write2_b64 v122, v[128:129], v[130:131] offset0:52 offset1:53
	v_mov_b32_e32 v128, v6
	v_mov_b32_e32 v129, v7
	;; [unrolled: 1-line block ×5, first 2 shown]
	ds_write2_b64 v122, v[128:129], v[130:131] offset0:54 offset1:55
	ds_write_b64 v122, v[116:117] offset:448
.LBB112_27:
	s_or_b64 exec, exec, s[2:3]
	s_waitcnt lgkmcnt(0)
	v_cmp_neq_f64_e64 s[2:3], 0, v[118:119]
	v_cmp_lt_i32_e32 vcc, 1, v123
	s_barrier
	s_and_saveexec_b64 s[14:15], vcc
	s_cbranch_execz .LBB112_29
; %bb.28:
	v_div_scale_f64 v[128:129], s[16:17], v[118:119], v[118:119], 1.0
	v_rcp_f64_e32 v[130:131], v[128:129]
	v_div_scale_f64 v[132:133], vcc, 1.0, v[118:119], 1.0
	ds_read2_b64 v[136:139], v122 offset0:6 offset1:7
	v_fma_f64 v[134:135], -v[128:129], v[130:131], 1.0
	v_fmac_f64_e32 v[130:131], v[130:131], v[134:135]
	v_fma_f64 v[134:135], -v[128:129], v[130:131], 1.0
	v_fmac_f64_e32 v[130:131], v[130:131], v[134:135]
	v_mul_f64 v[134:135], v[132:133], v[130:131]
	v_fma_f64 v[128:129], -v[128:129], v[134:135], v[132:133]
	v_div_fmas_f64 v[128:129], v[128:129], v[130:131], v[134:135]
	v_div_fixup_f64 v[132:133], v[128:129], v[118:119], 1.0
	ds_read2_b64 v[128:131], v122 offset0:2 offset1:3
	v_cndmask_b32_e64 v119, v119, v133, s[2:3]
	v_cndmask_b32_e64 v118, v118, v132, s[2:3]
	ds_read2_b64 v[132:135], v122 offset0:4 offset1:5
	v_mul_f64 v[112:113], v[118:119], v[112:113]
	s_waitcnt lgkmcnt(0)
	v_fma_f64 v[110:111], -v[112:113], v[128:129], v[110:111]
	v_fma_f64 v[108:109], -v[112:113], v[130:131], v[108:109]
	ds_read2_b64 v[128:131], v122 offset0:8 offset1:9
	v_fma_f64 v[106:107], -v[112:113], v[132:133], v[106:107]
	v_fma_f64 v[104:105], -v[112:113], v[134:135], v[104:105]
	v_fma_f64 v[102:103], -v[112:113], v[136:137], v[102:103]
	ds_read2_b64 v[132:135], v122 offset0:10 offset1:11
	v_fma_f64 v[100:101], -v[112:113], v[138:139], v[100:101]
	ds_read2_b64 v[136:139], v122 offset0:12 offset1:13
	s_waitcnt lgkmcnt(0)
	v_fma_f64 v[98:99], -v[112:113], v[128:129], v[98:99]
	v_fma_f64 v[96:97], -v[112:113], v[130:131], v[96:97]
	v_fma_f64 v[94:95], -v[112:113], v[132:133], v[94:95]
	ds_read2_b64 v[128:131], v122 offset0:14 offset1:15
	v_fma_f64 v[92:93], -v[112:113], v[134:135], v[92:93]
	ds_read2_b64 v[132:135], v122 offset0:16 offset1:17
	v_fma_f64 v[90:91], -v[112:113], v[136:137], v[90:91]
	v_fma_f64 v[88:89], -v[112:113], v[138:139], v[88:89]
	ds_read2_b64 v[136:139], v122 offset0:18 offset1:19
	s_waitcnt lgkmcnt(0)
	v_fma_f64 v[86:87], -v[112:113], v[128:129], v[86:87]
	v_fma_f64 v[84:85], -v[112:113], v[130:131], v[84:85]
	ds_read2_b64 v[128:131], v122 offset0:20 offset1:21
	v_fma_f64 v[82:83], -v[112:113], v[132:133], v[82:83]
	v_fma_f64 v[80:81], -v[112:113], v[134:135], v[80:81]
	v_fma_f64 v[78:79], -v[112:113], v[136:137], v[78:79]
	ds_read2_b64 v[132:135], v122 offset0:22 offset1:23
	v_fma_f64 v[76:77], -v[112:113], v[138:139], v[76:77]
	ds_read2_b64 v[136:139], v122 offset0:24 offset1:25
	s_waitcnt lgkmcnt(0)
	v_fma_f64 v[74:75], -v[112:113], v[128:129], v[74:75]
	v_fma_f64 v[72:73], -v[112:113], v[130:131], v[72:73]
	v_fma_f64 v[70:71], -v[112:113], v[132:133], v[70:71]
	ds_read2_b64 v[128:131], v122 offset0:26 offset1:27
	v_fma_f64 v[68:69], -v[112:113], v[134:135], v[68:69]
	ds_read2_b64 v[132:135], v122 offset0:28 offset1:29
	v_fma_f64 v[66:67], -v[112:113], v[136:137], v[66:67]
	v_fma_f64 v[64:65], -v[112:113], v[138:139], v[64:65]
	ds_read2_b64 v[136:139], v122 offset0:30 offset1:31
	;; [unrolled: 20-line block ×4, first 2 shown]
	ds_read_b64 v[118:119], v122 offset:448
	s_waitcnt lgkmcnt(0)
	v_fma_f64 v[14:15], -v[112:113], v[128:129], v[14:15]
	v_fma_f64 v[12:13], -v[112:113], v[130:131], v[12:13]
	;; [unrolled: 1-line block ×7, first 2 shown]
.LBB112_29:
	s_or_b64 exec, exec, s[14:15]
	v_lshl_add_u32 v118, v123, 3, v122
	s_barrier
	ds_write_b64 v118, v[110:111]
	s_waitcnt lgkmcnt(0)
	s_barrier
	ds_read_b64 v[118:119], v122 offset:16
	s_mov_b32 s9, 3
	s_cmp_lt_i32 s18, 4
	v_mov_b32_e32 v120, 2
	s_cbranch_scc1 .LBB112_32
; %bb.30:
	v_add3_u32 v126, v127, 0, 24
	v_mov_b32_e32 v120, 2
.LBB112_31:                             ; =>This Inner Loop Header: Depth=1
	ds_read_b64 v[128:129], v126
	v_mov_b32_e32 v130, s9
	s_add_i32 s9, s9, 1
	v_add_u32_e32 v126, 8, v126
	s_cmp_lg_u32 s18, s9
	s_waitcnt lgkmcnt(0)
	v_cmp_lt_f64_e64 vcc, |v[118:119]|, |v[128:129]|
	v_cndmask_b32_e32 v119, v119, v129, vcc
	v_cndmask_b32_e32 v118, v118, v128, vcc
	;; [unrolled: 1-line block ×3, first 2 shown]
	s_cbranch_scc1 .LBB112_31
.LBB112_32:
	v_cndmask_b32_e64 v126, 2, 1, s[0:1]
	v_cndmask_b32_e64 v128, 0, 1, s[0:1]
	;; [unrolled: 1-line block ×3, first 2 shown]
	s_waitcnt lgkmcnt(0)
	v_cmp_eq_f64_e32 vcc, 0, v[118:119]
	s_and_saveexec_b64 s[0:1], vcc
	s_xor_b64 s[0:1], exec, s[0:1]
; %bb.33:
	v_cmp_ne_u32_e32 vcc, 0, v126
	v_cndmask_b32_e32 v126, 3, v126, vcc
; %bb.34:
	s_andn2_saveexec_b64 s[0:1], s[0:1]
; %bb.35:
	v_div_scale_f64 v[128:129], s[2:3], v[118:119], v[118:119], 1.0
	v_rcp_f64_e32 v[130:131], v[128:129]
	v_div_scale_f64 v[132:133], vcc, 1.0, v[118:119], 1.0
	v_fma_f64 v[134:135], -v[128:129], v[130:131], 1.0
	v_fmac_f64_e32 v[130:131], v[130:131], v[134:135]
	v_fma_f64 v[134:135], -v[128:129], v[130:131], 1.0
	v_fmac_f64_e32 v[130:131], v[130:131], v[134:135]
	v_mul_f64 v[134:135], v[132:133], v[130:131]
	v_fma_f64 v[128:129], -v[128:129], v[134:135], v[132:133]
	v_div_fmas_f64 v[128:129], v[128:129], v[130:131], v[134:135]
	v_div_fixup_f64 v[118:119], v[128:129], v[118:119], 1.0
; %bb.36:
	s_or_b64 exec, exec, s[0:1]
	v_cmp_ne_u32_e32 vcc, v123, v120
	s_and_saveexec_b64 s[0:1], vcc
	s_xor_b64 s[0:1], exec, s[0:1]
	s_cbranch_execz .LBB112_42
; %bb.37:
	v_cmp_eq_u32_e32 vcc, 2, v123
	s_and_saveexec_b64 s[2:3], vcc
	s_cbranch_execz .LBB112_41
; %bb.38:
	v_cmp_ne_u32_e32 vcc, 2, v120
	s_xor_b64 s[14:15], s[6:7], -1
	s_and_b64 s[16:17], s[14:15], vcc
	s_and_saveexec_b64 s[14:15], s[16:17]
	s_cbranch_execz .LBB112_40
; %bb.39:
	v_ashrrev_i32_e32 v121, 31, v120
	v_lshlrev_b64 v[128:129], 2, v[120:121]
	v_add_co_u32_e32 v128, vcc, v4, v128
	v_addc_co_u32_e32 v129, vcc, v5, v129, vcc
	flat_load_dword v121, v[128:129]
	flat_load_dword v123, v[4:5] offset:8
	s_waitcnt vmcnt(0) lgkmcnt(0)
	flat_store_dword v[4:5], v121 offset:8
	flat_store_dword v[128:129], v123
.LBB112_40:
	s_or_b64 exec, exec, s[14:15]
	v_mov_b32_e32 v121, v120
	v_mov_b32_e32 v123, v120
.LBB112_41:
	s_or_b64 exec, exec, s[2:3]
.LBB112_42:
	s_andn2_saveexec_b64 s[0:1], s[0:1]
	s_cbranch_execz .LBB112_44
; %bb.43:
	v_mov_b32_e32 v123, 2
	ds_write2_b64 v122, v[108:109], v[106:107] offset0:3 offset1:4
	ds_write2_b64 v122, v[104:105], v[102:103] offset0:5 offset1:6
	;; [unrolled: 1-line block ×27, first 2 shown]
.LBB112_44:
	s_or_b64 exec, exec, s[0:1]
	v_cmp_lt_i32_e32 vcc, 2, v123
	s_waitcnt lgkmcnt(0)
	s_barrier
	s_and_saveexec_b64 s[0:1], vcc
	s_cbranch_execz .LBB112_46
; %bb.45:
	ds_read2_b64 v[128:131], v122 offset0:3 offset1:4
	ds_read2_b64 v[132:135], v122 offset0:5 offset1:6
	;; [unrolled: 1-line block ×3, first 2 shown]
	v_mul_f64 v[110:111], v[118:119], v[110:111]
	s_waitcnt lgkmcnt(0)
	v_fma_f64 v[108:109], -v[110:111], v[128:129], v[108:109]
	v_fma_f64 v[106:107], -v[110:111], v[130:131], v[106:107]
	ds_read2_b64 v[128:131], v122 offset0:9 offset1:10
	v_fma_f64 v[104:105], -v[110:111], v[132:133], v[104:105]
	v_fma_f64 v[102:103], -v[110:111], v[134:135], v[102:103]
	v_fma_f64 v[100:101], -v[110:111], v[136:137], v[100:101]
	ds_read2_b64 v[132:135], v122 offset0:11 offset1:12
	v_fma_f64 v[98:99], -v[110:111], v[138:139], v[98:99]
	ds_read2_b64 v[136:139], v122 offset0:13 offset1:14
	s_waitcnt lgkmcnt(0)
	v_fma_f64 v[96:97], -v[110:111], v[128:129], v[96:97]
	v_fma_f64 v[94:95], -v[110:111], v[130:131], v[94:95]
	v_fma_f64 v[92:93], -v[110:111], v[132:133], v[92:93]
	ds_read2_b64 v[128:131], v122 offset0:15 offset1:16
	v_fma_f64 v[90:91], -v[110:111], v[134:135], v[90:91]
	ds_read2_b64 v[132:135], v122 offset0:17 offset1:18
	v_fma_f64 v[88:89], -v[110:111], v[136:137], v[88:89]
	v_fma_f64 v[86:87], -v[110:111], v[138:139], v[86:87]
	ds_read2_b64 v[136:139], v122 offset0:19 offset1:20
	s_waitcnt lgkmcnt(0)
	v_fma_f64 v[84:85], -v[110:111], v[128:129], v[84:85]
	v_fma_f64 v[82:83], -v[110:111], v[130:131], v[82:83]
	ds_read2_b64 v[128:131], v122 offset0:21 offset1:22
	v_fma_f64 v[80:81], -v[110:111], v[132:133], v[80:81]
	v_fma_f64 v[78:79], -v[110:111], v[134:135], v[78:79]
	v_fma_f64 v[76:77], -v[110:111], v[136:137], v[76:77]
	ds_read2_b64 v[132:135], v122 offset0:23 offset1:24
	v_fma_f64 v[74:75], -v[110:111], v[138:139], v[74:75]
	ds_read2_b64 v[136:139], v122 offset0:25 offset1:26
	s_waitcnt lgkmcnt(0)
	v_fma_f64 v[72:73], -v[110:111], v[128:129], v[72:73]
	v_fma_f64 v[70:71], -v[110:111], v[130:131], v[70:71]
	v_fma_f64 v[68:69], -v[110:111], v[132:133], v[68:69]
	ds_read2_b64 v[128:131], v122 offset0:27 offset1:28
	v_fma_f64 v[66:67], -v[110:111], v[134:135], v[66:67]
	ds_read2_b64 v[132:135], v122 offset0:29 offset1:30
	v_fma_f64 v[64:65], -v[110:111], v[136:137], v[64:65]
	v_fma_f64 v[62:63], -v[110:111], v[138:139], v[62:63]
	ds_read2_b64 v[136:139], v122 offset0:31 offset1:32
	;; [unrolled: 20-line block ×3, first 2 shown]
	s_waitcnt lgkmcnt(0)
	v_fma_f64 v[36:37], -v[110:111], v[128:129], v[36:37]
	v_fma_f64 v[34:35], -v[110:111], v[130:131], v[34:35]
	ds_read2_b64 v[128:131], v122 offset0:45 offset1:46
	v_fma_f64 v[32:33], -v[110:111], v[132:133], v[32:33]
	v_fma_f64 v[30:31], -v[110:111], v[134:135], v[30:31]
	;; [unrolled: 1-line block ×3, first 2 shown]
	ds_read2_b64 v[132:135], v122 offset0:47 offset1:48
	v_fma_f64 v[26:27], -v[110:111], v[138:139], v[26:27]
	ds_read2_b64 v[136:139], v122 offset0:49 offset1:50
	s_waitcnt lgkmcnt(0)
	v_fma_f64 v[24:25], -v[110:111], v[128:129], v[24:25]
	v_fma_f64 v[22:23], -v[110:111], v[130:131], v[22:23]
	;; [unrolled: 1-line block ×4, first 2 shown]
	ds_read2_b64 v[128:131], v122 offset0:51 offset1:52
	ds_read2_b64 v[132:135], v122 offset0:53 offset1:54
	v_fma_f64 v[16:17], -v[110:111], v[136:137], v[16:17]
	v_fma_f64 v[14:15], -v[110:111], v[138:139], v[14:15]
	ds_read2_b64 v[136:139], v122 offset0:55 offset1:56
	s_waitcnt lgkmcnt(0)
	v_fma_f64 v[12:13], -v[110:111], v[128:129], v[12:13]
	v_fma_f64 v[10:11], -v[110:111], v[130:131], v[10:11]
	;; [unrolled: 1-line block ×6, first 2 shown]
.LBB112_46:
	s_or_b64 exec, exec, s[0:1]
	v_lshl_add_u32 v118, v123, 3, v122
	s_barrier
	ds_write_b64 v118, v[108:109]
	s_waitcnt lgkmcnt(0)
	s_barrier
	ds_read_b64 v[118:119], v122 offset:24
	s_cmp_lt_i32 s18, 5
	v_mov_b32_e32 v120, 3
	s_cbranch_scc1 .LBB112_49
; %bb.47:
	v_add3_u32 v128, v127, 0, 32
	s_mov_b32 s0, 4
	v_mov_b32_e32 v120, 3
.LBB112_48:                             ; =>This Inner Loop Header: Depth=1
	ds_read_b64 v[130:131], v128
	v_mov_b32_e32 v129, s0
	s_add_i32 s0, s0, 1
	v_add_u32_e32 v128, 8, v128
	s_cmp_lg_u32 s18, s0
	s_waitcnt lgkmcnt(0)
	v_cmp_lt_f64_e64 vcc, |v[118:119]|, |v[130:131]|
	v_cndmask_b32_e32 v119, v119, v131, vcc
	v_cndmask_b32_e32 v118, v118, v130, vcc
	;; [unrolled: 1-line block ×3, first 2 shown]
	s_cbranch_scc1 .LBB112_48
.LBB112_49:
	s_waitcnt lgkmcnt(0)
	v_cmp_eq_f64_e32 vcc, 0, v[118:119]
	s_and_saveexec_b64 s[0:1], vcc
	s_xor_b64 s[0:1], exec, s[0:1]
; %bb.50:
	v_cmp_ne_u32_e32 vcc, 0, v126
	v_cndmask_b32_e32 v126, 4, v126, vcc
; %bb.51:
	s_andn2_saveexec_b64 s[0:1], s[0:1]
; %bb.52:
	v_div_scale_f64 v[128:129], s[2:3], v[118:119], v[118:119], 1.0
	v_rcp_f64_e32 v[130:131], v[128:129]
	v_div_scale_f64 v[132:133], vcc, 1.0, v[118:119], 1.0
	v_fma_f64 v[134:135], -v[128:129], v[130:131], 1.0
	v_fmac_f64_e32 v[130:131], v[130:131], v[134:135]
	v_fma_f64 v[134:135], -v[128:129], v[130:131], 1.0
	v_fmac_f64_e32 v[130:131], v[130:131], v[134:135]
	v_mul_f64 v[134:135], v[132:133], v[130:131]
	v_fma_f64 v[128:129], -v[128:129], v[134:135], v[132:133]
	v_div_fmas_f64 v[128:129], v[128:129], v[130:131], v[134:135]
	v_div_fixup_f64 v[118:119], v[128:129], v[118:119], 1.0
; %bb.53:
	s_or_b64 exec, exec, s[0:1]
	v_cmp_ne_u32_e32 vcc, v123, v120
	s_and_saveexec_b64 s[0:1], vcc
	s_xor_b64 s[0:1], exec, s[0:1]
	s_cbranch_execz .LBB112_59
; %bb.54:
	v_cmp_eq_u32_e32 vcc, 3, v123
	s_and_saveexec_b64 s[2:3], vcc
	s_cbranch_execz .LBB112_58
; %bb.55:
	v_cmp_ne_u32_e32 vcc, 3, v120
	s_xor_b64 s[14:15], s[6:7], -1
	s_and_b64 s[16:17], s[14:15], vcc
	s_and_saveexec_b64 s[14:15], s[16:17]
	s_cbranch_execz .LBB112_57
; %bb.56:
	v_ashrrev_i32_e32 v121, 31, v120
	v_lshlrev_b64 v[128:129], 2, v[120:121]
	v_add_co_u32_e32 v128, vcc, v4, v128
	v_addc_co_u32_e32 v129, vcc, v5, v129, vcc
	flat_load_dword v121, v[128:129]
	flat_load_dword v123, v[4:5] offset:12
	s_waitcnt vmcnt(0) lgkmcnt(0)
	flat_store_dword v[4:5], v121 offset:12
	flat_store_dword v[128:129], v123
.LBB112_57:
	s_or_b64 exec, exec, s[14:15]
	v_mov_b32_e32 v121, v120
	v_mov_b32_e32 v123, v120
.LBB112_58:
	s_or_b64 exec, exec, s[2:3]
.LBB112_59:
	s_andn2_saveexec_b64 s[0:1], s[0:1]
	s_cbranch_execz .LBB112_61
; %bb.60:
	v_mov_b32_e32 v128, v106
	v_mov_b32_e32 v129, v107
	v_mov_b32_e32 v130, v104
	v_mov_b32_e32 v131, v105
	ds_write2_b64 v122, v[128:129], v[130:131] offset0:4 offset1:5
	v_mov_b32_e32 v128, v102
	v_mov_b32_e32 v129, v103
	v_mov_b32_e32 v130, v100
	v_mov_b32_e32 v131, v101
	ds_write2_b64 v122, v[128:129], v[130:131] offset0:6 offset1:7
	;; [unrolled: 5-line block ×25, first 2 shown]
	v_mov_b32_e32 v128, v6
	v_mov_b32_e32 v129, v7
	;; [unrolled: 1-line block ×5, first 2 shown]
	ds_write2_b64 v122, v[128:129], v[130:131] offset0:54 offset1:55
	ds_write_b64 v122, v[116:117] offset:448
.LBB112_61:
	s_or_b64 exec, exec, s[0:1]
	v_cmp_lt_i32_e32 vcc, 3, v123
	s_waitcnt lgkmcnt(0)
	s_barrier
	s_and_saveexec_b64 s[0:1], vcc
	s_cbranch_execz .LBB112_63
; %bb.62:
	ds_read2_b64 v[128:131], v122 offset0:4 offset1:5
	ds_read2_b64 v[132:135], v122 offset0:6 offset1:7
	v_mul_f64 v[108:109], v[118:119], v[108:109]
	ds_read2_b64 v[136:139], v122 offset0:8 offset1:9
	ds_read_b64 v[118:119], v122 offset:448
	s_waitcnt lgkmcnt(0)
	v_fma_f64 v[106:107], -v[108:109], v[128:129], v[106:107]
	v_fma_f64 v[104:105], -v[108:109], v[130:131], v[104:105]
	ds_read2_b64 v[128:131], v122 offset0:10 offset1:11
	v_fma_f64 v[102:103], -v[108:109], v[132:133], v[102:103]
	v_fma_f64 v[100:101], -v[108:109], v[134:135], v[100:101]
	ds_read2_b64 v[132:135], v122 offset0:12 offset1:13
	;; [unrolled: 3-line block ×3, first 2 shown]
	s_waitcnt lgkmcnt(0)
	v_fma_f64 v[94:95], -v[108:109], v[128:129], v[94:95]
	v_fma_f64 v[92:93], -v[108:109], v[130:131], v[92:93]
	v_fma_f64 v[90:91], -v[108:109], v[132:133], v[90:91]
	ds_read2_b64 v[128:131], v122 offset0:16 offset1:17
	v_fma_f64 v[88:89], -v[108:109], v[134:135], v[88:89]
	ds_read2_b64 v[132:135], v122 offset0:18 offset1:19
	v_fma_f64 v[86:87], -v[108:109], v[136:137], v[86:87]
	v_fma_f64 v[84:85], -v[108:109], v[138:139], v[84:85]
	s_waitcnt lgkmcnt(0)
	v_fma_f64 v[82:83], -v[108:109], v[128:129], v[82:83]
	ds_read2_b64 v[136:139], v122 offset0:20 offset1:21
	v_fma_f64 v[80:81], -v[108:109], v[130:131], v[80:81]
	ds_read2_b64 v[128:131], v122 offset0:22 offset1:23
	v_fma_f64 v[78:79], -v[108:109], v[132:133], v[78:79]
	v_fma_f64 v[76:77], -v[108:109], v[134:135], v[76:77]
	ds_read2_b64 v[132:135], v122 offset0:24 offset1:25
	s_waitcnt lgkmcnt(0)
	v_fma_f64 v[74:75], -v[108:109], v[136:137], v[74:75]
	v_fma_f64 v[72:73], -v[108:109], v[138:139], v[72:73]
	ds_read2_b64 v[136:139], v122 offset0:26 offset1:27
	v_fma_f64 v[70:71], -v[108:109], v[128:129], v[70:71]
	v_fma_f64 v[68:69], -v[108:109], v[130:131], v[68:69]
	;; [unrolled: 1-line block ×3, first 2 shown]
	ds_read2_b64 v[128:131], v122 offset0:28 offset1:29
	v_fma_f64 v[64:65], -v[108:109], v[134:135], v[64:65]
	ds_read2_b64 v[132:135], v122 offset0:30 offset1:31
	s_waitcnt lgkmcnt(0)
	v_fma_f64 v[62:63], -v[108:109], v[136:137], v[62:63]
	v_fma_f64 v[60:61], -v[108:109], v[138:139], v[60:61]
	;; [unrolled: 1-line block ×3, first 2 shown]
	ds_read2_b64 v[136:139], v122 offset0:32 offset1:33
	v_fma_f64 v[56:57], -v[108:109], v[130:131], v[56:57]
	ds_read2_b64 v[128:131], v122 offset0:34 offset1:35
	v_fma_f64 v[54:55], -v[108:109], v[132:133], v[54:55]
	v_fma_f64 v[52:53], -v[108:109], v[134:135], v[52:53]
	ds_read2_b64 v[132:135], v122 offset0:36 offset1:37
	s_waitcnt lgkmcnt(0)
	v_fma_f64 v[50:51], -v[108:109], v[136:137], v[50:51]
	v_fma_f64 v[48:49], -v[108:109], v[138:139], v[48:49]
	ds_read2_b64 v[136:139], v122 offset0:38 offset1:39
	v_fma_f64 v[46:47], -v[108:109], v[128:129], v[46:47]
	v_fma_f64 v[44:45], -v[108:109], v[130:131], v[44:45]
	;; [unrolled: 1-line block ×3, first 2 shown]
	ds_read2_b64 v[128:131], v122 offset0:40 offset1:41
	v_fma_f64 v[40:41], -v[108:109], v[134:135], v[40:41]
	ds_read2_b64 v[132:135], v122 offset0:42 offset1:43
	s_waitcnt lgkmcnt(0)
	v_fma_f64 v[38:39], -v[108:109], v[136:137], v[38:39]
	v_fma_f64 v[36:37], -v[108:109], v[138:139], v[36:37]
	;; [unrolled: 1-line block ×3, first 2 shown]
	ds_read2_b64 v[136:139], v122 offset0:44 offset1:45
	v_fma_f64 v[32:33], -v[108:109], v[130:131], v[32:33]
	ds_read2_b64 v[128:131], v122 offset0:46 offset1:47
	v_fma_f64 v[30:31], -v[108:109], v[132:133], v[30:31]
	v_fma_f64 v[28:29], -v[108:109], v[134:135], v[28:29]
	ds_read2_b64 v[132:135], v122 offset0:48 offset1:49
	s_waitcnt lgkmcnt(0)
	v_fma_f64 v[26:27], -v[108:109], v[136:137], v[26:27]
	v_fma_f64 v[24:25], -v[108:109], v[138:139], v[24:25]
	ds_read2_b64 v[136:139], v122 offset0:50 offset1:51
	v_fma_f64 v[22:23], -v[108:109], v[128:129], v[22:23]
	v_fma_f64 v[20:21], -v[108:109], v[130:131], v[20:21]
	;; [unrolled: 1-line block ×4, first 2 shown]
	ds_read2_b64 v[128:131], v122 offset0:52 offset1:53
	ds_read2_b64 v[132:135], v122 offset0:54 offset1:55
	s_waitcnt lgkmcnt(0)
	v_fma_f64 v[14:15], -v[108:109], v[136:137], v[14:15]
	v_fma_f64 v[12:13], -v[108:109], v[138:139], v[12:13]
	;; [unrolled: 1-line block ×7, first 2 shown]
.LBB112_63:
	s_or_b64 exec, exec, s[0:1]
	v_lshl_add_u32 v118, v123, 3, v122
	s_barrier
	ds_write_b64 v118, v[106:107]
	s_waitcnt lgkmcnt(0)
	s_barrier
	ds_read_b64 v[118:119], v122 offset:32
	s_cmp_lt_i32 s18, 6
	v_mov_b32_e32 v120, 4
	s_cbranch_scc1 .LBB112_66
; %bb.64:
	v_add3_u32 v128, v127, 0, 40
	s_mov_b32 s0, 5
	v_mov_b32_e32 v120, 4
.LBB112_65:                             ; =>This Inner Loop Header: Depth=1
	ds_read_b64 v[130:131], v128
	v_mov_b32_e32 v129, s0
	s_add_i32 s0, s0, 1
	v_add_u32_e32 v128, 8, v128
	s_cmp_lg_u32 s18, s0
	s_waitcnt lgkmcnt(0)
	v_cmp_lt_f64_e64 vcc, |v[118:119]|, |v[130:131]|
	v_cndmask_b32_e32 v119, v119, v131, vcc
	v_cndmask_b32_e32 v118, v118, v130, vcc
	;; [unrolled: 1-line block ×3, first 2 shown]
	s_cbranch_scc1 .LBB112_65
.LBB112_66:
	s_waitcnt lgkmcnt(0)
	v_cmp_eq_f64_e32 vcc, 0, v[118:119]
	s_and_saveexec_b64 s[0:1], vcc
	s_xor_b64 s[0:1], exec, s[0:1]
; %bb.67:
	v_cmp_ne_u32_e32 vcc, 0, v126
	v_cndmask_b32_e32 v126, 5, v126, vcc
; %bb.68:
	s_andn2_saveexec_b64 s[0:1], s[0:1]
; %bb.69:
	v_div_scale_f64 v[128:129], s[2:3], v[118:119], v[118:119], 1.0
	v_rcp_f64_e32 v[130:131], v[128:129]
	v_div_scale_f64 v[132:133], vcc, 1.0, v[118:119], 1.0
	v_fma_f64 v[134:135], -v[128:129], v[130:131], 1.0
	v_fmac_f64_e32 v[130:131], v[130:131], v[134:135]
	v_fma_f64 v[134:135], -v[128:129], v[130:131], 1.0
	v_fmac_f64_e32 v[130:131], v[130:131], v[134:135]
	v_mul_f64 v[134:135], v[132:133], v[130:131]
	v_fma_f64 v[128:129], -v[128:129], v[134:135], v[132:133]
	v_div_fmas_f64 v[128:129], v[128:129], v[130:131], v[134:135]
	v_div_fixup_f64 v[118:119], v[128:129], v[118:119], 1.0
; %bb.70:
	s_or_b64 exec, exec, s[0:1]
	v_cmp_ne_u32_e32 vcc, v123, v120
	s_and_saveexec_b64 s[0:1], vcc
	s_xor_b64 s[0:1], exec, s[0:1]
	s_cbranch_execz .LBB112_76
; %bb.71:
	v_cmp_eq_u32_e32 vcc, 4, v123
	s_and_saveexec_b64 s[2:3], vcc
	s_cbranch_execz .LBB112_75
; %bb.72:
	v_cmp_ne_u32_e32 vcc, 4, v120
	s_xor_b64 s[14:15], s[6:7], -1
	s_and_b64 s[16:17], s[14:15], vcc
	s_and_saveexec_b64 s[14:15], s[16:17]
	s_cbranch_execz .LBB112_74
; %bb.73:
	v_ashrrev_i32_e32 v121, 31, v120
	v_lshlrev_b64 v[128:129], 2, v[120:121]
	v_add_co_u32_e32 v128, vcc, v4, v128
	v_addc_co_u32_e32 v129, vcc, v5, v129, vcc
	flat_load_dword v121, v[128:129]
	flat_load_dword v123, v[4:5] offset:16
	s_waitcnt vmcnt(0) lgkmcnt(0)
	flat_store_dword v[4:5], v121 offset:16
	flat_store_dword v[128:129], v123
.LBB112_74:
	s_or_b64 exec, exec, s[14:15]
	v_mov_b32_e32 v121, v120
	v_mov_b32_e32 v123, v120
.LBB112_75:
	s_or_b64 exec, exec, s[2:3]
.LBB112_76:
	s_andn2_saveexec_b64 s[0:1], s[0:1]
	s_cbranch_execz .LBB112_78
; %bb.77:
	v_mov_b32_e32 v123, 4
	ds_write2_b64 v122, v[104:105], v[102:103] offset0:5 offset1:6
	ds_write2_b64 v122, v[100:101], v[98:99] offset0:7 offset1:8
	;; [unrolled: 1-line block ×26, first 2 shown]
.LBB112_78:
	s_or_b64 exec, exec, s[0:1]
	v_cmp_lt_i32_e32 vcc, 4, v123
	s_waitcnt lgkmcnt(0)
	s_barrier
	s_and_saveexec_b64 s[0:1], vcc
	s_cbranch_execz .LBB112_80
; %bb.79:
	ds_read2_b64 v[128:131], v122 offset0:5 offset1:6
	ds_read2_b64 v[132:135], v122 offset0:7 offset1:8
	v_mul_f64 v[106:107], v[118:119], v[106:107]
	ds_read2_b64 v[136:139], v122 offset0:9 offset1:10
	s_waitcnt lgkmcnt(0)
	v_fma_f64 v[104:105], -v[106:107], v[128:129], v[104:105]
	v_fma_f64 v[102:103], -v[106:107], v[130:131], v[102:103]
	ds_read2_b64 v[128:131], v122 offset0:11 offset1:12
	v_fma_f64 v[100:101], -v[106:107], v[132:133], v[100:101]
	v_fma_f64 v[98:99], -v[106:107], v[134:135], v[98:99]
	ds_read2_b64 v[132:135], v122 offset0:13 offset1:14
	;; [unrolled: 3-line block ×3, first 2 shown]
	s_waitcnt lgkmcnt(0)
	v_fma_f64 v[92:93], -v[106:107], v[128:129], v[92:93]
	v_fma_f64 v[90:91], -v[106:107], v[130:131], v[90:91]
	;; [unrolled: 1-line block ×3, first 2 shown]
	ds_read2_b64 v[128:131], v122 offset0:17 offset1:18
	v_fma_f64 v[86:87], -v[106:107], v[134:135], v[86:87]
	ds_read2_b64 v[132:135], v122 offset0:19 offset1:20
	v_fma_f64 v[84:85], -v[106:107], v[136:137], v[84:85]
	v_fma_f64 v[82:83], -v[106:107], v[138:139], v[82:83]
	s_waitcnt lgkmcnt(0)
	v_fma_f64 v[80:81], -v[106:107], v[128:129], v[80:81]
	ds_read2_b64 v[136:139], v122 offset0:21 offset1:22
	v_fma_f64 v[78:79], -v[106:107], v[130:131], v[78:79]
	ds_read2_b64 v[128:131], v122 offset0:23 offset1:24
	v_fma_f64 v[76:77], -v[106:107], v[132:133], v[76:77]
	v_fma_f64 v[74:75], -v[106:107], v[134:135], v[74:75]
	ds_read2_b64 v[132:135], v122 offset0:25 offset1:26
	s_waitcnt lgkmcnt(0)
	v_fma_f64 v[72:73], -v[106:107], v[136:137], v[72:73]
	v_fma_f64 v[70:71], -v[106:107], v[138:139], v[70:71]
	ds_read2_b64 v[136:139], v122 offset0:27 offset1:28
	v_fma_f64 v[68:69], -v[106:107], v[128:129], v[68:69]
	v_fma_f64 v[66:67], -v[106:107], v[130:131], v[66:67]
	;; [unrolled: 1-line block ×3, first 2 shown]
	ds_read2_b64 v[128:131], v122 offset0:29 offset1:30
	v_fma_f64 v[62:63], -v[106:107], v[134:135], v[62:63]
	ds_read2_b64 v[132:135], v122 offset0:31 offset1:32
	s_waitcnt lgkmcnt(0)
	v_fma_f64 v[60:61], -v[106:107], v[136:137], v[60:61]
	v_fma_f64 v[58:59], -v[106:107], v[138:139], v[58:59]
	;; [unrolled: 1-line block ×3, first 2 shown]
	ds_read2_b64 v[136:139], v122 offset0:33 offset1:34
	v_fma_f64 v[54:55], -v[106:107], v[130:131], v[54:55]
	ds_read2_b64 v[128:131], v122 offset0:35 offset1:36
	v_fma_f64 v[52:53], -v[106:107], v[132:133], v[52:53]
	v_fma_f64 v[50:51], -v[106:107], v[134:135], v[50:51]
	ds_read2_b64 v[132:135], v122 offset0:37 offset1:38
	s_waitcnt lgkmcnt(0)
	v_fma_f64 v[48:49], -v[106:107], v[136:137], v[48:49]
	v_fma_f64 v[46:47], -v[106:107], v[138:139], v[46:47]
	ds_read2_b64 v[136:139], v122 offset0:39 offset1:40
	v_fma_f64 v[44:45], -v[106:107], v[128:129], v[44:45]
	v_fma_f64 v[42:43], -v[106:107], v[130:131], v[42:43]
	;; [unrolled: 1-line block ×3, first 2 shown]
	ds_read2_b64 v[128:131], v122 offset0:41 offset1:42
	v_fma_f64 v[38:39], -v[106:107], v[134:135], v[38:39]
	ds_read2_b64 v[132:135], v122 offset0:43 offset1:44
	s_waitcnt lgkmcnt(0)
	v_fma_f64 v[36:37], -v[106:107], v[136:137], v[36:37]
	v_fma_f64 v[34:35], -v[106:107], v[138:139], v[34:35]
	;; [unrolled: 1-line block ×3, first 2 shown]
	ds_read2_b64 v[136:139], v122 offset0:45 offset1:46
	v_fma_f64 v[30:31], -v[106:107], v[130:131], v[30:31]
	ds_read2_b64 v[128:131], v122 offset0:47 offset1:48
	v_fma_f64 v[28:29], -v[106:107], v[132:133], v[28:29]
	v_fma_f64 v[26:27], -v[106:107], v[134:135], v[26:27]
	ds_read2_b64 v[132:135], v122 offset0:49 offset1:50
	s_waitcnt lgkmcnt(0)
	v_fma_f64 v[24:25], -v[106:107], v[136:137], v[24:25]
	v_fma_f64 v[22:23], -v[106:107], v[138:139], v[22:23]
	;; [unrolled: 1-line block ×4, first 2 shown]
	ds_read2_b64 v[128:131], v122 offset0:51 offset1:52
	v_fma_f64 v[16:17], -v[106:107], v[132:133], v[16:17]
	ds_read2_b64 v[136:139], v122 offset0:53 offset1:54
	v_fma_f64 v[14:15], -v[106:107], v[134:135], v[14:15]
	ds_read2_b64 v[132:135], v122 offset0:55 offset1:56
	s_waitcnt lgkmcnt(0)
	v_fma_f64 v[12:13], -v[106:107], v[128:129], v[12:13]
	v_fma_f64 v[10:11], -v[106:107], v[130:131], v[10:11]
	;; [unrolled: 1-line block ×6, first 2 shown]
.LBB112_80:
	s_or_b64 exec, exec, s[0:1]
	v_lshl_add_u32 v118, v123, 3, v122
	s_barrier
	ds_write_b64 v118, v[104:105]
	s_waitcnt lgkmcnt(0)
	s_barrier
	ds_read_b64 v[118:119], v122 offset:40
	s_cmp_lt_i32 s18, 7
	v_mov_b32_e32 v120, 5
	s_cbranch_scc1 .LBB112_83
; %bb.81:
	v_add3_u32 v128, v127, 0, 48
	s_mov_b32 s0, 6
	v_mov_b32_e32 v120, 5
.LBB112_82:                             ; =>This Inner Loop Header: Depth=1
	ds_read_b64 v[130:131], v128
	v_mov_b32_e32 v129, s0
	s_add_i32 s0, s0, 1
	v_add_u32_e32 v128, 8, v128
	s_cmp_lg_u32 s18, s0
	s_waitcnt lgkmcnt(0)
	v_cmp_lt_f64_e64 vcc, |v[118:119]|, |v[130:131]|
	v_cndmask_b32_e32 v119, v119, v131, vcc
	v_cndmask_b32_e32 v118, v118, v130, vcc
	;; [unrolled: 1-line block ×3, first 2 shown]
	s_cbranch_scc1 .LBB112_82
.LBB112_83:
	s_waitcnt lgkmcnt(0)
	v_cmp_eq_f64_e32 vcc, 0, v[118:119]
	s_and_saveexec_b64 s[0:1], vcc
	s_xor_b64 s[0:1], exec, s[0:1]
; %bb.84:
	v_cmp_ne_u32_e32 vcc, 0, v126
	v_cndmask_b32_e32 v126, 6, v126, vcc
; %bb.85:
	s_andn2_saveexec_b64 s[0:1], s[0:1]
; %bb.86:
	v_div_scale_f64 v[128:129], s[2:3], v[118:119], v[118:119], 1.0
	v_rcp_f64_e32 v[130:131], v[128:129]
	v_div_scale_f64 v[132:133], vcc, 1.0, v[118:119], 1.0
	v_fma_f64 v[134:135], -v[128:129], v[130:131], 1.0
	v_fmac_f64_e32 v[130:131], v[130:131], v[134:135]
	v_fma_f64 v[134:135], -v[128:129], v[130:131], 1.0
	v_fmac_f64_e32 v[130:131], v[130:131], v[134:135]
	v_mul_f64 v[134:135], v[132:133], v[130:131]
	v_fma_f64 v[128:129], -v[128:129], v[134:135], v[132:133]
	v_div_fmas_f64 v[128:129], v[128:129], v[130:131], v[134:135]
	v_div_fixup_f64 v[118:119], v[128:129], v[118:119], 1.0
; %bb.87:
	s_or_b64 exec, exec, s[0:1]
	v_cmp_ne_u32_e32 vcc, v123, v120
	s_and_saveexec_b64 s[0:1], vcc
	s_xor_b64 s[0:1], exec, s[0:1]
	s_cbranch_execz .LBB112_93
; %bb.88:
	v_cmp_eq_u32_e32 vcc, 5, v123
	s_and_saveexec_b64 s[2:3], vcc
	s_cbranch_execz .LBB112_92
; %bb.89:
	v_cmp_ne_u32_e32 vcc, 5, v120
	s_xor_b64 s[14:15], s[6:7], -1
	s_and_b64 s[16:17], s[14:15], vcc
	s_and_saveexec_b64 s[14:15], s[16:17]
	s_cbranch_execz .LBB112_91
; %bb.90:
	v_ashrrev_i32_e32 v121, 31, v120
	v_lshlrev_b64 v[128:129], 2, v[120:121]
	v_add_co_u32_e32 v128, vcc, v4, v128
	v_addc_co_u32_e32 v129, vcc, v5, v129, vcc
	flat_load_dword v121, v[128:129]
	flat_load_dword v123, v[4:5] offset:20
	s_waitcnt vmcnt(0) lgkmcnt(0)
	flat_store_dword v[4:5], v121 offset:20
	flat_store_dword v[128:129], v123
.LBB112_91:
	s_or_b64 exec, exec, s[14:15]
	v_mov_b32_e32 v121, v120
	v_mov_b32_e32 v123, v120
.LBB112_92:
	s_or_b64 exec, exec, s[2:3]
.LBB112_93:
	s_andn2_saveexec_b64 s[0:1], s[0:1]
	s_cbranch_execz .LBB112_95
; %bb.94:
	v_mov_b32_e32 v128, v102
	v_mov_b32_e32 v129, v103
	v_mov_b32_e32 v130, v100
	v_mov_b32_e32 v131, v101
	ds_write2_b64 v122, v[128:129], v[130:131] offset0:6 offset1:7
	v_mov_b32_e32 v128, v98
	v_mov_b32_e32 v129, v99
	v_mov_b32_e32 v130, v96
	v_mov_b32_e32 v131, v97
	ds_write2_b64 v122, v[128:129], v[130:131] offset0:8 offset1:9
	;; [unrolled: 5-line block ×24, first 2 shown]
	v_mov_b32_e32 v128, v6
	v_mov_b32_e32 v129, v7
	;; [unrolled: 1-line block ×5, first 2 shown]
	ds_write2_b64 v122, v[128:129], v[130:131] offset0:54 offset1:55
	ds_write_b64 v122, v[116:117] offset:448
.LBB112_95:
	s_or_b64 exec, exec, s[0:1]
	v_cmp_lt_i32_e32 vcc, 5, v123
	s_waitcnt lgkmcnt(0)
	s_barrier
	s_and_saveexec_b64 s[0:1], vcc
	s_cbranch_execz .LBB112_97
; %bb.96:
	ds_read2_b64 v[128:131], v122 offset0:6 offset1:7
	ds_read2_b64 v[132:135], v122 offset0:8 offset1:9
	v_mul_f64 v[104:105], v[118:119], v[104:105]
	ds_read2_b64 v[136:139], v122 offset0:10 offset1:11
	ds_read_b64 v[118:119], v122 offset:448
	s_waitcnt lgkmcnt(0)
	v_fma_f64 v[102:103], -v[104:105], v[128:129], v[102:103]
	v_fma_f64 v[100:101], -v[104:105], v[130:131], v[100:101]
	ds_read2_b64 v[128:131], v122 offset0:12 offset1:13
	v_fma_f64 v[98:99], -v[104:105], v[132:133], v[98:99]
	v_fma_f64 v[96:97], -v[104:105], v[134:135], v[96:97]
	;; [unrolled: 1-line block ×3, first 2 shown]
	ds_read2_b64 v[132:135], v122 offset0:14 offset1:15
	v_fma_f64 v[92:93], -v[104:105], v[138:139], v[92:93]
	ds_read2_b64 v[136:139], v122 offset0:16 offset1:17
	s_waitcnt lgkmcnt(0)
	v_fma_f64 v[90:91], -v[104:105], v[128:129], v[90:91]
	v_fma_f64 v[88:89], -v[104:105], v[130:131], v[88:89]
	ds_read2_b64 v[128:131], v122 offset0:18 offset1:19
	v_fma_f64 v[86:87], -v[104:105], v[132:133], v[86:87]
	v_fma_f64 v[84:85], -v[104:105], v[134:135], v[84:85]
	ds_read2_b64 v[132:135], v122 offset0:20 offset1:21
	v_fma_f64 v[82:83], -v[104:105], v[136:137], v[82:83]
	v_fma_f64 v[80:81], -v[104:105], v[138:139], v[80:81]
	s_waitcnt lgkmcnt(0)
	v_fma_f64 v[78:79], -v[104:105], v[128:129], v[78:79]
	ds_read2_b64 v[136:139], v122 offset0:22 offset1:23
	v_fma_f64 v[76:77], -v[104:105], v[130:131], v[76:77]
	ds_read2_b64 v[128:131], v122 offset0:24 offset1:25
	v_fma_f64 v[74:75], -v[104:105], v[132:133], v[74:75]
	v_fma_f64 v[72:73], -v[104:105], v[134:135], v[72:73]
	s_waitcnt lgkmcnt(0)
	v_fma_f64 v[70:71], -v[104:105], v[136:137], v[70:71]
	ds_read2_b64 v[132:135], v122 offset0:26 offset1:27
	v_fma_f64 v[68:69], -v[104:105], v[138:139], v[68:69]
	ds_read2_b64 v[136:139], v122 offset0:28 offset1:29
	v_fma_f64 v[66:67], -v[104:105], v[128:129], v[66:67]
	v_fma_f64 v[64:65], -v[104:105], v[130:131], v[64:65]
	ds_read2_b64 v[128:131], v122 offset0:30 offset1:31
	s_waitcnt lgkmcnt(0)
	v_fma_f64 v[62:63], -v[104:105], v[132:133], v[62:63]
	v_fma_f64 v[60:61], -v[104:105], v[134:135], v[60:61]
	ds_read2_b64 v[132:135], v122 offset0:32 offset1:33
	v_fma_f64 v[58:59], -v[104:105], v[136:137], v[58:59]
	v_fma_f64 v[56:57], -v[104:105], v[138:139], v[56:57]
	;; [unrolled: 1-line block ×3, first 2 shown]
	ds_read2_b64 v[136:139], v122 offset0:34 offset1:35
	v_fma_f64 v[52:53], -v[104:105], v[130:131], v[52:53]
	ds_read2_b64 v[128:131], v122 offset0:36 offset1:37
	s_waitcnt lgkmcnt(0)
	v_fma_f64 v[50:51], -v[104:105], v[132:133], v[50:51]
	v_fma_f64 v[48:49], -v[104:105], v[134:135], v[48:49]
	;; [unrolled: 1-line block ×3, first 2 shown]
	ds_read2_b64 v[132:135], v122 offset0:38 offset1:39
	v_fma_f64 v[44:45], -v[104:105], v[138:139], v[44:45]
	ds_read2_b64 v[136:139], v122 offset0:40 offset1:41
	v_fma_f64 v[42:43], -v[104:105], v[128:129], v[42:43]
	v_fma_f64 v[40:41], -v[104:105], v[130:131], v[40:41]
	ds_read2_b64 v[128:131], v122 offset0:42 offset1:43
	s_waitcnt lgkmcnt(0)
	v_fma_f64 v[38:39], -v[104:105], v[132:133], v[38:39]
	v_fma_f64 v[36:37], -v[104:105], v[134:135], v[36:37]
	ds_read2_b64 v[132:135], v122 offset0:44 offset1:45
	v_fma_f64 v[34:35], -v[104:105], v[136:137], v[34:35]
	v_fma_f64 v[32:33], -v[104:105], v[138:139], v[32:33]
	;; [unrolled: 1-line block ×3, first 2 shown]
	ds_read2_b64 v[136:139], v122 offset0:46 offset1:47
	v_fma_f64 v[28:29], -v[104:105], v[130:131], v[28:29]
	ds_read2_b64 v[128:131], v122 offset0:48 offset1:49
	s_waitcnt lgkmcnt(0)
	v_fma_f64 v[26:27], -v[104:105], v[132:133], v[26:27]
	v_fma_f64 v[24:25], -v[104:105], v[134:135], v[24:25]
	;; [unrolled: 1-line block ×3, first 2 shown]
	ds_read2_b64 v[132:135], v122 offset0:50 offset1:51
	v_fma_f64 v[20:21], -v[104:105], v[138:139], v[20:21]
	v_fma_f64 v[18:19], -v[104:105], v[128:129], v[18:19]
	;; [unrolled: 1-line block ×3, first 2 shown]
	ds_read2_b64 v[128:131], v122 offset0:52 offset1:53
	ds_read2_b64 v[136:139], v122 offset0:54 offset1:55
	s_waitcnt lgkmcnt(0)
	v_fma_f64 v[14:15], -v[104:105], v[132:133], v[14:15]
	v_fma_f64 v[12:13], -v[104:105], v[134:135], v[12:13]
	;; [unrolled: 1-line block ×7, first 2 shown]
.LBB112_97:
	s_or_b64 exec, exec, s[0:1]
	v_lshl_add_u32 v118, v123, 3, v122
	s_barrier
	ds_write_b64 v118, v[102:103]
	s_waitcnt lgkmcnt(0)
	s_barrier
	ds_read_b64 v[118:119], v122 offset:48
	s_cmp_lt_i32 s18, 8
	v_mov_b32_e32 v120, 6
	s_cbranch_scc1 .LBB112_100
; %bb.98:
	v_add3_u32 v128, v127, 0, 56
	s_mov_b32 s0, 7
	v_mov_b32_e32 v120, 6
.LBB112_99:                             ; =>This Inner Loop Header: Depth=1
	ds_read_b64 v[130:131], v128
	v_mov_b32_e32 v129, s0
	s_add_i32 s0, s0, 1
	v_add_u32_e32 v128, 8, v128
	s_cmp_lg_u32 s18, s0
	s_waitcnt lgkmcnt(0)
	v_cmp_lt_f64_e64 vcc, |v[118:119]|, |v[130:131]|
	v_cndmask_b32_e32 v119, v119, v131, vcc
	v_cndmask_b32_e32 v118, v118, v130, vcc
	;; [unrolled: 1-line block ×3, first 2 shown]
	s_cbranch_scc1 .LBB112_99
.LBB112_100:
	s_waitcnt lgkmcnt(0)
	v_cmp_eq_f64_e32 vcc, 0, v[118:119]
	s_and_saveexec_b64 s[0:1], vcc
	s_xor_b64 s[0:1], exec, s[0:1]
; %bb.101:
	v_cmp_ne_u32_e32 vcc, 0, v126
	v_cndmask_b32_e32 v126, 7, v126, vcc
; %bb.102:
	s_andn2_saveexec_b64 s[0:1], s[0:1]
; %bb.103:
	v_div_scale_f64 v[128:129], s[2:3], v[118:119], v[118:119], 1.0
	v_rcp_f64_e32 v[130:131], v[128:129]
	v_div_scale_f64 v[132:133], vcc, 1.0, v[118:119], 1.0
	v_fma_f64 v[134:135], -v[128:129], v[130:131], 1.0
	v_fmac_f64_e32 v[130:131], v[130:131], v[134:135]
	v_fma_f64 v[134:135], -v[128:129], v[130:131], 1.0
	v_fmac_f64_e32 v[130:131], v[130:131], v[134:135]
	v_mul_f64 v[134:135], v[132:133], v[130:131]
	v_fma_f64 v[128:129], -v[128:129], v[134:135], v[132:133]
	v_div_fmas_f64 v[128:129], v[128:129], v[130:131], v[134:135]
	v_div_fixup_f64 v[118:119], v[128:129], v[118:119], 1.0
; %bb.104:
	s_or_b64 exec, exec, s[0:1]
	v_cmp_ne_u32_e32 vcc, v123, v120
	s_and_saveexec_b64 s[0:1], vcc
	s_xor_b64 s[0:1], exec, s[0:1]
	s_cbranch_execz .LBB112_110
; %bb.105:
	v_cmp_eq_u32_e32 vcc, 6, v123
	s_and_saveexec_b64 s[2:3], vcc
	s_cbranch_execz .LBB112_109
; %bb.106:
	v_cmp_ne_u32_e32 vcc, 6, v120
	s_xor_b64 s[14:15], s[6:7], -1
	s_and_b64 s[16:17], s[14:15], vcc
	s_and_saveexec_b64 s[14:15], s[16:17]
	s_cbranch_execz .LBB112_108
; %bb.107:
	v_ashrrev_i32_e32 v121, 31, v120
	v_lshlrev_b64 v[128:129], 2, v[120:121]
	v_add_co_u32_e32 v128, vcc, v4, v128
	v_addc_co_u32_e32 v129, vcc, v5, v129, vcc
	flat_load_dword v121, v[128:129]
	flat_load_dword v123, v[4:5] offset:24
	s_waitcnt vmcnt(0) lgkmcnt(0)
	flat_store_dword v[4:5], v121 offset:24
	flat_store_dword v[128:129], v123
.LBB112_108:
	s_or_b64 exec, exec, s[14:15]
	v_mov_b32_e32 v121, v120
	v_mov_b32_e32 v123, v120
.LBB112_109:
	s_or_b64 exec, exec, s[2:3]
.LBB112_110:
	s_andn2_saveexec_b64 s[0:1], s[0:1]
	s_cbranch_execz .LBB112_112
; %bb.111:
	v_mov_b32_e32 v123, 6
	ds_write2_b64 v122, v[100:101], v[98:99] offset0:7 offset1:8
	ds_write2_b64 v122, v[96:97], v[94:95] offset0:9 offset1:10
	;; [unrolled: 1-line block ×25, first 2 shown]
.LBB112_112:
	s_or_b64 exec, exec, s[0:1]
	v_cmp_lt_i32_e32 vcc, 6, v123
	s_waitcnt lgkmcnt(0)
	s_barrier
	s_and_saveexec_b64 s[0:1], vcc
	s_cbranch_execz .LBB112_114
; %bb.113:
	ds_read2_b64 v[128:131], v122 offset0:7 offset1:8
	ds_read2_b64 v[132:135], v122 offset0:9 offset1:10
	v_mul_f64 v[102:103], v[118:119], v[102:103]
	ds_read2_b64 v[136:139], v122 offset0:11 offset1:12
	s_waitcnt lgkmcnt(0)
	v_fma_f64 v[100:101], -v[102:103], v[128:129], v[100:101]
	v_fma_f64 v[98:99], -v[102:103], v[130:131], v[98:99]
	ds_read2_b64 v[128:131], v122 offset0:13 offset1:14
	v_fma_f64 v[96:97], -v[102:103], v[132:133], v[96:97]
	v_fma_f64 v[94:95], -v[102:103], v[134:135], v[94:95]
	;; [unrolled: 1-line block ×3, first 2 shown]
	ds_read2_b64 v[132:135], v122 offset0:15 offset1:16
	v_fma_f64 v[90:91], -v[102:103], v[138:139], v[90:91]
	ds_read2_b64 v[136:139], v122 offset0:17 offset1:18
	s_waitcnt lgkmcnt(0)
	v_fma_f64 v[88:89], -v[102:103], v[128:129], v[88:89]
	v_fma_f64 v[86:87], -v[102:103], v[130:131], v[86:87]
	ds_read2_b64 v[128:131], v122 offset0:19 offset1:20
	v_fma_f64 v[84:85], -v[102:103], v[132:133], v[84:85]
	v_fma_f64 v[82:83], -v[102:103], v[134:135], v[82:83]
	ds_read2_b64 v[132:135], v122 offset0:21 offset1:22
	v_fma_f64 v[80:81], -v[102:103], v[136:137], v[80:81]
	v_fma_f64 v[78:79], -v[102:103], v[138:139], v[78:79]
	s_waitcnt lgkmcnt(0)
	v_fma_f64 v[76:77], -v[102:103], v[128:129], v[76:77]
	ds_read2_b64 v[136:139], v122 offset0:23 offset1:24
	v_fma_f64 v[74:75], -v[102:103], v[130:131], v[74:75]
	ds_read2_b64 v[128:131], v122 offset0:25 offset1:26
	v_fma_f64 v[72:73], -v[102:103], v[132:133], v[72:73]
	v_fma_f64 v[70:71], -v[102:103], v[134:135], v[70:71]
	s_waitcnt lgkmcnt(0)
	v_fma_f64 v[68:69], -v[102:103], v[136:137], v[68:69]
	ds_read2_b64 v[132:135], v122 offset0:27 offset1:28
	v_fma_f64 v[66:67], -v[102:103], v[138:139], v[66:67]
	ds_read2_b64 v[136:139], v122 offset0:29 offset1:30
	v_fma_f64 v[64:65], -v[102:103], v[128:129], v[64:65]
	v_fma_f64 v[62:63], -v[102:103], v[130:131], v[62:63]
	ds_read2_b64 v[128:131], v122 offset0:31 offset1:32
	s_waitcnt lgkmcnt(0)
	v_fma_f64 v[60:61], -v[102:103], v[132:133], v[60:61]
	v_fma_f64 v[58:59], -v[102:103], v[134:135], v[58:59]
	ds_read2_b64 v[132:135], v122 offset0:33 offset1:34
	v_fma_f64 v[56:57], -v[102:103], v[136:137], v[56:57]
	v_fma_f64 v[54:55], -v[102:103], v[138:139], v[54:55]
	v_fma_f64 v[52:53], -v[102:103], v[128:129], v[52:53]
	ds_read2_b64 v[136:139], v122 offset0:35 offset1:36
	v_fma_f64 v[50:51], -v[102:103], v[130:131], v[50:51]
	ds_read2_b64 v[128:131], v122 offset0:37 offset1:38
	s_waitcnt lgkmcnt(0)
	v_fma_f64 v[48:49], -v[102:103], v[132:133], v[48:49]
	v_fma_f64 v[46:47], -v[102:103], v[134:135], v[46:47]
	;; [unrolled: 1-line block ×3, first 2 shown]
	ds_read2_b64 v[132:135], v122 offset0:39 offset1:40
	v_fma_f64 v[42:43], -v[102:103], v[138:139], v[42:43]
	ds_read2_b64 v[136:139], v122 offset0:41 offset1:42
	v_fma_f64 v[40:41], -v[102:103], v[128:129], v[40:41]
	v_fma_f64 v[38:39], -v[102:103], v[130:131], v[38:39]
	ds_read2_b64 v[128:131], v122 offset0:43 offset1:44
	s_waitcnt lgkmcnt(0)
	v_fma_f64 v[36:37], -v[102:103], v[132:133], v[36:37]
	v_fma_f64 v[34:35], -v[102:103], v[134:135], v[34:35]
	ds_read2_b64 v[132:135], v122 offset0:45 offset1:46
	v_fma_f64 v[32:33], -v[102:103], v[136:137], v[32:33]
	v_fma_f64 v[30:31], -v[102:103], v[138:139], v[30:31]
	;; [unrolled: 1-line block ×3, first 2 shown]
	ds_read2_b64 v[136:139], v122 offset0:47 offset1:48
	v_fma_f64 v[26:27], -v[102:103], v[130:131], v[26:27]
	ds_read2_b64 v[128:131], v122 offset0:49 offset1:50
	s_waitcnt lgkmcnt(0)
	v_fma_f64 v[24:25], -v[102:103], v[132:133], v[24:25]
	v_fma_f64 v[22:23], -v[102:103], v[134:135], v[22:23]
	;; [unrolled: 1-line block ×4, first 2 shown]
	ds_read2_b64 v[132:135], v122 offset0:51 offset1:52
	ds_read2_b64 v[136:139], v122 offset0:53 offset1:54
	v_fma_f64 v[16:17], -v[102:103], v[128:129], v[16:17]
	v_fma_f64 v[14:15], -v[102:103], v[130:131], v[14:15]
	ds_read2_b64 v[128:131], v122 offset0:55 offset1:56
	s_waitcnt lgkmcnt(0)
	v_fma_f64 v[12:13], -v[102:103], v[132:133], v[12:13]
	v_fma_f64 v[10:11], -v[102:103], v[134:135], v[10:11]
	;; [unrolled: 1-line block ×6, first 2 shown]
.LBB112_114:
	s_or_b64 exec, exec, s[0:1]
	v_lshl_add_u32 v118, v123, 3, v122
	s_barrier
	ds_write_b64 v118, v[100:101]
	s_waitcnt lgkmcnt(0)
	s_barrier
	ds_read_b64 v[118:119], v122 offset:56
	s_cmp_lt_i32 s18, 9
	v_mov_b32_e32 v120, 7
	s_cbranch_scc1 .LBB112_117
; %bb.115:
	v_add3_u32 v127, v127, 0, 64
	s_mov_b32 s0, 8
	v_mov_b32_e32 v120, 7
.LBB112_116:                            ; =>This Inner Loop Header: Depth=1
	ds_read_b64 v[128:129], v127
	v_mov_b32_e32 v130, s0
	s_add_i32 s0, s0, 1
	v_add_u32_e32 v127, 8, v127
	s_cmp_lg_u32 s18, s0
	s_waitcnt lgkmcnt(0)
	v_cmp_lt_f64_e64 vcc, |v[118:119]|, |v[128:129]|
	v_cndmask_b32_e32 v119, v119, v129, vcc
	v_cndmask_b32_e32 v118, v118, v128, vcc
	;; [unrolled: 1-line block ×3, first 2 shown]
	s_cbranch_scc1 .LBB112_116
.LBB112_117:
	s_waitcnt lgkmcnt(0)
	v_cmp_eq_f64_e32 vcc, 0, v[118:119]
	s_and_saveexec_b64 s[0:1], vcc
	s_xor_b64 s[0:1], exec, s[0:1]
; %bb.118:
	v_cmp_ne_u32_e32 vcc, 0, v126
	v_cndmask_b32_e32 v126, 8, v126, vcc
; %bb.119:
	s_andn2_saveexec_b64 s[0:1], s[0:1]
; %bb.120:
	v_div_scale_f64 v[128:129], s[2:3], v[118:119], v[118:119], 1.0
	v_rcp_f64_e32 v[130:131], v[128:129]
	v_div_scale_f64 v[132:133], vcc, 1.0, v[118:119], 1.0
	v_fma_f64 v[134:135], -v[128:129], v[130:131], 1.0
	v_fmac_f64_e32 v[130:131], v[130:131], v[134:135]
	v_fma_f64 v[134:135], -v[128:129], v[130:131], 1.0
	v_fmac_f64_e32 v[130:131], v[130:131], v[134:135]
	v_mul_f64 v[134:135], v[132:133], v[130:131]
	v_fma_f64 v[128:129], -v[128:129], v[134:135], v[132:133]
	v_div_fmas_f64 v[128:129], v[128:129], v[130:131], v[134:135]
	v_div_fixup_f64 v[118:119], v[128:129], v[118:119], 1.0
; %bb.121:
	s_or_b64 exec, exec, s[0:1]
	v_cmp_ne_u32_e32 vcc, v123, v120
	s_and_saveexec_b64 s[0:1], vcc
	s_xor_b64 s[0:1], exec, s[0:1]
	s_cbranch_execz .LBB112_127
; %bb.122:
	v_cmp_eq_u32_e32 vcc, 7, v123
	s_and_saveexec_b64 s[2:3], vcc
	s_cbranch_execz .LBB112_126
; %bb.123:
	v_cmp_ne_u32_e32 vcc, 7, v120
	s_xor_b64 s[14:15], s[6:7], -1
	s_and_b64 s[16:17], s[14:15], vcc
	s_and_saveexec_b64 s[14:15], s[16:17]
	s_cbranch_execz .LBB112_125
; %bb.124:
	v_ashrrev_i32_e32 v121, 31, v120
	v_lshlrev_b64 v[128:129], 2, v[120:121]
	v_add_co_u32_e32 v128, vcc, v4, v128
	v_addc_co_u32_e32 v129, vcc, v5, v129, vcc
	flat_load_dword v121, v[128:129]
	flat_load_dword v123, v[4:5] offset:28
	s_waitcnt vmcnt(0) lgkmcnt(0)
	flat_store_dword v[4:5], v121 offset:28
	flat_store_dword v[128:129], v123
.LBB112_125:
	s_or_b64 exec, exec, s[14:15]
	v_mov_b32_e32 v121, v120
	v_mov_b32_e32 v123, v120
.LBB112_126:
	s_or_b64 exec, exec, s[2:3]
.LBB112_127:
	s_andn2_saveexec_b64 s[0:1], s[0:1]
	s_cbranch_execz .LBB112_129
; %bb.128:
	v_mov_b32_e32 v128, v98
	v_mov_b32_e32 v129, v99
	v_mov_b32_e32 v130, v96
	v_mov_b32_e32 v131, v97
	ds_write2_b64 v122, v[128:129], v[130:131] offset0:8 offset1:9
	v_mov_b32_e32 v128, v94
	v_mov_b32_e32 v129, v95
	v_mov_b32_e32 v130, v92
	v_mov_b32_e32 v131, v93
	ds_write2_b64 v122, v[128:129], v[130:131] offset0:10 offset1:11
	;; [unrolled: 5-line block ×23, first 2 shown]
	v_mov_b32_e32 v128, v6
	v_mov_b32_e32 v129, v7
	;; [unrolled: 1-line block ×5, first 2 shown]
	ds_write2_b64 v122, v[128:129], v[130:131] offset0:54 offset1:55
	ds_write_b64 v122, v[116:117] offset:448
.LBB112_129:
	s_or_b64 exec, exec, s[0:1]
	v_cmp_lt_i32_e32 vcc, 7, v123
	s_waitcnt lgkmcnt(0)
	s_barrier
	s_and_saveexec_b64 s[0:1], vcc
	s_cbranch_execz .LBB112_131
; %bb.130:
	ds_read2_b64 v[128:131], v122 offset0:8 offset1:9
	ds_read2_b64 v[132:135], v122 offset0:10 offset1:11
	;; [unrolled: 1-line block ×3, first 2 shown]
	v_mul_f64 v[100:101], v[118:119], v[100:101]
	ds_read_b64 v[118:119], v122 offset:448
	s_waitcnt lgkmcnt(0)
	v_fma_f64 v[98:99], -v[100:101], v[128:129], v[98:99]
	v_fma_f64 v[96:97], -v[100:101], v[130:131], v[96:97]
	ds_read2_b64 v[128:131], v122 offset0:14 offset1:15
	v_fma_f64 v[94:95], -v[100:101], v[132:133], v[94:95]
	v_fma_f64 v[92:93], -v[100:101], v[134:135], v[92:93]
	v_fma_f64 v[90:91], -v[100:101], v[136:137], v[90:91]
	ds_read2_b64 v[132:135], v122 offset0:16 offset1:17
	v_fma_f64 v[88:89], -v[100:101], v[138:139], v[88:89]
	ds_read2_b64 v[136:139], v122 offset0:18 offset1:19
	s_waitcnt lgkmcnt(0)
	v_fma_f64 v[86:87], -v[100:101], v[128:129], v[86:87]
	v_fma_f64 v[84:85], -v[100:101], v[130:131], v[84:85]
	v_fma_f64 v[82:83], -v[100:101], v[132:133], v[82:83]
	ds_read2_b64 v[128:131], v122 offset0:20 offset1:21
	v_fma_f64 v[80:81], -v[100:101], v[134:135], v[80:81]
	ds_read2_b64 v[132:135], v122 offset0:22 offset1:23
	v_fma_f64 v[78:79], -v[100:101], v[136:137], v[78:79]
	v_fma_f64 v[76:77], -v[100:101], v[138:139], v[76:77]
	ds_read2_b64 v[136:139], v122 offset0:24 offset1:25
	s_waitcnt lgkmcnt(0)
	v_fma_f64 v[74:75], -v[100:101], v[128:129], v[74:75]
	v_fma_f64 v[72:73], -v[100:101], v[130:131], v[72:73]
	ds_read2_b64 v[128:131], v122 offset0:26 offset1:27
	v_fma_f64 v[70:71], -v[100:101], v[132:133], v[70:71]
	v_fma_f64 v[68:69], -v[100:101], v[134:135], v[68:69]
	v_fma_f64 v[66:67], -v[100:101], v[136:137], v[66:67]
	ds_read2_b64 v[132:135], v122 offset0:28 offset1:29
	v_fma_f64 v[64:65], -v[100:101], v[138:139], v[64:65]
	ds_read2_b64 v[136:139], v122 offset0:30 offset1:31
	s_waitcnt lgkmcnt(0)
	v_fma_f64 v[62:63], -v[100:101], v[128:129], v[62:63]
	v_fma_f64 v[60:61], -v[100:101], v[130:131], v[60:61]
	v_fma_f64 v[58:59], -v[100:101], v[132:133], v[58:59]
	ds_read2_b64 v[128:131], v122 offset0:32 offset1:33
	v_fma_f64 v[56:57], -v[100:101], v[134:135], v[56:57]
	ds_read2_b64 v[132:135], v122 offset0:34 offset1:35
	v_fma_f64 v[54:55], -v[100:101], v[136:137], v[54:55]
	v_fma_f64 v[52:53], -v[100:101], v[138:139], v[52:53]
	ds_read2_b64 v[136:139], v122 offset0:36 offset1:37
	;; [unrolled: 20-line block ×3, first 2 shown]
	s_waitcnt lgkmcnt(0)
	v_fma_f64 v[26:27], -v[100:101], v[128:129], v[26:27]
	v_fma_f64 v[24:25], -v[100:101], v[130:131], v[24:25]
	ds_read2_b64 v[128:131], v122 offset0:50 offset1:51
	v_fma_f64 v[22:23], -v[100:101], v[132:133], v[22:23]
	v_fma_f64 v[20:21], -v[100:101], v[134:135], v[20:21]
	v_fma_f64 v[18:19], -v[100:101], v[136:137], v[18:19]
	v_fma_f64 v[16:17], -v[100:101], v[138:139], v[16:17]
	ds_read2_b64 v[132:135], v122 offset0:52 offset1:53
	ds_read2_b64 v[136:139], v122 offset0:54 offset1:55
	s_waitcnt lgkmcnt(0)
	v_fma_f64 v[14:15], -v[100:101], v[128:129], v[14:15]
	v_fma_f64 v[12:13], -v[100:101], v[130:131], v[12:13]
	;; [unrolled: 1-line block ×7, first 2 shown]
.LBB112_131:
	s_or_b64 exec, exec, s[0:1]
	v_lshl_add_u32 v118, v123, 3, v122
	s_barrier
	ds_write_b64 v118, v[98:99]
	s_waitcnt lgkmcnt(0)
	s_barrier
	ds_read_b64 v[118:119], v122 offset:64
	s_cmp_lt_i32 s18, 10
	v_mov_b32_e32 v120, 8
	s_cbranch_scc1 .LBB112_134
; %bb.132:
	v_add_u32_e32 v127, 0x48, v122
	s_mov_b32 s0, 9
	v_mov_b32_e32 v120, 8
.LBB112_133:                            ; =>This Inner Loop Header: Depth=1
	ds_read_b64 v[128:129], v127
	v_mov_b32_e32 v130, s0
	s_add_i32 s0, s0, 1
	v_add_u32_e32 v127, 8, v127
	s_cmp_lg_u32 s18, s0
	s_waitcnt lgkmcnt(0)
	v_cmp_lt_f64_e64 vcc, |v[118:119]|, |v[128:129]|
	v_cndmask_b32_e32 v119, v119, v129, vcc
	v_cndmask_b32_e32 v118, v118, v128, vcc
	;; [unrolled: 1-line block ×3, first 2 shown]
	s_cbranch_scc1 .LBB112_133
.LBB112_134:
	s_waitcnt lgkmcnt(0)
	v_cmp_eq_f64_e32 vcc, 0, v[118:119]
	s_and_saveexec_b64 s[0:1], vcc
	s_xor_b64 s[0:1], exec, s[0:1]
; %bb.135:
	v_cmp_ne_u32_e32 vcc, 0, v126
	v_cndmask_b32_e32 v126, 9, v126, vcc
; %bb.136:
	s_andn2_saveexec_b64 s[0:1], s[0:1]
; %bb.137:
	v_div_scale_f64 v[128:129], s[2:3], v[118:119], v[118:119], 1.0
	v_rcp_f64_e32 v[130:131], v[128:129]
	v_div_scale_f64 v[132:133], vcc, 1.0, v[118:119], 1.0
	v_fma_f64 v[134:135], -v[128:129], v[130:131], 1.0
	v_fmac_f64_e32 v[130:131], v[130:131], v[134:135]
	v_fma_f64 v[134:135], -v[128:129], v[130:131], 1.0
	v_fmac_f64_e32 v[130:131], v[130:131], v[134:135]
	v_mul_f64 v[134:135], v[132:133], v[130:131]
	v_fma_f64 v[128:129], -v[128:129], v[134:135], v[132:133]
	v_div_fmas_f64 v[128:129], v[128:129], v[130:131], v[134:135]
	v_div_fixup_f64 v[118:119], v[128:129], v[118:119], 1.0
; %bb.138:
	s_or_b64 exec, exec, s[0:1]
	v_cmp_ne_u32_e32 vcc, v123, v120
	s_and_saveexec_b64 s[0:1], vcc
	s_xor_b64 s[0:1], exec, s[0:1]
	s_cbranch_execz .LBB112_144
; %bb.139:
	v_cmp_eq_u32_e32 vcc, 8, v123
	s_and_saveexec_b64 s[2:3], vcc
	s_cbranch_execz .LBB112_143
; %bb.140:
	v_cmp_ne_u32_e32 vcc, 8, v120
	s_xor_b64 s[14:15], s[6:7], -1
	s_and_b64 s[16:17], s[14:15], vcc
	s_and_saveexec_b64 s[14:15], s[16:17]
	s_cbranch_execz .LBB112_142
; %bb.141:
	v_ashrrev_i32_e32 v121, 31, v120
	v_lshlrev_b64 v[128:129], 2, v[120:121]
	v_add_co_u32_e32 v128, vcc, v4, v128
	v_addc_co_u32_e32 v129, vcc, v5, v129, vcc
	flat_load_dword v121, v[128:129]
	flat_load_dword v123, v[4:5] offset:32
	s_waitcnt vmcnt(0) lgkmcnt(0)
	flat_store_dword v[4:5], v121 offset:32
	flat_store_dword v[128:129], v123
.LBB112_142:
	s_or_b64 exec, exec, s[14:15]
	v_mov_b32_e32 v121, v120
	v_mov_b32_e32 v123, v120
.LBB112_143:
	s_or_b64 exec, exec, s[2:3]
.LBB112_144:
	s_andn2_saveexec_b64 s[0:1], s[0:1]
	s_cbranch_execz .LBB112_146
; %bb.145:
	v_mov_b32_e32 v123, 8
	ds_write2_b64 v122, v[96:97], v[94:95] offset0:9 offset1:10
	ds_write2_b64 v122, v[92:93], v[90:91] offset0:11 offset1:12
	ds_write2_b64 v122, v[88:89], v[86:87] offset0:13 offset1:14
	ds_write2_b64 v122, v[84:85], v[82:83] offset0:15 offset1:16
	ds_write2_b64 v122, v[80:81], v[78:79] offset0:17 offset1:18
	ds_write2_b64 v122, v[76:77], v[74:75] offset0:19 offset1:20
	ds_write2_b64 v122, v[72:73], v[70:71] offset0:21 offset1:22
	ds_write2_b64 v122, v[68:69], v[66:67] offset0:23 offset1:24
	ds_write2_b64 v122, v[64:65], v[62:63] offset0:25 offset1:26
	ds_write2_b64 v122, v[60:61], v[58:59] offset0:27 offset1:28
	ds_write2_b64 v122, v[56:57], v[54:55] offset0:29 offset1:30
	ds_write2_b64 v122, v[52:53], v[50:51] offset0:31 offset1:32
	ds_write2_b64 v122, v[48:49], v[46:47] offset0:33 offset1:34
	ds_write2_b64 v122, v[44:45], v[42:43] offset0:35 offset1:36
	ds_write2_b64 v122, v[40:41], v[38:39] offset0:37 offset1:38
	ds_write2_b64 v122, v[36:37], v[34:35] offset0:39 offset1:40
	ds_write2_b64 v122, v[32:33], v[30:31] offset0:41 offset1:42
	ds_write2_b64 v122, v[28:29], v[26:27] offset0:43 offset1:44
	ds_write2_b64 v122, v[24:25], v[22:23] offset0:45 offset1:46
	ds_write2_b64 v122, v[20:21], v[18:19] offset0:47 offset1:48
	ds_write2_b64 v122, v[16:17], v[14:15] offset0:49 offset1:50
	ds_write2_b64 v122, v[12:13], v[10:11] offset0:51 offset1:52
	ds_write2_b64 v122, v[8:9], v[6:7] offset0:53 offset1:54
	ds_write2_b64 v122, v[0:1], v[116:117] offset0:55 offset1:56
.LBB112_146:
	s_or_b64 exec, exec, s[0:1]
	v_cmp_lt_i32_e32 vcc, 8, v123
	s_waitcnt lgkmcnt(0)
	s_barrier
	s_and_saveexec_b64 s[0:1], vcc
	s_cbranch_execz .LBB112_148
; %bb.147:
	ds_read2_b64 v[128:131], v122 offset0:9 offset1:10
	ds_read2_b64 v[132:135], v122 offset0:11 offset1:12
	;; [unrolled: 1-line block ×3, first 2 shown]
	v_mul_f64 v[98:99], v[118:119], v[98:99]
	s_waitcnt lgkmcnt(0)
	v_fma_f64 v[96:97], -v[98:99], v[128:129], v[96:97]
	v_fma_f64 v[94:95], -v[98:99], v[130:131], v[94:95]
	ds_read2_b64 v[128:131], v122 offset0:15 offset1:16
	v_fma_f64 v[92:93], -v[98:99], v[132:133], v[92:93]
	v_fma_f64 v[90:91], -v[98:99], v[134:135], v[90:91]
	v_fma_f64 v[88:89], -v[98:99], v[136:137], v[88:89]
	ds_read2_b64 v[132:135], v122 offset0:17 offset1:18
	v_fma_f64 v[86:87], -v[98:99], v[138:139], v[86:87]
	ds_read2_b64 v[136:139], v122 offset0:19 offset1:20
	s_waitcnt lgkmcnt(0)
	v_fma_f64 v[84:85], -v[98:99], v[128:129], v[84:85]
	v_fma_f64 v[82:83], -v[98:99], v[130:131], v[82:83]
	v_fma_f64 v[80:81], -v[98:99], v[132:133], v[80:81]
	ds_read2_b64 v[128:131], v122 offset0:21 offset1:22
	v_fma_f64 v[78:79], -v[98:99], v[134:135], v[78:79]
	ds_read2_b64 v[132:135], v122 offset0:23 offset1:24
	v_fma_f64 v[76:77], -v[98:99], v[136:137], v[76:77]
	v_fma_f64 v[74:75], -v[98:99], v[138:139], v[74:75]
	ds_read2_b64 v[136:139], v122 offset0:25 offset1:26
	s_waitcnt lgkmcnt(0)
	v_fma_f64 v[72:73], -v[98:99], v[128:129], v[72:73]
	v_fma_f64 v[70:71], -v[98:99], v[130:131], v[70:71]
	ds_read2_b64 v[128:131], v122 offset0:27 offset1:28
	v_fma_f64 v[68:69], -v[98:99], v[132:133], v[68:69]
	v_fma_f64 v[66:67], -v[98:99], v[134:135], v[66:67]
	v_fma_f64 v[64:65], -v[98:99], v[136:137], v[64:65]
	ds_read2_b64 v[132:135], v122 offset0:29 offset1:30
	v_fma_f64 v[62:63], -v[98:99], v[138:139], v[62:63]
	ds_read2_b64 v[136:139], v122 offset0:31 offset1:32
	s_waitcnt lgkmcnt(0)
	v_fma_f64 v[60:61], -v[98:99], v[128:129], v[60:61]
	v_fma_f64 v[58:59], -v[98:99], v[130:131], v[58:59]
	v_fma_f64 v[56:57], -v[98:99], v[132:133], v[56:57]
	ds_read2_b64 v[128:131], v122 offset0:33 offset1:34
	v_fma_f64 v[54:55], -v[98:99], v[134:135], v[54:55]
	ds_read2_b64 v[132:135], v122 offset0:35 offset1:36
	v_fma_f64 v[52:53], -v[98:99], v[136:137], v[52:53]
	v_fma_f64 v[50:51], -v[98:99], v[138:139], v[50:51]
	ds_read2_b64 v[136:139], v122 offset0:37 offset1:38
	;; [unrolled: 20-line block ×3, first 2 shown]
	s_waitcnt lgkmcnt(0)
	v_fma_f64 v[24:25], -v[98:99], v[128:129], v[24:25]
	v_fma_f64 v[22:23], -v[98:99], v[130:131], v[22:23]
	ds_read2_b64 v[128:131], v122 offset0:51 offset1:52
	v_fma_f64 v[20:21], -v[98:99], v[132:133], v[20:21]
	v_fma_f64 v[18:19], -v[98:99], v[134:135], v[18:19]
	;; [unrolled: 1-line block ×3, first 2 shown]
	ds_read2_b64 v[132:135], v122 offset0:53 offset1:54
	v_fma_f64 v[14:15], -v[98:99], v[138:139], v[14:15]
	ds_read2_b64 v[136:139], v122 offset0:55 offset1:56
	s_waitcnt lgkmcnt(0)
	v_fma_f64 v[12:13], -v[98:99], v[128:129], v[12:13]
	v_fma_f64 v[10:11], -v[98:99], v[130:131], v[10:11]
	;; [unrolled: 1-line block ×6, first 2 shown]
.LBB112_148:
	s_or_b64 exec, exec, s[0:1]
	v_lshl_add_u32 v118, v123, 3, v122
	s_barrier
	ds_write_b64 v118, v[96:97]
	s_waitcnt lgkmcnt(0)
	s_barrier
	ds_read_b64 v[118:119], v122 offset:72
	s_cmp_lt_i32 s18, 11
	v_mov_b32_e32 v120, 9
	s_cbranch_scc1 .LBB112_151
; %bb.149:
	v_add_u32_e32 v127, 0x50, v122
	s_mov_b32 s0, 10
	v_mov_b32_e32 v120, 9
.LBB112_150:                            ; =>This Inner Loop Header: Depth=1
	ds_read_b64 v[128:129], v127
	v_mov_b32_e32 v130, s0
	s_add_i32 s0, s0, 1
	v_add_u32_e32 v127, 8, v127
	s_cmp_lg_u32 s18, s0
	s_waitcnt lgkmcnt(0)
	v_cmp_lt_f64_e64 vcc, |v[118:119]|, |v[128:129]|
	v_cndmask_b32_e32 v119, v119, v129, vcc
	v_cndmask_b32_e32 v118, v118, v128, vcc
	;; [unrolled: 1-line block ×3, first 2 shown]
	s_cbranch_scc1 .LBB112_150
.LBB112_151:
	s_waitcnt lgkmcnt(0)
	v_cmp_eq_f64_e32 vcc, 0, v[118:119]
	s_and_saveexec_b64 s[0:1], vcc
	s_xor_b64 s[0:1], exec, s[0:1]
; %bb.152:
	v_cmp_ne_u32_e32 vcc, 0, v126
	v_cndmask_b32_e32 v126, 10, v126, vcc
; %bb.153:
	s_andn2_saveexec_b64 s[0:1], s[0:1]
; %bb.154:
	v_div_scale_f64 v[128:129], s[2:3], v[118:119], v[118:119], 1.0
	v_rcp_f64_e32 v[130:131], v[128:129]
	v_div_scale_f64 v[132:133], vcc, 1.0, v[118:119], 1.0
	v_fma_f64 v[134:135], -v[128:129], v[130:131], 1.0
	v_fmac_f64_e32 v[130:131], v[130:131], v[134:135]
	v_fma_f64 v[134:135], -v[128:129], v[130:131], 1.0
	v_fmac_f64_e32 v[130:131], v[130:131], v[134:135]
	v_mul_f64 v[134:135], v[132:133], v[130:131]
	v_fma_f64 v[128:129], -v[128:129], v[134:135], v[132:133]
	v_div_fmas_f64 v[128:129], v[128:129], v[130:131], v[134:135]
	v_div_fixup_f64 v[118:119], v[128:129], v[118:119], 1.0
; %bb.155:
	s_or_b64 exec, exec, s[0:1]
	v_cmp_ne_u32_e32 vcc, v123, v120
	s_and_saveexec_b64 s[0:1], vcc
	s_xor_b64 s[0:1], exec, s[0:1]
	s_cbranch_execz .LBB112_161
; %bb.156:
	v_cmp_eq_u32_e32 vcc, 9, v123
	s_and_saveexec_b64 s[2:3], vcc
	s_cbranch_execz .LBB112_160
; %bb.157:
	v_cmp_ne_u32_e32 vcc, 9, v120
	s_xor_b64 s[14:15], s[6:7], -1
	s_and_b64 s[16:17], s[14:15], vcc
	s_and_saveexec_b64 s[14:15], s[16:17]
	s_cbranch_execz .LBB112_159
; %bb.158:
	v_ashrrev_i32_e32 v121, 31, v120
	v_lshlrev_b64 v[128:129], 2, v[120:121]
	v_add_co_u32_e32 v128, vcc, v4, v128
	v_addc_co_u32_e32 v129, vcc, v5, v129, vcc
	flat_load_dword v121, v[128:129]
	flat_load_dword v123, v[4:5] offset:36
	s_waitcnt vmcnt(0) lgkmcnt(0)
	flat_store_dword v[4:5], v121 offset:36
	flat_store_dword v[128:129], v123
.LBB112_159:
	s_or_b64 exec, exec, s[14:15]
	v_mov_b32_e32 v121, v120
	v_mov_b32_e32 v123, v120
.LBB112_160:
	s_or_b64 exec, exec, s[2:3]
.LBB112_161:
	s_andn2_saveexec_b64 s[0:1], s[0:1]
	s_cbranch_execz .LBB112_163
; %bb.162:
	v_mov_b32_e32 v128, v94
	v_mov_b32_e32 v129, v95
	v_mov_b32_e32 v130, v92
	v_mov_b32_e32 v131, v93
	ds_write2_b64 v122, v[128:129], v[130:131] offset0:10 offset1:11
	v_mov_b32_e32 v128, v90
	v_mov_b32_e32 v129, v91
	v_mov_b32_e32 v130, v88
	v_mov_b32_e32 v131, v89
	ds_write2_b64 v122, v[128:129], v[130:131] offset0:12 offset1:13
	;; [unrolled: 5-line block ×22, first 2 shown]
	v_mov_b32_e32 v128, v6
	v_mov_b32_e32 v129, v7
	;; [unrolled: 1-line block ×5, first 2 shown]
	ds_write2_b64 v122, v[128:129], v[130:131] offset0:54 offset1:55
	ds_write_b64 v122, v[116:117] offset:448
.LBB112_163:
	s_or_b64 exec, exec, s[0:1]
	v_cmp_lt_i32_e32 vcc, 9, v123
	s_waitcnt lgkmcnt(0)
	s_barrier
	s_and_saveexec_b64 s[0:1], vcc
	s_cbranch_execz .LBB112_165
; %bb.164:
	ds_read2_b64 v[128:131], v122 offset0:10 offset1:11
	ds_read2_b64 v[132:135], v122 offset0:12 offset1:13
	v_mul_f64 v[96:97], v[118:119], v[96:97]
	ds_read2_b64 v[136:139], v122 offset0:14 offset1:15
	ds_read_b64 v[118:119], v122 offset:448
	s_waitcnt lgkmcnt(0)
	v_fma_f64 v[94:95], -v[96:97], v[128:129], v[94:95]
	v_fma_f64 v[92:93], -v[96:97], v[130:131], v[92:93]
	ds_read2_b64 v[128:131], v122 offset0:16 offset1:17
	v_fma_f64 v[90:91], -v[96:97], v[132:133], v[90:91]
	v_fma_f64 v[88:89], -v[96:97], v[134:135], v[88:89]
	ds_read2_b64 v[132:135], v122 offset0:18 offset1:19
	;; [unrolled: 3-line block ×3, first 2 shown]
	s_waitcnt lgkmcnt(0)
	v_fma_f64 v[82:83], -v[96:97], v[128:129], v[82:83]
	v_fma_f64 v[80:81], -v[96:97], v[130:131], v[80:81]
	;; [unrolled: 1-line block ×3, first 2 shown]
	ds_read2_b64 v[128:131], v122 offset0:22 offset1:23
	v_fma_f64 v[76:77], -v[96:97], v[134:135], v[76:77]
	ds_read2_b64 v[132:135], v122 offset0:24 offset1:25
	v_fma_f64 v[74:75], -v[96:97], v[136:137], v[74:75]
	v_fma_f64 v[72:73], -v[96:97], v[138:139], v[72:73]
	s_waitcnt lgkmcnt(0)
	v_fma_f64 v[70:71], -v[96:97], v[128:129], v[70:71]
	ds_read2_b64 v[136:139], v122 offset0:26 offset1:27
	v_fma_f64 v[68:69], -v[96:97], v[130:131], v[68:69]
	ds_read2_b64 v[128:131], v122 offset0:28 offset1:29
	v_fma_f64 v[66:67], -v[96:97], v[132:133], v[66:67]
	v_fma_f64 v[64:65], -v[96:97], v[134:135], v[64:65]
	ds_read2_b64 v[132:135], v122 offset0:30 offset1:31
	s_waitcnt lgkmcnt(0)
	v_fma_f64 v[62:63], -v[96:97], v[136:137], v[62:63]
	v_fma_f64 v[60:61], -v[96:97], v[138:139], v[60:61]
	ds_read2_b64 v[136:139], v122 offset0:32 offset1:33
	v_fma_f64 v[58:59], -v[96:97], v[128:129], v[58:59]
	v_fma_f64 v[56:57], -v[96:97], v[130:131], v[56:57]
	;; [unrolled: 1-line block ×3, first 2 shown]
	ds_read2_b64 v[128:131], v122 offset0:34 offset1:35
	v_fma_f64 v[52:53], -v[96:97], v[134:135], v[52:53]
	ds_read2_b64 v[132:135], v122 offset0:36 offset1:37
	s_waitcnt lgkmcnt(0)
	v_fma_f64 v[50:51], -v[96:97], v[136:137], v[50:51]
	v_fma_f64 v[48:49], -v[96:97], v[138:139], v[48:49]
	;; [unrolled: 1-line block ×3, first 2 shown]
	ds_read2_b64 v[136:139], v122 offset0:38 offset1:39
	v_fma_f64 v[44:45], -v[96:97], v[130:131], v[44:45]
	ds_read2_b64 v[128:131], v122 offset0:40 offset1:41
	v_fma_f64 v[42:43], -v[96:97], v[132:133], v[42:43]
	v_fma_f64 v[40:41], -v[96:97], v[134:135], v[40:41]
	ds_read2_b64 v[132:135], v122 offset0:42 offset1:43
	s_waitcnt lgkmcnt(0)
	v_fma_f64 v[38:39], -v[96:97], v[136:137], v[38:39]
	v_fma_f64 v[36:37], -v[96:97], v[138:139], v[36:37]
	ds_read2_b64 v[136:139], v122 offset0:44 offset1:45
	v_fma_f64 v[34:35], -v[96:97], v[128:129], v[34:35]
	v_fma_f64 v[32:33], -v[96:97], v[130:131], v[32:33]
	;; [unrolled: 1-line block ×3, first 2 shown]
	ds_read2_b64 v[128:131], v122 offset0:46 offset1:47
	v_fma_f64 v[28:29], -v[96:97], v[134:135], v[28:29]
	ds_read2_b64 v[132:135], v122 offset0:48 offset1:49
	s_waitcnt lgkmcnt(0)
	v_fma_f64 v[26:27], -v[96:97], v[136:137], v[26:27]
	v_fma_f64 v[24:25], -v[96:97], v[138:139], v[24:25]
	;; [unrolled: 1-line block ×3, first 2 shown]
	ds_read2_b64 v[136:139], v122 offset0:50 offset1:51
	v_fma_f64 v[20:21], -v[96:97], v[130:131], v[20:21]
	ds_read2_b64 v[128:131], v122 offset0:52 offset1:53
	v_fma_f64 v[18:19], -v[96:97], v[132:133], v[18:19]
	v_fma_f64 v[16:17], -v[96:97], v[134:135], v[16:17]
	ds_read2_b64 v[132:135], v122 offset0:54 offset1:55
	s_waitcnt lgkmcnt(0)
	v_fma_f64 v[14:15], -v[96:97], v[136:137], v[14:15]
	v_fma_f64 v[12:13], -v[96:97], v[138:139], v[12:13]
	;; [unrolled: 1-line block ×7, first 2 shown]
.LBB112_165:
	s_or_b64 exec, exec, s[0:1]
	v_lshl_add_u32 v118, v123, 3, v122
	s_barrier
	ds_write_b64 v118, v[94:95]
	s_waitcnt lgkmcnt(0)
	s_barrier
	ds_read_b64 v[118:119], v122 offset:80
	s_cmp_lt_i32 s18, 12
	v_mov_b32_e32 v120, 10
	s_cbranch_scc1 .LBB112_168
; %bb.166:
	v_add_u32_e32 v127, 0x58, v122
	s_mov_b32 s0, 11
	v_mov_b32_e32 v120, 10
.LBB112_167:                            ; =>This Inner Loop Header: Depth=1
	ds_read_b64 v[128:129], v127
	v_mov_b32_e32 v130, s0
	s_add_i32 s0, s0, 1
	v_add_u32_e32 v127, 8, v127
	s_cmp_lg_u32 s18, s0
	s_waitcnt lgkmcnt(0)
	v_cmp_lt_f64_e64 vcc, |v[118:119]|, |v[128:129]|
	v_cndmask_b32_e32 v119, v119, v129, vcc
	v_cndmask_b32_e32 v118, v118, v128, vcc
	;; [unrolled: 1-line block ×3, first 2 shown]
	s_cbranch_scc1 .LBB112_167
.LBB112_168:
	s_waitcnt lgkmcnt(0)
	v_cmp_eq_f64_e32 vcc, 0, v[118:119]
	s_and_saveexec_b64 s[0:1], vcc
	s_xor_b64 s[0:1], exec, s[0:1]
; %bb.169:
	v_cmp_ne_u32_e32 vcc, 0, v126
	v_cndmask_b32_e32 v126, 11, v126, vcc
; %bb.170:
	s_andn2_saveexec_b64 s[0:1], s[0:1]
; %bb.171:
	v_div_scale_f64 v[128:129], s[2:3], v[118:119], v[118:119], 1.0
	v_rcp_f64_e32 v[130:131], v[128:129]
	v_div_scale_f64 v[132:133], vcc, 1.0, v[118:119], 1.0
	v_fma_f64 v[134:135], -v[128:129], v[130:131], 1.0
	v_fmac_f64_e32 v[130:131], v[130:131], v[134:135]
	v_fma_f64 v[134:135], -v[128:129], v[130:131], 1.0
	v_fmac_f64_e32 v[130:131], v[130:131], v[134:135]
	v_mul_f64 v[134:135], v[132:133], v[130:131]
	v_fma_f64 v[128:129], -v[128:129], v[134:135], v[132:133]
	v_div_fmas_f64 v[128:129], v[128:129], v[130:131], v[134:135]
	v_div_fixup_f64 v[118:119], v[128:129], v[118:119], 1.0
; %bb.172:
	s_or_b64 exec, exec, s[0:1]
	v_cmp_ne_u32_e32 vcc, v123, v120
	s_and_saveexec_b64 s[0:1], vcc
	s_xor_b64 s[0:1], exec, s[0:1]
	s_cbranch_execz .LBB112_178
; %bb.173:
	v_cmp_eq_u32_e32 vcc, 10, v123
	s_and_saveexec_b64 s[2:3], vcc
	s_cbranch_execz .LBB112_177
; %bb.174:
	v_cmp_ne_u32_e32 vcc, 10, v120
	s_xor_b64 s[14:15], s[6:7], -1
	s_and_b64 s[16:17], s[14:15], vcc
	s_and_saveexec_b64 s[14:15], s[16:17]
	s_cbranch_execz .LBB112_176
; %bb.175:
	v_ashrrev_i32_e32 v121, 31, v120
	v_lshlrev_b64 v[128:129], 2, v[120:121]
	v_add_co_u32_e32 v128, vcc, v4, v128
	v_addc_co_u32_e32 v129, vcc, v5, v129, vcc
	flat_load_dword v121, v[128:129]
	flat_load_dword v123, v[4:5] offset:40
	s_waitcnt vmcnt(0) lgkmcnt(0)
	flat_store_dword v[4:5], v121 offset:40
	flat_store_dword v[128:129], v123
.LBB112_176:
	s_or_b64 exec, exec, s[14:15]
	v_mov_b32_e32 v121, v120
	v_mov_b32_e32 v123, v120
.LBB112_177:
	s_or_b64 exec, exec, s[2:3]
.LBB112_178:
	s_andn2_saveexec_b64 s[0:1], s[0:1]
	s_cbranch_execz .LBB112_180
; %bb.179:
	v_mov_b32_e32 v123, 10
	ds_write2_b64 v122, v[92:93], v[90:91] offset0:11 offset1:12
	ds_write2_b64 v122, v[88:89], v[86:87] offset0:13 offset1:14
	;; [unrolled: 1-line block ×23, first 2 shown]
.LBB112_180:
	s_or_b64 exec, exec, s[0:1]
	v_cmp_lt_i32_e32 vcc, 10, v123
	s_waitcnt lgkmcnt(0)
	s_barrier
	s_and_saveexec_b64 s[0:1], vcc
	s_cbranch_execz .LBB112_182
; %bb.181:
	ds_read2_b64 v[128:131], v122 offset0:11 offset1:12
	ds_read2_b64 v[132:135], v122 offset0:13 offset1:14
	v_mul_f64 v[94:95], v[118:119], v[94:95]
	ds_read2_b64 v[136:139], v122 offset0:15 offset1:16
	s_waitcnt lgkmcnt(0)
	v_fma_f64 v[92:93], -v[94:95], v[128:129], v[92:93]
	v_fma_f64 v[90:91], -v[94:95], v[130:131], v[90:91]
	ds_read2_b64 v[128:131], v122 offset0:17 offset1:18
	v_fma_f64 v[88:89], -v[94:95], v[132:133], v[88:89]
	v_fma_f64 v[86:87], -v[94:95], v[134:135], v[86:87]
	ds_read2_b64 v[132:135], v122 offset0:19 offset1:20
	;; [unrolled: 3-line block ×3, first 2 shown]
	s_waitcnt lgkmcnt(0)
	v_fma_f64 v[80:81], -v[94:95], v[128:129], v[80:81]
	v_fma_f64 v[78:79], -v[94:95], v[130:131], v[78:79]
	;; [unrolled: 1-line block ×3, first 2 shown]
	ds_read2_b64 v[128:131], v122 offset0:23 offset1:24
	v_fma_f64 v[74:75], -v[94:95], v[134:135], v[74:75]
	ds_read2_b64 v[132:135], v122 offset0:25 offset1:26
	v_fma_f64 v[72:73], -v[94:95], v[136:137], v[72:73]
	v_fma_f64 v[70:71], -v[94:95], v[138:139], v[70:71]
	s_waitcnt lgkmcnt(0)
	v_fma_f64 v[68:69], -v[94:95], v[128:129], v[68:69]
	ds_read2_b64 v[136:139], v122 offset0:27 offset1:28
	v_fma_f64 v[66:67], -v[94:95], v[130:131], v[66:67]
	ds_read2_b64 v[128:131], v122 offset0:29 offset1:30
	v_fma_f64 v[64:65], -v[94:95], v[132:133], v[64:65]
	v_fma_f64 v[62:63], -v[94:95], v[134:135], v[62:63]
	ds_read2_b64 v[132:135], v122 offset0:31 offset1:32
	s_waitcnt lgkmcnt(0)
	v_fma_f64 v[60:61], -v[94:95], v[136:137], v[60:61]
	v_fma_f64 v[58:59], -v[94:95], v[138:139], v[58:59]
	ds_read2_b64 v[136:139], v122 offset0:33 offset1:34
	v_fma_f64 v[56:57], -v[94:95], v[128:129], v[56:57]
	v_fma_f64 v[54:55], -v[94:95], v[130:131], v[54:55]
	;; [unrolled: 1-line block ×3, first 2 shown]
	ds_read2_b64 v[128:131], v122 offset0:35 offset1:36
	v_fma_f64 v[50:51], -v[94:95], v[134:135], v[50:51]
	ds_read2_b64 v[132:135], v122 offset0:37 offset1:38
	s_waitcnt lgkmcnt(0)
	v_fma_f64 v[48:49], -v[94:95], v[136:137], v[48:49]
	v_fma_f64 v[46:47], -v[94:95], v[138:139], v[46:47]
	;; [unrolled: 1-line block ×3, first 2 shown]
	ds_read2_b64 v[136:139], v122 offset0:39 offset1:40
	v_fma_f64 v[42:43], -v[94:95], v[130:131], v[42:43]
	ds_read2_b64 v[128:131], v122 offset0:41 offset1:42
	v_fma_f64 v[40:41], -v[94:95], v[132:133], v[40:41]
	v_fma_f64 v[38:39], -v[94:95], v[134:135], v[38:39]
	ds_read2_b64 v[132:135], v122 offset0:43 offset1:44
	s_waitcnt lgkmcnt(0)
	v_fma_f64 v[36:37], -v[94:95], v[136:137], v[36:37]
	v_fma_f64 v[34:35], -v[94:95], v[138:139], v[34:35]
	ds_read2_b64 v[136:139], v122 offset0:45 offset1:46
	v_fma_f64 v[32:33], -v[94:95], v[128:129], v[32:33]
	v_fma_f64 v[30:31], -v[94:95], v[130:131], v[30:31]
	;; [unrolled: 1-line block ×3, first 2 shown]
	ds_read2_b64 v[128:131], v122 offset0:47 offset1:48
	v_fma_f64 v[26:27], -v[94:95], v[134:135], v[26:27]
	ds_read2_b64 v[132:135], v122 offset0:49 offset1:50
	s_waitcnt lgkmcnt(0)
	v_fma_f64 v[24:25], -v[94:95], v[136:137], v[24:25]
	v_fma_f64 v[22:23], -v[94:95], v[138:139], v[22:23]
	;; [unrolled: 1-line block ×4, first 2 shown]
	ds_read2_b64 v[128:131], v122 offset0:51 offset1:52
	ds_read2_b64 v[136:139], v122 offset0:53 offset1:54
	v_fma_f64 v[16:17], -v[94:95], v[132:133], v[16:17]
	v_fma_f64 v[14:15], -v[94:95], v[134:135], v[14:15]
	ds_read2_b64 v[132:135], v122 offset0:55 offset1:56
	s_waitcnt lgkmcnt(0)
	v_fma_f64 v[12:13], -v[94:95], v[128:129], v[12:13]
	v_fma_f64 v[10:11], -v[94:95], v[130:131], v[10:11]
	;; [unrolled: 1-line block ×6, first 2 shown]
.LBB112_182:
	s_or_b64 exec, exec, s[0:1]
	v_lshl_add_u32 v118, v123, 3, v122
	s_barrier
	ds_write_b64 v118, v[92:93]
	s_waitcnt lgkmcnt(0)
	s_barrier
	ds_read_b64 v[118:119], v122 offset:88
	s_cmp_lt_i32 s18, 13
	v_mov_b32_e32 v120, 11
	s_cbranch_scc1 .LBB112_185
; %bb.183:
	v_add_u32_e32 v127, 0x60, v122
	s_mov_b32 s0, 12
	v_mov_b32_e32 v120, 11
.LBB112_184:                            ; =>This Inner Loop Header: Depth=1
	ds_read_b64 v[128:129], v127
	v_mov_b32_e32 v130, s0
	s_add_i32 s0, s0, 1
	v_add_u32_e32 v127, 8, v127
	s_cmp_lg_u32 s18, s0
	s_waitcnt lgkmcnt(0)
	v_cmp_lt_f64_e64 vcc, |v[118:119]|, |v[128:129]|
	v_cndmask_b32_e32 v119, v119, v129, vcc
	v_cndmask_b32_e32 v118, v118, v128, vcc
	;; [unrolled: 1-line block ×3, first 2 shown]
	s_cbranch_scc1 .LBB112_184
.LBB112_185:
	s_waitcnt lgkmcnt(0)
	v_cmp_eq_f64_e32 vcc, 0, v[118:119]
	s_and_saveexec_b64 s[0:1], vcc
	s_xor_b64 s[0:1], exec, s[0:1]
; %bb.186:
	v_cmp_ne_u32_e32 vcc, 0, v126
	v_cndmask_b32_e32 v126, 12, v126, vcc
; %bb.187:
	s_andn2_saveexec_b64 s[0:1], s[0:1]
; %bb.188:
	v_div_scale_f64 v[128:129], s[2:3], v[118:119], v[118:119], 1.0
	v_rcp_f64_e32 v[130:131], v[128:129]
	v_div_scale_f64 v[132:133], vcc, 1.0, v[118:119], 1.0
	v_fma_f64 v[134:135], -v[128:129], v[130:131], 1.0
	v_fmac_f64_e32 v[130:131], v[130:131], v[134:135]
	v_fma_f64 v[134:135], -v[128:129], v[130:131], 1.0
	v_fmac_f64_e32 v[130:131], v[130:131], v[134:135]
	v_mul_f64 v[134:135], v[132:133], v[130:131]
	v_fma_f64 v[128:129], -v[128:129], v[134:135], v[132:133]
	v_div_fmas_f64 v[128:129], v[128:129], v[130:131], v[134:135]
	v_div_fixup_f64 v[118:119], v[128:129], v[118:119], 1.0
; %bb.189:
	s_or_b64 exec, exec, s[0:1]
	v_cmp_ne_u32_e32 vcc, v123, v120
	s_and_saveexec_b64 s[0:1], vcc
	s_xor_b64 s[0:1], exec, s[0:1]
	s_cbranch_execz .LBB112_195
; %bb.190:
	v_cmp_eq_u32_e32 vcc, 11, v123
	s_and_saveexec_b64 s[2:3], vcc
	s_cbranch_execz .LBB112_194
; %bb.191:
	v_cmp_ne_u32_e32 vcc, 11, v120
	s_xor_b64 s[14:15], s[6:7], -1
	s_and_b64 s[16:17], s[14:15], vcc
	s_and_saveexec_b64 s[14:15], s[16:17]
	s_cbranch_execz .LBB112_193
; %bb.192:
	v_ashrrev_i32_e32 v121, 31, v120
	v_lshlrev_b64 v[128:129], 2, v[120:121]
	v_add_co_u32_e32 v128, vcc, v4, v128
	v_addc_co_u32_e32 v129, vcc, v5, v129, vcc
	flat_load_dword v121, v[128:129]
	flat_load_dword v123, v[4:5] offset:44
	s_waitcnt vmcnt(0) lgkmcnt(0)
	flat_store_dword v[4:5], v121 offset:44
	flat_store_dword v[128:129], v123
.LBB112_193:
	s_or_b64 exec, exec, s[14:15]
	v_mov_b32_e32 v121, v120
	v_mov_b32_e32 v123, v120
.LBB112_194:
	s_or_b64 exec, exec, s[2:3]
.LBB112_195:
	s_andn2_saveexec_b64 s[0:1], s[0:1]
	s_cbranch_execz .LBB112_197
; %bb.196:
	v_mov_b32_e32 v128, v90
	v_mov_b32_e32 v129, v91
	v_mov_b32_e32 v130, v88
	v_mov_b32_e32 v131, v89
	ds_write2_b64 v122, v[128:129], v[130:131] offset0:12 offset1:13
	v_mov_b32_e32 v128, v86
	v_mov_b32_e32 v129, v87
	v_mov_b32_e32 v130, v84
	v_mov_b32_e32 v131, v85
	ds_write2_b64 v122, v[128:129], v[130:131] offset0:14 offset1:15
	;; [unrolled: 5-line block ×21, first 2 shown]
	v_mov_b32_e32 v128, v6
	v_mov_b32_e32 v129, v7
	;; [unrolled: 1-line block ×5, first 2 shown]
	ds_write2_b64 v122, v[128:129], v[130:131] offset0:54 offset1:55
	ds_write_b64 v122, v[116:117] offset:448
.LBB112_197:
	s_or_b64 exec, exec, s[0:1]
	v_cmp_lt_i32_e32 vcc, 11, v123
	s_waitcnt lgkmcnt(0)
	s_barrier
	s_and_saveexec_b64 s[0:1], vcc
	s_cbranch_execz .LBB112_199
; %bb.198:
	ds_read2_b64 v[128:131], v122 offset0:12 offset1:13
	ds_read2_b64 v[132:135], v122 offset0:14 offset1:15
	v_mul_f64 v[92:93], v[118:119], v[92:93]
	ds_read2_b64 v[136:139], v122 offset0:16 offset1:17
	ds_read_b64 v[118:119], v122 offset:448
	s_waitcnt lgkmcnt(0)
	v_fma_f64 v[90:91], -v[92:93], v[128:129], v[90:91]
	v_fma_f64 v[88:89], -v[92:93], v[130:131], v[88:89]
	ds_read2_b64 v[128:131], v122 offset0:18 offset1:19
	v_fma_f64 v[86:87], -v[92:93], v[132:133], v[86:87]
	v_fma_f64 v[84:85], -v[92:93], v[134:135], v[84:85]
	;; [unrolled: 1-line block ×3, first 2 shown]
	ds_read2_b64 v[132:135], v122 offset0:20 offset1:21
	v_fma_f64 v[80:81], -v[92:93], v[138:139], v[80:81]
	ds_read2_b64 v[136:139], v122 offset0:22 offset1:23
	s_waitcnt lgkmcnt(0)
	v_fma_f64 v[78:79], -v[92:93], v[128:129], v[78:79]
	v_fma_f64 v[76:77], -v[92:93], v[130:131], v[76:77]
	ds_read2_b64 v[128:131], v122 offset0:24 offset1:25
	v_fma_f64 v[74:75], -v[92:93], v[132:133], v[74:75]
	v_fma_f64 v[72:73], -v[92:93], v[134:135], v[72:73]
	ds_read2_b64 v[132:135], v122 offset0:26 offset1:27
	v_fma_f64 v[70:71], -v[92:93], v[136:137], v[70:71]
	v_fma_f64 v[68:69], -v[92:93], v[138:139], v[68:69]
	s_waitcnt lgkmcnt(0)
	v_fma_f64 v[66:67], -v[92:93], v[128:129], v[66:67]
	ds_read2_b64 v[136:139], v122 offset0:28 offset1:29
	v_fma_f64 v[64:65], -v[92:93], v[130:131], v[64:65]
	ds_read2_b64 v[128:131], v122 offset0:30 offset1:31
	v_fma_f64 v[62:63], -v[92:93], v[132:133], v[62:63]
	v_fma_f64 v[60:61], -v[92:93], v[134:135], v[60:61]
	s_waitcnt lgkmcnt(0)
	v_fma_f64 v[58:59], -v[92:93], v[136:137], v[58:59]
	ds_read2_b64 v[132:135], v122 offset0:32 offset1:33
	v_fma_f64 v[56:57], -v[92:93], v[138:139], v[56:57]
	ds_read2_b64 v[136:139], v122 offset0:34 offset1:35
	v_fma_f64 v[54:55], -v[92:93], v[128:129], v[54:55]
	v_fma_f64 v[52:53], -v[92:93], v[130:131], v[52:53]
	ds_read2_b64 v[128:131], v122 offset0:36 offset1:37
	s_waitcnt lgkmcnt(0)
	v_fma_f64 v[50:51], -v[92:93], v[132:133], v[50:51]
	v_fma_f64 v[48:49], -v[92:93], v[134:135], v[48:49]
	ds_read2_b64 v[132:135], v122 offset0:38 offset1:39
	v_fma_f64 v[46:47], -v[92:93], v[136:137], v[46:47]
	v_fma_f64 v[44:45], -v[92:93], v[138:139], v[44:45]
	;; [unrolled: 1-line block ×3, first 2 shown]
	ds_read2_b64 v[136:139], v122 offset0:40 offset1:41
	v_fma_f64 v[40:41], -v[92:93], v[130:131], v[40:41]
	ds_read2_b64 v[128:131], v122 offset0:42 offset1:43
	s_waitcnt lgkmcnt(0)
	v_fma_f64 v[38:39], -v[92:93], v[132:133], v[38:39]
	v_fma_f64 v[36:37], -v[92:93], v[134:135], v[36:37]
	;; [unrolled: 1-line block ×3, first 2 shown]
	ds_read2_b64 v[132:135], v122 offset0:44 offset1:45
	v_fma_f64 v[32:33], -v[92:93], v[138:139], v[32:33]
	ds_read2_b64 v[136:139], v122 offset0:46 offset1:47
	v_fma_f64 v[30:31], -v[92:93], v[128:129], v[30:31]
	v_fma_f64 v[28:29], -v[92:93], v[130:131], v[28:29]
	ds_read2_b64 v[128:131], v122 offset0:48 offset1:49
	s_waitcnt lgkmcnt(0)
	v_fma_f64 v[26:27], -v[92:93], v[132:133], v[26:27]
	v_fma_f64 v[24:25], -v[92:93], v[134:135], v[24:25]
	ds_read2_b64 v[132:135], v122 offset0:50 offset1:51
	v_fma_f64 v[22:23], -v[92:93], v[136:137], v[22:23]
	v_fma_f64 v[20:21], -v[92:93], v[138:139], v[20:21]
	;; [unrolled: 1-line block ×4, first 2 shown]
	ds_read2_b64 v[128:131], v122 offset0:52 offset1:53
	ds_read2_b64 v[136:139], v122 offset0:54 offset1:55
	s_waitcnt lgkmcnt(0)
	v_fma_f64 v[14:15], -v[92:93], v[132:133], v[14:15]
	v_fma_f64 v[12:13], -v[92:93], v[134:135], v[12:13]
	;; [unrolled: 1-line block ×7, first 2 shown]
.LBB112_199:
	s_or_b64 exec, exec, s[0:1]
	v_lshl_add_u32 v118, v123, 3, v122
	s_barrier
	ds_write_b64 v118, v[90:91]
	s_waitcnt lgkmcnt(0)
	s_barrier
	ds_read_b64 v[118:119], v122 offset:96
	s_cmp_lt_i32 s18, 14
	v_mov_b32_e32 v120, 12
	s_cbranch_scc1 .LBB112_202
; %bb.200:
	v_add_u32_e32 v127, 0x68, v122
	s_mov_b32 s0, 13
	v_mov_b32_e32 v120, 12
.LBB112_201:                            ; =>This Inner Loop Header: Depth=1
	ds_read_b64 v[128:129], v127
	v_mov_b32_e32 v130, s0
	s_add_i32 s0, s0, 1
	v_add_u32_e32 v127, 8, v127
	s_cmp_lg_u32 s18, s0
	s_waitcnt lgkmcnt(0)
	v_cmp_lt_f64_e64 vcc, |v[118:119]|, |v[128:129]|
	v_cndmask_b32_e32 v119, v119, v129, vcc
	v_cndmask_b32_e32 v118, v118, v128, vcc
	;; [unrolled: 1-line block ×3, first 2 shown]
	s_cbranch_scc1 .LBB112_201
.LBB112_202:
	s_waitcnt lgkmcnt(0)
	v_cmp_eq_f64_e32 vcc, 0, v[118:119]
	s_and_saveexec_b64 s[0:1], vcc
	s_xor_b64 s[0:1], exec, s[0:1]
; %bb.203:
	v_cmp_ne_u32_e32 vcc, 0, v126
	v_cndmask_b32_e32 v126, 13, v126, vcc
; %bb.204:
	s_andn2_saveexec_b64 s[0:1], s[0:1]
; %bb.205:
	v_div_scale_f64 v[128:129], s[2:3], v[118:119], v[118:119], 1.0
	v_rcp_f64_e32 v[130:131], v[128:129]
	v_div_scale_f64 v[132:133], vcc, 1.0, v[118:119], 1.0
	v_fma_f64 v[134:135], -v[128:129], v[130:131], 1.0
	v_fmac_f64_e32 v[130:131], v[130:131], v[134:135]
	v_fma_f64 v[134:135], -v[128:129], v[130:131], 1.0
	v_fmac_f64_e32 v[130:131], v[130:131], v[134:135]
	v_mul_f64 v[134:135], v[132:133], v[130:131]
	v_fma_f64 v[128:129], -v[128:129], v[134:135], v[132:133]
	v_div_fmas_f64 v[128:129], v[128:129], v[130:131], v[134:135]
	v_div_fixup_f64 v[118:119], v[128:129], v[118:119], 1.0
; %bb.206:
	s_or_b64 exec, exec, s[0:1]
	v_cmp_ne_u32_e32 vcc, v123, v120
	s_and_saveexec_b64 s[0:1], vcc
	s_xor_b64 s[0:1], exec, s[0:1]
	s_cbranch_execz .LBB112_212
; %bb.207:
	v_cmp_eq_u32_e32 vcc, 12, v123
	s_and_saveexec_b64 s[2:3], vcc
	s_cbranch_execz .LBB112_211
; %bb.208:
	v_cmp_ne_u32_e32 vcc, 12, v120
	s_xor_b64 s[14:15], s[6:7], -1
	s_and_b64 s[16:17], s[14:15], vcc
	s_and_saveexec_b64 s[14:15], s[16:17]
	s_cbranch_execz .LBB112_210
; %bb.209:
	v_ashrrev_i32_e32 v121, 31, v120
	v_lshlrev_b64 v[128:129], 2, v[120:121]
	v_add_co_u32_e32 v128, vcc, v4, v128
	v_addc_co_u32_e32 v129, vcc, v5, v129, vcc
	flat_load_dword v121, v[128:129]
	flat_load_dword v123, v[4:5] offset:48
	s_waitcnt vmcnt(0) lgkmcnt(0)
	flat_store_dword v[4:5], v121 offset:48
	flat_store_dword v[128:129], v123
.LBB112_210:
	s_or_b64 exec, exec, s[14:15]
	v_mov_b32_e32 v121, v120
	v_mov_b32_e32 v123, v120
.LBB112_211:
	s_or_b64 exec, exec, s[2:3]
.LBB112_212:
	s_andn2_saveexec_b64 s[0:1], s[0:1]
	s_cbranch_execz .LBB112_214
; %bb.213:
	v_mov_b32_e32 v123, 12
	ds_write2_b64 v122, v[88:89], v[86:87] offset0:13 offset1:14
	ds_write2_b64 v122, v[84:85], v[82:83] offset0:15 offset1:16
	;; [unrolled: 1-line block ×22, first 2 shown]
.LBB112_214:
	s_or_b64 exec, exec, s[0:1]
	v_cmp_lt_i32_e32 vcc, 12, v123
	s_waitcnt lgkmcnt(0)
	s_barrier
	s_and_saveexec_b64 s[0:1], vcc
	s_cbranch_execz .LBB112_216
; %bb.215:
	ds_read2_b64 v[128:131], v122 offset0:13 offset1:14
	ds_read2_b64 v[132:135], v122 offset0:15 offset1:16
	v_mul_f64 v[90:91], v[118:119], v[90:91]
	ds_read2_b64 v[136:139], v122 offset0:17 offset1:18
	s_waitcnt lgkmcnt(0)
	v_fma_f64 v[88:89], -v[90:91], v[128:129], v[88:89]
	v_fma_f64 v[86:87], -v[90:91], v[130:131], v[86:87]
	ds_read2_b64 v[128:131], v122 offset0:19 offset1:20
	v_fma_f64 v[84:85], -v[90:91], v[132:133], v[84:85]
	v_fma_f64 v[82:83], -v[90:91], v[134:135], v[82:83]
	;; [unrolled: 1-line block ×3, first 2 shown]
	ds_read2_b64 v[132:135], v122 offset0:21 offset1:22
	v_fma_f64 v[78:79], -v[90:91], v[138:139], v[78:79]
	ds_read2_b64 v[136:139], v122 offset0:23 offset1:24
	s_waitcnt lgkmcnt(0)
	v_fma_f64 v[76:77], -v[90:91], v[128:129], v[76:77]
	v_fma_f64 v[74:75], -v[90:91], v[130:131], v[74:75]
	ds_read2_b64 v[128:131], v122 offset0:25 offset1:26
	v_fma_f64 v[72:73], -v[90:91], v[132:133], v[72:73]
	v_fma_f64 v[70:71], -v[90:91], v[134:135], v[70:71]
	ds_read2_b64 v[132:135], v122 offset0:27 offset1:28
	v_fma_f64 v[68:69], -v[90:91], v[136:137], v[68:69]
	v_fma_f64 v[66:67], -v[90:91], v[138:139], v[66:67]
	s_waitcnt lgkmcnt(0)
	v_fma_f64 v[64:65], -v[90:91], v[128:129], v[64:65]
	ds_read2_b64 v[136:139], v122 offset0:29 offset1:30
	v_fma_f64 v[62:63], -v[90:91], v[130:131], v[62:63]
	ds_read2_b64 v[128:131], v122 offset0:31 offset1:32
	v_fma_f64 v[60:61], -v[90:91], v[132:133], v[60:61]
	v_fma_f64 v[58:59], -v[90:91], v[134:135], v[58:59]
	s_waitcnt lgkmcnt(0)
	v_fma_f64 v[56:57], -v[90:91], v[136:137], v[56:57]
	ds_read2_b64 v[132:135], v122 offset0:33 offset1:34
	v_fma_f64 v[54:55], -v[90:91], v[138:139], v[54:55]
	ds_read2_b64 v[136:139], v122 offset0:35 offset1:36
	v_fma_f64 v[52:53], -v[90:91], v[128:129], v[52:53]
	v_fma_f64 v[50:51], -v[90:91], v[130:131], v[50:51]
	ds_read2_b64 v[128:131], v122 offset0:37 offset1:38
	s_waitcnt lgkmcnt(0)
	v_fma_f64 v[48:49], -v[90:91], v[132:133], v[48:49]
	v_fma_f64 v[46:47], -v[90:91], v[134:135], v[46:47]
	ds_read2_b64 v[132:135], v122 offset0:39 offset1:40
	v_fma_f64 v[44:45], -v[90:91], v[136:137], v[44:45]
	v_fma_f64 v[42:43], -v[90:91], v[138:139], v[42:43]
	;; [unrolled: 1-line block ×3, first 2 shown]
	ds_read2_b64 v[136:139], v122 offset0:41 offset1:42
	v_fma_f64 v[38:39], -v[90:91], v[130:131], v[38:39]
	ds_read2_b64 v[128:131], v122 offset0:43 offset1:44
	s_waitcnt lgkmcnt(0)
	v_fma_f64 v[36:37], -v[90:91], v[132:133], v[36:37]
	v_fma_f64 v[34:35], -v[90:91], v[134:135], v[34:35]
	;; [unrolled: 1-line block ×3, first 2 shown]
	ds_read2_b64 v[132:135], v122 offset0:45 offset1:46
	v_fma_f64 v[30:31], -v[90:91], v[138:139], v[30:31]
	ds_read2_b64 v[136:139], v122 offset0:47 offset1:48
	v_fma_f64 v[28:29], -v[90:91], v[128:129], v[28:29]
	v_fma_f64 v[26:27], -v[90:91], v[130:131], v[26:27]
	ds_read2_b64 v[128:131], v122 offset0:49 offset1:50
	s_waitcnt lgkmcnt(0)
	v_fma_f64 v[24:25], -v[90:91], v[132:133], v[24:25]
	v_fma_f64 v[22:23], -v[90:91], v[134:135], v[22:23]
	ds_read2_b64 v[132:135], v122 offset0:51 offset1:52
	v_fma_f64 v[20:21], -v[90:91], v[136:137], v[20:21]
	v_fma_f64 v[18:19], -v[90:91], v[138:139], v[18:19]
	;; [unrolled: 1-line block ×3, first 2 shown]
	ds_read2_b64 v[136:139], v122 offset0:53 offset1:54
	v_fma_f64 v[14:15], -v[90:91], v[130:131], v[14:15]
	ds_read2_b64 v[128:131], v122 offset0:55 offset1:56
	s_waitcnt lgkmcnt(0)
	v_fma_f64 v[12:13], -v[90:91], v[132:133], v[12:13]
	v_fma_f64 v[10:11], -v[90:91], v[134:135], v[10:11]
	;; [unrolled: 1-line block ×6, first 2 shown]
.LBB112_216:
	s_or_b64 exec, exec, s[0:1]
	v_lshl_add_u32 v118, v123, 3, v122
	s_barrier
	ds_write_b64 v118, v[88:89]
	s_waitcnt lgkmcnt(0)
	s_barrier
	ds_read_b64 v[118:119], v122 offset:104
	s_cmp_lt_i32 s18, 15
	v_mov_b32_e32 v120, 13
	s_cbranch_scc1 .LBB112_219
; %bb.217:
	v_add_u32_e32 v127, 0x70, v122
	s_mov_b32 s0, 14
	v_mov_b32_e32 v120, 13
.LBB112_218:                            ; =>This Inner Loop Header: Depth=1
	ds_read_b64 v[128:129], v127
	v_mov_b32_e32 v130, s0
	s_add_i32 s0, s0, 1
	v_add_u32_e32 v127, 8, v127
	s_cmp_lg_u32 s18, s0
	s_waitcnt lgkmcnt(0)
	v_cmp_lt_f64_e64 vcc, |v[118:119]|, |v[128:129]|
	v_cndmask_b32_e32 v119, v119, v129, vcc
	v_cndmask_b32_e32 v118, v118, v128, vcc
	;; [unrolled: 1-line block ×3, first 2 shown]
	s_cbranch_scc1 .LBB112_218
.LBB112_219:
	s_waitcnt lgkmcnt(0)
	v_cmp_eq_f64_e32 vcc, 0, v[118:119]
	s_and_saveexec_b64 s[0:1], vcc
	s_xor_b64 s[0:1], exec, s[0:1]
; %bb.220:
	v_cmp_ne_u32_e32 vcc, 0, v126
	v_cndmask_b32_e32 v126, 14, v126, vcc
; %bb.221:
	s_andn2_saveexec_b64 s[0:1], s[0:1]
; %bb.222:
	v_div_scale_f64 v[128:129], s[2:3], v[118:119], v[118:119], 1.0
	v_rcp_f64_e32 v[130:131], v[128:129]
	v_div_scale_f64 v[132:133], vcc, 1.0, v[118:119], 1.0
	v_fma_f64 v[134:135], -v[128:129], v[130:131], 1.0
	v_fmac_f64_e32 v[130:131], v[130:131], v[134:135]
	v_fma_f64 v[134:135], -v[128:129], v[130:131], 1.0
	v_fmac_f64_e32 v[130:131], v[130:131], v[134:135]
	v_mul_f64 v[134:135], v[132:133], v[130:131]
	v_fma_f64 v[128:129], -v[128:129], v[134:135], v[132:133]
	v_div_fmas_f64 v[128:129], v[128:129], v[130:131], v[134:135]
	v_div_fixup_f64 v[118:119], v[128:129], v[118:119], 1.0
; %bb.223:
	s_or_b64 exec, exec, s[0:1]
	v_cmp_ne_u32_e32 vcc, v123, v120
	s_and_saveexec_b64 s[0:1], vcc
	s_xor_b64 s[0:1], exec, s[0:1]
	s_cbranch_execz .LBB112_229
; %bb.224:
	v_cmp_eq_u32_e32 vcc, 13, v123
	s_and_saveexec_b64 s[2:3], vcc
	s_cbranch_execz .LBB112_228
; %bb.225:
	v_cmp_ne_u32_e32 vcc, 13, v120
	s_xor_b64 s[14:15], s[6:7], -1
	s_and_b64 s[16:17], s[14:15], vcc
	s_and_saveexec_b64 s[14:15], s[16:17]
	s_cbranch_execz .LBB112_227
; %bb.226:
	v_ashrrev_i32_e32 v121, 31, v120
	v_lshlrev_b64 v[128:129], 2, v[120:121]
	v_add_co_u32_e32 v128, vcc, v4, v128
	v_addc_co_u32_e32 v129, vcc, v5, v129, vcc
	flat_load_dword v121, v[128:129]
	flat_load_dword v123, v[4:5] offset:52
	s_waitcnt vmcnt(0) lgkmcnt(0)
	flat_store_dword v[4:5], v121 offset:52
	flat_store_dword v[128:129], v123
.LBB112_227:
	s_or_b64 exec, exec, s[14:15]
	v_mov_b32_e32 v121, v120
	v_mov_b32_e32 v123, v120
.LBB112_228:
	s_or_b64 exec, exec, s[2:3]
.LBB112_229:
	s_andn2_saveexec_b64 s[0:1], s[0:1]
	s_cbranch_execz .LBB112_231
; %bb.230:
	v_mov_b32_e32 v128, v86
	v_mov_b32_e32 v129, v87
	v_mov_b32_e32 v130, v84
	v_mov_b32_e32 v131, v85
	ds_write2_b64 v122, v[128:129], v[130:131] offset0:14 offset1:15
	v_mov_b32_e32 v128, v82
	v_mov_b32_e32 v129, v83
	v_mov_b32_e32 v130, v80
	v_mov_b32_e32 v131, v81
	ds_write2_b64 v122, v[128:129], v[130:131] offset0:16 offset1:17
	v_mov_b32_e32 v128, v78
	v_mov_b32_e32 v129, v79
	v_mov_b32_e32 v130, v76
	v_mov_b32_e32 v131, v77
	ds_write2_b64 v122, v[128:129], v[130:131] offset0:18 offset1:19
	v_mov_b32_e32 v128, v74
	v_mov_b32_e32 v129, v75
	v_mov_b32_e32 v130, v72
	v_mov_b32_e32 v131, v73
	ds_write2_b64 v122, v[128:129], v[130:131] offset0:20 offset1:21
	v_mov_b32_e32 v128, v70
	v_mov_b32_e32 v129, v71
	v_mov_b32_e32 v130, v68
	v_mov_b32_e32 v131, v69
	ds_write2_b64 v122, v[128:129], v[130:131] offset0:22 offset1:23
	v_mov_b32_e32 v128, v66
	v_mov_b32_e32 v129, v67
	v_mov_b32_e32 v130, v64
	v_mov_b32_e32 v131, v65
	ds_write2_b64 v122, v[128:129], v[130:131] offset0:24 offset1:25
	v_mov_b32_e32 v128, v62
	v_mov_b32_e32 v129, v63
	v_mov_b32_e32 v130, v60
	v_mov_b32_e32 v131, v61
	ds_write2_b64 v122, v[128:129], v[130:131] offset0:26 offset1:27
	v_mov_b32_e32 v128, v58
	v_mov_b32_e32 v129, v59
	v_mov_b32_e32 v130, v56
	v_mov_b32_e32 v131, v57
	ds_write2_b64 v122, v[128:129], v[130:131] offset0:28 offset1:29
	v_mov_b32_e32 v128, v54
	v_mov_b32_e32 v129, v55
	v_mov_b32_e32 v130, v52
	v_mov_b32_e32 v131, v53
	ds_write2_b64 v122, v[128:129], v[130:131] offset0:30 offset1:31
	v_mov_b32_e32 v128, v50
	v_mov_b32_e32 v129, v51
	v_mov_b32_e32 v130, v48
	v_mov_b32_e32 v131, v49
	ds_write2_b64 v122, v[128:129], v[130:131] offset0:32 offset1:33
	v_mov_b32_e32 v128, v46
	v_mov_b32_e32 v129, v47
	v_mov_b32_e32 v130, v44
	v_mov_b32_e32 v131, v45
	ds_write2_b64 v122, v[128:129], v[130:131] offset0:34 offset1:35
	v_mov_b32_e32 v128, v42
	v_mov_b32_e32 v129, v43
	v_mov_b32_e32 v130, v40
	v_mov_b32_e32 v131, v41
	ds_write2_b64 v122, v[128:129], v[130:131] offset0:36 offset1:37
	v_mov_b32_e32 v128, v38
	v_mov_b32_e32 v129, v39
	v_mov_b32_e32 v130, v36
	v_mov_b32_e32 v131, v37
	ds_write2_b64 v122, v[128:129], v[130:131] offset0:38 offset1:39
	v_mov_b32_e32 v128, v34
	v_mov_b32_e32 v129, v35
	v_mov_b32_e32 v130, v32
	v_mov_b32_e32 v131, v33
	ds_write2_b64 v122, v[128:129], v[130:131] offset0:40 offset1:41
	v_mov_b32_e32 v128, v30
	v_mov_b32_e32 v129, v31
	v_mov_b32_e32 v130, v28
	v_mov_b32_e32 v131, v29
	ds_write2_b64 v122, v[128:129], v[130:131] offset0:42 offset1:43
	v_mov_b32_e32 v128, v26
	v_mov_b32_e32 v129, v27
	v_mov_b32_e32 v130, v24
	v_mov_b32_e32 v131, v25
	ds_write2_b64 v122, v[128:129], v[130:131] offset0:44 offset1:45
	v_mov_b32_e32 v128, v22
	v_mov_b32_e32 v129, v23
	v_mov_b32_e32 v130, v20
	v_mov_b32_e32 v131, v21
	ds_write2_b64 v122, v[128:129], v[130:131] offset0:46 offset1:47
	v_mov_b32_e32 v128, v18
	v_mov_b32_e32 v129, v19
	v_mov_b32_e32 v130, v16
	v_mov_b32_e32 v131, v17
	ds_write2_b64 v122, v[128:129], v[130:131] offset0:48 offset1:49
	v_mov_b32_e32 v128, v14
	v_mov_b32_e32 v129, v15
	v_mov_b32_e32 v130, v12
	v_mov_b32_e32 v131, v13
	ds_write2_b64 v122, v[128:129], v[130:131] offset0:50 offset1:51
	v_mov_b32_e32 v128, v10
	v_mov_b32_e32 v129, v11
	v_mov_b32_e32 v130, v8
	v_mov_b32_e32 v131, v9
	ds_write2_b64 v122, v[128:129], v[130:131] offset0:52 offset1:53
	v_mov_b32_e32 v128, v6
	v_mov_b32_e32 v129, v7
	;; [unrolled: 1-line block ×5, first 2 shown]
	ds_write2_b64 v122, v[128:129], v[130:131] offset0:54 offset1:55
	ds_write_b64 v122, v[116:117] offset:448
.LBB112_231:
	s_or_b64 exec, exec, s[0:1]
	v_cmp_lt_i32_e32 vcc, 13, v123
	s_waitcnt lgkmcnt(0)
	s_barrier
	s_and_saveexec_b64 s[0:1], vcc
	s_cbranch_execz .LBB112_233
; %bb.232:
	ds_read2_b64 v[128:131], v122 offset0:14 offset1:15
	ds_read2_b64 v[132:135], v122 offset0:16 offset1:17
	;; [unrolled: 1-line block ×3, first 2 shown]
	v_mul_f64 v[88:89], v[118:119], v[88:89]
	ds_read_b64 v[118:119], v122 offset:448
	s_waitcnt lgkmcnt(0)
	v_fma_f64 v[86:87], -v[88:89], v[128:129], v[86:87]
	v_fma_f64 v[84:85], -v[88:89], v[130:131], v[84:85]
	ds_read2_b64 v[128:131], v122 offset0:20 offset1:21
	v_fma_f64 v[82:83], -v[88:89], v[132:133], v[82:83]
	v_fma_f64 v[80:81], -v[88:89], v[134:135], v[80:81]
	v_fma_f64 v[78:79], -v[88:89], v[136:137], v[78:79]
	ds_read2_b64 v[132:135], v122 offset0:22 offset1:23
	v_fma_f64 v[76:77], -v[88:89], v[138:139], v[76:77]
	ds_read2_b64 v[136:139], v122 offset0:24 offset1:25
	s_waitcnt lgkmcnt(0)
	v_fma_f64 v[74:75], -v[88:89], v[128:129], v[74:75]
	v_fma_f64 v[72:73], -v[88:89], v[130:131], v[72:73]
	v_fma_f64 v[70:71], -v[88:89], v[132:133], v[70:71]
	ds_read2_b64 v[128:131], v122 offset0:26 offset1:27
	v_fma_f64 v[68:69], -v[88:89], v[134:135], v[68:69]
	ds_read2_b64 v[132:135], v122 offset0:28 offset1:29
	v_fma_f64 v[66:67], -v[88:89], v[136:137], v[66:67]
	v_fma_f64 v[64:65], -v[88:89], v[138:139], v[64:65]
	ds_read2_b64 v[136:139], v122 offset0:30 offset1:31
	s_waitcnt lgkmcnt(0)
	v_fma_f64 v[62:63], -v[88:89], v[128:129], v[62:63]
	v_fma_f64 v[60:61], -v[88:89], v[130:131], v[60:61]
	ds_read2_b64 v[128:131], v122 offset0:32 offset1:33
	v_fma_f64 v[58:59], -v[88:89], v[132:133], v[58:59]
	v_fma_f64 v[56:57], -v[88:89], v[134:135], v[56:57]
	v_fma_f64 v[54:55], -v[88:89], v[136:137], v[54:55]
	ds_read2_b64 v[132:135], v122 offset0:34 offset1:35
	v_fma_f64 v[52:53], -v[88:89], v[138:139], v[52:53]
	ds_read2_b64 v[136:139], v122 offset0:36 offset1:37
	s_waitcnt lgkmcnt(0)
	v_fma_f64 v[50:51], -v[88:89], v[128:129], v[50:51]
	v_fma_f64 v[48:49], -v[88:89], v[130:131], v[48:49]
	v_fma_f64 v[46:47], -v[88:89], v[132:133], v[46:47]
	ds_read2_b64 v[128:131], v122 offset0:38 offset1:39
	v_fma_f64 v[44:45], -v[88:89], v[134:135], v[44:45]
	ds_read2_b64 v[132:135], v122 offset0:40 offset1:41
	v_fma_f64 v[42:43], -v[88:89], v[136:137], v[42:43]
	v_fma_f64 v[40:41], -v[88:89], v[138:139], v[40:41]
	ds_read2_b64 v[136:139], v122 offset0:42 offset1:43
	;; [unrolled: 20-line block ×3, first 2 shown]
	s_waitcnt lgkmcnt(0)
	v_fma_f64 v[14:15], -v[88:89], v[128:129], v[14:15]
	v_fma_f64 v[12:13], -v[88:89], v[130:131], v[12:13]
	;; [unrolled: 1-line block ×7, first 2 shown]
.LBB112_233:
	s_or_b64 exec, exec, s[0:1]
	v_lshl_add_u32 v118, v123, 3, v122
	s_barrier
	ds_write_b64 v118, v[86:87]
	s_waitcnt lgkmcnt(0)
	s_barrier
	ds_read_b64 v[118:119], v122 offset:112
	s_cmp_lt_i32 s18, 16
	v_mov_b32_e32 v120, 14
	s_cbranch_scc1 .LBB112_236
; %bb.234:
	v_add_u32_e32 v127, 0x78, v122
	s_mov_b32 s0, 15
	v_mov_b32_e32 v120, 14
.LBB112_235:                            ; =>This Inner Loop Header: Depth=1
	ds_read_b64 v[128:129], v127
	v_mov_b32_e32 v130, s0
	s_add_i32 s0, s0, 1
	v_add_u32_e32 v127, 8, v127
	s_cmp_lg_u32 s18, s0
	s_waitcnt lgkmcnt(0)
	v_cmp_lt_f64_e64 vcc, |v[118:119]|, |v[128:129]|
	v_cndmask_b32_e32 v119, v119, v129, vcc
	v_cndmask_b32_e32 v118, v118, v128, vcc
	;; [unrolled: 1-line block ×3, first 2 shown]
	s_cbranch_scc1 .LBB112_235
.LBB112_236:
	s_waitcnt lgkmcnt(0)
	v_cmp_eq_f64_e32 vcc, 0, v[118:119]
	s_and_saveexec_b64 s[0:1], vcc
	s_xor_b64 s[0:1], exec, s[0:1]
; %bb.237:
	v_cmp_ne_u32_e32 vcc, 0, v126
	v_cndmask_b32_e32 v126, 15, v126, vcc
; %bb.238:
	s_andn2_saveexec_b64 s[0:1], s[0:1]
; %bb.239:
	v_div_scale_f64 v[128:129], s[2:3], v[118:119], v[118:119], 1.0
	v_rcp_f64_e32 v[130:131], v[128:129]
	v_div_scale_f64 v[132:133], vcc, 1.0, v[118:119], 1.0
	v_fma_f64 v[134:135], -v[128:129], v[130:131], 1.0
	v_fmac_f64_e32 v[130:131], v[130:131], v[134:135]
	v_fma_f64 v[134:135], -v[128:129], v[130:131], 1.0
	v_fmac_f64_e32 v[130:131], v[130:131], v[134:135]
	v_mul_f64 v[134:135], v[132:133], v[130:131]
	v_fma_f64 v[128:129], -v[128:129], v[134:135], v[132:133]
	v_div_fmas_f64 v[128:129], v[128:129], v[130:131], v[134:135]
	v_div_fixup_f64 v[118:119], v[128:129], v[118:119], 1.0
; %bb.240:
	s_or_b64 exec, exec, s[0:1]
	v_cmp_ne_u32_e32 vcc, v123, v120
	s_and_saveexec_b64 s[0:1], vcc
	s_xor_b64 s[0:1], exec, s[0:1]
	s_cbranch_execz .LBB112_246
; %bb.241:
	v_cmp_eq_u32_e32 vcc, 14, v123
	s_and_saveexec_b64 s[2:3], vcc
	s_cbranch_execz .LBB112_245
; %bb.242:
	v_cmp_ne_u32_e32 vcc, 14, v120
	s_xor_b64 s[14:15], s[6:7], -1
	s_and_b64 s[16:17], s[14:15], vcc
	s_and_saveexec_b64 s[14:15], s[16:17]
	s_cbranch_execz .LBB112_244
; %bb.243:
	v_ashrrev_i32_e32 v121, 31, v120
	v_lshlrev_b64 v[128:129], 2, v[120:121]
	v_add_co_u32_e32 v128, vcc, v4, v128
	v_addc_co_u32_e32 v129, vcc, v5, v129, vcc
	flat_load_dword v121, v[128:129]
	flat_load_dword v123, v[4:5] offset:56
	s_waitcnt vmcnt(0) lgkmcnt(0)
	flat_store_dword v[4:5], v121 offset:56
	flat_store_dword v[128:129], v123
.LBB112_244:
	s_or_b64 exec, exec, s[14:15]
	v_mov_b32_e32 v121, v120
	v_mov_b32_e32 v123, v120
.LBB112_245:
	s_or_b64 exec, exec, s[2:3]
.LBB112_246:
	s_andn2_saveexec_b64 s[0:1], s[0:1]
	s_cbranch_execz .LBB112_248
; %bb.247:
	v_mov_b32_e32 v123, 14
	ds_write2_b64 v122, v[84:85], v[82:83] offset0:15 offset1:16
	ds_write2_b64 v122, v[80:81], v[78:79] offset0:17 offset1:18
	ds_write2_b64 v122, v[76:77], v[74:75] offset0:19 offset1:20
	ds_write2_b64 v122, v[72:73], v[70:71] offset0:21 offset1:22
	ds_write2_b64 v122, v[68:69], v[66:67] offset0:23 offset1:24
	ds_write2_b64 v122, v[64:65], v[62:63] offset0:25 offset1:26
	ds_write2_b64 v122, v[60:61], v[58:59] offset0:27 offset1:28
	ds_write2_b64 v122, v[56:57], v[54:55] offset0:29 offset1:30
	ds_write2_b64 v122, v[52:53], v[50:51] offset0:31 offset1:32
	ds_write2_b64 v122, v[48:49], v[46:47] offset0:33 offset1:34
	ds_write2_b64 v122, v[44:45], v[42:43] offset0:35 offset1:36
	ds_write2_b64 v122, v[40:41], v[38:39] offset0:37 offset1:38
	ds_write2_b64 v122, v[36:37], v[34:35] offset0:39 offset1:40
	ds_write2_b64 v122, v[32:33], v[30:31] offset0:41 offset1:42
	ds_write2_b64 v122, v[28:29], v[26:27] offset0:43 offset1:44
	ds_write2_b64 v122, v[24:25], v[22:23] offset0:45 offset1:46
	ds_write2_b64 v122, v[20:21], v[18:19] offset0:47 offset1:48
	ds_write2_b64 v122, v[16:17], v[14:15] offset0:49 offset1:50
	ds_write2_b64 v122, v[12:13], v[10:11] offset0:51 offset1:52
	ds_write2_b64 v122, v[8:9], v[6:7] offset0:53 offset1:54
	ds_write2_b64 v122, v[0:1], v[116:117] offset0:55 offset1:56
.LBB112_248:
	s_or_b64 exec, exec, s[0:1]
	v_cmp_lt_i32_e32 vcc, 14, v123
	s_waitcnt lgkmcnt(0)
	s_barrier
	s_and_saveexec_b64 s[0:1], vcc
	s_cbranch_execz .LBB112_250
; %bb.249:
	ds_read2_b64 v[128:131], v122 offset0:15 offset1:16
	ds_read2_b64 v[132:135], v122 offset0:17 offset1:18
	;; [unrolled: 1-line block ×3, first 2 shown]
	v_mul_f64 v[86:87], v[118:119], v[86:87]
	s_waitcnt lgkmcnt(0)
	v_fma_f64 v[84:85], -v[86:87], v[128:129], v[84:85]
	v_fma_f64 v[82:83], -v[86:87], v[130:131], v[82:83]
	ds_read2_b64 v[128:131], v122 offset0:21 offset1:22
	v_fma_f64 v[80:81], -v[86:87], v[132:133], v[80:81]
	v_fma_f64 v[78:79], -v[86:87], v[134:135], v[78:79]
	;; [unrolled: 1-line block ×3, first 2 shown]
	ds_read2_b64 v[132:135], v122 offset0:23 offset1:24
	v_fma_f64 v[74:75], -v[86:87], v[138:139], v[74:75]
	ds_read2_b64 v[136:139], v122 offset0:25 offset1:26
	s_waitcnt lgkmcnt(0)
	v_fma_f64 v[72:73], -v[86:87], v[128:129], v[72:73]
	v_fma_f64 v[70:71], -v[86:87], v[130:131], v[70:71]
	;; [unrolled: 1-line block ×3, first 2 shown]
	ds_read2_b64 v[128:131], v122 offset0:27 offset1:28
	v_fma_f64 v[66:67], -v[86:87], v[134:135], v[66:67]
	ds_read2_b64 v[132:135], v122 offset0:29 offset1:30
	v_fma_f64 v[64:65], -v[86:87], v[136:137], v[64:65]
	v_fma_f64 v[62:63], -v[86:87], v[138:139], v[62:63]
	ds_read2_b64 v[136:139], v122 offset0:31 offset1:32
	s_waitcnt lgkmcnt(0)
	v_fma_f64 v[60:61], -v[86:87], v[128:129], v[60:61]
	v_fma_f64 v[58:59], -v[86:87], v[130:131], v[58:59]
	ds_read2_b64 v[128:131], v122 offset0:33 offset1:34
	v_fma_f64 v[56:57], -v[86:87], v[132:133], v[56:57]
	v_fma_f64 v[54:55], -v[86:87], v[134:135], v[54:55]
	;; [unrolled: 1-line block ×3, first 2 shown]
	ds_read2_b64 v[132:135], v122 offset0:35 offset1:36
	v_fma_f64 v[50:51], -v[86:87], v[138:139], v[50:51]
	ds_read2_b64 v[136:139], v122 offset0:37 offset1:38
	s_waitcnt lgkmcnt(0)
	v_fma_f64 v[48:49], -v[86:87], v[128:129], v[48:49]
	v_fma_f64 v[46:47], -v[86:87], v[130:131], v[46:47]
	;; [unrolled: 1-line block ×3, first 2 shown]
	ds_read2_b64 v[128:131], v122 offset0:39 offset1:40
	v_fma_f64 v[42:43], -v[86:87], v[134:135], v[42:43]
	ds_read2_b64 v[132:135], v122 offset0:41 offset1:42
	v_fma_f64 v[40:41], -v[86:87], v[136:137], v[40:41]
	v_fma_f64 v[38:39], -v[86:87], v[138:139], v[38:39]
	ds_read2_b64 v[136:139], v122 offset0:43 offset1:44
	s_waitcnt lgkmcnt(0)
	v_fma_f64 v[36:37], -v[86:87], v[128:129], v[36:37]
	v_fma_f64 v[34:35], -v[86:87], v[130:131], v[34:35]
	ds_read2_b64 v[128:131], v122 offset0:45 offset1:46
	v_fma_f64 v[32:33], -v[86:87], v[132:133], v[32:33]
	v_fma_f64 v[30:31], -v[86:87], v[134:135], v[30:31]
	;; [unrolled: 1-line block ×3, first 2 shown]
	ds_read2_b64 v[132:135], v122 offset0:47 offset1:48
	v_fma_f64 v[26:27], -v[86:87], v[138:139], v[26:27]
	ds_read2_b64 v[136:139], v122 offset0:49 offset1:50
	s_waitcnt lgkmcnt(0)
	v_fma_f64 v[24:25], -v[86:87], v[128:129], v[24:25]
	v_fma_f64 v[22:23], -v[86:87], v[130:131], v[22:23]
	v_fma_f64 v[20:21], -v[86:87], v[132:133], v[20:21]
	v_fma_f64 v[18:19], -v[86:87], v[134:135], v[18:19]
	ds_read2_b64 v[128:131], v122 offset0:51 offset1:52
	ds_read2_b64 v[132:135], v122 offset0:53 offset1:54
	v_fma_f64 v[16:17], -v[86:87], v[136:137], v[16:17]
	v_fma_f64 v[14:15], -v[86:87], v[138:139], v[14:15]
	ds_read2_b64 v[136:139], v122 offset0:55 offset1:56
	s_waitcnt lgkmcnt(0)
	v_fma_f64 v[12:13], -v[86:87], v[128:129], v[12:13]
	v_fma_f64 v[10:11], -v[86:87], v[130:131], v[10:11]
	;; [unrolled: 1-line block ×6, first 2 shown]
.LBB112_250:
	s_or_b64 exec, exec, s[0:1]
	v_lshl_add_u32 v118, v123, 3, v122
	s_barrier
	ds_write_b64 v118, v[84:85]
	s_waitcnt lgkmcnt(0)
	s_barrier
	ds_read_b64 v[118:119], v122 offset:120
	s_cmp_lt_i32 s18, 17
	v_mov_b32_e32 v120, 15
	s_cbranch_scc1 .LBB112_253
; %bb.251:
	v_add_u32_e32 v127, 0x80, v122
	s_mov_b32 s0, 16
	v_mov_b32_e32 v120, 15
.LBB112_252:                            ; =>This Inner Loop Header: Depth=1
	ds_read_b64 v[128:129], v127
	v_mov_b32_e32 v130, s0
	s_add_i32 s0, s0, 1
	v_add_u32_e32 v127, 8, v127
	s_cmp_lg_u32 s18, s0
	s_waitcnt lgkmcnt(0)
	v_cmp_lt_f64_e64 vcc, |v[118:119]|, |v[128:129]|
	v_cndmask_b32_e32 v119, v119, v129, vcc
	v_cndmask_b32_e32 v118, v118, v128, vcc
	;; [unrolled: 1-line block ×3, first 2 shown]
	s_cbranch_scc1 .LBB112_252
.LBB112_253:
	s_waitcnt lgkmcnt(0)
	v_cmp_eq_f64_e32 vcc, 0, v[118:119]
	s_and_saveexec_b64 s[0:1], vcc
	s_xor_b64 s[0:1], exec, s[0:1]
; %bb.254:
	v_cmp_ne_u32_e32 vcc, 0, v126
	v_cndmask_b32_e32 v126, 16, v126, vcc
; %bb.255:
	s_andn2_saveexec_b64 s[0:1], s[0:1]
; %bb.256:
	v_div_scale_f64 v[128:129], s[2:3], v[118:119], v[118:119], 1.0
	v_rcp_f64_e32 v[130:131], v[128:129]
	v_div_scale_f64 v[132:133], vcc, 1.0, v[118:119], 1.0
	v_fma_f64 v[134:135], -v[128:129], v[130:131], 1.0
	v_fmac_f64_e32 v[130:131], v[130:131], v[134:135]
	v_fma_f64 v[134:135], -v[128:129], v[130:131], 1.0
	v_fmac_f64_e32 v[130:131], v[130:131], v[134:135]
	v_mul_f64 v[134:135], v[132:133], v[130:131]
	v_fma_f64 v[128:129], -v[128:129], v[134:135], v[132:133]
	v_div_fmas_f64 v[128:129], v[128:129], v[130:131], v[134:135]
	v_div_fixup_f64 v[118:119], v[128:129], v[118:119], 1.0
; %bb.257:
	s_or_b64 exec, exec, s[0:1]
	v_cmp_ne_u32_e32 vcc, v123, v120
	s_and_saveexec_b64 s[0:1], vcc
	s_xor_b64 s[0:1], exec, s[0:1]
	s_cbranch_execz .LBB112_263
; %bb.258:
	v_cmp_eq_u32_e32 vcc, 15, v123
	s_and_saveexec_b64 s[2:3], vcc
	s_cbranch_execz .LBB112_262
; %bb.259:
	v_cmp_ne_u32_e32 vcc, 15, v120
	s_xor_b64 s[14:15], s[6:7], -1
	s_and_b64 s[16:17], s[14:15], vcc
	s_and_saveexec_b64 s[14:15], s[16:17]
	s_cbranch_execz .LBB112_261
; %bb.260:
	v_ashrrev_i32_e32 v121, 31, v120
	v_lshlrev_b64 v[128:129], 2, v[120:121]
	v_add_co_u32_e32 v128, vcc, v4, v128
	v_addc_co_u32_e32 v129, vcc, v5, v129, vcc
	flat_load_dword v121, v[128:129]
	flat_load_dword v123, v[4:5] offset:60
	s_waitcnt vmcnt(0) lgkmcnt(0)
	flat_store_dword v[4:5], v121 offset:60
	flat_store_dword v[128:129], v123
.LBB112_261:
	s_or_b64 exec, exec, s[14:15]
	v_mov_b32_e32 v121, v120
	v_mov_b32_e32 v123, v120
.LBB112_262:
	s_or_b64 exec, exec, s[2:3]
.LBB112_263:
	s_andn2_saveexec_b64 s[0:1], s[0:1]
	s_cbranch_execz .LBB112_265
; %bb.264:
	v_mov_b32_e32 v128, v82
	v_mov_b32_e32 v129, v83
	v_mov_b32_e32 v130, v80
	v_mov_b32_e32 v131, v81
	ds_write2_b64 v122, v[128:129], v[130:131] offset0:16 offset1:17
	v_mov_b32_e32 v128, v78
	v_mov_b32_e32 v129, v79
	v_mov_b32_e32 v130, v76
	v_mov_b32_e32 v131, v77
	ds_write2_b64 v122, v[128:129], v[130:131] offset0:18 offset1:19
	;; [unrolled: 5-line block ×19, first 2 shown]
	v_mov_b32_e32 v128, v6
	v_mov_b32_e32 v129, v7
	;; [unrolled: 1-line block ×5, first 2 shown]
	ds_write2_b64 v122, v[128:129], v[130:131] offset0:54 offset1:55
	ds_write_b64 v122, v[116:117] offset:448
.LBB112_265:
	s_or_b64 exec, exec, s[0:1]
	v_cmp_lt_i32_e32 vcc, 15, v123
	s_waitcnt lgkmcnt(0)
	s_barrier
	s_and_saveexec_b64 s[0:1], vcc
	s_cbranch_execz .LBB112_267
; %bb.266:
	ds_read2_b64 v[128:131], v122 offset0:16 offset1:17
	ds_read2_b64 v[132:135], v122 offset0:18 offset1:19
	v_mul_f64 v[84:85], v[118:119], v[84:85]
	ds_read2_b64 v[136:139], v122 offset0:20 offset1:21
	ds_read_b64 v[118:119], v122 offset:448
	s_waitcnt lgkmcnt(0)
	v_fma_f64 v[82:83], -v[84:85], v[128:129], v[82:83]
	v_fma_f64 v[80:81], -v[84:85], v[130:131], v[80:81]
	ds_read2_b64 v[128:131], v122 offset0:22 offset1:23
	v_fma_f64 v[78:79], -v[84:85], v[132:133], v[78:79]
	v_fma_f64 v[76:77], -v[84:85], v[134:135], v[76:77]
	ds_read2_b64 v[132:135], v122 offset0:24 offset1:25
	v_fma_f64 v[74:75], -v[84:85], v[136:137], v[74:75]
	v_fma_f64 v[72:73], -v[84:85], v[138:139], v[72:73]
	ds_read2_b64 v[136:139], v122 offset0:26 offset1:27
	s_waitcnt lgkmcnt(0)
	v_fma_f64 v[70:71], -v[84:85], v[128:129], v[70:71]
	v_fma_f64 v[68:69], -v[84:85], v[130:131], v[68:69]
	;; [unrolled: 1-line block ×3, first 2 shown]
	ds_read2_b64 v[128:131], v122 offset0:28 offset1:29
	v_fma_f64 v[64:65], -v[84:85], v[134:135], v[64:65]
	ds_read2_b64 v[132:135], v122 offset0:30 offset1:31
	v_fma_f64 v[62:63], -v[84:85], v[136:137], v[62:63]
	v_fma_f64 v[60:61], -v[84:85], v[138:139], v[60:61]
	s_waitcnt lgkmcnt(0)
	v_fma_f64 v[58:59], -v[84:85], v[128:129], v[58:59]
	ds_read2_b64 v[136:139], v122 offset0:32 offset1:33
	v_fma_f64 v[56:57], -v[84:85], v[130:131], v[56:57]
	ds_read2_b64 v[128:131], v122 offset0:34 offset1:35
	v_fma_f64 v[54:55], -v[84:85], v[132:133], v[54:55]
	v_fma_f64 v[52:53], -v[84:85], v[134:135], v[52:53]
	ds_read2_b64 v[132:135], v122 offset0:36 offset1:37
	s_waitcnt lgkmcnt(0)
	v_fma_f64 v[50:51], -v[84:85], v[136:137], v[50:51]
	v_fma_f64 v[48:49], -v[84:85], v[138:139], v[48:49]
	ds_read2_b64 v[136:139], v122 offset0:38 offset1:39
	v_fma_f64 v[46:47], -v[84:85], v[128:129], v[46:47]
	v_fma_f64 v[44:45], -v[84:85], v[130:131], v[44:45]
	;; [unrolled: 1-line block ×3, first 2 shown]
	ds_read2_b64 v[128:131], v122 offset0:40 offset1:41
	v_fma_f64 v[40:41], -v[84:85], v[134:135], v[40:41]
	ds_read2_b64 v[132:135], v122 offset0:42 offset1:43
	s_waitcnt lgkmcnt(0)
	v_fma_f64 v[38:39], -v[84:85], v[136:137], v[38:39]
	v_fma_f64 v[36:37], -v[84:85], v[138:139], v[36:37]
	v_fma_f64 v[34:35], -v[84:85], v[128:129], v[34:35]
	ds_read2_b64 v[136:139], v122 offset0:44 offset1:45
	v_fma_f64 v[32:33], -v[84:85], v[130:131], v[32:33]
	ds_read2_b64 v[128:131], v122 offset0:46 offset1:47
	v_fma_f64 v[30:31], -v[84:85], v[132:133], v[30:31]
	v_fma_f64 v[28:29], -v[84:85], v[134:135], v[28:29]
	ds_read2_b64 v[132:135], v122 offset0:48 offset1:49
	s_waitcnt lgkmcnt(0)
	v_fma_f64 v[26:27], -v[84:85], v[136:137], v[26:27]
	v_fma_f64 v[24:25], -v[84:85], v[138:139], v[24:25]
	ds_read2_b64 v[136:139], v122 offset0:50 offset1:51
	v_fma_f64 v[22:23], -v[84:85], v[128:129], v[22:23]
	v_fma_f64 v[20:21], -v[84:85], v[130:131], v[20:21]
	;; [unrolled: 1-line block ×4, first 2 shown]
	ds_read2_b64 v[128:131], v122 offset0:52 offset1:53
	ds_read2_b64 v[132:135], v122 offset0:54 offset1:55
	s_waitcnt lgkmcnt(0)
	v_fma_f64 v[14:15], -v[84:85], v[136:137], v[14:15]
	v_fma_f64 v[12:13], -v[84:85], v[138:139], v[12:13]
	;; [unrolled: 1-line block ×7, first 2 shown]
.LBB112_267:
	s_or_b64 exec, exec, s[0:1]
	v_lshl_add_u32 v118, v123, 3, v122
	s_barrier
	ds_write_b64 v118, v[82:83]
	s_waitcnt lgkmcnt(0)
	s_barrier
	ds_read_b64 v[118:119], v122 offset:128
	s_cmp_lt_i32 s18, 18
	v_mov_b32_e32 v120, 16
	s_cbranch_scc1 .LBB112_270
; %bb.268:
	v_add_u32_e32 v127, 0x88, v122
	s_mov_b32 s0, 17
	v_mov_b32_e32 v120, 16
.LBB112_269:                            ; =>This Inner Loop Header: Depth=1
	ds_read_b64 v[128:129], v127
	v_mov_b32_e32 v130, s0
	s_add_i32 s0, s0, 1
	v_add_u32_e32 v127, 8, v127
	s_cmp_lg_u32 s18, s0
	s_waitcnt lgkmcnt(0)
	v_cmp_lt_f64_e64 vcc, |v[118:119]|, |v[128:129]|
	v_cndmask_b32_e32 v119, v119, v129, vcc
	v_cndmask_b32_e32 v118, v118, v128, vcc
	;; [unrolled: 1-line block ×3, first 2 shown]
	s_cbranch_scc1 .LBB112_269
.LBB112_270:
	s_waitcnt lgkmcnt(0)
	v_cmp_eq_f64_e32 vcc, 0, v[118:119]
	s_and_saveexec_b64 s[0:1], vcc
	s_xor_b64 s[0:1], exec, s[0:1]
; %bb.271:
	v_cmp_ne_u32_e32 vcc, 0, v126
	v_cndmask_b32_e32 v126, 17, v126, vcc
; %bb.272:
	s_andn2_saveexec_b64 s[0:1], s[0:1]
; %bb.273:
	v_div_scale_f64 v[128:129], s[2:3], v[118:119], v[118:119], 1.0
	v_rcp_f64_e32 v[130:131], v[128:129]
	v_div_scale_f64 v[132:133], vcc, 1.0, v[118:119], 1.0
	v_fma_f64 v[134:135], -v[128:129], v[130:131], 1.0
	v_fmac_f64_e32 v[130:131], v[130:131], v[134:135]
	v_fma_f64 v[134:135], -v[128:129], v[130:131], 1.0
	v_fmac_f64_e32 v[130:131], v[130:131], v[134:135]
	v_mul_f64 v[134:135], v[132:133], v[130:131]
	v_fma_f64 v[128:129], -v[128:129], v[134:135], v[132:133]
	v_div_fmas_f64 v[128:129], v[128:129], v[130:131], v[134:135]
	v_div_fixup_f64 v[118:119], v[128:129], v[118:119], 1.0
; %bb.274:
	s_or_b64 exec, exec, s[0:1]
	v_cmp_ne_u32_e32 vcc, v123, v120
	s_and_saveexec_b64 s[0:1], vcc
	s_xor_b64 s[0:1], exec, s[0:1]
	s_cbranch_execz .LBB112_280
; %bb.275:
	v_cmp_eq_u32_e32 vcc, 16, v123
	s_and_saveexec_b64 s[2:3], vcc
	s_cbranch_execz .LBB112_279
; %bb.276:
	v_cmp_ne_u32_e32 vcc, 16, v120
	s_xor_b64 s[14:15], s[6:7], -1
	s_and_b64 s[16:17], s[14:15], vcc
	s_and_saveexec_b64 s[14:15], s[16:17]
	s_cbranch_execz .LBB112_278
; %bb.277:
	v_ashrrev_i32_e32 v121, 31, v120
	v_lshlrev_b64 v[128:129], 2, v[120:121]
	v_add_co_u32_e32 v128, vcc, v4, v128
	v_addc_co_u32_e32 v129, vcc, v5, v129, vcc
	flat_load_dword v121, v[128:129]
	flat_load_dword v123, v[4:5] offset:64
	s_waitcnt vmcnt(0) lgkmcnt(0)
	flat_store_dword v[4:5], v121 offset:64
	flat_store_dword v[128:129], v123
.LBB112_278:
	s_or_b64 exec, exec, s[14:15]
	v_mov_b32_e32 v121, v120
	v_mov_b32_e32 v123, v120
.LBB112_279:
	s_or_b64 exec, exec, s[2:3]
.LBB112_280:
	s_andn2_saveexec_b64 s[0:1], s[0:1]
	s_cbranch_execz .LBB112_282
; %bb.281:
	v_mov_b32_e32 v123, 16
	ds_write2_b64 v122, v[80:81], v[78:79] offset0:17 offset1:18
	ds_write2_b64 v122, v[76:77], v[74:75] offset0:19 offset1:20
	;; [unrolled: 1-line block ×20, first 2 shown]
.LBB112_282:
	s_or_b64 exec, exec, s[0:1]
	v_cmp_lt_i32_e32 vcc, 16, v123
	s_waitcnt lgkmcnt(0)
	s_barrier
	s_and_saveexec_b64 s[0:1], vcc
	s_cbranch_execz .LBB112_284
; %bb.283:
	ds_read2_b64 v[128:131], v122 offset0:17 offset1:18
	ds_read2_b64 v[132:135], v122 offset0:19 offset1:20
	v_mul_f64 v[82:83], v[118:119], v[82:83]
	ds_read2_b64 v[136:139], v122 offset0:21 offset1:22
	s_waitcnt lgkmcnt(0)
	v_fma_f64 v[80:81], -v[82:83], v[128:129], v[80:81]
	v_fma_f64 v[78:79], -v[82:83], v[130:131], v[78:79]
	ds_read2_b64 v[128:131], v122 offset0:23 offset1:24
	v_fma_f64 v[76:77], -v[82:83], v[132:133], v[76:77]
	v_fma_f64 v[74:75], -v[82:83], v[134:135], v[74:75]
	ds_read2_b64 v[132:135], v122 offset0:25 offset1:26
	;; [unrolled: 3-line block ×3, first 2 shown]
	s_waitcnt lgkmcnt(0)
	v_fma_f64 v[68:69], -v[82:83], v[128:129], v[68:69]
	v_fma_f64 v[66:67], -v[82:83], v[130:131], v[66:67]
	;; [unrolled: 1-line block ×3, first 2 shown]
	ds_read2_b64 v[128:131], v122 offset0:29 offset1:30
	v_fma_f64 v[62:63], -v[82:83], v[134:135], v[62:63]
	ds_read2_b64 v[132:135], v122 offset0:31 offset1:32
	v_fma_f64 v[60:61], -v[82:83], v[136:137], v[60:61]
	v_fma_f64 v[58:59], -v[82:83], v[138:139], v[58:59]
	s_waitcnt lgkmcnt(0)
	v_fma_f64 v[56:57], -v[82:83], v[128:129], v[56:57]
	ds_read2_b64 v[136:139], v122 offset0:33 offset1:34
	v_fma_f64 v[54:55], -v[82:83], v[130:131], v[54:55]
	ds_read2_b64 v[128:131], v122 offset0:35 offset1:36
	v_fma_f64 v[52:53], -v[82:83], v[132:133], v[52:53]
	v_fma_f64 v[50:51], -v[82:83], v[134:135], v[50:51]
	ds_read2_b64 v[132:135], v122 offset0:37 offset1:38
	s_waitcnt lgkmcnt(0)
	v_fma_f64 v[48:49], -v[82:83], v[136:137], v[48:49]
	v_fma_f64 v[46:47], -v[82:83], v[138:139], v[46:47]
	ds_read2_b64 v[136:139], v122 offset0:39 offset1:40
	v_fma_f64 v[44:45], -v[82:83], v[128:129], v[44:45]
	v_fma_f64 v[42:43], -v[82:83], v[130:131], v[42:43]
	;; [unrolled: 1-line block ×3, first 2 shown]
	ds_read2_b64 v[128:131], v122 offset0:41 offset1:42
	v_fma_f64 v[38:39], -v[82:83], v[134:135], v[38:39]
	ds_read2_b64 v[132:135], v122 offset0:43 offset1:44
	s_waitcnt lgkmcnt(0)
	v_fma_f64 v[36:37], -v[82:83], v[136:137], v[36:37]
	v_fma_f64 v[34:35], -v[82:83], v[138:139], v[34:35]
	;; [unrolled: 1-line block ×3, first 2 shown]
	ds_read2_b64 v[136:139], v122 offset0:45 offset1:46
	v_fma_f64 v[30:31], -v[82:83], v[130:131], v[30:31]
	ds_read2_b64 v[128:131], v122 offset0:47 offset1:48
	v_fma_f64 v[28:29], -v[82:83], v[132:133], v[28:29]
	v_fma_f64 v[26:27], -v[82:83], v[134:135], v[26:27]
	ds_read2_b64 v[132:135], v122 offset0:49 offset1:50
	s_waitcnt lgkmcnt(0)
	v_fma_f64 v[24:25], -v[82:83], v[136:137], v[24:25]
	v_fma_f64 v[22:23], -v[82:83], v[138:139], v[22:23]
	;; [unrolled: 1-line block ×4, first 2 shown]
	ds_read2_b64 v[128:131], v122 offset0:51 offset1:52
	v_fma_f64 v[16:17], -v[82:83], v[132:133], v[16:17]
	ds_read2_b64 v[136:139], v122 offset0:53 offset1:54
	v_fma_f64 v[14:15], -v[82:83], v[134:135], v[14:15]
	ds_read2_b64 v[132:135], v122 offset0:55 offset1:56
	s_waitcnt lgkmcnt(0)
	v_fma_f64 v[12:13], -v[82:83], v[128:129], v[12:13]
	v_fma_f64 v[10:11], -v[82:83], v[130:131], v[10:11]
	;; [unrolled: 1-line block ×6, first 2 shown]
.LBB112_284:
	s_or_b64 exec, exec, s[0:1]
	v_lshl_add_u32 v118, v123, 3, v122
	s_barrier
	ds_write_b64 v118, v[80:81]
	s_waitcnt lgkmcnt(0)
	s_barrier
	ds_read_b64 v[118:119], v122 offset:136
	s_cmp_lt_i32 s18, 19
	v_mov_b32_e32 v120, 17
	s_cbranch_scc1 .LBB112_287
; %bb.285:
	v_add_u32_e32 v127, 0x90, v122
	s_mov_b32 s0, 18
	v_mov_b32_e32 v120, 17
.LBB112_286:                            ; =>This Inner Loop Header: Depth=1
	ds_read_b64 v[128:129], v127
	v_mov_b32_e32 v130, s0
	s_add_i32 s0, s0, 1
	v_add_u32_e32 v127, 8, v127
	s_cmp_lg_u32 s18, s0
	s_waitcnt lgkmcnt(0)
	v_cmp_lt_f64_e64 vcc, |v[118:119]|, |v[128:129]|
	v_cndmask_b32_e32 v119, v119, v129, vcc
	v_cndmask_b32_e32 v118, v118, v128, vcc
	;; [unrolled: 1-line block ×3, first 2 shown]
	s_cbranch_scc1 .LBB112_286
.LBB112_287:
	s_waitcnt lgkmcnt(0)
	v_cmp_eq_f64_e32 vcc, 0, v[118:119]
	s_and_saveexec_b64 s[0:1], vcc
	s_xor_b64 s[0:1], exec, s[0:1]
; %bb.288:
	v_cmp_ne_u32_e32 vcc, 0, v126
	v_cndmask_b32_e32 v126, 18, v126, vcc
; %bb.289:
	s_andn2_saveexec_b64 s[0:1], s[0:1]
; %bb.290:
	v_div_scale_f64 v[128:129], s[2:3], v[118:119], v[118:119], 1.0
	v_rcp_f64_e32 v[130:131], v[128:129]
	v_div_scale_f64 v[132:133], vcc, 1.0, v[118:119], 1.0
	v_fma_f64 v[134:135], -v[128:129], v[130:131], 1.0
	v_fmac_f64_e32 v[130:131], v[130:131], v[134:135]
	v_fma_f64 v[134:135], -v[128:129], v[130:131], 1.0
	v_fmac_f64_e32 v[130:131], v[130:131], v[134:135]
	v_mul_f64 v[134:135], v[132:133], v[130:131]
	v_fma_f64 v[128:129], -v[128:129], v[134:135], v[132:133]
	v_div_fmas_f64 v[128:129], v[128:129], v[130:131], v[134:135]
	v_div_fixup_f64 v[118:119], v[128:129], v[118:119], 1.0
; %bb.291:
	s_or_b64 exec, exec, s[0:1]
	v_cmp_ne_u32_e32 vcc, v123, v120
	s_and_saveexec_b64 s[0:1], vcc
	s_xor_b64 s[0:1], exec, s[0:1]
	s_cbranch_execz .LBB112_297
; %bb.292:
	v_cmp_eq_u32_e32 vcc, 17, v123
	s_and_saveexec_b64 s[2:3], vcc
	s_cbranch_execz .LBB112_296
; %bb.293:
	v_cmp_ne_u32_e32 vcc, 17, v120
	s_xor_b64 s[14:15], s[6:7], -1
	s_and_b64 s[16:17], s[14:15], vcc
	s_and_saveexec_b64 s[14:15], s[16:17]
	s_cbranch_execz .LBB112_295
; %bb.294:
	v_ashrrev_i32_e32 v121, 31, v120
	v_lshlrev_b64 v[128:129], 2, v[120:121]
	v_add_co_u32_e32 v128, vcc, v4, v128
	v_addc_co_u32_e32 v129, vcc, v5, v129, vcc
	flat_load_dword v121, v[128:129]
	flat_load_dword v123, v[4:5] offset:68
	s_waitcnt vmcnt(0) lgkmcnt(0)
	flat_store_dword v[4:5], v121 offset:68
	flat_store_dword v[128:129], v123
.LBB112_295:
	s_or_b64 exec, exec, s[14:15]
	v_mov_b32_e32 v121, v120
	v_mov_b32_e32 v123, v120
.LBB112_296:
	s_or_b64 exec, exec, s[2:3]
.LBB112_297:
	s_andn2_saveexec_b64 s[0:1], s[0:1]
	s_cbranch_execz .LBB112_299
; %bb.298:
	v_mov_b32_e32 v128, v78
	v_mov_b32_e32 v129, v79
	v_mov_b32_e32 v130, v76
	v_mov_b32_e32 v131, v77
	ds_write2_b64 v122, v[128:129], v[130:131] offset0:18 offset1:19
	v_mov_b32_e32 v128, v74
	v_mov_b32_e32 v129, v75
	v_mov_b32_e32 v130, v72
	v_mov_b32_e32 v131, v73
	ds_write2_b64 v122, v[128:129], v[130:131] offset0:20 offset1:21
	;; [unrolled: 5-line block ×18, first 2 shown]
	v_mov_b32_e32 v128, v6
	v_mov_b32_e32 v129, v7
	;; [unrolled: 1-line block ×5, first 2 shown]
	ds_write2_b64 v122, v[128:129], v[130:131] offset0:54 offset1:55
	ds_write_b64 v122, v[116:117] offset:448
.LBB112_299:
	s_or_b64 exec, exec, s[0:1]
	v_cmp_lt_i32_e32 vcc, 17, v123
	s_waitcnt lgkmcnt(0)
	s_barrier
	s_and_saveexec_b64 s[0:1], vcc
	s_cbranch_execz .LBB112_301
; %bb.300:
	ds_read2_b64 v[128:131], v122 offset0:18 offset1:19
	ds_read2_b64 v[132:135], v122 offset0:20 offset1:21
	v_mul_f64 v[80:81], v[118:119], v[80:81]
	ds_read2_b64 v[136:139], v122 offset0:22 offset1:23
	ds_read_b64 v[118:119], v122 offset:448
	s_waitcnt lgkmcnt(0)
	v_fma_f64 v[78:79], -v[80:81], v[128:129], v[78:79]
	v_fma_f64 v[76:77], -v[80:81], v[130:131], v[76:77]
	ds_read2_b64 v[128:131], v122 offset0:24 offset1:25
	v_fma_f64 v[74:75], -v[80:81], v[132:133], v[74:75]
	v_fma_f64 v[72:73], -v[80:81], v[134:135], v[72:73]
	;; [unrolled: 1-line block ×3, first 2 shown]
	ds_read2_b64 v[132:135], v122 offset0:26 offset1:27
	v_fma_f64 v[68:69], -v[80:81], v[138:139], v[68:69]
	ds_read2_b64 v[136:139], v122 offset0:28 offset1:29
	s_waitcnt lgkmcnt(0)
	v_fma_f64 v[66:67], -v[80:81], v[128:129], v[66:67]
	v_fma_f64 v[64:65], -v[80:81], v[130:131], v[64:65]
	ds_read2_b64 v[128:131], v122 offset0:30 offset1:31
	v_fma_f64 v[62:63], -v[80:81], v[132:133], v[62:63]
	v_fma_f64 v[60:61], -v[80:81], v[134:135], v[60:61]
	ds_read2_b64 v[132:135], v122 offset0:32 offset1:33
	v_fma_f64 v[58:59], -v[80:81], v[136:137], v[58:59]
	v_fma_f64 v[56:57], -v[80:81], v[138:139], v[56:57]
	s_waitcnt lgkmcnt(0)
	v_fma_f64 v[54:55], -v[80:81], v[128:129], v[54:55]
	ds_read2_b64 v[136:139], v122 offset0:34 offset1:35
	v_fma_f64 v[52:53], -v[80:81], v[130:131], v[52:53]
	ds_read2_b64 v[128:131], v122 offset0:36 offset1:37
	v_fma_f64 v[50:51], -v[80:81], v[132:133], v[50:51]
	v_fma_f64 v[48:49], -v[80:81], v[134:135], v[48:49]
	s_waitcnt lgkmcnt(0)
	v_fma_f64 v[46:47], -v[80:81], v[136:137], v[46:47]
	ds_read2_b64 v[132:135], v122 offset0:38 offset1:39
	v_fma_f64 v[44:45], -v[80:81], v[138:139], v[44:45]
	ds_read2_b64 v[136:139], v122 offset0:40 offset1:41
	v_fma_f64 v[42:43], -v[80:81], v[128:129], v[42:43]
	v_fma_f64 v[40:41], -v[80:81], v[130:131], v[40:41]
	ds_read2_b64 v[128:131], v122 offset0:42 offset1:43
	s_waitcnt lgkmcnt(0)
	v_fma_f64 v[38:39], -v[80:81], v[132:133], v[38:39]
	v_fma_f64 v[36:37], -v[80:81], v[134:135], v[36:37]
	ds_read2_b64 v[132:135], v122 offset0:44 offset1:45
	v_fma_f64 v[34:35], -v[80:81], v[136:137], v[34:35]
	v_fma_f64 v[32:33], -v[80:81], v[138:139], v[32:33]
	;; [unrolled: 1-line block ×3, first 2 shown]
	ds_read2_b64 v[136:139], v122 offset0:46 offset1:47
	v_fma_f64 v[28:29], -v[80:81], v[130:131], v[28:29]
	ds_read2_b64 v[128:131], v122 offset0:48 offset1:49
	s_waitcnt lgkmcnt(0)
	v_fma_f64 v[26:27], -v[80:81], v[132:133], v[26:27]
	v_fma_f64 v[24:25], -v[80:81], v[134:135], v[24:25]
	;; [unrolled: 1-line block ×3, first 2 shown]
	ds_read2_b64 v[132:135], v122 offset0:50 offset1:51
	v_fma_f64 v[20:21], -v[80:81], v[138:139], v[20:21]
	v_fma_f64 v[18:19], -v[80:81], v[128:129], v[18:19]
	;; [unrolled: 1-line block ×3, first 2 shown]
	ds_read2_b64 v[128:131], v122 offset0:52 offset1:53
	ds_read2_b64 v[136:139], v122 offset0:54 offset1:55
	s_waitcnt lgkmcnt(0)
	v_fma_f64 v[14:15], -v[80:81], v[132:133], v[14:15]
	v_fma_f64 v[12:13], -v[80:81], v[134:135], v[12:13]
	v_fma_f64 v[116:117], -v[80:81], v[118:119], v[116:117]
	v_fma_f64 v[10:11], -v[80:81], v[128:129], v[10:11]
	v_fma_f64 v[8:9], -v[80:81], v[130:131], v[8:9]
	v_fma_f64 v[6:7], -v[80:81], v[136:137], v[6:7]
	v_fma_f64 v[0:1], -v[80:81], v[138:139], v[0:1]
.LBB112_301:
	s_or_b64 exec, exec, s[0:1]
	v_lshl_add_u32 v118, v123, 3, v122
	s_barrier
	ds_write_b64 v118, v[78:79]
	s_waitcnt lgkmcnt(0)
	s_barrier
	ds_read_b64 v[118:119], v122 offset:144
	s_cmp_lt_i32 s18, 20
	v_mov_b32_e32 v120, 18
	s_cbranch_scc1 .LBB112_304
; %bb.302:
	v_add_u32_e32 v127, 0x98, v122
	s_mov_b32 s0, 19
	v_mov_b32_e32 v120, 18
.LBB112_303:                            ; =>This Inner Loop Header: Depth=1
	ds_read_b64 v[128:129], v127
	v_mov_b32_e32 v130, s0
	s_add_i32 s0, s0, 1
	v_add_u32_e32 v127, 8, v127
	s_cmp_lg_u32 s18, s0
	s_waitcnt lgkmcnt(0)
	v_cmp_lt_f64_e64 vcc, |v[118:119]|, |v[128:129]|
	v_cndmask_b32_e32 v119, v119, v129, vcc
	v_cndmask_b32_e32 v118, v118, v128, vcc
	;; [unrolled: 1-line block ×3, first 2 shown]
	s_cbranch_scc1 .LBB112_303
.LBB112_304:
	s_waitcnt lgkmcnt(0)
	v_cmp_eq_f64_e32 vcc, 0, v[118:119]
	s_and_saveexec_b64 s[0:1], vcc
	s_xor_b64 s[0:1], exec, s[0:1]
; %bb.305:
	v_cmp_ne_u32_e32 vcc, 0, v126
	v_cndmask_b32_e32 v126, 19, v126, vcc
; %bb.306:
	s_andn2_saveexec_b64 s[0:1], s[0:1]
; %bb.307:
	v_div_scale_f64 v[128:129], s[2:3], v[118:119], v[118:119], 1.0
	v_rcp_f64_e32 v[130:131], v[128:129]
	v_div_scale_f64 v[132:133], vcc, 1.0, v[118:119], 1.0
	v_fma_f64 v[134:135], -v[128:129], v[130:131], 1.0
	v_fmac_f64_e32 v[130:131], v[130:131], v[134:135]
	v_fma_f64 v[134:135], -v[128:129], v[130:131], 1.0
	v_fmac_f64_e32 v[130:131], v[130:131], v[134:135]
	v_mul_f64 v[134:135], v[132:133], v[130:131]
	v_fma_f64 v[128:129], -v[128:129], v[134:135], v[132:133]
	v_div_fmas_f64 v[128:129], v[128:129], v[130:131], v[134:135]
	v_div_fixup_f64 v[118:119], v[128:129], v[118:119], 1.0
; %bb.308:
	s_or_b64 exec, exec, s[0:1]
	v_cmp_ne_u32_e32 vcc, v123, v120
	s_and_saveexec_b64 s[0:1], vcc
	s_xor_b64 s[0:1], exec, s[0:1]
	s_cbranch_execz .LBB112_314
; %bb.309:
	v_cmp_eq_u32_e32 vcc, 18, v123
	s_and_saveexec_b64 s[2:3], vcc
	s_cbranch_execz .LBB112_313
; %bb.310:
	v_cmp_ne_u32_e32 vcc, 18, v120
	s_xor_b64 s[14:15], s[6:7], -1
	s_and_b64 s[16:17], s[14:15], vcc
	s_and_saveexec_b64 s[14:15], s[16:17]
	s_cbranch_execz .LBB112_312
; %bb.311:
	v_ashrrev_i32_e32 v121, 31, v120
	v_lshlrev_b64 v[128:129], 2, v[120:121]
	v_add_co_u32_e32 v128, vcc, v4, v128
	v_addc_co_u32_e32 v129, vcc, v5, v129, vcc
	flat_load_dword v121, v[128:129]
	flat_load_dword v123, v[4:5] offset:72
	s_waitcnt vmcnt(0) lgkmcnt(0)
	flat_store_dword v[4:5], v121 offset:72
	flat_store_dword v[128:129], v123
.LBB112_312:
	s_or_b64 exec, exec, s[14:15]
	v_mov_b32_e32 v121, v120
	v_mov_b32_e32 v123, v120
.LBB112_313:
	s_or_b64 exec, exec, s[2:3]
.LBB112_314:
	s_andn2_saveexec_b64 s[0:1], s[0:1]
	s_cbranch_execz .LBB112_316
; %bb.315:
	v_mov_b32_e32 v123, 18
	ds_write2_b64 v122, v[76:77], v[74:75] offset0:19 offset1:20
	ds_write2_b64 v122, v[72:73], v[70:71] offset0:21 offset1:22
	;; [unrolled: 1-line block ×19, first 2 shown]
.LBB112_316:
	s_or_b64 exec, exec, s[0:1]
	v_cmp_lt_i32_e32 vcc, 18, v123
	s_waitcnt lgkmcnt(0)
	s_barrier
	s_and_saveexec_b64 s[0:1], vcc
	s_cbranch_execz .LBB112_318
; %bb.317:
	ds_read2_b64 v[128:131], v122 offset0:19 offset1:20
	ds_read2_b64 v[132:135], v122 offset0:21 offset1:22
	v_mul_f64 v[78:79], v[118:119], v[78:79]
	ds_read2_b64 v[136:139], v122 offset0:23 offset1:24
	s_waitcnt lgkmcnt(0)
	v_fma_f64 v[76:77], -v[78:79], v[128:129], v[76:77]
	v_fma_f64 v[74:75], -v[78:79], v[130:131], v[74:75]
	ds_read2_b64 v[128:131], v122 offset0:25 offset1:26
	v_fma_f64 v[72:73], -v[78:79], v[132:133], v[72:73]
	v_fma_f64 v[70:71], -v[78:79], v[134:135], v[70:71]
	;; [unrolled: 1-line block ×3, first 2 shown]
	ds_read2_b64 v[132:135], v122 offset0:27 offset1:28
	v_fma_f64 v[66:67], -v[78:79], v[138:139], v[66:67]
	ds_read2_b64 v[136:139], v122 offset0:29 offset1:30
	s_waitcnt lgkmcnt(0)
	v_fma_f64 v[64:65], -v[78:79], v[128:129], v[64:65]
	v_fma_f64 v[62:63], -v[78:79], v[130:131], v[62:63]
	ds_read2_b64 v[128:131], v122 offset0:31 offset1:32
	v_fma_f64 v[60:61], -v[78:79], v[132:133], v[60:61]
	v_fma_f64 v[58:59], -v[78:79], v[134:135], v[58:59]
	ds_read2_b64 v[132:135], v122 offset0:33 offset1:34
	v_fma_f64 v[56:57], -v[78:79], v[136:137], v[56:57]
	v_fma_f64 v[54:55], -v[78:79], v[138:139], v[54:55]
	s_waitcnt lgkmcnt(0)
	v_fma_f64 v[52:53], -v[78:79], v[128:129], v[52:53]
	ds_read2_b64 v[136:139], v122 offset0:35 offset1:36
	v_fma_f64 v[50:51], -v[78:79], v[130:131], v[50:51]
	ds_read2_b64 v[128:131], v122 offset0:37 offset1:38
	v_fma_f64 v[48:49], -v[78:79], v[132:133], v[48:49]
	v_fma_f64 v[46:47], -v[78:79], v[134:135], v[46:47]
	s_waitcnt lgkmcnt(0)
	v_fma_f64 v[44:45], -v[78:79], v[136:137], v[44:45]
	ds_read2_b64 v[132:135], v122 offset0:39 offset1:40
	v_fma_f64 v[42:43], -v[78:79], v[138:139], v[42:43]
	ds_read2_b64 v[136:139], v122 offset0:41 offset1:42
	v_fma_f64 v[40:41], -v[78:79], v[128:129], v[40:41]
	v_fma_f64 v[38:39], -v[78:79], v[130:131], v[38:39]
	ds_read2_b64 v[128:131], v122 offset0:43 offset1:44
	s_waitcnt lgkmcnt(0)
	v_fma_f64 v[36:37], -v[78:79], v[132:133], v[36:37]
	v_fma_f64 v[34:35], -v[78:79], v[134:135], v[34:35]
	ds_read2_b64 v[132:135], v122 offset0:45 offset1:46
	v_fma_f64 v[32:33], -v[78:79], v[136:137], v[32:33]
	v_fma_f64 v[30:31], -v[78:79], v[138:139], v[30:31]
	;; [unrolled: 1-line block ×3, first 2 shown]
	ds_read2_b64 v[136:139], v122 offset0:47 offset1:48
	v_fma_f64 v[26:27], -v[78:79], v[130:131], v[26:27]
	ds_read2_b64 v[128:131], v122 offset0:49 offset1:50
	s_waitcnt lgkmcnt(0)
	v_fma_f64 v[24:25], -v[78:79], v[132:133], v[24:25]
	v_fma_f64 v[22:23], -v[78:79], v[134:135], v[22:23]
	;; [unrolled: 1-line block ×4, first 2 shown]
	ds_read2_b64 v[132:135], v122 offset0:51 offset1:52
	ds_read2_b64 v[136:139], v122 offset0:53 offset1:54
	v_fma_f64 v[16:17], -v[78:79], v[128:129], v[16:17]
	v_fma_f64 v[14:15], -v[78:79], v[130:131], v[14:15]
	ds_read2_b64 v[128:131], v122 offset0:55 offset1:56
	s_waitcnt lgkmcnt(0)
	v_fma_f64 v[12:13], -v[78:79], v[132:133], v[12:13]
	v_fma_f64 v[10:11], -v[78:79], v[134:135], v[10:11]
	;; [unrolled: 1-line block ×6, first 2 shown]
.LBB112_318:
	s_or_b64 exec, exec, s[0:1]
	v_lshl_add_u32 v118, v123, 3, v122
	s_barrier
	ds_write_b64 v118, v[76:77]
	s_waitcnt lgkmcnt(0)
	s_barrier
	ds_read_b64 v[118:119], v122 offset:152
	s_cmp_lt_i32 s18, 21
	v_mov_b32_e32 v120, 19
	s_cbranch_scc1 .LBB112_321
; %bb.319:
	v_add_u32_e32 v127, 0xa0, v122
	s_mov_b32 s0, 20
	v_mov_b32_e32 v120, 19
.LBB112_320:                            ; =>This Inner Loop Header: Depth=1
	ds_read_b64 v[128:129], v127
	v_mov_b32_e32 v130, s0
	s_add_i32 s0, s0, 1
	v_add_u32_e32 v127, 8, v127
	s_cmp_lg_u32 s18, s0
	s_waitcnt lgkmcnt(0)
	v_cmp_lt_f64_e64 vcc, |v[118:119]|, |v[128:129]|
	v_cndmask_b32_e32 v119, v119, v129, vcc
	v_cndmask_b32_e32 v118, v118, v128, vcc
	;; [unrolled: 1-line block ×3, first 2 shown]
	s_cbranch_scc1 .LBB112_320
.LBB112_321:
	s_waitcnt lgkmcnt(0)
	v_cmp_eq_f64_e32 vcc, 0, v[118:119]
	s_and_saveexec_b64 s[0:1], vcc
	s_xor_b64 s[0:1], exec, s[0:1]
; %bb.322:
	v_cmp_ne_u32_e32 vcc, 0, v126
	v_cndmask_b32_e32 v126, 20, v126, vcc
; %bb.323:
	s_andn2_saveexec_b64 s[0:1], s[0:1]
; %bb.324:
	v_div_scale_f64 v[128:129], s[2:3], v[118:119], v[118:119], 1.0
	v_rcp_f64_e32 v[130:131], v[128:129]
	v_div_scale_f64 v[132:133], vcc, 1.0, v[118:119], 1.0
	v_fma_f64 v[134:135], -v[128:129], v[130:131], 1.0
	v_fmac_f64_e32 v[130:131], v[130:131], v[134:135]
	v_fma_f64 v[134:135], -v[128:129], v[130:131], 1.0
	v_fmac_f64_e32 v[130:131], v[130:131], v[134:135]
	v_mul_f64 v[134:135], v[132:133], v[130:131]
	v_fma_f64 v[128:129], -v[128:129], v[134:135], v[132:133]
	v_div_fmas_f64 v[128:129], v[128:129], v[130:131], v[134:135]
	v_div_fixup_f64 v[118:119], v[128:129], v[118:119], 1.0
; %bb.325:
	s_or_b64 exec, exec, s[0:1]
	v_cmp_ne_u32_e32 vcc, v123, v120
	s_and_saveexec_b64 s[0:1], vcc
	s_xor_b64 s[0:1], exec, s[0:1]
	s_cbranch_execz .LBB112_331
; %bb.326:
	v_cmp_eq_u32_e32 vcc, 19, v123
	s_and_saveexec_b64 s[2:3], vcc
	s_cbranch_execz .LBB112_330
; %bb.327:
	v_cmp_ne_u32_e32 vcc, 19, v120
	s_xor_b64 s[14:15], s[6:7], -1
	s_and_b64 s[16:17], s[14:15], vcc
	s_and_saveexec_b64 s[14:15], s[16:17]
	s_cbranch_execz .LBB112_329
; %bb.328:
	v_ashrrev_i32_e32 v121, 31, v120
	v_lshlrev_b64 v[128:129], 2, v[120:121]
	v_add_co_u32_e32 v128, vcc, v4, v128
	v_addc_co_u32_e32 v129, vcc, v5, v129, vcc
	flat_load_dword v121, v[128:129]
	flat_load_dword v123, v[4:5] offset:76
	s_waitcnt vmcnt(0) lgkmcnt(0)
	flat_store_dword v[4:5], v121 offset:76
	flat_store_dword v[128:129], v123
.LBB112_329:
	s_or_b64 exec, exec, s[14:15]
	v_mov_b32_e32 v121, v120
	v_mov_b32_e32 v123, v120
.LBB112_330:
	s_or_b64 exec, exec, s[2:3]
.LBB112_331:
	s_andn2_saveexec_b64 s[0:1], s[0:1]
	s_cbranch_execz .LBB112_333
; %bb.332:
	v_mov_b32_e32 v128, v74
	v_mov_b32_e32 v129, v75
	v_mov_b32_e32 v130, v72
	v_mov_b32_e32 v131, v73
	ds_write2_b64 v122, v[128:129], v[130:131] offset0:20 offset1:21
	v_mov_b32_e32 v128, v70
	v_mov_b32_e32 v129, v71
	v_mov_b32_e32 v130, v68
	v_mov_b32_e32 v131, v69
	ds_write2_b64 v122, v[128:129], v[130:131] offset0:22 offset1:23
	;; [unrolled: 5-line block ×17, first 2 shown]
	v_mov_b32_e32 v128, v6
	v_mov_b32_e32 v129, v7
	;; [unrolled: 1-line block ×5, first 2 shown]
	ds_write2_b64 v122, v[128:129], v[130:131] offset0:54 offset1:55
	ds_write_b64 v122, v[116:117] offset:448
.LBB112_333:
	s_or_b64 exec, exec, s[0:1]
	v_cmp_lt_i32_e32 vcc, 19, v123
	s_waitcnt lgkmcnt(0)
	s_barrier
	s_and_saveexec_b64 s[0:1], vcc
	s_cbranch_execz .LBB112_335
; %bb.334:
	ds_read2_b64 v[128:131], v122 offset0:20 offset1:21
	ds_read2_b64 v[132:135], v122 offset0:22 offset1:23
	;; [unrolled: 1-line block ×3, first 2 shown]
	v_mul_f64 v[76:77], v[118:119], v[76:77]
	ds_read_b64 v[118:119], v122 offset:448
	s_waitcnt lgkmcnt(0)
	v_fma_f64 v[74:75], -v[76:77], v[128:129], v[74:75]
	v_fma_f64 v[72:73], -v[76:77], v[130:131], v[72:73]
	ds_read2_b64 v[128:131], v122 offset0:26 offset1:27
	v_fma_f64 v[70:71], -v[76:77], v[132:133], v[70:71]
	v_fma_f64 v[68:69], -v[76:77], v[134:135], v[68:69]
	v_fma_f64 v[66:67], -v[76:77], v[136:137], v[66:67]
	ds_read2_b64 v[132:135], v122 offset0:28 offset1:29
	v_fma_f64 v[64:65], -v[76:77], v[138:139], v[64:65]
	ds_read2_b64 v[136:139], v122 offset0:30 offset1:31
	s_waitcnt lgkmcnt(0)
	v_fma_f64 v[62:63], -v[76:77], v[128:129], v[62:63]
	v_fma_f64 v[60:61], -v[76:77], v[130:131], v[60:61]
	;; [unrolled: 1-line block ×3, first 2 shown]
	ds_read2_b64 v[128:131], v122 offset0:32 offset1:33
	v_fma_f64 v[56:57], -v[76:77], v[134:135], v[56:57]
	ds_read2_b64 v[132:135], v122 offset0:34 offset1:35
	v_fma_f64 v[54:55], -v[76:77], v[136:137], v[54:55]
	v_fma_f64 v[52:53], -v[76:77], v[138:139], v[52:53]
	ds_read2_b64 v[136:139], v122 offset0:36 offset1:37
	s_waitcnt lgkmcnt(0)
	v_fma_f64 v[50:51], -v[76:77], v[128:129], v[50:51]
	v_fma_f64 v[48:49], -v[76:77], v[130:131], v[48:49]
	ds_read2_b64 v[128:131], v122 offset0:38 offset1:39
	v_fma_f64 v[46:47], -v[76:77], v[132:133], v[46:47]
	v_fma_f64 v[44:45], -v[76:77], v[134:135], v[44:45]
	;; [unrolled: 1-line block ×3, first 2 shown]
	ds_read2_b64 v[132:135], v122 offset0:40 offset1:41
	v_fma_f64 v[40:41], -v[76:77], v[138:139], v[40:41]
	ds_read2_b64 v[136:139], v122 offset0:42 offset1:43
	s_waitcnt lgkmcnt(0)
	v_fma_f64 v[38:39], -v[76:77], v[128:129], v[38:39]
	v_fma_f64 v[36:37], -v[76:77], v[130:131], v[36:37]
	;; [unrolled: 1-line block ×3, first 2 shown]
	ds_read2_b64 v[128:131], v122 offset0:44 offset1:45
	v_fma_f64 v[32:33], -v[76:77], v[134:135], v[32:33]
	ds_read2_b64 v[132:135], v122 offset0:46 offset1:47
	v_fma_f64 v[30:31], -v[76:77], v[136:137], v[30:31]
	v_fma_f64 v[28:29], -v[76:77], v[138:139], v[28:29]
	ds_read2_b64 v[136:139], v122 offset0:48 offset1:49
	s_waitcnt lgkmcnt(0)
	v_fma_f64 v[26:27], -v[76:77], v[128:129], v[26:27]
	v_fma_f64 v[24:25], -v[76:77], v[130:131], v[24:25]
	ds_read2_b64 v[128:131], v122 offset0:50 offset1:51
	v_fma_f64 v[22:23], -v[76:77], v[132:133], v[22:23]
	v_fma_f64 v[20:21], -v[76:77], v[134:135], v[20:21]
	;; [unrolled: 1-line block ×4, first 2 shown]
	ds_read2_b64 v[132:135], v122 offset0:52 offset1:53
	ds_read2_b64 v[136:139], v122 offset0:54 offset1:55
	s_waitcnt lgkmcnt(0)
	v_fma_f64 v[14:15], -v[76:77], v[128:129], v[14:15]
	v_fma_f64 v[12:13], -v[76:77], v[130:131], v[12:13]
	;; [unrolled: 1-line block ×7, first 2 shown]
.LBB112_335:
	s_or_b64 exec, exec, s[0:1]
	v_lshl_add_u32 v118, v123, 3, v122
	s_barrier
	ds_write_b64 v118, v[74:75]
	s_waitcnt lgkmcnt(0)
	s_barrier
	ds_read_b64 v[118:119], v122 offset:160
	s_cmp_lt_i32 s18, 22
	v_mov_b32_e32 v120, 20
	s_cbranch_scc1 .LBB112_338
; %bb.336:
	v_add_u32_e32 v127, 0xa8, v122
	s_mov_b32 s0, 21
	v_mov_b32_e32 v120, 20
.LBB112_337:                            ; =>This Inner Loop Header: Depth=1
	ds_read_b64 v[128:129], v127
	v_mov_b32_e32 v130, s0
	s_add_i32 s0, s0, 1
	v_add_u32_e32 v127, 8, v127
	s_cmp_lg_u32 s18, s0
	s_waitcnt lgkmcnt(0)
	v_cmp_lt_f64_e64 vcc, |v[118:119]|, |v[128:129]|
	v_cndmask_b32_e32 v119, v119, v129, vcc
	v_cndmask_b32_e32 v118, v118, v128, vcc
	;; [unrolled: 1-line block ×3, first 2 shown]
	s_cbranch_scc1 .LBB112_337
.LBB112_338:
	s_waitcnt lgkmcnt(0)
	v_cmp_eq_f64_e32 vcc, 0, v[118:119]
	s_and_saveexec_b64 s[0:1], vcc
	s_xor_b64 s[0:1], exec, s[0:1]
; %bb.339:
	v_cmp_ne_u32_e32 vcc, 0, v126
	v_cndmask_b32_e32 v126, 21, v126, vcc
; %bb.340:
	s_andn2_saveexec_b64 s[0:1], s[0:1]
; %bb.341:
	v_div_scale_f64 v[128:129], s[2:3], v[118:119], v[118:119], 1.0
	v_rcp_f64_e32 v[130:131], v[128:129]
	v_div_scale_f64 v[132:133], vcc, 1.0, v[118:119], 1.0
	v_fma_f64 v[134:135], -v[128:129], v[130:131], 1.0
	v_fmac_f64_e32 v[130:131], v[130:131], v[134:135]
	v_fma_f64 v[134:135], -v[128:129], v[130:131], 1.0
	v_fmac_f64_e32 v[130:131], v[130:131], v[134:135]
	v_mul_f64 v[134:135], v[132:133], v[130:131]
	v_fma_f64 v[128:129], -v[128:129], v[134:135], v[132:133]
	v_div_fmas_f64 v[128:129], v[128:129], v[130:131], v[134:135]
	v_div_fixup_f64 v[118:119], v[128:129], v[118:119], 1.0
; %bb.342:
	s_or_b64 exec, exec, s[0:1]
	v_cmp_ne_u32_e32 vcc, v123, v120
	s_and_saveexec_b64 s[0:1], vcc
	s_xor_b64 s[0:1], exec, s[0:1]
	s_cbranch_execz .LBB112_348
; %bb.343:
	v_cmp_eq_u32_e32 vcc, 20, v123
	s_and_saveexec_b64 s[2:3], vcc
	s_cbranch_execz .LBB112_347
; %bb.344:
	v_cmp_ne_u32_e32 vcc, 20, v120
	s_xor_b64 s[14:15], s[6:7], -1
	s_and_b64 s[16:17], s[14:15], vcc
	s_and_saveexec_b64 s[14:15], s[16:17]
	s_cbranch_execz .LBB112_346
; %bb.345:
	v_ashrrev_i32_e32 v121, 31, v120
	v_lshlrev_b64 v[128:129], 2, v[120:121]
	v_add_co_u32_e32 v128, vcc, v4, v128
	v_addc_co_u32_e32 v129, vcc, v5, v129, vcc
	flat_load_dword v121, v[128:129]
	flat_load_dword v123, v[4:5] offset:80
	s_waitcnt vmcnt(0) lgkmcnt(0)
	flat_store_dword v[4:5], v121 offset:80
	flat_store_dword v[128:129], v123
.LBB112_346:
	s_or_b64 exec, exec, s[14:15]
	v_mov_b32_e32 v121, v120
	v_mov_b32_e32 v123, v120
.LBB112_347:
	s_or_b64 exec, exec, s[2:3]
.LBB112_348:
	s_andn2_saveexec_b64 s[0:1], s[0:1]
	s_cbranch_execz .LBB112_350
; %bb.349:
	v_mov_b32_e32 v123, 20
	ds_write2_b64 v122, v[72:73], v[70:71] offset0:21 offset1:22
	ds_write2_b64 v122, v[68:69], v[66:67] offset0:23 offset1:24
	ds_write2_b64 v122, v[64:65], v[62:63] offset0:25 offset1:26
	ds_write2_b64 v122, v[60:61], v[58:59] offset0:27 offset1:28
	ds_write2_b64 v122, v[56:57], v[54:55] offset0:29 offset1:30
	ds_write2_b64 v122, v[52:53], v[50:51] offset0:31 offset1:32
	ds_write2_b64 v122, v[48:49], v[46:47] offset0:33 offset1:34
	ds_write2_b64 v122, v[44:45], v[42:43] offset0:35 offset1:36
	ds_write2_b64 v122, v[40:41], v[38:39] offset0:37 offset1:38
	ds_write2_b64 v122, v[36:37], v[34:35] offset0:39 offset1:40
	ds_write2_b64 v122, v[32:33], v[30:31] offset0:41 offset1:42
	ds_write2_b64 v122, v[28:29], v[26:27] offset0:43 offset1:44
	ds_write2_b64 v122, v[24:25], v[22:23] offset0:45 offset1:46
	ds_write2_b64 v122, v[20:21], v[18:19] offset0:47 offset1:48
	ds_write2_b64 v122, v[16:17], v[14:15] offset0:49 offset1:50
	ds_write2_b64 v122, v[12:13], v[10:11] offset0:51 offset1:52
	ds_write2_b64 v122, v[8:9], v[6:7] offset0:53 offset1:54
	ds_write2_b64 v122, v[0:1], v[116:117] offset0:55 offset1:56
.LBB112_350:
	s_or_b64 exec, exec, s[0:1]
	v_cmp_lt_i32_e32 vcc, 20, v123
	s_waitcnt lgkmcnt(0)
	s_barrier
	s_and_saveexec_b64 s[0:1], vcc
	s_cbranch_execz .LBB112_352
; %bb.351:
	ds_read2_b64 v[128:131], v122 offset0:21 offset1:22
	ds_read2_b64 v[132:135], v122 offset0:23 offset1:24
	;; [unrolled: 1-line block ×3, first 2 shown]
	v_mul_f64 v[74:75], v[118:119], v[74:75]
	s_waitcnt lgkmcnt(0)
	v_fma_f64 v[72:73], -v[74:75], v[128:129], v[72:73]
	v_fma_f64 v[70:71], -v[74:75], v[130:131], v[70:71]
	ds_read2_b64 v[128:131], v122 offset0:27 offset1:28
	v_fma_f64 v[68:69], -v[74:75], v[132:133], v[68:69]
	v_fma_f64 v[66:67], -v[74:75], v[134:135], v[66:67]
	;; [unrolled: 1-line block ×3, first 2 shown]
	ds_read2_b64 v[132:135], v122 offset0:29 offset1:30
	v_fma_f64 v[62:63], -v[74:75], v[138:139], v[62:63]
	ds_read2_b64 v[136:139], v122 offset0:31 offset1:32
	s_waitcnt lgkmcnt(0)
	v_fma_f64 v[60:61], -v[74:75], v[128:129], v[60:61]
	v_fma_f64 v[58:59], -v[74:75], v[130:131], v[58:59]
	;; [unrolled: 1-line block ×3, first 2 shown]
	ds_read2_b64 v[128:131], v122 offset0:33 offset1:34
	v_fma_f64 v[54:55], -v[74:75], v[134:135], v[54:55]
	ds_read2_b64 v[132:135], v122 offset0:35 offset1:36
	v_fma_f64 v[52:53], -v[74:75], v[136:137], v[52:53]
	v_fma_f64 v[50:51], -v[74:75], v[138:139], v[50:51]
	ds_read2_b64 v[136:139], v122 offset0:37 offset1:38
	s_waitcnt lgkmcnt(0)
	v_fma_f64 v[48:49], -v[74:75], v[128:129], v[48:49]
	v_fma_f64 v[46:47], -v[74:75], v[130:131], v[46:47]
	ds_read2_b64 v[128:131], v122 offset0:39 offset1:40
	v_fma_f64 v[44:45], -v[74:75], v[132:133], v[44:45]
	v_fma_f64 v[42:43], -v[74:75], v[134:135], v[42:43]
	;; [unrolled: 1-line block ×3, first 2 shown]
	ds_read2_b64 v[132:135], v122 offset0:41 offset1:42
	v_fma_f64 v[38:39], -v[74:75], v[138:139], v[38:39]
	ds_read2_b64 v[136:139], v122 offset0:43 offset1:44
	s_waitcnt lgkmcnt(0)
	v_fma_f64 v[36:37], -v[74:75], v[128:129], v[36:37]
	v_fma_f64 v[34:35], -v[74:75], v[130:131], v[34:35]
	;; [unrolled: 1-line block ×3, first 2 shown]
	ds_read2_b64 v[128:131], v122 offset0:45 offset1:46
	v_fma_f64 v[30:31], -v[74:75], v[134:135], v[30:31]
	ds_read2_b64 v[132:135], v122 offset0:47 offset1:48
	v_fma_f64 v[28:29], -v[74:75], v[136:137], v[28:29]
	v_fma_f64 v[26:27], -v[74:75], v[138:139], v[26:27]
	ds_read2_b64 v[136:139], v122 offset0:49 offset1:50
	s_waitcnt lgkmcnt(0)
	v_fma_f64 v[24:25], -v[74:75], v[128:129], v[24:25]
	v_fma_f64 v[22:23], -v[74:75], v[130:131], v[22:23]
	ds_read2_b64 v[128:131], v122 offset0:51 offset1:52
	v_fma_f64 v[20:21], -v[74:75], v[132:133], v[20:21]
	v_fma_f64 v[18:19], -v[74:75], v[134:135], v[18:19]
	;; [unrolled: 1-line block ×3, first 2 shown]
	ds_read2_b64 v[132:135], v122 offset0:53 offset1:54
	v_fma_f64 v[14:15], -v[74:75], v[138:139], v[14:15]
	ds_read2_b64 v[136:139], v122 offset0:55 offset1:56
	s_waitcnt lgkmcnt(0)
	v_fma_f64 v[12:13], -v[74:75], v[128:129], v[12:13]
	v_fma_f64 v[10:11], -v[74:75], v[130:131], v[10:11]
	;; [unrolled: 1-line block ×6, first 2 shown]
.LBB112_352:
	s_or_b64 exec, exec, s[0:1]
	v_lshl_add_u32 v118, v123, 3, v122
	s_barrier
	ds_write_b64 v118, v[72:73]
	s_waitcnt lgkmcnt(0)
	s_barrier
	ds_read_b64 v[118:119], v122 offset:168
	s_cmp_lt_i32 s18, 23
	v_mov_b32_e32 v120, 21
	s_cbranch_scc1 .LBB112_355
; %bb.353:
	v_add_u32_e32 v127, 0xb0, v122
	s_mov_b32 s0, 22
	v_mov_b32_e32 v120, 21
.LBB112_354:                            ; =>This Inner Loop Header: Depth=1
	ds_read_b64 v[128:129], v127
	v_mov_b32_e32 v130, s0
	s_add_i32 s0, s0, 1
	v_add_u32_e32 v127, 8, v127
	s_cmp_lg_u32 s18, s0
	s_waitcnt lgkmcnt(0)
	v_cmp_lt_f64_e64 vcc, |v[118:119]|, |v[128:129]|
	v_cndmask_b32_e32 v119, v119, v129, vcc
	v_cndmask_b32_e32 v118, v118, v128, vcc
	;; [unrolled: 1-line block ×3, first 2 shown]
	s_cbranch_scc1 .LBB112_354
.LBB112_355:
	s_waitcnt lgkmcnt(0)
	v_cmp_eq_f64_e32 vcc, 0, v[118:119]
	s_and_saveexec_b64 s[0:1], vcc
	s_xor_b64 s[0:1], exec, s[0:1]
; %bb.356:
	v_cmp_ne_u32_e32 vcc, 0, v126
	v_cndmask_b32_e32 v126, 22, v126, vcc
; %bb.357:
	s_andn2_saveexec_b64 s[0:1], s[0:1]
; %bb.358:
	v_div_scale_f64 v[128:129], s[2:3], v[118:119], v[118:119], 1.0
	v_rcp_f64_e32 v[130:131], v[128:129]
	v_div_scale_f64 v[132:133], vcc, 1.0, v[118:119], 1.0
	v_fma_f64 v[134:135], -v[128:129], v[130:131], 1.0
	v_fmac_f64_e32 v[130:131], v[130:131], v[134:135]
	v_fma_f64 v[134:135], -v[128:129], v[130:131], 1.0
	v_fmac_f64_e32 v[130:131], v[130:131], v[134:135]
	v_mul_f64 v[134:135], v[132:133], v[130:131]
	v_fma_f64 v[128:129], -v[128:129], v[134:135], v[132:133]
	v_div_fmas_f64 v[128:129], v[128:129], v[130:131], v[134:135]
	v_div_fixup_f64 v[118:119], v[128:129], v[118:119], 1.0
; %bb.359:
	s_or_b64 exec, exec, s[0:1]
	v_cmp_ne_u32_e32 vcc, v123, v120
	s_and_saveexec_b64 s[0:1], vcc
	s_xor_b64 s[0:1], exec, s[0:1]
	s_cbranch_execz .LBB112_365
; %bb.360:
	v_cmp_eq_u32_e32 vcc, 21, v123
	s_and_saveexec_b64 s[2:3], vcc
	s_cbranch_execz .LBB112_364
; %bb.361:
	v_cmp_ne_u32_e32 vcc, 21, v120
	s_xor_b64 s[14:15], s[6:7], -1
	s_and_b64 s[16:17], s[14:15], vcc
	s_and_saveexec_b64 s[14:15], s[16:17]
	s_cbranch_execz .LBB112_363
; %bb.362:
	v_ashrrev_i32_e32 v121, 31, v120
	v_lshlrev_b64 v[128:129], 2, v[120:121]
	v_add_co_u32_e32 v128, vcc, v4, v128
	v_addc_co_u32_e32 v129, vcc, v5, v129, vcc
	flat_load_dword v121, v[128:129]
	flat_load_dword v123, v[4:5] offset:84
	s_waitcnt vmcnt(0) lgkmcnt(0)
	flat_store_dword v[4:5], v121 offset:84
	flat_store_dword v[128:129], v123
.LBB112_363:
	s_or_b64 exec, exec, s[14:15]
	v_mov_b32_e32 v121, v120
	v_mov_b32_e32 v123, v120
.LBB112_364:
	s_or_b64 exec, exec, s[2:3]
.LBB112_365:
	s_andn2_saveexec_b64 s[0:1], s[0:1]
	s_cbranch_execz .LBB112_367
; %bb.366:
	v_mov_b32_e32 v128, v70
	v_mov_b32_e32 v129, v71
	v_mov_b32_e32 v130, v68
	v_mov_b32_e32 v131, v69
	ds_write2_b64 v122, v[128:129], v[130:131] offset0:22 offset1:23
	v_mov_b32_e32 v128, v66
	v_mov_b32_e32 v129, v67
	v_mov_b32_e32 v130, v64
	v_mov_b32_e32 v131, v65
	ds_write2_b64 v122, v[128:129], v[130:131] offset0:24 offset1:25
	;; [unrolled: 5-line block ×16, first 2 shown]
	v_mov_b32_e32 v128, v6
	v_mov_b32_e32 v129, v7
	;; [unrolled: 1-line block ×5, first 2 shown]
	ds_write2_b64 v122, v[128:129], v[130:131] offset0:54 offset1:55
	ds_write_b64 v122, v[116:117] offset:448
.LBB112_367:
	s_or_b64 exec, exec, s[0:1]
	v_cmp_lt_i32_e32 vcc, 21, v123
	s_waitcnt lgkmcnt(0)
	s_barrier
	s_and_saveexec_b64 s[0:1], vcc
	s_cbranch_execz .LBB112_369
; %bb.368:
	ds_read2_b64 v[128:131], v122 offset0:22 offset1:23
	ds_read2_b64 v[132:135], v122 offset0:24 offset1:25
	v_mul_f64 v[72:73], v[118:119], v[72:73]
	ds_read2_b64 v[136:139], v122 offset0:26 offset1:27
	ds_read_b64 v[118:119], v122 offset:448
	s_waitcnt lgkmcnt(0)
	v_fma_f64 v[70:71], -v[72:73], v[128:129], v[70:71]
	v_fma_f64 v[68:69], -v[72:73], v[130:131], v[68:69]
	ds_read2_b64 v[128:131], v122 offset0:28 offset1:29
	v_fma_f64 v[66:67], -v[72:73], v[132:133], v[66:67]
	v_fma_f64 v[64:65], -v[72:73], v[134:135], v[64:65]
	ds_read2_b64 v[132:135], v122 offset0:30 offset1:31
	;; [unrolled: 3-line block ×3, first 2 shown]
	s_waitcnt lgkmcnt(0)
	v_fma_f64 v[58:59], -v[72:73], v[128:129], v[58:59]
	v_fma_f64 v[56:57], -v[72:73], v[130:131], v[56:57]
	;; [unrolled: 1-line block ×3, first 2 shown]
	ds_read2_b64 v[128:131], v122 offset0:34 offset1:35
	v_fma_f64 v[52:53], -v[72:73], v[134:135], v[52:53]
	ds_read2_b64 v[132:135], v122 offset0:36 offset1:37
	v_fma_f64 v[50:51], -v[72:73], v[136:137], v[50:51]
	v_fma_f64 v[48:49], -v[72:73], v[138:139], v[48:49]
	s_waitcnt lgkmcnt(0)
	v_fma_f64 v[46:47], -v[72:73], v[128:129], v[46:47]
	ds_read2_b64 v[136:139], v122 offset0:38 offset1:39
	v_fma_f64 v[44:45], -v[72:73], v[130:131], v[44:45]
	ds_read2_b64 v[128:131], v122 offset0:40 offset1:41
	v_fma_f64 v[42:43], -v[72:73], v[132:133], v[42:43]
	v_fma_f64 v[40:41], -v[72:73], v[134:135], v[40:41]
	ds_read2_b64 v[132:135], v122 offset0:42 offset1:43
	s_waitcnt lgkmcnt(0)
	v_fma_f64 v[38:39], -v[72:73], v[136:137], v[38:39]
	v_fma_f64 v[36:37], -v[72:73], v[138:139], v[36:37]
	ds_read2_b64 v[136:139], v122 offset0:44 offset1:45
	v_fma_f64 v[34:35], -v[72:73], v[128:129], v[34:35]
	v_fma_f64 v[32:33], -v[72:73], v[130:131], v[32:33]
	;; [unrolled: 1-line block ×3, first 2 shown]
	ds_read2_b64 v[128:131], v122 offset0:46 offset1:47
	v_fma_f64 v[28:29], -v[72:73], v[134:135], v[28:29]
	ds_read2_b64 v[132:135], v122 offset0:48 offset1:49
	s_waitcnt lgkmcnt(0)
	v_fma_f64 v[26:27], -v[72:73], v[136:137], v[26:27]
	v_fma_f64 v[24:25], -v[72:73], v[138:139], v[24:25]
	;; [unrolled: 1-line block ×3, first 2 shown]
	ds_read2_b64 v[136:139], v122 offset0:50 offset1:51
	v_fma_f64 v[20:21], -v[72:73], v[130:131], v[20:21]
	ds_read2_b64 v[128:131], v122 offset0:52 offset1:53
	v_fma_f64 v[18:19], -v[72:73], v[132:133], v[18:19]
	v_fma_f64 v[16:17], -v[72:73], v[134:135], v[16:17]
	ds_read2_b64 v[132:135], v122 offset0:54 offset1:55
	s_waitcnt lgkmcnt(0)
	v_fma_f64 v[14:15], -v[72:73], v[136:137], v[14:15]
	v_fma_f64 v[12:13], -v[72:73], v[138:139], v[12:13]
	;; [unrolled: 1-line block ×7, first 2 shown]
.LBB112_369:
	s_or_b64 exec, exec, s[0:1]
	v_lshl_add_u32 v118, v123, 3, v122
	s_barrier
	ds_write_b64 v118, v[70:71]
	s_waitcnt lgkmcnt(0)
	s_barrier
	ds_read_b64 v[118:119], v122 offset:176
	s_cmp_lt_i32 s18, 24
	v_mov_b32_e32 v120, 22
	s_cbranch_scc1 .LBB112_372
; %bb.370:
	v_add_u32_e32 v127, 0xb8, v122
	s_mov_b32 s0, 23
	v_mov_b32_e32 v120, 22
.LBB112_371:                            ; =>This Inner Loop Header: Depth=1
	ds_read_b64 v[128:129], v127
	v_mov_b32_e32 v130, s0
	s_add_i32 s0, s0, 1
	v_add_u32_e32 v127, 8, v127
	s_cmp_lg_u32 s18, s0
	s_waitcnt lgkmcnt(0)
	v_cmp_lt_f64_e64 vcc, |v[118:119]|, |v[128:129]|
	v_cndmask_b32_e32 v119, v119, v129, vcc
	v_cndmask_b32_e32 v118, v118, v128, vcc
	;; [unrolled: 1-line block ×3, first 2 shown]
	s_cbranch_scc1 .LBB112_371
.LBB112_372:
	s_waitcnt lgkmcnt(0)
	v_cmp_eq_f64_e32 vcc, 0, v[118:119]
	s_and_saveexec_b64 s[0:1], vcc
	s_xor_b64 s[0:1], exec, s[0:1]
; %bb.373:
	v_cmp_ne_u32_e32 vcc, 0, v126
	v_cndmask_b32_e32 v126, 23, v126, vcc
; %bb.374:
	s_andn2_saveexec_b64 s[0:1], s[0:1]
; %bb.375:
	v_div_scale_f64 v[128:129], s[2:3], v[118:119], v[118:119], 1.0
	v_rcp_f64_e32 v[130:131], v[128:129]
	v_div_scale_f64 v[132:133], vcc, 1.0, v[118:119], 1.0
	v_fma_f64 v[134:135], -v[128:129], v[130:131], 1.0
	v_fmac_f64_e32 v[130:131], v[130:131], v[134:135]
	v_fma_f64 v[134:135], -v[128:129], v[130:131], 1.0
	v_fmac_f64_e32 v[130:131], v[130:131], v[134:135]
	v_mul_f64 v[134:135], v[132:133], v[130:131]
	v_fma_f64 v[128:129], -v[128:129], v[134:135], v[132:133]
	v_div_fmas_f64 v[128:129], v[128:129], v[130:131], v[134:135]
	v_div_fixup_f64 v[118:119], v[128:129], v[118:119], 1.0
; %bb.376:
	s_or_b64 exec, exec, s[0:1]
	v_cmp_ne_u32_e32 vcc, v123, v120
	s_and_saveexec_b64 s[0:1], vcc
	s_xor_b64 s[0:1], exec, s[0:1]
	s_cbranch_execz .LBB112_382
; %bb.377:
	v_cmp_eq_u32_e32 vcc, 22, v123
	s_and_saveexec_b64 s[2:3], vcc
	s_cbranch_execz .LBB112_381
; %bb.378:
	v_cmp_ne_u32_e32 vcc, 22, v120
	s_xor_b64 s[14:15], s[6:7], -1
	s_and_b64 s[16:17], s[14:15], vcc
	s_and_saveexec_b64 s[14:15], s[16:17]
	s_cbranch_execz .LBB112_380
; %bb.379:
	v_ashrrev_i32_e32 v121, 31, v120
	v_lshlrev_b64 v[128:129], 2, v[120:121]
	v_add_co_u32_e32 v128, vcc, v4, v128
	v_addc_co_u32_e32 v129, vcc, v5, v129, vcc
	flat_load_dword v121, v[128:129]
	flat_load_dword v123, v[4:5] offset:88
	s_waitcnt vmcnt(0) lgkmcnt(0)
	flat_store_dword v[4:5], v121 offset:88
	flat_store_dword v[128:129], v123
.LBB112_380:
	s_or_b64 exec, exec, s[14:15]
	v_mov_b32_e32 v121, v120
	v_mov_b32_e32 v123, v120
.LBB112_381:
	s_or_b64 exec, exec, s[2:3]
.LBB112_382:
	s_andn2_saveexec_b64 s[0:1], s[0:1]
	s_cbranch_execz .LBB112_384
; %bb.383:
	v_mov_b32_e32 v123, 22
	ds_write2_b64 v122, v[68:69], v[66:67] offset0:23 offset1:24
	ds_write2_b64 v122, v[64:65], v[62:63] offset0:25 offset1:26
	;; [unrolled: 1-line block ×17, first 2 shown]
.LBB112_384:
	s_or_b64 exec, exec, s[0:1]
	v_cmp_lt_i32_e32 vcc, 22, v123
	s_waitcnt lgkmcnt(0)
	s_barrier
	s_and_saveexec_b64 s[0:1], vcc
	s_cbranch_execz .LBB112_386
; %bb.385:
	ds_read2_b64 v[128:131], v122 offset0:23 offset1:24
	ds_read2_b64 v[132:135], v122 offset0:25 offset1:26
	v_mul_f64 v[70:71], v[118:119], v[70:71]
	ds_read2_b64 v[136:139], v122 offset0:27 offset1:28
	s_waitcnt lgkmcnt(0)
	v_fma_f64 v[68:69], -v[70:71], v[128:129], v[68:69]
	v_fma_f64 v[66:67], -v[70:71], v[130:131], v[66:67]
	ds_read2_b64 v[128:131], v122 offset0:29 offset1:30
	v_fma_f64 v[64:65], -v[70:71], v[132:133], v[64:65]
	v_fma_f64 v[62:63], -v[70:71], v[134:135], v[62:63]
	ds_read2_b64 v[132:135], v122 offset0:31 offset1:32
	;; [unrolled: 3-line block ×3, first 2 shown]
	s_waitcnt lgkmcnt(0)
	v_fma_f64 v[56:57], -v[70:71], v[128:129], v[56:57]
	v_fma_f64 v[54:55], -v[70:71], v[130:131], v[54:55]
	;; [unrolled: 1-line block ×3, first 2 shown]
	ds_read2_b64 v[128:131], v122 offset0:35 offset1:36
	v_fma_f64 v[50:51], -v[70:71], v[134:135], v[50:51]
	ds_read2_b64 v[132:135], v122 offset0:37 offset1:38
	v_fma_f64 v[48:49], -v[70:71], v[136:137], v[48:49]
	v_fma_f64 v[46:47], -v[70:71], v[138:139], v[46:47]
	s_waitcnt lgkmcnt(0)
	v_fma_f64 v[44:45], -v[70:71], v[128:129], v[44:45]
	ds_read2_b64 v[136:139], v122 offset0:39 offset1:40
	v_fma_f64 v[42:43], -v[70:71], v[130:131], v[42:43]
	ds_read2_b64 v[128:131], v122 offset0:41 offset1:42
	v_fma_f64 v[40:41], -v[70:71], v[132:133], v[40:41]
	v_fma_f64 v[38:39], -v[70:71], v[134:135], v[38:39]
	ds_read2_b64 v[132:135], v122 offset0:43 offset1:44
	s_waitcnt lgkmcnt(0)
	v_fma_f64 v[36:37], -v[70:71], v[136:137], v[36:37]
	v_fma_f64 v[34:35], -v[70:71], v[138:139], v[34:35]
	ds_read2_b64 v[136:139], v122 offset0:45 offset1:46
	v_fma_f64 v[32:33], -v[70:71], v[128:129], v[32:33]
	v_fma_f64 v[30:31], -v[70:71], v[130:131], v[30:31]
	;; [unrolled: 1-line block ×3, first 2 shown]
	ds_read2_b64 v[128:131], v122 offset0:47 offset1:48
	v_fma_f64 v[26:27], -v[70:71], v[134:135], v[26:27]
	ds_read2_b64 v[132:135], v122 offset0:49 offset1:50
	s_waitcnt lgkmcnt(0)
	v_fma_f64 v[24:25], -v[70:71], v[136:137], v[24:25]
	v_fma_f64 v[22:23], -v[70:71], v[138:139], v[22:23]
	;; [unrolled: 1-line block ×4, first 2 shown]
	ds_read2_b64 v[128:131], v122 offset0:51 offset1:52
	ds_read2_b64 v[136:139], v122 offset0:53 offset1:54
	v_fma_f64 v[16:17], -v[70:71], v[132:133], v[16:17]
	v_fma_f64 v[14:15], -v[70:71], v[134:135], v[14:15]
	ds_read2_b64 v[132:135], v122 offset0:55 offset1:56
	s_waitcnt lgkmcnt(0)
	v_fma_f64 v[12:13], -v[70:71], v[128:129], v[12:13]
	v_fma_f64 v[10:11], -v[70:71], v[130:131], v[10:11]
	;; [unrolled: 1-line block ×6, first 2 shown]
.LBB112_386:
	s_or_b64 exec, exec, s[0:1]
	v_lshl_add_u32 v118, v123, 3, v122
	s_barrier
	ds_write_b64 v118, v[68:69]
	s_waitcnt lgkmcnt(0)
	s_barrier
	ds_read_b64 v[118:119], v122 offset:184
	s_cmp_lt_i32 s18, 25
	v_mov_b32_e32 v120, 23
	s_cbranch_scc1 .LBB112_389
; %bb.387:
	v_add_u32_e32 v127, 0xc0, v122
	s_mov_b32 s0, 24
	v_mov_b32_e32 v120, 23
.LBB112_388:                            ; =>This Inner Loop Header: Depth=1
	ds_read_b64 v[128:129], v127
	v_mov_b32_e32 v130, s0
	s_add_i32 s0, s0, 1
	v_add_u32_e32 v127, 8, v127
	s_cmp_lg_u32 s18, s0
	s_waitcnt lgkmcnt(0)
	v_cmp_lt_f64_e64 vcc, |v[118:119]|, |v[128:129]|
	v_cndmask_b32_e32 v119, v119, v129, vcc
	v_cndmask_b32_e32 v118, v118, v128, vcc
	v_cndmask_b32_e32 v120, v120, v130, vcc
	s_cbranch_scc1 .LBB112_388
.LBB112_389:
	s_waitcnt lgkmcnt(0)
	v_cmp_eq_f64_e32 vcc, 0, v[118:119]
	s_and_saveexec_b64 s[0:1], vcc
	s_xor_b64 s[0:1], exec, s[0:1]
; %bb.390:
	v_cmp_ne_u32_e32 vcc, 0, v126
	v_cndmask_b32_e32 v126, 24, v126, vcc
; %bb.391:
	s_andn2_saveexec_b64 s[0:1], s[0:1]
; %bb.392:
	v_div_scale_f64 v[128:129], s[2:3], v[118:119], v[118:119], 1.0
	v_rcp_f64_e32 v[130:131], v[128:129]
	v_div_scale_f64 v[132:133], vcc, 1.0, v[118:119], 1.0
	v_fma_f64 v[134:135], -v[128:129], v[130:131], 1.0
	v_fmac_f64_e32 v[130:131], v[130:131], v[134:135]
	v_fma_f64 v[134:135], -v[128:129], v[130:131], 1.0
	v_fmac_f64_e32 v[130:131], v[130:131], v[134:135]
	v_mul_f64 v[134:135], v[132:133], v[130:131]
	v_fma_f64 v[128:129], -v[128:129], v[134:135], v[132:133]
	v_div_fmas_f64 v[128:129], v[128:129], v[130:131], v[134:135]
	v_div_fixup_f64 v[118:119], v[128:129], v[118:119], 1.0
; %bb.393:
	s_or_b64 exec, exec, s[0:1]
	v_cmp_ne_u32_e32 vcc, v123, v120
	s_and_saveexec_b64 s[0:1], vcc
	s_xor_b64 s[0:1], exec, s[0:1]
	s_cbranch_execz .LBB112_399
; %bb.394:
	v_cmp_eq_u32_e32 vcc, 23, v123
	s_and_saveexec_b64 s[2:3], vcc
	s_cbranch_execz .LBB112_398
; %bb.395:
	v_cmp_ne_u32_e32 vcc, 23, v120
	s_xor_b64 s[14:15], s[6:7], -1
	s_and_b64 s[16:17], s[14:15], vcc
	s_and_saveexec_b64 s[14:15], s[16:17]
	s_cbranch_execz .LBB112_397
; %bb.396:
	v_ashrrev_i32_e32 v121, 31, v120
	v_lshlrev_b64 v[128:129], 2, v[120:121]
	v_add_co_u32_e32 v128, vcc, v4, v128
	v_addc_co_u32_e32 v129, vcc, v5, v129, vcc
	flat_load_dword v121, v[128:129]
	flat_load_dword v123, v[4:5] offset:92
	s_waitcnt vmcnt(0) lgkmcnt(0)
	flat_store_dword v[4:5], v121 offset:92
	flat_store_dword v[128:129], v123
.LBB112_397:
	s_or_b64 exec, exec, s[14:15]
	v_mov_b32_e32 v121, v120
	v_mov_b32_e32 v123, v120
.LBB112_398:
	s_or_b64 exec, exec, s[2:3]
.LBB112_399:
	s_andn2_saveexec_b64 s[0:1], s[0:1]
	s_cbranch_execz .LBB112_401
; %bb.400:
	v_mov_b32_e32 v128, v66
	v_mov_b32_e32 v129, v67
	v_mov_b32_e32 v130, v64
	v_mov_b32_e32 v131, v65
	ds_write2_b64 v122, v[128:129], v[130:131] offset0:24 offset1:25
	v_mov_b32_e32 v128, v62
	v_mov_b32_e32 v129, v63
	v_mov_b32_e32 v130, v60
	v_mov_b32_e32 v131, v61
	ds_write2_b64 v122, v[128:129], v[130:131] offset0:26 offset1:27
	;; [unrolled: 5-line block ×15, first 2 shown]
	v_mov_b32_e32 v128, v6
	v_mov_b32_e32 v129, v7
	;; [unrolled: 1-line block ×5, first 2 shown]
	ds_write2_b64 v122, v[128:129], v[130:131] offset0:54 offset1:55
	ds_write_b64 v122, v[116:117] offset:448
.LBB112_401:
	s_or_b64 exec, exec, s[0:1]
	v_cmp_lt_i32_e32 vcc, 23, v123
	s_waitcnt lgkmcnt(0)
	s_barrier
	s_and_saveexec_b64 s[0:1], vcc
	s_cbranch_execz .LBB112_403
; %bb.402:
	ds_read2_b64 v[128:131], v122 offset0:24 offset1:25
	ds_read2_b64 v[132:135], v122 offset0:26 offset1:27
	v_mul_f64 v[68:69], v[118:119], v[68:69]
	ds_read2_b64 v[136:139], v122 offset0:28 offset1:29
	ds_read_b64 v[118:119], v122 offset:448
	s_waitcnt lgkmcnt(0)
	v_fma_f64 v[66:67], -v[68:69], v[128:129], v[66:67]
	v_fma_f64 v[64:65], -v[68:69], v[130:131], v[64:65]
	ds_read2_b64 v[128:131], v122 offset0:30 offset1:31
	v_fma_f64 v[62:63], -v[68:69], v[132:133], v[62:63]
	v_fma_f64 v[60:61], -v[68:69], v[134:135], v[60:61]
	;; [unrolled: 1-line block ×3, first 2 shown]
	ds_read2_b64 v[132:135], v122 offset0:32 offset1:33
	v_fma_f64 v[56:57], -v[68:69], v[138:139], v[56:57]
	ds_read2_b64 v[136:139], v122 offset0:34 offset1:35
	s_waitcnt lgkmcnt(0)
	v_fma_f64 v[54:55], -v[68:69], v[128:129], v[54:55]
	v_fma_f64 v[52:53], -v[68:69], v[130:131], v[52:53]
	ds_read2_b64 v[128:131], v122 offset0:36 offset1:37
	v_fma_f64 v[50:51], -v[68:69], v[132:133], v[50:51]
	v_fma_f64 v[48:49], -v[68:69], v[134:135], v[48:49]
	ds_read2_b64 v[132:135], v122 offset0:38 offset1:39
	v_fma_f64 v[46:47], -v[68:69], v[136:137], v[46:47]
	v_fma_f64 v[44:45], -v[68:69], v[138:139], v[44:45]
	s_waitcnt lgkmcnt(0)
	v_fma_f64 v[42:43], -v[68:69], v[128:129], v[42:43]
	ds_read2_b64 v[136:139], v122 offset0:40 offset1:41
	v_fma_f64 v[40:41], -v[68:69], v[130:131], v[40:41]
	ds_read2_b64 v[128:131], v122 offset0:42 offset1:43
	v_fma_f64 v[38:39], -v[68:69], v[132:133], v[38:39]
	v_fma_f64 v[36:37], -v[68:69], v[134:135], v[36:37]
	s_waitcnt lgkmcnt(0)
	v_fma_f64 v[34:35], -v[68:69], v[136:137], v[34:35]
	ds_read2_b64 v[132:135], v122 offset0:44 offset1:45
	v_fma_f64 v[32:33], -v[68:69], v[138:139], v[32:33]
	ds_read2_b64 v[136:139], v122 offset0:46 offset1:47
	v_fma_f64 v[30:31], -v[68:69], v[128:129], v[30:31]
	v_fma_f64 v[28:29], -v[68:69], v[130:131], v[28:29]
	ds_read2_b64 v[128:131], v122 offset0:48 offset1:49
	s_waitcnt lgkmcnt(0)
	v_fma_f64 v[26:27], -v[68:69], v[132:133], v[26:27]
	v_fma_f64 v[24:25], -v[68:69], v[134:135], v[24:25]
	ds_read2_b64 v[132:135], v122 offset0:50 offset1:51
	v_fma_f64 v[22:23], -v[68:69], v[136:137], v[22:23]
	v_fma_f64 v[20:21], -v[68:69], v[138:139], v[20:21]
	;; [unrolled: 1-line block ×4, first 2 shown]
	ds_read2_b64 v[128:131], v122 offset0:52 offset1:53
	ds_read2_b64 v[136:139], v122 offset0:54 offset1:55
	s_waitcnt lgkmcnt(0)
	v_fma_f64 v[14:15], -v[68:69], v[132:133], v[14:15]
	v_fma_f64 v[12:13], -v[68:69], v[134:135], v[12:13]
	v_fma_f64 v[116:117], -v[68:69], v[118:119], v[116:117]
	v_fma_f64 v[10:11], -v[68:69], v[128:129], v[10:11]
	v_fma_f64 v[8:9], -v[68:69], v[130:131], v[8:9]
	v_fma_f64 v[6:7], -v[68:69], v[136:137], v[6:7]
	v_fma_f64 v[0:1], -v[68:69], v[138:139], v[0:1]
.LBB112_403:
	s_or_b64 exec, exec, s[0:1]
	v_lshl_add_u32 v118, v123, 3, v122
	s_barrier
	ds_write_b64 v118, v[66:67]
	s_waitcnt lgkmcnt(0)
	s_barrier
	ds_read_b64 v[118:119], v122 offset:192
	s_cmp_lt_i32 s18, 26
	v_mov_b32_e32 v120, 24
	s_cbranch_scc1 .LBB112_406
; %bb.404:
	v_add_u32_e32 v127, 0xc8, v122
	s_mov_b32 s0, 25
	v_mov_b32_e32 v120, 24
.LBB112_405:                            ; =>This Inner Loop Header: Depth=1
	ds_read_b64 v[128:129], v127
	v_mov_b32_e32 v130, s0
	s_add_i32 s0, s0, 1
	v_add_u32_e32 v127, 8, v127
	s_cmp_lg_u32 s18, s0
	s_waitcnt lgkmcnt(0)
	v_cmp_lt_f64_e64 vcc, |v[118:119]|, |v[128:129]|
	v_cndmask_b32_e32 v119, v119, v129, vcc
	v_cndmask_b32_e32 v118, v118, v128, vcc
	;; [unrolled: 1-line block ×3, first 2 shown]
	s_cbranch_scc1 .LBB112_405
.LBB112_406:
	s_waitcnt lgkmcnt(0)
	v_cmp_eq_f64_e32 vcc, 0, v[118:119]
	s_and_saveexec_b64 s[0:1], vcc
	s_xor_b64 s[0:1], exec, s[0:1]
; %bb.407:
	v_cmp_ne_u32_e32 vcc, 0, v126
	v_cndmask_b32_e32 v126, 25, v126, vcc
; %bb.408:
	s_andn2_saveexec_b64 s[0:1], s[0:1]
; %bb.409:
	v_div_scale_f64 v[128:129], s[2:3], v[118:119], v[118:119], 1.0
	v_rcp_f64_e32 v[130:131], v[128:129]
	v_div_scale_f64 v[132:133], vcc, 1.0, v[118:119], 1.0
	v_fma_f64 v[134:135], -v[128:129], v[130:131], 1.0
	v_fmac_f64_e32 v[130:131], v[130:131], v[134:135]
	v_fma_f64 v[134:135], -v[128:129], v[130:131], 1.0
	v_fmac_f64_e32 v[130:131], v[130:131], v[134:135]
	v_mul_f64 v[134:135], v[132:133], v[130:131]
	v_fma_f64 v[128:129], -v[128:129], v[134:135], v[132:133]
	v_div_fmas_f64 v[128:129], v[128:129], v[130:131], v[134:135]
	v_div_fixup_f64 v[118:119], v[128:129], v[118:119], 1.0
; %bb.410:
	s_or_b64 exec, exec, s[0:1]
	v_cmp_ne_u32_e32 vcc, v123, v120
	s_and_saveexec_b64 s[0:1], vcc
	s_xor_b64 s[0:1], exec, s[0:1]
	s_cbranch_execz .LBB112_416
; %bb.411:
	v_cmp_eq_u32_e32 vcc, 24, v123
	s_and_saveexec_b64 s[2:3], vcc
	s_cbranch_execz .LBB112_415
; %bb.412:
	v_cmp_ne_u32_e32 vcc, 24, v120
	s_xor_b64 s[14:15], s[6:7], -1
	s_and_b64 s[16:17], s[14:15], vcc
	s_and_saveexec_b64 s[14:15], s[16:17]
	s_cbranch_execz .LBB112_414
; %bb.413:
	v_ashrrev_i32_e32 v121, 31, v120
	v_lshlrev_b64 v[128:129], 2, v[120:121]
	v_add_co_u32_e32 v128, vcc, v4, v128
	v_addc_co_u32_e32 v129, vcc, v5, v129, vcc
	flat_load_dword v121, v[128:129]
	flat_load_dword v123, v[4:5] offset:96
	s_waitcnt vmcnt(0) lgkmcnt(0)
	flat_store_dword v[4:5], v121 offset:96
	flat_store_dword v[128:129], v123
.LBB112_414:
	s_or_b64 exec, exec, s[14:15]
	v_mov_b32_e32 v121, v120
	v_mov_b32_e32 v123, v120
.LBB112_415:
	s_or_b64 exec, exec, s[2:3]
.LBB112_416:
	s_andn2_saveexec_b64 s[0:1], s[0:1]
	s_cbranch_execz .LBB112_418
; %bb.417:
	v_mov_b32_e32 v123, 24
	ds_write2_b64 v122, v[64:65], v[62:63] offset0:25 offset1:26
	ds_write2_b64 v122, v[60:61], v[58:59] offset0:27 offset1:28
	ds_write2_b64 v122, v[56:57], v[54:55] offset0:29 offset1:30
	ds_write2_b64 v122, v[52:53], v[50:51] offset0:31 offset1:32
	ds_write2_b64 v122, v[48:49], v[46:47] offset0:33 offset1:34
	ds_write2_b64 v122, v[44:45], v[42:43] offset0:35 offset1:36
	ds_write2_b64 v122, v[40:41], v[38:39] offset0:37 offset1:38
	ds_write2_b64 v122, v[36:37], v[34:35] offset0:39 offset1:40
	ds_write2_b64 v122, v[32:33], v[30:31] offset0:41 offset1:42
	ds_write2_b64 v122, v[28:29], v[26:27] offset0:43 offset1:44
	ds_write2_b64 v122, v[24:25], v[22:23] offset0:45 offset1:46
	ds_write2_b64 v122, v[20:21], v[18:19] offset0:47 offset1:48
	ds_write2_b64 v122, v[16:17], v[14:15] offset0:49 offset1:50
	ds_write2_b64 v122, v[12:13], v[10:11] offset0:51 offset1:52
	ds_write2_b64 v122, v[8:9], v[6:7] offset0:53 offset1:54
	ds_write2_b64 v122, v[0:1], v[116:117] offset0:55 offset1:56
.LBB112_418:
	s_or_b64 exec, exec, s[0:1]
	v_cmp_lt_i32_e32 vcc, 24, v123
	s_waitcnt lgkmcnt(0)
	s_barrier
	s_and_saveexec_b64 s[0:1], vcc
	s_cbranch_execz .LBB112_420
; %bb.419:
	ds_read2_b64 v[128:131], v122 offset0:25 offset1:26
	ds_read2_b64 v[132:135], v122 offset0:27 offset1:28
	v_mul_f64 v[66:67], v[118:119], v[66:67]
	ds_read2_b64 v[136:139], v122 offset0:29 offset1:30
	s_waitcnt lgkmcnt(0)
	v_fma_f64 v[64:65], -v[66:67], v[128:129], v[64:65]
	v_fma_f64 v[62:63], -v[66:67], v[130:131], v[62:63]
	ds_read2_b64 v[128:131], v122 offset0:31 offset1:32
	v_fma_f64 v[60:61], -v[66:67], v[132:133], v[60:61]
	v_fma_f64 v[58:59], -v[66:67], v[134:135], v[58:59]
	;; [unrolled: 1-line block ×3, first 2 shown]
	ds_read2_b64 v[132:135], v122 offset0:33 offset1:34
	v_fma_f64 v[54:55], -v[66:67], v[138:139], v[54:55]
	ds_read2_b64 v[136:139], v122 offset0:35 offset1:36
	s_waitcnt lgkmcnt(0)
	v_fma_f64 v[52:53], -v[66:67], v[128:129], v[52:53]
	v_fma_f64 v[50:51], -v[66:67], v[130:131], v[50:51]
	ds_read2_b64 v[128:131], v122 offset0:37 offset1:38
	v_fma_f64 v[48:49], -v[66:67], v[132:133], v[48:49]
	v_fma_f64 v[46:47], -v[66:67], v[134:135], v[46:47]
	ds_read2_b64 v[132:135], v122 offset0:39 offset1:40
	v_fma_f64 v[44:45], -v[66:67], v[136:137], v[44:45]
	v_fma_f64 v[42:43], -v[66:67], v[138:139], v[42:43]
	s_waitcnt lgkmcnt(0)
	v_fma_f64 v[40:41], -v[66:67], v[128:129], v[40:41]
	ds_read2_b64 v[136:139], v122 offset0:41 offset1:42
	v_fma_f64 v[38:39], -v[66:67], v[130:131], v[38:39]
	ds_read2_b64 v[128:131], v122 offset0:43 offset1:44
	v_fma_f64 v[36:37], -v[66:67], v[132:133], v[36:37]
	v_fma_f64 v[34:35], -v[66:67], v[134:135], v[34:35]
	s_waitcnt lgkmcnt(0)
	v_fma_f64 v[32:33], -v[66:67], v[136:137], v[32:33]
	ds_read2_b64 v[132:135], v122 offset0:45 offset1:46
	v_fma_f64 v[30:31], -v[66:67], v[138:139], v[30:31]
	ds_read2_b64 v[136:139], v122 offset0:47 offset1:48
	v_fma_f64 v[28:29], -v[66:67], v[128:129], v[28:29]
	v_fma_f64 v[26:27], -v[66:67], v[130:131], v[26:27]
	ds_read2_b64 v[128:131], v122 offset0:49 offset1:50
	s_waitcnt lgkmcnt(0)
	v_fma_f64 v[24:25], -v[66:67], v[132:133], v[24:25]
	v_fma_f64 v[22:23], -v[66:67], v[134:135], v[22:23]
	ds_read2_b64 v[132:135], v122 offset0:51 offset1:52
	v_fma_f64 v[20:21], -v[66:67], v[136:137], v[20:21]
	v_fma_f64 v[18:19], -v[66:67], v[138:139], v[18:19]
	;; [unrolled: 1-line block ×3, first 2 shown]
	ds_read2_b64 v[136:139], v122 offset0:53 offset1:54
	v_fma_f64 v[14:15], -v[66:67], v[130:131], v[14:15]
	ds_read2_b64 v[128:131], v122 offset0:55 offset1:56
	s_waitcnt lgkmcnt(0)
	v_fma_f64 v[12:13], -v[66:67], v[132:133], v[12:13]
	v_fma_f64 v[10:11], -v[66:67], v[134:135], v[10:11]
	;; [unrolled: 1-line block ×6, first 2 shown]
.LBB112_420:
	s_or_b64 exec, exec, s[0:1]
	v_lshl_add_u32 v118, v123, 3, v122
	s_barrier
	ds_write_b64 v118, v[64:65]
	s_waitcnt lgkmcnt(0)
	s_barrier
	ds_read_b64 v[118:119], v122 offset:200
	s_cmp_lt_i32 s18, 27
	v_mov_b32_e32 v120, 25
	s_cbranch_scc1 .LBB112_423
; %bb.421:
	v_add_u32_e32 v127, 0xd0, v122
	s_mov_b32 s0, 26
	v_mov_b32_e32 v120, 25
.LBB112_422:                            ; =>This Inner Loop Header: Depth=1
	ds_read_b64 v[128:129], v127
	v_mov_b32_e32 v130, s0
	s_add_i32 s0, s0, 1
	v_add_u32_e32 v127, 8, v127
	s_cmp_lg_u32 s18, s0
	s_waitcnt lgkmcnt(0)
	v_cmp_lt_f64_e64 vcc, |v[118:119]|, |v[128:129]|
	v_cndmask_b32_e32 v119, v119, v129, vcc
	v_cndmask_b32_e32 v118, v118, v128, vcc
	v_cndmask_b32_e32 v120, v120, v130, vcc
	s_cbranch_scc1 .LBB112_422
.LBB112_423:
	s_waitcnt lgkmcnt(0)
	v_cmp_eq_f64_e32 vcc, 0, v[118:119]
	s_and_saveexec_b64 s[0:1], vcc
	s_xor_b64 s[0:1], exec, s[0:1]
; %bb.424:
	v_cmp_ne_u32_e32 vcc, 0, v126
	v_cndmask_b32_e32 v126, 26, v126, vcc
; %bb.425:
	s_andn2_saveexec_b64 s[0:1], s[0:1]
; %bb.426:
	v_div_scale_f64 v[128:129], s[2:3], v[118:119], v[118:119], 1.0
	v_rcp_f64_e32 v[130:131], v[128:129]
	v_div_scale_f64 v[132:133], vcc, 1.0, v[118:119], 1.0
	v_fma_f64 v[134:135], -v[128:129], v[130:131], 1.0
	v_fmac_f64_e32 v[130:131], v[130:131], v[134:135]
	v_fma_f64 v[134:135], -v[128:129], v[130:131], 1.0
	v_fmac_f64_e32 v[130:131], v[130:131], v[134:135]
	v_mul_f64 v[134:135], v[132:133], v[130:131]
	v_fma_f64 v[128:129], -v[128:129], v[134:135], v[132:133]
	v_div_fmas_f64 v[128:129], v[128:129], v[130:131], v[134:135]
	v_div_fixup_f64 v[118:119], v[128:129], v[118:119], 1.0
; %bb.427:
	s_or_b64 exec, exec, s[0:1]
	v_cmp_ne_u32_e32 vcc, v123, v120
	s_and_saveexec_b64 s[0:1], vcc
	s_xor_b64 s[0:1], exec, s[0:1]
	s_cbranch_execz .LBB112_433
; %bb.428:
	v_cmp_eq_u32_e32 vcc, 25, v123
	s_and_saveexec_b64 s[2:3], vcc
	s_cbranch_execz .LBB112_432
; %bb.429:
	v_cmp_ne_u32_e32 vcc, 25, v120
	s_xor_b64 s[14:15], s[6:7], -1
	s_and_b64 s[16:17], s[14:15], vcc
	s_and_saveexec_b64 s[14:15], s[16:17]
	s_cbranch_execz .LBB112_431
; %bb.430:
	v_ashrrev_i32_e32 v121, 31, v120
	v_lshlrev_b64 v[128:129], 2, v[120:121]
	v_add_co_u32_e32 v128, vcc, v4, v128
	v_addc_co_u32_e32 v129, vcc, v5, v129, vcc
	flat_load_dword v121, v[128:129]
	flat_load_dword v123, v[4:5] offset:100
	s_waitcnt vmcnt(0) lgkmcnt(0)
	flat_store_dword v[4:5], v121 offset:100
	flat_store_dword v[128:129], v123
.LBB112_431:
	s_or_b64 exec, exec, s[14:15]
	v_mov_b32_e32 v121, v120
	v_mov_b32_e32 v123, v120
.LBB112_432:
	s_or_b64 exec, exec, s[2:3]
.LBB112_433:
	s_andn2_saveexec_b64 s[0:1], s[0:1]
	s_cbranch_execz .LBB112_435
; %bb.434:
	v_mov_b32_e32 v128, v62
	v_mov_b32_e32 v129, v63
	v_mov_b32_e32 v130, v60
	v_mov_b32_e32 v131, v61
	ds_write2_b64 v122, v[128:129], v[130:131] offset0:26 offset1:27
	v_mov_b32_e32 v128, v58
	v_mov_b32_e32 v129, v59
	v_mov_b32_e32 v130, v56
	v_mov_b32_e32 v131, v57
	ds_write2_b64 v122, v[128:129], v[130:131] offset0:28 offset1:29
	v_mov_b32_e32 v128, v54
	v_mov_b32_e32 v129, v55
	v_mov_b32_e32 v130, v52
	v_mov_b32_e32 v131, v53
	ds_write2_b64 v122, v[128:129], v[130:131] offset0:30 offset1:31
	v_mov_b32_e32 v128, v50
	v_mov_b32_e32 v129, v51
	v_mov_b32_e32 v130, v48
	v_mov_b32_e32 v131, v49
	ds_write2_b64 v122, v[128:129], v[130:131] offset0:32 offset1:33
	v_mov_b32_e32 v128, v46
	v_mov_b32_e32 v129, v47
	v_mov_b32_e32 v130, v44
	v_mov_b32_e32 v131, v45
	ds_write2_b64 v122, v[128:129], v[130:131] offset0:34 offset1:35
	v_mov_b32_e32 v128, v42
	v_mov_b32_e32 v129, v43
	v_mov_b32_e32 v130, v40
	v_mov_b32_e32 v131, v41
	ds_write2_b64 v122, v[128:129], v[130:131] offset0:36 offset1:37
	v_mov_b32_e32 v128, v38
	v_mov_b32_e32 v129, v39
	v_mov_b32_e32 v130, v36
	v_mov_b32_e32 v131, v37
	ds_write2_b64 v122, v[128:129], v[130:131] offset0:38 offset1:39
	v_mov_b32_e32 v128, v34
	v_mov_b32_e32 v129, v35
	v_mov_b32_e32 v130, v32
	v_mov_b32_e32 v131, v33
	ds_write2_b64 v122, v[128:129], v[130:131] offset0:40 offset1:41
	v_mov_b32_e32 v128, v30
	v_mov_b32_e32 v129, v31
	v_mov_b32_e32 v130, v28
	v_mov_b32_e32 v131, v29
	ds_write2_b64 v122, v[128:129], v[130:131] offset0:42 offset1:43
	v_mov_b32_e32 v128, v26
	v_mov_b32_e32 v129, v27
	v_mov_b32_e32 v130, v24
	v_mov_b32_e32 v131, v25
	ds_write2_b64 v122, v[128:129], v[130:131] offset0:44 offset1:45
	v_mov_b32_e32 v128, v22
	v_mov_b32_e32 v129, v23
	v_mov_b32_e32 v130, v20
	v_mov_b32_e32 v131, v21
	ds_write2_b64 v122, v[128:129], v[130:131] offset0:46 offset1:47
	v_mov_b32_e32 v128, v18
	v_mov_b32_e32 v129, v19
	v_mov_b32_e32 v130, v16
	v_mov_b32_e32 v131, v17
	ds_write2_b64 v122, v[128:129], v[130:131] offset0:48 offset1:49
	v_mov_b32_e32 v128, v14
	v_mov_b32_e32 v129, v15
	v_mov_b32_e32 v130, v12
	v_mov_b32_e32 v131, v13
	ds_write2_b64 v122, v[128:129], v[130:131] offset0:50 offset1:51
	v_mov_b32_e32 v128, v10
	v_mov_b32_e32 v129, v11
	v_mov_b32_e32 v130, v8
	v_mov_b32_e32 v131, v9
	ds_write2_b64 v122, v[128:129], v[130:131] offset0:52 offset1:53
	v_mov_b32_e32 v128, v6
	v_mov_b32_e32 v129, v7
	v_mov_b32_e32 v130, v0
	v_mov_b32_e32 v131, v1
	v_mov_b32_e32 v123, 25
	ds_write2_b64 v122, v[128:129], v[130:131] offset0:54 offset1:55
	ds_write_b64 v122, v[116:117] offset:448
.LBB112_435:
	s_or_b64 exec, exec, s[0:1]
	v_cmp_lt_i32_e32 vcc, 25, v123
	s_waitcnt lgkmcnt(0)
	s_barrier
	s_and_saveexec_b64 s[0:1], vcc
	s_cbranch_execz .LBB112_437
; %bb.436:
	ds_read2_b64 v[128:131], v122 offset0:26 offset1:27
	ds_read2_b64 v[132:135], v122 offset0:28 offset1:29
	;; [unrolled: 1-line block ×3, first 2 shown]
	v_mul_f64 v[64:65], v[118:119], v[64:65]
	ds_read_b64 v[118:119], v122 offset:448
	s_waitcnt lgkmcnt(0)
	v_fma_f64 v[62:63], -v[64:65], v[128:129], v[62:63]
	v_fma_f64 v[60:61], -v[64:65], v[130:131], v[60:61]
	ds_read2_b64 v[128:131], v122 offset0:32 offset1:33
	v_fma_f64 v[58:59], -v[64:65], v[132:133], v[58:59]
	v_fma_f64 v[56:57], -v[64:65], v[134:135], v[56:57]
	;; [unrolled: 1-line block ×3, first 2 shown]
	ds_read2_b64 v[132:135], v122 offset0:34 offset1:35
	v_fma_f64 v[52:53], -v[64:65], v[138:139], v[52:53]
	ds_read2_b64 v[136:139], v122 offset0:36 offset1:37
	s_waitcnt lgkmcnt(0)
	v_fma_f64 v[50:51], -v[64:65], v[128:129], v[50:51]
	v_fma_f64 v[48:49], -v[64:65], v[130:131], v[48:49]
	;; [unrolled: 1-line block ×3, first 2 shown]
	ds_read2_b64 v[128:131], v122 offset0:38 offset1:39
	v_fma_f64 v[44:45], -v[64:65], v[134:135], v[44:45]
	ds_read2_b64 v[132:135], v122 offset0:40 offset1:41
	v_fma_f64 v[42:43], -v[64:65], v[136:137], v[42:43]
	v_fma_f64 v[40:41], -v[64:65], v[138:139], v[40:41]
	ds_read2_b64 v[136:139], v122 offset0:42 offset1:43
	s_waitcnt lgkmcnt(0)
	v_fma_f64 v[38:39], -v[64:65], v[128:129], v[38:39]
	v_fma_f64 v[36:37], -v[64:65], v[130:131], v[36:37]
	ds_read2_b64 v[128:131], v122 offset0:44 offset1:45
	v_fma_f64 v[34:35], -v[64:65], v[132:133], v[34:35]
	v_fma_f64 v[32:33], -v[64:65], v[134:135], v[32:33]
	;; [unrolled: 1-line block ×3, first 2 shown]
	ds_read2_b64 v[132:135], v122 offset0:46 offset1:47
	v_fma_f64 v[28:29], -v[64:65], v[138:139], v[28:29]
	ds_read2_b64 v[136:139], v122 offset0:48 offset1:49
	s_waitcnt lgkmcnt(0)
	v_fma_f64 v[26:27], -v[64:65], v[128:129], v[26:27]
	v_fma_f64 v[24:25], -v[64:65], v[130:131], v[24:25]
	;; [unrolled: 1-line block ×3, first 2 shown]
	ds_read2_b64 v[128:131], v122 offset0:50 offset1:51
	v_fma_f64 v[20:21], -v[64:65], v[134:135], v[20:21]
	ds_read2_b64 v[132:135], v122 offset0:52 offset1:53
	v_fma_f64 v[18:19], -v[64:65], v[136:137], v[18:19]
	v_fma_f64 v[16:17], -v[64:65], v[138:139], v[16:17]
	ds_read2_b64 v[136:139], v122 offset0:54 offset1:55
	s_waitcnt lgkmcnt(0)
	v_fma_f64 v[14:15], -v[64:65], v[128:129], v[14:15]
	v_fma_f64 v[12:13], -v[64:65], v[130:131], v[12:13]
	;; [unrolled: 1-line block ×7, first 2 shown]
.LBB112_437:
	s_or_b64 exec, exec, s[0:1]
	v_lshl_add_u32 v118, v123, 3, v122
	s_barrier
	ds_write_b64 v118, v[62:63]
	s_waitcnt lgkmcnt(0)
	s_barrier
	ds_read_b64 v[118:119], v122 offset:208
	s_cmp_lt_i32 s18, 28
	v_mov_b32_e32 v120, 26
	s_cbranch_scc1 .LBB112_440
; %bb.438:
	v_add_u32_e32 v127, 0xd8, v122
	s_mov_b32 s0, 27
	v_mov_b32_e32 v120, 26
.LBB112_439:                            ; =>This Inner Loop Header: Depth=1
	ds_read_b64 v[128:129], v127
	v_mov_b32_e32 v130, s0
	s_add_i32 s0, s0, 1
	v_add_u32_e32 v127, 8, v127
	s_cmp_lg_u32 s18, s0
	s_waitcnt lgkmcnt(0)
	v_cmp_lt_f64_e64 vcc, |v[118:119]|, |v[128:129]|
	v_cndmask_b32_e32 v119, v119, v129, vcc
	v_cndmask_b32_e32 v118, v118, v128, vcc
	;; [unrolled: 1-line block ×3, first 2 shown]
	s_cbranch_scc1 .LBB112_439
.LBB112_440:
	s_waitcnt lgkmcnt(0)
	v_cmp_eq_f64_e32 vcc, 0, v[118:119]
	s_and_saveexec_b64 s[0:1], vcc
	s_xor_b64 s[0:1], exec, s[0:1]
; %bb.441:
	v_cmp_ne_u32_e32 vcc, 0, v126
	v_cndmask_b32_e32 v126, 27, v126, vcc
; %bb.442:
	s_andn2_saveexec_b64 s[0:1], s[0:1]
; %bb.443:
	v_div_scale_f64 v[128:129], s[2:3], v[118:119], v[118:119], 1.0
	v_rcp_f64_e32 v[130:131], v[128:129]
	v_div_scale_f64 v[132:133], vcc, 1.0, v[118:119], 1.0
	v_fma_f64 v[134:135], -v[128:129], v[130:131], 1.0
	v_fmac_f64_e32 v[130:131], v[130:131], v[134:135]
	v_fma_f64 v[134:135], -v[128:129], v[130:131], 1.0
	v_fmac_f64_e32 v[130:131], v[130:131], v[134:135]
	v_mul_f64 v[134:135], v[132:133], v[130:131]
	v_fma_f64 v[128:129], -v[128:129], v[134:135], v[132:133]
	v_div_fmas_f64 v[128:129], v[128:129], v[130:131], v[134:135]
	v_div_fixup_f64 v[118:119], v[128:129], v[118:119], 1.0
; %bb.444:
	s_or_b64 exec, exec, s[0:1]
	v_cmp_ne_u32_e32 vcc, v123, v120
	s_and_saveexec_b64 s[0:1], vcc
	s_xor_b64 s[0:1], exec, s[0:1]
	s_cbranch_execz .LBB112_450
; %bb.445:
	v_cmp_eq_u32_e32 vcc, 26, v123
	s_and_saveexec_b64 s[2:3], vcc
	s_cbranch_execz .LBB112_449
; %bb.446:
	v_cmp_ne_u32_e32 vcc, 26, v120
	s_xor_b64 s[14:15], s[6:7], -1
	s_and_b64 s[16:17], s[14:15], vcc
	s_and_saveexec_b64 s[14:15], s[16:17]
	s_cbranch_execz .LBB112_448
; %bb.447:
	v_ashrrev_i32_e32 v121, 31, v120
	v_lshlrev_b64 v[128:129], 2, v[120:121]
	v_add_co_u32_e32 v128, vcc, v4, v128
	v_addc_co_u32_e32 v129, vcc, v5, v129, vcc
	flat_load_dword v121, v[128:129]
	flat_load_dword v123, v[4:5] offset:104
	s_waitcnt vmcnt(0) lgkmcnt(0)
	flat_store_dword v[4:5], v121 offset:104
	flat_store_dword v[128:129], v123
.LBB112_448:
	s_or_b64 exec, exec, s[14:15]
	v_mov_b32_e32 v121, v120
	v_mov_b32_e32 v123, v120
.LBB112_449:
	s_or_b64 exec, exec, s[2:3]
.LBB112_450:
	s_andn2_saveexec_b64 s[0:1], s[0:1]
	s_cbranch_execz .LBB112_452
; %bb.451:
	v_mov_b32_e32 v123, 26
	ds_write2_b64 v122, v[60:61], v[58:59] offset0:27 offset1:28
	ds_write2_b64 v122, v[56:57], v[54:55] offset0:29 offset1:30
	;; [unrolled: 1-line block ×15, first 2 shown]
.LBB112_452:
	s_or_b64 exec, exec, s[0:1]
	v_cmp_lt_i32_e32 vcc, 26, v123
	s_waitcnt lgkmcnt(0)
	s_barrier
	s_and_saveexec_b64 s[0:1], vcc
	s_cbranch_execz .LBB112_454
; %bb.453:
	ds_read2_b64 v[128:131], v122 offset0:27 offset1:28
	ds_read2_b64 v[132:135], v122 offset0:29 offset1:30
	;; [unrolled: 1-line block ×3, first 2 shown]
	v_mul_f64 v[62:63], v[118:119], v[62:63]
	s_waitcnt lgkmcnt(0)
	v_fma_f64 v[60:61], -v[62:63], v[128:129], v[60:61]
	v_fma_f64 v[58:59], -v[62:63], v[130:131], v[58:59]
	ds_read2_b64 v[128:131], v122 offset0:33 offset1:34
	v_fma_f64 v[56:57], -v[62:63], v[132:133], v[56:57]
	v_fma_f64 v[54:55], -v[62:63], v[134:135], v[54:55]
	;; [unrolled: 1-line block ×3, first 2 shown]
	ds_read2_b64 v[132:135], v122 offset0:35 offset1:36
	v_fma_f64 v[50:51], -v[62:63], v[138:139], v[50:51]
	ds_read2_b64 v[136:139], v122 offset0:37 offset1:38
	s_waitcnt lgkmcnt(0)
	v_fma_f64 v[48:49], -v[62:63], v[128:129], v[48:49]
	v_fma_f64 v[46:47], -v[62:63], v[130:131], v[46:47]
	;; [unrolled: 1-line block ×3, first 2 shown]
	ds_read2_b64 v[128:131], v122 offset0:39 offset1:40
	v_fma_f64 v[42:43], -v[62:63], v[134:135], v[42:43]
	ds_read2_b64 v[132:135], v122 offset0:41 offset1:42
	v_fma_f64 v[40:41], -v[62:63], v[136:137], v[40:41]
	v_fma_f64 v[38:39], -v[62:63], v[138:139], v[38:39]
	ds_read2_b64 v[136:139], v122 offset0:43 offset1:44
	s_waitcnt lgkmcnt(0)
	v_fma_f64 v[36:37], -v[62:63], v[128:129], v[36:37]
	v_fma_f64 v[34:35], -v[62:63], v[130:131], v[34:35]
	ds_read2_b64 v[128:131], v122 offset0:45 offset1:46
	v_fma_f64 v[32:33], -v[62:63], v[132:133], v[32:33]
	v_fma_f64 v[30:31], -v[62:63], v[134:135], v[30:31]
	;; [unrolled: 1-line block ×3, first 2 shown]
	ds_read2_b64 v[132:135], v122 offset0:47 offset1:48
	v_fma_f64 v[26:27], -v[62:63], v[138:139], v[26:27]
	ds_read2_b64 v[136:139], v122 offset0:49 offset1:50
	s_waitcnt lgkmcnt(0)
	v_fma_f64 v[24:25], -v[62:63], v[128:129], v[24:25]
	v_fma_f64 v[22:23], -v[62:63], v[130:131], v[22:23]
	;; [unrolled: 1-line block ×4, first 2 shown]
	ds_read2_b64 v[128:131], v122 offset0:51 offset1:52
	ds_read2_b64 v[132:135], v122 offset0:53 offset1:54
	v_fma_f64 v[16:17], -v[62:63], v[136:137], v[16:17]
	v_fma_f64 v[14:15], -v[62:63], v[138:139], v[14:15]
	ds_read2_b64 v[136:139], v122 offset0:55 offset1:56
	s_waitcnt lgkmcnt(0)
	v_fma_f64 v[12:13], -v[62:63], v[128:129], v[12:13]
	v_fma_f64 v[10:11], -v[62:63], v[130:131], v[10:11]
	;; [unrolled: 1-line block ×6, first 2 shown]
.LBB112_454:
	s_or_b64 exec, exec, s[0:1]
	v_lshl_add_u32 v118, v123, 3, v122
	s_barrier
	ds_write_b64 v118, v[60:61]
	s_waitcnt lgkmcnt(0)
	s_barrier
	ds_read_b64 v[118:119], v122 offset:216
	s_cmp_lt_i32 s18, 29
	v_mov_b32_e32 v120, 27
	s_cbranch_scc1 .LBB112_457
; %bb.455:
	v_add_u32_e32 v127, 0xe0, v122
	s_mov_b32 s0, 28
	v_mov_b32_e32 v120, 27
.LBB112_456:                            ; =>This Inner Loop Header: Depth=1
	ds_read_b64 v[128:129], v127
	v_mov_b32_e32 v130, s0
	s_add_i32 s0, s0, 1
	v_add_u32_e32 v127, 8, v127
	s_cmp_lg_u32 s18, s0
	s_waitcnt lgkmcnt(0)
	v_cmp_lt_f64_e64 vcc, |v[118:119]|, |v[128:129]|
	v_cndmask_b32_e32 v119, v119, v129, vcc
	v_cndmask_b32_e32 v118, v118, v128, vcc
	;; [unrolled: 1-line block ×3, first 2 shown]
	s_cbranch_scc1 .LBB112_456
.LBB112_457:
	s_waitcnt lgkmcnt(0)
	v_cmp_eq_f64_e32 vcc, 0, v[118:119]
	s_and_saveexec_b64 s[0:1], vcc
	s_xor_b64 s[0:1], exec, s[0:1]
; %bb.458:
	v_cmp_ne_u32_e32 vcc, 0, v126
	v_cndmask_b32_e32 v126, 28, v126, vcc
; %bb.459:
	s_andn2_saveexec_b64 s[0:1], s[0:1]
; %bb.460:
	v_div_scale_f64 v[128:129], s[2:3], v[118:119], v[118:119], 1.0
	v_rcp_f64_e32 v[130:131], v[128:129]
	v_div_scale_f64 v[132:133], vcc, 1.0, v[118:119], 1.0
	v_fma_f64 v[134:135], -v[128:129], v[130:131], 1.0
	v_fmac_f64_e32 v[130:131], v[130:131], v[134:135]
	v_fma_f64 v[134:135], -v[128:129], v[130:131], 1.0
	v_fmac_f64_e32 v[130:131], v[130:131], v[134:135]
	v_mul_f64 v[134:135], v[132:133], v[130:131]
	v_fma_f64 v[128:129], -v[128:129], v[134:135], v[132:133]
	v_div_fmas_f64 v[128:129], v[128:129], v[130:131], v[134:135]
	v_div_fixup_f64 v[118:119], v[128:129], v[118:119], 1.0
; %bb.461:
	s_or_b64 exec, exec, s[0:1]
	v_cmp_ne_u32_e32 vcc, v123, v120
	s_and_saveexec_b64 s[0:1], vcc
	s_xor_b64 s[0:1], exec, s[0:1]
	s_cbranch_execz .LBB112_467
; %bb.462:
	v_cmp_eq_u32_e32 vcc, 27, v123
	s_and_saveexec_b64 s[2:3], vcc
	s_cbranch_execz .LBB112_466
; %bb.463:
	v_cmp_ne_u32_e32 vcc, 27, v120
	s_xor_b64 s[14:15], s[6:7], -1
	s_and_b64 s[16:17], s[14:15], vcc
	s_and_saveexec_b64 s[14:15], s[16:17]
	s_cbranch_execz .LBB112_465
; %bb.464:
	v_ashrrev_i32_e32 v121, 31, v120
	v_lshlrev_b64 v[128:129], 2, v[120:121]
	v_add_co_u32_e32 v128, vcc, v4, v128
	v_addc_co_u32_e32 v129, vcc, v5, v129, vcc
	flat_load_dword v121, v[128:129]
	flat_load_dword v123, v[4:5] offset:108
	s_waitcnt vmcnt(0) lgkmcnt(0)
	flat_store_dword v[4:5], v121 offset:108
	flat_store_dword v[128:129], v123
.LBB112_465:
	s_or_b64 exec, exec, s[14:15]
	v_mov_b32_e32 v121, v120
	v_mov_b32_e32 v123, v120
.LBB112_466:
	s_or_b64 exec, exec, s[2:3]
.LBB112_467:
	s_andn2_saveexec_b64 s[0:1], s[0:1]
	s_cbranch_execz .LBB112_469
; %bb.468:
	v_mov_b32_e32 v128, v58
	v_mov_b32_e32 v129, v59
	v_mov_b32_e32 v130, v56
	v_mov_b32_e32 v131, v57
	ds_write2_b64 v122, v[128:129], v[130:131] offset0:28 offset1:29
	v_mov_b32_e32 v128, v54
	v_mov_b32_e32 v129, v55
	v_mov_b32_e32 v130, v52
	v_mov_b32_e32 v131, v53
	ds_write2_b64 v122, v[128:129], v[130:131] offset0:30 offset1:31
	;; [unrolled: 5-line block ×13, first 2 shown]
	v_mov_b32_e32 v128, v6
	v_mov_b32_e32 v129, v7
	;; [unrolled: 1-line block ×5, first 2 shown]
	ds_write2_b64 v122, v[128:129], v[130:131] offset0:54 offset1:55
	ds_write_b64 v122, v[116:117] offset:448
.LBB112_469:
	s_or_b64 exec, exec, s[0:1]
	v_cmp_lt_i32_e32 vcc, 27, v123
	s_waitcnt lgkmcnt(0)
	s_barrier
	s_and_saveexec_b64 s[0:1], vcc
	s_cbranch_execz .LBB112_471
; %bb.470:
	ds_read2_b64 v[128:131], v122 offset0:28 offset1:29
	ds_read2_b64 v[132:135], v122 offset0:30 offset1:31
	v_mul_f64 v[60:61], v[118:119], v[60:61]
	ds_read2_b64 v[136:139], v122 offset0:32 offset1:33
	ds_read_b64 v[118:119], v122 offset:448
	s_waitcnt lgkmcnt(0)
	v_fma_f64 v[58:59], -v[60:61], v[128:129], v[58:59]
	v_fma_f64 v[56:57], -v[60:61], v[130:131], v[56:57]
	ds_read2_b64 v[128:131], v122 offset0:34 offset1:35
	v_fma_f64 v[54:55], -v[60:61], v[132:133], v[54:55]
	v_fma_f64 v[52:53], -v[60:61], v[134:135], v[52:53]
	ds_read2_b64 v[132:135], v122 offset0:36 offset1:37
	;; [unrolled: 3-line block ×3, first 2 shown]
	s_waitcnt lgkmcnt(0)
	v_fma_f64 v[46:47], -v[60:61], v[128:129], v[46:47]
	v_fma_f64 v[44:45], -v[60:61], v[130:131], v[44:45]
	;; [unrolled: 1-line block ×3, first 2 shown]
	ds_read2_b64 v[128:131], v122 offset0:40 offset1:41
	v_fma_f64 v[40:41], -v[60:61], v[134:135], v[40:41]
	ds_read2_b64 v[132:135], v122 offset0:42 offset1:43
	v_fma_f64 v[38:39], -v[60:61], v[136:137], v[38:39]
	v_fma_f64 v[36:37], -v[60:61], v[138:139], v[36:37]
	s_waitcnt lgkmcnt(0)
	v_fma_f64 v[34:35], -v[60:61], v[128:129], v[34:35]
	ds_read2_b64 v[136:139], v122 offset0:44 offset1:45
	v_fma_f64 v[32:33], -v[60:61], v[130:131], v[32:33]
	ds_read2_b64 v[128:131], v122 offset0:46 offset1:47
	v_fma_f64 v[30:31], -v[60:61], v[132:133], v[30:31]
	v_fma_f64 v[28:29], -v[60:61], v[134:135], v[28:29]
	ds_read2_b64 v[132:135], v122 offset0:48 offset1:49
	s_waitcnt lgkmcnt(0)
	v_fma_f64 v[26:27], -v[60:61], v[136:137], v[26:27]
	v_fma_f64 v[24:25], -v[60:61], v[138:139], v[24:25]
	ds_read2_b64 v[136:139], v122 offset0:50 offset1:51
	v_fma_f64 v[22:23], -v[60:61], v[128:129], v[22:23]
	v_fma_f64 v[20:21], -v[60:61], v[130:131], v[20:21]
	;; [unrolled: 1-line block ×4, first 2 shown]
	ds_read2_b64 v[128:131], v122 offset0:52 offset1:53
	ds_read2_b64 v[132:135], v122 offset0:54 offset1:55
	s_waitcnt lgkmcnt(0)
	v_fma_f64 v[14:15], -v[60:61], v[136:137], v[14:15]
	v_fma_f64 v[12:13], -v[60:61], v[138:139], v[12:13]
	;; [unrolled: 1-line block ×7, first 2 shown]
.LBB112_471:
	s_or_b64 exec, exec, s[0:1]
	v_lshl_add_u32 v118, v123, 3, v122
	s_barrier
	ds_write_b64 v118, v[58:59]
	s_waitcnt lgkmcnt(0)
	s_barrier
	ds_read_b64 v[118:119], v122 offset:224
	s_cmp_lt_i32 s18, 30
	v_mov_b32_e32 v120, 28
	s_cbranch_scc1 .LBB112_474
; %bb.472:
	v_add_u32_e32 v127, 0xe8, v122
	s_mov_b32 s0, 29
	v_mov_b32_e32 v120, 28
.LBB112_473:                            ; =>This Inner Loop Header: Depth=1
	ds_read_b64 v[128:129], v127
	v_mov_b32_e32 v130, s0
	s_add_i32 s0, s0, 1
	v_add_u32_e32 v127, 8, v127
	s_cmp_lg_u32 s18, s0
	s_waitcnt lgkmcnt(0)
	v_cmp_lt_f64_e64 vcc, |v[118:119]|, |v[128:129]|
	v_cndmask_b32_e32 v119, v119, v129, vcc
	v_cndmask_b32_e32 v118, v118, v128, vcc
	v_cndmask_b32_e32 v120, v120, v130, vcc
	s_cbranch_scc1 .LBB112_473
.LBB112_474:
	s_waitcnt lgkmcnt(0)
	v_cmp_eq_f64_e32 vcc, 0, v[118:119]
	s_and_saveexec_b64 s[0:1], vcc
	s_xor_b64 s[0:1], exec, s[0:1]
; %bb.475:
	v_cmp_ne_u32_e32 vcc, 0, v126
	v_cndmask_b32_e32 v126, 29, v126, vcc
; %bb.476:
	s_andn2_saveexec_b64 s[0:1], s[0:1]
; %bb.477:
	v_div_scale_f64 v[128:129], s[2:3], v[118:119], v[118:119], 1.0
	v_rcp_f64_e32 v[130:131], v[128:129]
	v_div_scale_f64 v[132:133], vcc, 1.0, v[118:119], 1.0
	v_fma_f64 v[134:135], -v[128:129], v[130:131], 1.0
	v_fmac_f64_e32 v[130:131], v[130:131], v[134:135]
	v_fma_f64 v[134:135], -v[128:129], v[130:131], 1.0
	v_fmac_f64_e32 v[130:131], v[130:131], v[134:135]
	v_mul_f64 v[134:135], v[132:133], v[130:131]
	v_fma_f64 v[128:129], -v[128:129], v[134:135], v[132:133]
	v_div_fmas_f64 v[128:129], v[128:129], v[130:131], v[134:135]
	v_div_fixup_f64 v[118:119], v[128:129], v[118:119], 1.0
; %bb.478:
	s_or_b64 exec, exec, s[0:1]
	v_cmp_ne_u32_e32 vcc, v123, v120
	s_and_saveexec_b64 s[0:1], vcc
	s_xor_b64 s[0:1], exec, s[0:1]
	s_cbranch_execz .LBB112_484
; %bb.479:
	v_cmp_eq_u32_e32 vcc, 28, v123
	s_and_saveexec_b64 s[2:3], vcc
	s_cbranch_execz .LBB112_483
; %bb.480:
	v_cmp_ne_u32_e32 vcc, 28, v120
	s_xor_b64 s[14:15], s[6:7], -1
	s_and_b64 s[16:17], s[14:15], vcc
	s_and_saveexec_b64 s[14:15], s[16:17]
	s_cbranch_execz .LBB112_482
; %bb.481:
	v_ashrrev_i32_e32 v121, 31, v120
	v_lshlrev_b64 v[128:129], 2, v[120:121]
	v_add_co_u32_e32 v128, vcc, v4, v128
	v_addc_co_u32_e32 v129, vcc, v5, v129, vcc
	flat_load_dword v121, v[128:129]
	flat_load_dword v123, v[4:5] offset:112
	s_waitcnt vmcnt(0) lgkmcnt(0)
	flat_store_dword v[4:5], v121 offset:112
	flat_store_dword v[128:129], v123
.LBB112_482:
	s_or_b64 exec, exec, s[14:15]
	v_mov_b32_e32 v121, v120
	v_mov_b32_e32 v123, v120
.LBB112_483:
	s_or_b64 exec, exec, s[2:3]
.LBB112_484:
	s_andn2_saveexec_b64 s[0:1], s[0:1]
	s_cbranch_execz .LBB112_486
; %bb.485:
	v_mov_b32_e32 v123, 28
	ds_write2_b64 v122, v[56:57], v[54:55] offset0:29 offset1:30
	ds_write2_b64 v122, v[52:53], v[50:51] offset0:31 offset1:32
	;; [unrolled: 1-line block ×14, first 2 shown]
.LBB112_486:
	s_or_b64 exec, exec, s[0:1]
	v_cmp_lt_i32_e32 vcc, 28, v123
	s_waitcnt lgkmcnt(0)
	s_barrier
	s_and_saveexec_b64 s[0:1], vcc
	s_cbranch_execz .LBB112_488
; %bb.487:
	ds_read2_b64 v[128:131], v122 offset0:29 offset1:30
	ds_read2_b64 v[132:135], v122 offset0:31 offset1:32
	v_mul_f64 v[58:59], v[118:119], v[58:59]
	ds_read2_b64 v[136:139], v122 offset0:33 offset1:34
	s_waitcnt lgkmcnt(0)
	v_fma_f64 v[56:57], -v[58:59], v[128:129], v[56:57]
	v_fma_f64 v[54:55], -v[58:59], v[130:131], v[54:55]
	ds_read2_b64 v[128:131], v122 offset0:35 offset1:36
	v_fma_f64 v[52:53], -v[58:59], v[132:133], v[52:53]
	v_fma_f64 v[50:51], -v[58:59], v[134:135], v[50:51]
	ds_read2_b64 v[132:135], v122 offset0:37 offset1:38
	;; [unrolled: 3-line block ×3, first 2 shown]
	s_waitcnt lgkmcnt(0)
	v_fma_f64 v[44:45], -v[58:59], v[128:129], v[44:45]
	v_fma_f64 v[42:43], -v[58:59], v[130:131], v[42:43]
	;; [unrolled: 1-line block ×3, first 2 shown]
	ds_read2_b64 v[128:131], v122 offset0:41 offset1:42
	v_fma_f64 v[38:39], -v[58:59], v[134:135], v[38:39]
	ds_read2_b64 v[132:135], v122 offset0:43 offset1:44
	v_fma_f64 v[36:37], -v[58:59], v[136:137], v[36:37]
	v_fma_f64 v[34:35], -v[58:59], v[138:139], v[34:35]
	s_waitcnt lgkmcnt(0)
	v_fma_f64 v[32:33], -v[58:59], v[128:129], v[32:33]
	ds_read2_b64 v[136:139], v122 offset0:45 offset1:46
	v_fma_f64 v[30:31], -v[58:59], v[130:131], v[30:31]
	ds_read2_b64 v[128:131], v122 offset0:47 offset1:48
	v_fma_f64 v[28:29], -v[58:59], v[132:133], v[28:29]
	v_fma_f64 v[26:27], -v[58:59], v[134:135], v[26:27]
	ds_read2_b64 v[132:135], v122 offset0:49 offset1:50
	s_waitcnt lgkmcnt(0)
	v_fma_f64 v[24:25], -v[58:59], v[136:137], v[24:25]
	v_fma_f64 v[22:23], -v[58:59], v[138:139], v[22:23]
	;; [unrolled: 1-line block ×4, first 2 shown]
	ds_read2_b64 v[128:131], v122 offset0:51 offset1:52
	v_fma_f64 v[16:17], -v[58:59], v[132:133], v[16:17]
	ds_read2_b64 v[136:139], v122 offset0:53 offset1:54
	v_fma_f64 v[14:15], -v[58:59], v[134:135], v[14:15]
	ds_read2_b64 v[132:135], v122 offset0:55 offset1:56
	s_waitcnt lgkmcnt(0)
	v_fma_f64 v[12:13], -v[58:59], v[128:129], v[12:13]
	v_fma_f64 v[10:11], -v[58:59], v[130:131], v[10:11]
	;; [unrolled: 1-line block ×6, first 2 shown]
.LBB112_488:
	s_or_b64 exec, exec, s[0:1]
	v_lshl_add_u32 v118, v123, 3, v122
	s_barrier
	ds_write_b64 v118, v[56:57]
	s_waitcnt lgkmcnt(0)
	s_barrier
	ds_read_b64 v[118:119], v122 offset:232
	s_cmp_lt_i32 s18, 31
	v_mov_b32_e32 v120, 29
	s_cbranch_scc1 .LBB112_491
; %bb.489:
	v_add_u32_e32 v127, 0xf0, v122
	s_mov_b32 s0, 30
	v_mov_b32_e32 v120, 29
.LBB112_490:                            ; =>This Inner Loop Header: Depth=1
	ds_read_b64 v[128:129], v127
	v_mov_b32_e32 v130, s0
	s_add_i32 s0, s0, 1
	v_add_u32_e32 v127, 8, v127
	s_cmp_lg_u32 s18, s0
	s_waitcnt lgkmcnt(0)
	v_cmp_lt_f64_e64 vcc, |v[118:119]|, |v[128:129]|
	v_cndmask_b32_e32 v119, v119, v129, vcc
	v_cndmask_b32_e32 v118, v118, v128, vcc
	;; [unrolled: 1-line block ×3, first 2 shown]
	s_cbranch_scc1 .LBB112_490
.LBB112_491:
	s_waitcnt lgkmcnt(0)
	v_cmp_eq_f64_e32 vcc, 0, v[118:119]
	s_and_saveexec_b64 s[0:1], vcc
	s_xor_b64 s[0:1], exec, s[0:1]
; %bb.492:
	v_cmp_ne_u32_e32 vcc, 0, v126
	v_cndmask_b32_e32 v126, 30, v126, vcc
; %bb.493:
	s_andn2_saveexec_b64 s[0:1], s[0:1]
; %bb.494:
	v_div_scale_f64 v[128:129], s[2:3], v[118:119], v[118:119], 1.0
	v_rcp_f64_e32 v[130:131], v[128:129]
	v_div_scale_f64 v[132:133], vcc, 1.0, v[118:119], 1.0
	v_fma_f64 v[134:135], -v[128:129], v[130:131], 1.0
	v_fmac_f64_e32 v[130:131], v[130:131], v[134:135]
	v_fma_f64 v[134:135], -v[128:129], v[130:131], 1.0
	v_fmac_f64_e32 v[130:131], v[130:131], v[134:135]
	v_mul_f64 v[134:135], v[132:133], v[130:131]
	v_fma_f64 v[128:129], -v[128:129], v[134:135], v[132:133]
	v_div_fmas_f64 v[128:129], v[128:129], v[130:131], v[134:135]
	v_div_fixup_f64 v[118:119], v[128:129], v[118:119], 1.0
; %bb.495:
	s_or_b64 exec, exec, s[0:1]
	v_cmp_ne_u32_e32 vcc, v123, v120
	s_and_saveexec_b64 s[0:1], vcc
	s_xor_b64 s[0:1], exec, s[0:1]
	s_cbranch_execz .LBB112_501
; %bb.496:
	v_cmp_eq_u32_e32 vcc, 29, v123
	s_and_saveexec_b64 s[2:3], vcc
	s_cbranch_execz .LBB112_500
; %bb.497:
	v_cmp_ne_u32_e32 vcc, 29, v120
	s_xor_b64 s[14:15], s[6:7], -1
	s_and_b64 s[16:17], s[14:15], vcc
	s_and_saveexec_b64 s[14:15], s[16:17]
	s_cbranch_execz .LBB112_499
; %bb.498:
	v_ashrrev_i32_e32 v121, 31, v120
	v_lshlrev_b64 v[128:129], 2, v[120:121]
	v_add_co_u32_e32 v128, vcc, v4, v128
	v_addc_co_u32_e32 v129, vcc, v5, v129, vcc
	flat_load_dword v121, v[128:129]
	flat_load_dword v123, v[4:5] offset:116
	s_waitcnt vmcnt(0) lgkmcnt(0)
	flat_store_dword v[4:5], v121 offset:116
	flat_store_dword v[128:129], v123
.LBB112_499:
	s_or_b64 exec, exec, s[14:15]
	v_mov_b32_e32 v121, v120
	v_mov_b32_e32 v123, v120
.LBB112_500:
	s_or_b64 exec, exec, s[2:3]
.LBB112_501:
	s_andn2_saveexec_b64 s[0:1], s[0:1]
	s_cbranch_execz .LBB112_503
; %bb.502:
	v_mov_b32_e32 v128, v54
	v_mov_b32_e32 v129, v55
	v_mov_b32_e32 v130, v52
	v_mov_b32_e32 v131, v53
	ds_write2_b64 v122, v[128:129], v[130:131] offset0:30 offset1:31
	v_mov_b32_e32 v128, v50
	v_mov_b32_e32 v129, v51
	v_mov_b32_e32 v130, v48
	v_mov_b32_e32 v131, v49
	ds_write2_b64 v122, v[128:129], v[130:131] offset0:32 offset1:33
	;; [unrolled: 5-line block ×12, first 2 shown]
	v_mov_b32_e32 v128, v6
	v_mov_b32_e32 v129, v7
	;; [unrolled: 1-line block ×5, first 2 shown]
	ds_write2_b64 v122, v[128:129], v[130:131] offset0:54 offset1:55
	ds_write_b64 v122, v[116:117] offset:448
.LBB112_503:
	s_or_b64 exec, exec, s[0:1]
	v_cmp_lt_i32_e32 vcc, 29, v123
	s_waitcnt lgkmcnt(0)
	s_barrier
	s_and_saveexec_b64 s[0:1], vcc
	s_cbranch_execz .LBB112_505
; %bb.504:
	ds_read2_b64 v[128:131], v122 offset0:30 offset1:31
	ds_read2_b64 v[132:135], v122 offset0:32 offset1:33
	v_mul_f64 v[56:57], v[118:119], v[56:57]
	ds_read2_b64 v[136:139], v122 offset0:34 offset1:35
	ds_read_b64 v[118:119], v122 offset:448
	s_waitcnt lgkmcnt(0)
	v_fma_f64 v[54:55], -v[56:57], v[128:129], v[54:55]
	v_fma_f64 v[52:53], -v[56:57], v[130:131], v[52:53]
	ds_read2_b64 v[128:131], v122 offset0:36 offset1:37
	v_fma_f64 v[50:51], -v[56:57], v[132:133], v[50:51]
	v_fma_f64 v[48:49], -v[56:57], v[134:135], v[48:49]
	;; [unrolled: 1-line block ×3, first 2 shown]
	ds_read2_b64 v[132:135], v122 offset0:38 offset1:39
	v_fma_f64 v[44:45], -v[56:57], v[138:139], v[44:45]
	ds_read2_b64 v[136:139], v122 offset0:40 offset1:41
	s_waitcnt lgkmcnt(0)
	v_fma_f64 v[42:43], -v[56:57], v[128:129], v[42:43]
	v_fma_f64 v[40:41], -v[56:57], v[130:131], v[40:41]
	ds_read2_b64 v[128:131], v122 offset0:42 offset1:43
	v_fma_f64 v[38:39], -v[56:57], v[132:133], v[38:39]
	v_fma_f64 v[36:37], -v[56:57], v[134:135], v[36:37]
	ds_read2_b64 v[132:135], v122 offset0:44 offset1:45
	v_fma_f64 v[34:35], -v[56:57], v[136:137], v[34:35]
	v_fma_f64 v[32:33], -v[56:57], v[138:139], v[32:33]
	s_waitcnt lgkmcnt(0)
	v_fma_f64 v[30:31], -v[56:57], v[128:129], v[30:31]
	ds_read2_b64 v[136:139], v122 offset0:46 offset1:47
	v_fma_f64 v[28:29], -v[56:57], v[130:131], v[28:29]
	ds_read2_b64 v[128:131], v122 offset0:48 offset1:49
	v_fma_f64 v[26:27], -v[56:57], v[132:133], v[26:27]
	v_fma_f64 v[24:25], -v[56:57], v[134:135], v[24:25]
	s_waitcnt lgkmcnt(0)
	v_fma_f64 v[22:23], -v[56:57], v[136:137], v[22:23]
	ds_read2_b64 v[132:135], v122 offset0:50 offset1:51
	v_fma_f64 v[20:21], -v[56:57], v[138:139], v[20:21]
	v_fma_f64 v[18:19], -v[56:57], v[128:129], v[18:19]
	v_fma_f64 v[16:17], -v[56:57], v[130:131], v[16:17]
	ds_read2_b64 v[128:131], v122 offset0:52 offset1:53
	ds_read2_b64 v[136:139], v122 offset0:54 offset1:55
	s_waitcnt lgkmcnt(0)
	v_fma_f64 v[14:15], -v[56:57], v[132:133], v[14:15]
	v_fma_f64 v[12:13], -v[56:57], v[134:135], v[12:13]
	;; [unrolled: 1-line block ×7, first 2 shown]
.LBB112_505:
	s_or_b64 exec, exec, s[0:1]
	v_lshl_add_u32 v118, v123, 3, v122
	s_barrier
	ds_write_b64 v118, v[54:55]
	s_waitcnt lgkmcnt(0)
	s_barrier
	ds_read_b64 v[118:119], v122 offset:240
	s_cmp_lt_i32 s18, 32
	v_mov_b32_e32 v120, 30
	s_cbranch_scc1 .LBB112_508
; %bb.506:
	v_add_u32_e32 v127, 0xf8, v122
	s_mov_b32 s0, 31
	v_mov_b32_e32 v120, 30
.LBB112_507:                            ; =>This Inner Loop Header: Depth=1
	ds_read_b64 v[128:129], v127
	v_mov_b32_e32 v130, s0
	s_add_i32 s0, s0, 1
	v_add_u32_e32 v127, 8, v127
	s_cmp_lg_u32 s18, s0
	s_waitcnt lgkmcnt(0)
	v_cmp_lt_f64_e64 vcc, |v[118:119]|, |v[128:129]|
	v_cndmask_b32_e32 v119, v119, v129, vcc
	v_cndmask_b32_e32 v118, v118, v128, vcc
	v_cndmask_b32_e32 v120, v120, v130, vcc
	s_cbranch_scc1 .LBB112_507
.LBB112_508:
	s_waitcnt lgkmcnt(0)
	v_cmp_eq_f64_e32 vcc, 0, v[118:119]
	s_and_saveexec_b64 s[0:1], vcc
	s_xor_b64 s[0:1], exec, s[0:1]
; %bb.509:
	v_cmp_ne_u32_e32 vcc, 0, v126
	v_cndmask_b32_e32 v126, 31, v126, vcc
; %bb.510:
	s_andn2_saveexec_b64 s[0:1], s[0:1]
; %bb.511:
	v_div_scale_f64 v[128:129], s[2:3], v[118:119], v[118:119], 1.0
	v_rcp_f64_e32 v[130:131], v[128:129]
	v_div_scale_f64 v[132:133], vcc, 1.0, v[118:119], 1.0
	v_fma_f64 v[134:135], -v[128:129], v[130:131], 1.0
	v_fmac_f64_e32 v[130:131], v[130:131], v[134:135]
	v_fma_f64 v[134:135], -v[128:129], v[130:131], 1.0
	v_fmac_f64_e32 v[130:131], v[130:131], v[134:135]
	v_mul_f64 v[134:135], v[132:133], v[130:131]
	v_fma_f64 v[128:129], -v[128:129], v[134:135], v[132:133]
	v_div_fmas_f64 v[128:129], v[128:129], v[130:131], v[134:135]
	v_div_fixup_f64 v[118:119], v[128:129], v[118:119], 1.0
; %bb.512:
	s_or_b64 exec, exec, s[0:1]
	v_cmp_ne_u32_e32 vcc, v123, v120
	s_and_saveexec_b64 s[0:1], vcc
	s_xor_b64 s[0:1], exec, s[0:1]
	s_cbranch_execz .LBB112_518
; %bb.513:
	v_cmp_eq_u32_e32 vcc, 30, v123
	s_and_saveexec_b64 s[2:3], vcc
	s_cbranch_execz .LBB112_517
; %bb.514:
	v_cmp_ne_u32_e32 vcc, 30, v120
	s_xor_b64 s[14:15], s[6:7], -1
	s_and_b64 s[16:17], s[14:15], vcc
	s_and_saveexec_b64 s[14:15], s[16:17]
	s_cbranch_execz .LBB112_516
; %bb.515:
	v_ashrrev_i32_e32 v121, 31, v120
	v_lshlrev_b64 v[128:129], 2, v[120:121]
	v_add_co_u32_e32 v128, vcc, v4, v128
	v_addc_co_u32_e32 v129, vcc, v5, v129, vcc
	flat_load_dword v121, v[128:129]
	flat_load_dword v123, v[4:5] offset:120
	s_waitcnt vmcnt(0) lgkmcnt(0)
	flat_store_dword v[4:5], v121 offset:120
	flat_store_dword v[128:129], v123
.LBB112_516:
	s_or_b64 exec, exec, s[14:15]
	v_mov_b32_e32 v121, v120
	v_mov_b32_e32 v123, v120
.LBB112_517:
	s_or_b64 exec, exec, s[2:3]
.LBB112_518:
	s_andn2_saveexec_b64 s[0:1], s[0:1]
	s_cbranch_execz .LBB112_520
; %bb.519:
	v_mov_b32_e32 v123, 30
	ds_write2_b64 v122, v[52:53], v[50:51] offset0:31 offset1:32
	ds_write2_b64 v122, v[48:49], v[46:47] offset0:33 offset1:34
	;; [unrolled: 1-line block ×13, first 2 shown]
.LBB112_520:
	s_or_b64 exec, exec, s[0:1]
	v_cmp_lt_i32_e32 vcc, 30, v123
	s_waitcnt lgkmcnt(0)
	s_barrier
	s_and_saveexec_b64 s[0:1], vcc
	s_cbranch_execz .LBB112_522
; %bb.521:
	ds_read2_b64 v[128:131], v122 offset0:31 offset1:32
	ds_read2_b64 v[132:135], v122 offset0:33 offset1:34
	v_mul_f64 v[54:55], v[118:119], v[54:55]
	ds_read2_b64 v[136:139], v122 offset0:35 offset1:36
	s_waitcnt lgkmcnt(0)
	v_fma_f64 v[52:53], -v[54:55], v[128:129], v[52:53]
	v_fma_f64 v[50:51], -v[54:55], v[130:131], v[50:51]
	ds_read2_b64 v[128:131], v122 offset0:37 offset1:38
	v_fma_f64 v[48:49], -v[54:55], v[132:133], v[48:49]
	v_fma_f64 v[46:47], -v[54:55], v[134:135], v[46:47]
	;; [unrolled: 1-line block ×3, first 2 shown]
	ds_read2_b64 v[132:135], v122 offset0:39 offset1:40
	v_fma_f64 v[42:43], -v[54:55], v[138:139], v[42:43]
	ds_read2_b64 v[136:139], v122 offset0:41 offset1:42
	s_waitcnt lgkmcnt(0)
	v_fma_f64 v[40:41], -v[54:55], v[128:129], v[40:41]
	v_fma_f64 v[38:39], -v[54:55], v[130:131], v[38:39]
	ds_read2_b64 v[128:131], v122 offset0:43 offset1:44
	v_fma_f64 v[36:37], -v[54:55], v[132:133], v[36:37]
	v_fma_f64 v[34:35], -v[54:55], v[134:135], v[34:35]
	ds_read2_b64 v[132:135], v122 offset0:45 offset1:46
	v_fma_f64 v[32:33], -v[54:55], v[136:137], v[32:33]
	v_fma_f64 v[30:31], -v[54:55], v[138:139], v[30:31]
	s_waitcnt lgkmcnt(0)
	v_fma_f64 v[28:29], -v[54:55], v[128:129], v[28:29]
	ds_read2_b64 v[136:139], v122 offset0:47 offset1:48
	v_fma_f64 v[26:27], -v[54:55], v[130:131], v[26:27]
	ds_read2_b64 v[128:131], v122 offset0:49 offset1:50
	v_fma_f64 v[24:25], -v[54:55], v[132:133], v[24:25]
	v_fma_f64 v[22:23], -v[54:55], v[134:135], v[22:23]
	s_waitcnt lgkmcnt(0)
	v_fma_f64 v[20:21], -v[54:55], v[136:137], v[20:21]
	v_fma_f64 v[18:19], -v[54:55], v[138:139], v[18:19]
	ds_read2_b64 v[132:135], v122 offset0:51 offset1:52
	ds_read2_b64 v[136:139], v122 offset0:53 offset1:54
	v_fma_f64 v[16:17], -v[54:55], v[128:129], v[16:17]
	v_fma_f64 v[14:15], -v[54:55], v[130:131], v[14:15]
	ds_read2_b64 v[128:131], v122 offset0:55 offset1:56
	s_waitcnt lgkmcnt(0)
	v_fma_f64 v[12:13], -v[54:55], v[132:133], v[12:13]
	v_fma_f64 v[10:11], -v[54:55], v[134:135], v[10:11]
	;; [unrolled: 1-line block ×6, first 2 shown]
.LBB112_522:
	s_or_b64 exec, exec, s[0:1]
	v_lshl_add_u32 v118, v123, 3, v122
	s_barrier
	ds_write_b64 v118, v[52:53]
	s_waitcnt lgkmcnt(0)
	s_barrier
	ds_read_b64 v[118:119], v122 offset:248
	s_cmp_lt_i32 s18, 33
	v_mov_b32_e32 v120, 31
	s_cbranch_scc1 .LBB112_525
; %bb.523:
	v_add_u32_e32 v127, 0x100, v122
	s_mov_b32 s0, 32
	v_mov_b32_e32 v120, 31
.LBB112_524:                            ; =>This Inner Loop Header: Depth=1
	ds_read_b64 v[128:129], v127
	v_mov_b32_e32 v130, s0
	s_add_i32 s0, s0, 1
	v_add_u32_e32 v127, 8, v127
	s_cmp_lg_u32 s18, s0
	s_waitcnt lgkmcnt(0)
	v_cmp_lt_f64_e64 vcc, |v[118:119]|, |v[128:129]|
	v_cndmask_b32_e32 v119, v119, v129, vcc
	v_cndmask_b32_e32 v118, v118, v128, vcc
	;; [unrolled: 1-line block ×3, first 2 shown]
	s_cbranch_scc1 .LBB112_524
.LBB112_525:
	s_waitcnt lgkmcnt(0)
	v_cmp_eq_f64_e32 vcc, 0, v[118:119]
	s_and_saveexec_b64 s[0:1], vcc
	s_xor_b64 s[0:1], exec, s[0:1]
; %bb.526:
	v_cmp_ne_u32_e32 vcc, 0, v126
	v_cndmask_b32_e32 v126, 32, v126, vcc
; %bb.527:
	s_andn2_saveexec_b64 s[0:1], s[0:1]
; %bb.528:
	v_div_scale_f64 v[128:129], s[2:3], v[118:119], v[118:119], 1.0
	v_rcp_f64_e32 v[130:131], v[128:129]
	v_div_scale_f64 v[132:133], vcc, 1.0, v[118:119], 1.0
	v_fma_f64 v[134:135], -v[128:129], v[130:131], 1.0
	v_fmac_f64_e32 v[130:131], v[130:131], v[134:135]
	v_fma_f64 v[134:135], -v[128:129], v[130:131], 1.0
	v_fmac_f64_e32 v[130:131], v[130:131], v[134:135]
	v_mul_f64 v[134:135], v[132:133], v[130:131]
	v_fma_f64 v[128:129], -v[128:129], v[134:135], v[132:133]
	v_div_fmas_f64 v[128:129], v[128:129], v[130:131], v[134:135]
	v_div_fixup_f64 v[118:119], v[128:129], v[118:119], 1.0
; %bb.529:
	s_or_b64 exec, exec, s[0:1]
	v_cmp_ne_u32_e32 vcc, v123, v120
	s_and_saveexec_b64 s[0:1], vcc
	s_xor_b64 s[0:1], exec, s[0:1]
	s_cbranch_execz .LBB112_535
; %bb.530:
	v_cmp_eq_u32_e32 vcc, 31, v123
	s_and_saveexec_b64 s[2:3], vcc
	s_cbranch_execz .LBB112_534
; %bb.531:
	v_cmp_ne_u32_e32 vcc, 31, v120
	s_xor_b64 s[14:15], s[6:7], -1
	s_and_b64 s[16:17], s[14:15], vcc
	s_and_saveexec_b64 s[14:15], s[16:17]
	s_cbranch_execz .LBB112_533
; %bb.532:
	v_ashrrev_i32_e32 v121, 31, v120
	v_lshlrev_b64 v[128:129], 2, v[120:121]
	v_add_co_u32_e32 v128, vcc, v4, v128
	v_addc_co_u32_e32 v129, vcc, v5, v129, vcc
	flat_load_dword v121, v[128:129]
	flat_load_dword v123, v[4:5] offset:124
	s_waitcnt vmcnt(0) lgkmcnt(0)
	flat_store_dword v[4:5], v121 offset:124
	flat_store_dword v[128:129], v123
.LBB112_533:
	s_or_b64 exec, exec, s[14:15]
	v_mov_b32_e32 v121, v120
	v_mov_b32_e32 v123, v120
.LBB112_534:
	s_or_b64 exec, exec, s[2:3]
.LBB112_535:
	s_andn2_saveexec_b64 s[0:1], s[0:1]
	s_cbranch_execz .LBB112_537
; %bb.536:
	v_mov_b32_e32 v128, v50
	v_mov_b32_e32 v129, v51
	v_mov_b32_e32 v130, v48
	v_mov_b32_e32 v131, v49
	ds_write2_b64 v122, v[128:129], v[130:131] offset0:32 offset1:33
	v_mov_b32_e32 v128, v46
	v_mov_b32_e32 v129, v47
	v_mov_b32_e32 v130, v44
	v_mov_b32_e32 v131, v45
	ds_write2_b64 v122, v[128:129], v[130:131] offset0:34 offset1:35
	;; [unrolled: 5-line block ×11, first 2 shown]
	v_mov_b32_e32 v128, v6
	v_mov_b32_e32 v129, v7
	v_mov_b32_e32 v130, v0
	v_mov_b32_e32 v131, v1
	v_mov_b32_e32 v123, 31
	ds_write2_b64 v122, v[128:129], v[130:131] offset0:54 offset1:55
	ds_write_b64 v122, v[116:117] offset:448
.LBB112_537:
	s_or_b64 exec, exec, s[0:1]
	v_cmp_lt_i32_e32 vcc, 31, v123
	s_waitcnt lgkmcnt(0)
	s_barrier
	s_and_saveexec_b64 s[0:1], vcc
	s_cbranch_execz .LBB112_539
; %bb.538:
	ds_read2_b64 v[128:131], v122 offset0:32 offset1:33
	ds_read2_b64 v[132:135], v122 offset0:34 offset1:35
	ds_read2_b64 v[136:139], v122 offset0:36 offset1:37
	v_mul_f64 v[52:53], v[118:119], v[52:53]
	ds_read_b64 v[118:119], v122 offset:448
	s_waitcnt lgkmcnt(0)
	v_fma_f64 v[50:51], -v[52:53], v[128:129], v[50:51]
	v_fma_f64 v[48:49], -v[52:53], v[130:131], v[48:49]
	ds_read2_b64 v[128:131], v122 offset0:38 offset1:39
	v_fma_f64 v[46:47], -v[52:53], v[132:133], v[46:47]
	v_fma_f64 v[44:45], -v[52:53], v[134:135], v[44:45]
	;; [unrolled: 1-line block ×3, first 2 shown]
	ds_read2_b64 v[132:135], v122 offset0:40 offset1:41
	v_fma_f64 v[40:41], -v[52:53], v[138:139], v[40:41]
	ds_read2_b64 v[136:139], v122 offset0:42 offset1:43
	s_waitcnt lgkmcnt(0)
	v_fma_f64 v[38:39], -v[52:53], v[128:129], v[38:39]
	v_fma_f64 v[36:37], -v[52:53], v[130:131], v[36:37]
	;; [unrolled: 1-line block ×3, first 2 shown]
	ds_read2_b64 v[128:131], v122 offset0:44 offset1:45
	v_fma_f64 v[32:33], -v[52:53], v[134:135], v[32:33]
	ds_read2_b64 v[132:135], v122 offset0:46 offset1:47
	v_fma_f64 v[30:31], -v[52:53], v[136:137], v[30:31]
	v_fma_f64 v[28:29], -v[52:53], v[138:139], v[28:29]
	ds_read2_b64 v[136:139], v122 offset0:48 offset1:49
	s_waitcnt lgkmcnt(0)
	v_fma_f64 v[26:27], -v[52:53], v[128:129], v[26:27]
	v_fma_f64 v[24:25], -v[52:53], v[130:131], v[24:25]
	ds_read2_b64 v[128:131], v122 offset0:50 offset1:51
	v_fma_f64 v[22:23], -v[52:53], v[132:133], v[22:23]
	v_fma_f64 v[20:21], -v[52:53], v[134:135], v[20:21]
	;; [unrolled: 1-line block ×4, first 2 shown]
	ds_read2_b64 v[132:135], v122 offset0:52 offset1:53
	ds_read2_b64 v[136:139], v122 offset0:54 offset1:55
	s_waitcnt lgkmcnt(0)
	v_fma_f64 v[14:15], -v[52:53], v[128:129], v[14:15]
	v_fma_f64 v[12:13], -v[52:53], v[130:131], v[12:13]
	;; [unrolled: 1-line block ×7, first 2 shown]
.LBB112_539:
	s_or_b64 exec, exec, s[0:1]
	v_lshl_add_u32 v118, v123, 3, v122
	s_barrier
	ds_write_b64 v118, v[50:51]
	s_waitcnt lgkmcnt(0)
	s_barrier
	ds_read_b64 v[118:119], v122 offset:256
	s_cmp_lt_i32 s18, 34
	v_mov_b32_e32 v120, 32
	s_cbranch_scc1 .LBB112_542
; %bb.540:
	v_add_u32_e32 v127, 0x108, v122
	s_mov_b32 s0, 33
	v_mov_b32_e32 v120, 32
.LBB112_541:                            ; =>This Inner Loop Header: Depth=1
	ds_read_b64 v[128:129], v127
	v_mov_b32_e32 v130, s0
	s_add_i32 s0, s0, 1
	v_add_u32_e32 v127, 8, v127
	s_cmp_lg_u32 s18, s0
	s_waitcnt lgkmcnt(0)
	v_cmp_lt_f64_e64 vcc, |v[118:119]|, |v[128:129]|
	v_cndmask_b32_e32 v119, v119, v129, vcc
	v_cndmask_b32_e32 v118, v118, v128, vcc
	;; [unrolled: 1-line block ×3, first 2 shown]
	s_cbranch_scc1 .LBB112_541
.LBB112_542:
	s_waitcnt lgkmcnt(0)
	v_cmp_eq_f64_e32 vcc, 0, v[118:119]
	s_and_saveexec_b64 s[0:1], vcc
	s_xor_b64 s[0:1], exec, s[0:1]
; %bb.543:
	v_cmp_ne_u32_e32 vcc, 0, v126
	v_cndmask_b32_e32 v126, 33, v126, vcc
; %bb.544:
	s_andn2_saveexec_b64 s[0:1], s[0:1]
; %bb.545:
	v_div_scale_f64 v[128:129], s[2:3], v[118:119], v[118:119], 1.0
	v_rcp_f64_e32 v[130:131], v[128:129]
	v_div_scale_f64 v[132:133], vcc, 1.0, v[118:119], 1.0
	v_fma_f64 v[134:135], -v[128:129], v[130:131], 1.0
	v_fmac_f64_e32 v[130:131], v[130:131], v[134:135]
	v_fma_f64 v[134:135], -v[128:129], v[130:131], 1.0
	v_fmac_f64_e32 v[130:131], v[130:131], v[134:135]
	v_mul_f64 v[134:135], v[132:133], v[130:131]
	v_fma_f64 v[128:129], -v[128:129], v[134:135], v[132:133]
	v_div_fmas_f64 v[128:129], v[128:129], v[130:131], v[134:135]
	v_div_fixup_f64 v[118:119], v[128:129], v[118:119], 1.0
; %bb.546:
	s_or_b64 exec, exec, s[0:1]
	v_cmp_ne_u32_e32 vcc, v123, v120
	s_and_saveexec_b64 s[0:1], vcc
	s_xor_b64 s[0:1], exec, s[0:1]
	s_cbranch_execz .LBB112_552
; %bb.547:
	v_cmp_eq_u32_e32 vcc, 32, v123
	s_and_saveexec_b64 s[2:3], vcc
	s_cbranch_execz .LBB112_551
; %bb.548:
	v_cmp_ne_u32_e32 vcc, 32, v120
	s_xor_b64 s[14:15], s[6:7], -1
	s_and_b64 s[16:17], s[14:15], vcc
	s_and_saveexec_b64 s[14:15], s[16:17]
	s_cbranch_execz .LBB112_550
; %bb.549:
	v_ashrrev_i32_e32 v121, 31, v120
	v_lshlrev_b64 v[128:129], 2, v[120:121]
	v_add_co_u32_e32 v128, vcc, v4, v128
	v_addc_co_u32_e32 v129, vcc, v5, v129, vcc
	flat_load_dword v121, v[128:129]
	flat_load_dword v123, v[4:5] offset:128
	s_waitcnt vmcnt(0) lgkmcnt(0)
	flat_store_dword v[4:5], v121 offset:128
	flat_store_dword v[128:129], v123
.LBB112_550:
	s_or_b64 exec, exec, s[14:15]
	v_mov_b32_e32 v121, v120
	v_mov_b32_e32 v123, v120
.LBB112_551:
	s_or_b64 exec, exec, s[2:3]
.LBB112_552:
	s_andn2_saveexec_b64 s[0:1], s[0:1]
	s_cbranch_execz .LBB112_554
; %bb.553:
	v_mov_b32_e32 v123, 32
	ds_write2_b64 v122, v[48:49], v[46:47] offset0:33 offset1:34
	ds_write2_b64 v122, v[44:45], v[42:43] offset0:35 offset1:36
	;; [unrolled: 1-line block ×12, first 2 shown]
.LBB112_554:
	s_or_b64 exec, exec, s[0:1]
	v_cmp_lt_i32_e32 vcc, 32, v123
	s_waitcnt lgkmcnt(0)
	s_barrier
	s_and_saveexec_b64 s[0:1], vcc
	s_cbranch_execz .LBB112_556
; %bb.555:
	ds_read2_b64 v[128:131], v122 offset0:33 offset1:34
	ds_read2_b64 v[132:135], v122 offset0:35 offset1:36
	ds_read2_b64 v[136:139], v122 offset0:37 offset1:38
	v_mul_f64 v[50:51], v[118:119], v[50:51]
	s_waitcnt lgkmcnt(0)
	v_fma_f64 v[48:49], -v[50:51], v[128:129], v[48:49]
	v_fma_f64 v[46:47], -v[50:51], v[130:131], v[46:47]
	ds_read2_b64 v[128:131], v122 offset0:39 offset1:40
	v_fma_f64 v[44:45], -v[50:51], v[132:133], v[44:45]
	v_fma_f64 v[42:43], -v[50:51], v[134:135], v[42:43]
	;; [unrolled: 1-line block ×3, first 2 shown]
	ds_read2_b64 v[132:135], v122 offset0:41 offset1:42
	v_fma_f64 v[38:39], -v[50:51], v[138:139], v[38:39]
	ds_read2_b64 v[136:139], v122 offset0:43 offset1:44
	s_waitcnt lgkmcnt(0)
	v_fma_f64 v[36:37], -v[50:51], v[128:129], v[36:37]
	v_fma_f64 v[34:35], -v[50:51], v[130:131], v[34:35]
	;; [unrolled: 1-line block ×3, first 2 shown]
	ds_read2_b64 v[128:131], v122 offset0:45 offset1:46
	v_fma_f64 v[30:31], -v[50:51], v[134:135], v[30:31]
	ds_read2_b64 v[132:135], v122 offset0:47 offset1:48
	v_fma_f64 v[28:29], -v[50:51], v[136:137], v[28:29]
	v_fma_f64 v[26:27], -v[50:51], v[138:139], v[26:27]
	ds_read2_b64 v[136:139], v122 offset0:49 offset1:50
	s_waitcnt lgkmcnt(0)
	v_fma_f64 v[24:25], -v[50:51], v[128:129], v[24:25]
	v_fma_f64 v[22:23], -v[50:51], v[130:131], v[22:23]
	ds_read2_b64 v[128:131], v122 offset0:51 offset1:52
	v_fma_f64 v[20:21], -v[50:51], v[132:133], v[20:21]
	v_fma_f64 v[18:19], -v[50:51], v[134:135], v[18:19]
	;; [unrolled: 1-line block ×3, first 2 shown]
	ds_read2_b64 v[132:135], v122 offset0:53 offset1:54
	v_fma_f64 v[14:15], -v[50:51], v[138:139], v[14:15]
	ds_read2_b64 v[136:139], v122 offset0:55 offset1:56
	s_waitcnt lgkmcnt(0)
	v_fma_f64 v[12:13], -v[50:51], v[128:129], v[12:13]
	v_fma_f64 v[10:11], -v[50:51], v[130:131], v[10:11]
	;; [unrolled: 1-line block ×6, first 2 shown]
.LBB112_556:
	s_or_b64 exec, exec, s[0:1]
	v_lshl_add_u32 v118, v123, 3, v122
	s_barrier
	ds_write_b64 v118, v[48:49]
	s_waitcnt lgkmcnt(0)
	s_barrier
	ds_read_b64 v[118:119], v122 offset:264
	s_cmp_lt_i32 s18, 35
	v_mov_b32_e32 v120, 33
	s_cbranch_scc1 .LBB112_559
; %bb.557:
	v_add_u32_e32 v127, 0x110, v122
	s_mov_b32 s0, 34
	v_mov_b32_e32 v120, 33
.LBB112_558:                            ; =>This Inner Loop Header: Depth=1
	ds_read_b64 v[128:129], v127
	v_mov_b32_e32 v130, s0
	s_add_i32 s0, s0, 1
	v_add_u32_e32 v127, 8, v127
	s_cmp_lg_u32 s18, s0
	s_waitcnt lgkmcnt(0)
	v_cmp_lt_f64_e64 vcc, |v[118:119]|, |v[128:129]|
	v_cndmask_b32_e32 v119, v119, v129, vcc
	v_cndmask_b32_e32 v118, v118, v128, vcc
	;; [unrolled: 1-line block ×3, first 2 shown]
	s_cbranch_scc1 .LBB112_558
.LBB112_559:
	s_waitcnt lgkmcnt(0)
	v_cmp_eq_f64_e32 vcc, 0, v[118:119]
	s_and_saveexec_b64 s[0:1], vcc
	s_xor_b64 s[0:1], exec, s[0:1]
; %bb.560:
	v_cmp_ne_u32_e32 vcc, 0, v126
	v_cndmask_b32_e32 v126, 34, v126, vcc
; %bb.561:
	s_andn2_saveexec_b64 s[0:1], s[0:1]
; %bb.562:
	v_div_scale_f64 v[128:129], s[2:3], v[118:119], v[118:119], 1.0
	v_rcp_f64_e32 v[130:131], v[128:129]
	v_div_scale_f64 v[132:133], vcc, 1.0, v[118:119], 1.0
	v_fma_f64 v[134:135], -v[128:129], v[130:131], 1.0
	v_fmac_f64_e32 v[130:131], v[130:131], v[134:135]
	v_fma_f64 v[134:135], -v[128:129], v[130:131], 1.0
	v_fmac_f64_e32 v[130:131], v[130:131], v[134:135]
	v_mul_f64 v[134:135], v[132:133], v[130:131]
	v_fma_f64 v[128:129], -v[128:129], v[134:135], v[132:133]
	v_div_fmas_f64 v[128:129], v[128:129], v[130:131], v[134:135]
	v_div_fixup_f64 v[118:119], v[128:129], v[118:119], 1.0
; %bb.563:
	s_or_b64 exec, exec, s[0:1]
	v_cmp_ne_u32_e32 vcc, v123, v120
	s_and_saveexec_b64 s[0:1], vcc
	s_xor_b64 s[0:1], exec, s[0:1]
	s_cbranch_execz .LBB112_569
; %bb.564:
	v_cmp_eq_u32_e32 vcc, 33, v123
	s_and_saveexec_b64 s[2:3], vcc
	s_cbranch_execz .LBB112_568
; %bb.565:
	v_cmp_ne_u32_e32 vcc, 33, v120
	s_xor_b64 s[14:15], s[6:7], -1
	s_and_b64 s[16:17], s[14:15], vcc
	s_and_saveexec_b64 s[14:15], s[16:17]
	s_cbranch_execz .LBB112_567
; %bb.566:
	v_ashrrev_i32_e32 v121, 31, v120
	v_lshlrev_b64 v[128:129], 2, v[120:121]
	v_add_co_u32_e32 v128, vcc, v4, v128
	v_addc_co_u32_e32 v129, vcc, v5, v129, vcc
	flat_load_dword v121, v[128:129]
	flat_load_dword v123, v[4:5] offset:132
	s_waitcnt vmcnt(0) lgkmcnt(0)
	flat_store_dword v[4:5], v121 offset:132
	flat_store_dword v[128:129], v123
.LBB112_567:
	s_or_b64 exec, exec, s[14:15]
	v_mov_b32_e32 v121, v120
	v_mov_b32_e32 v123, v120
.LBB112_568:
	s_or_b64 exec, exec, s[2:3]
.LBB112_569:
	s_andn2_saveexec_b64 s[0:1], s[0:1]
	s_cbranch_execz .LBB112_571
; %bb.570:
	v_mov_b32_e32 v128, v46
	v_mov_b32_e32 v129, v47
	v_mov_b32_e32 v130, v44
	v_mov_b32_e32 v131, v45
	ds_write2_b64 v122, v[128:129], v[130:131] offset0:34 offset1:35
	v_mov_b32_e32 v128, v42
	v_mov_b32_e32 v129, v43
	v_mov_b32_e32 v130, v40
	v_mov_b32_e32 v131, v41
	ds_write2_b64 v122, v[128:129], v[130:131] offset0:36 offset1:37
	;; [unrolled: 5-line block ×10, first 2 shown]
	v_mov_b32_e32 v128, v6
	v_mov_b32_e32 v129, v7
	;; [unrolled: 1-line block ×5, first 2 shown]
	ds_write2_b64 v122, v[128:129], v[130:131] offset0:54 offset1:55
	ds_write_b64 v122, v[116:117] offset:448
.LBB112_571:
	s_or_b64 exec, exec, s[0:1]
	v_cmp_lt_i32_e32 vcc, 33, v123
	s_waitcnt lgkmcnt(0)
	s_barrier
	s_and_saveexec_b64 s[0:1], vcc
	s_cbranch_execz .LBB112_573
; %bb.572:
	ds_read2_b64 v[128:131], v122 offset0:34 offset1:35
	ds_read2_b64 v[132:135], v122 offset0:36 offset1:37
	v_mul_f64 v[48:49], v[118:119], v[48:49]
	ds_read2_b64 v[136:139], v122 offset0:38 offset1:39
	ds_read_b64 v[118:119], v122 offset:448
	s_waitcnt lgkmcnt(0)
	v_fma_f64 v[46:47], -v[48:49], v[128:129], v[46:47]
	v_fma_f64 v[44:45], -v[48:49], v[130:131], v[44:45]
	ds_read2_b64 v[128:131], v122 offset0:40 offset1:41
	v_fma_f64 v[42:43], -v[48:49], v[132:133], v[42:43]
	v_fma_f64 v[40:41], -v[48:49], v[134:135], v[40:41]
	ds_read2_b64 v[132:135], v122 offset0:42 offset1:43
	;; [unrolled: 3-line block ×3, first 2 shown]
	s_waitcnt lgkmcnt(0)
	v_fma_f64 v[34:35], -v[48:49], v[128:129], v[34:35]
	v_fma_f64 v[32:33], -v[48:49], v[130:131], v[32:33]
	v_fma_f64 v[30:31], -v[48:49], v[132:133], v[30:31]
	ds_read2_b64 v[128:131], v122 offset0:46 offset1:47
	v_fma_f64 v[28:29], -v[48:49], v[134:135], v[28:29]
	ds_read2_b64 v[132:135], v122 offset0:48 offset1:49
	v_fma_f64 v[26:27], -v[48:49], v[136:137], v[26:27]
	v_fma_f64 v[24:25], -v[48:49], v[138:139], v[24:25]
	s_waitcnt lgkmcnt(0)
	v_fma_f64 v[22:23], -v[48:49], v[128:129], v[22:23]
	ds_read2_b64 v[136:139], v122 offset0:50 offset1:51
	v_fma_f64 v[20:21], -v[48:49], v[130:131], v[20:21]
	ds_read2_b64 v[128:131], v122 offset0:52 offset1:53
	v_fma_f64 v[18:19], -v[48:49], v[132:133], v[18:19]
	v_fma_f64 v[16:17], -v[48:49], v[134:135], v[16:17]
	ds_read2_b64 v[132:135], v122 offset0:54 offset1:55
	s_waitcnt lgkmcnt(0)
	v_fma_f64 v[14:15], -v[48:49], v[136:137], v[14:15]
	v_fma_f64 v[12:13], -v[48:49], v[138:139], v[12:13]
	;; [unrolled: 1-line block ×7, first 2 shown]
.LBB112_573:
	s_or_b64 exec, exec, s[0:1]
	v_lshl_add_u32 v118, v123, 3, v122
	s_barrier
	ds_write_b64 v118, v[46:47]
	s_waitcnt lgkmcnt(0)
	s_barrier
	ds_read_b64 v[118:119], v122 offset:272
	s_cmp_lt_i32 s18, 36
	v_mov_b32_e32 v120, 34
	s_cbranch_scc1 .LBB112_576
; %bb.574:
	v_add_u32_e32 v127, 0x118, v122
	s_mov_b32 s0, 35
	v_mov_b32_e32 v120, 34
.LBB112_575:                            ; =>This Inner Loop Header: Depth=1
	ds_read_b64 v[128:129], v127
	v_mov_b32_e32 v130, s0
	s_add_i32 s0, s0, 1
	v_add_u32_e32 v127, 8, v127
	s_cmp_lg_u32 s18, s0
	s_waitcnt lgkmcnt(0)
	v_cmp_lt_f64_e64 vcc, |v[118:119]|, |v[128:129]|
	v_cndmask_b32_e32 v119, v119, v129, vcc
	v_cndmask_b32_e32 v118, v118, v128, vcc
	;; [unrolled: 1-line block ×3, first 2 shown]
	s_cbranch_scc1 .LBB112_575
.LBB112_576:
	s_waitcnt lgkmcnt(0)
	v_cmp_eq_f64_e32 vcc, 0, v[118:119]
	s_and_saveexec_b64 s[0:1], vcc
	s_xor_b64 s[0:1], exec, s[0:1]
; %bb.577:
	v_cmp_ne_u32_e32 vcc, 0, v126
	v_cndmask_b32_e32 v126, 35, v126, vcc
; %bb.578:
	s_andn2_saveexec_b64 s[0:1], s[0:1]
; %bb.579:
	v_div_scale_f64 v[128:129], s[2:3], v[118:119], v[118:119], 1.0
	v_rcp_f64_e32 v[130:131], v[128:129]
	v_div_scale_f64 v[132:133], vcc, 1.0, v[118:119], 1.0
	v_fma_f64 v[134:135], -v[128:129], v[130:131], 1.0
	v_fmac_f64_e32 v[130:131], v[130:131], v[134:135]
	v_fma_f64 v[134:135], -v[128:129], v[130:131], 1.0
	v_fmac_f64_e32 v[130:131], v[130:131], v[134:135]
	v_mul_f64 v[134:135], v[132:133], v[130:131]
	v_fma_f64 v[128:129], -v[128:129], v[134:135], v[132:133]
	v_div_fmas_f64 v[128:129], v[128:129], v[130:131], v[134:135]
	v_div_fixup_f64 v[118:119], v[128:129], v[118:119], 1.0
; %bb.580:
	s_or_b64 exec, exec, s[0:1]
	v_cmp_ne_u32_e32 vcc, v123, v120
	s_and_saveexec_b64 s[0:1], vcc
	s_xor_b64 s[0:1], exec, s[0:1]
	s_cbranch_execz .LBB112_586
; %bb.581:
	v_cmp_eq_u32_e32 vcc, 34, v123
	s_and_saveexec_b64 s[2:3], vcc
	s_cbranch_execz .LBB112_585
; %bb.582:
	v_cmp_ne_u32_e32 vcc, 34, v120
	s_xor_b64 s[14:15], s[6:7], -1
	s_and_b64 s[16:17], s[14:15], vcc
	s_and_saveexec_b64 s[14:15], s[16:17]
	s_cbranch_execz .LBB112_584
; %bb.583:
	v_ashrrev_i32_e32 v121, 31, v120
	v_lshlrev_b64 v[128:129], 2, v[120:121]
	v_add_co_u32_e32 v128, vcc, v4, v128
	v_addc_co_u32_e32 v129, vcc, v5, v129, vcc
	flat_load_dword v121, v[128:129]
	flat_load_dword v123, v[4:5] offset:136
	s_waitcnt vmcnt(0) lgkmcnt(0)
	flat_store_dword v[4:5], v121 offset:136
	flat_store_dword v[128:129], v123
.LBB112_584:
	s_or_b64 exec, exec, s[14:15]
	v_mov_b32_e32 v121, v120
	v_mov_b32_e32 v123, v120
.LBB112_585:
	s_or_b64 exec, exec, s[2:3]
.LBB112_586:
	s_andn2_saveexec_b64 s[0:1], s[0:1]
	s_cbranch_execz .LBB112_588
; %bb.587:
	v_mov_b32_e32 v123, 34
	ds_write2_b64 v122, v[44:45], v[42:43] offset0:35 offset1:36
	ds_write2_b64 v122, v[40:41], v[38:39] offset0:37 offset1:38
	;; [unrolled: 1-line block ×11, first 2 shown]
.LBB112_588:
	s_or_b64 exec, exec, s[0:1]
	v_cmp_lt_i32_e32 vcc, 34, v123
	s_waitcnt lgkmcnt(0)
	s_barrier
	s_and_saveexec_b64 s[0:1], vcc
	s_cbranch_execz .LBB112_590
; %bb.589:
	ds_read2_b64 v[128:131], v122 offset0:35 offset1:36
	ds_read2_b64 v[132:135], v122 offset0:37 offset1:38
	v_mul_f64 v[46:47], v[118:119], v[46:47]
	ds_read2_b64 v[136:139], v122 offset0:39 offset1:40
	s_waitcnt lgkmcnt(0)
	v_fma_f64 v[44:45], -v[46:47], v[128:129], v[44:45]
	v_fma_f64 v[42:43], -v[46:47], v[130:131], v[42:43]
	ds_read2_b64 v[128:131], v122 offset0:41 offset1:42
	v_fma_f64 v[40:41], -v[46:47], v[132:133], v[40:41]
	v_fma_f64 v[38:39], -v[46:47], v[134:135], v[38:39]
	ds_read2_b64 v[132:135], v122 offset0:43 offset1:44
	;; [unrolled: 3-line block ×3, first 2 shown]
	s_waitcnt lgkmcnt(0)
	v_fma_f64 v[32:33], -v[46:47], v[128:129], v[32:33]
	v_fma_f64 v[30:31], -v[46:47], v[130:131], v[30:31]
	;; [unrolled: 1-line block ×3, first 2 shown]
	ds_read2_b64 v[128:131], v122 offset0:47 offset1:48
	v_fma_f64 v[26:27], -v[46:47], v[134:135], v[26:27]
	ds_read2_b64 v[132:135], v122 offset0:49 offset1:50
	v_fma_f64 v[24:25], -v[46:47], v[136:137], v[24:25]
	v_fma_f64 v[22:23], -v[46:47], v[138:139], v[22:23]
	s_waitcnt lgkmcnt(0)
	v_fma_f64 v[20:21], -v[46:47], v[128:129], v[20:21]
	v_fma_f64 v[18:19], -v[46:47], v[130:131], v[18:19]
	ds_read2_b64 v[128:131], v122 offset0:51 offset1:52
	ds_read2_b64 v[136:139], v122 offset0:53 offset1:54
	v_fma_f64 v[16:17], -v[46:47], v[132:133], v[16:17]
	v_fma_f64 v[14:15], -v[46:47], v[134:135], v[14:15]
	ds_read2_b64 v[132:135], v122 offset0:55 offset1:56
	s_waitcnt lgkmcnt(0)
	v_fma_f64 v[12:13], -v[46:47], v[128:129], v[12:13]
	v_fma_f64 v[10:11], -v[46:47], v[130:131], v[10:11]
	;; [unrolled: 1-line block ×6, first 2 shown]
.LBB112_590:
	s_or_b64 exec, exec, s[0:1]
	v_lshl_add_u32 v118, v123, 3, v122
	s_barrier
	ds_write_b64 v118, v[44:45]
	s_waitcnt lgkmcnt(0)
	s_barrier
	ds_read_b64 v[118:119], v122 offset:280
	s_cmp_lt_i32 s18, 37
	v_mov_b32_e32 v120, 35
	s_cbranch_scc1 .LBB112_593
; %bb.591:
	v_add_u32_e32 v127, 0x120, v122
	s_mov_b32 s0, 36
	v_mov_b32_e32 v120, 35
.LBB112_592:                            ; =>This Inner Loop Header: Depth=1
	ds_read_b64 v[128:129], v127
	v_mov_b32_e32 v130, s0
	s_add_i32 s0, s0, 1
	v_add_u32_e32 v127, 8, v127
	s_cmp_lg_u32 s18, s0
	s_waitcnt lgkmcnt(0)
	v_cmp_lt_f64_e64 vcc, |v[118:119]|, |v[128:129]|
	v_cndmask_b32_e32 v119, v119, v129, vcc
	v_cndmask_b32_e32 v118, v118, v128, vcc
	;; [unrolled: 1-line block ×3, first 2 shown]
	s_cbranch_scc1 .LBB112_592
.LBB112_593:
	s_waitcnt lgkmcnt(0)
	v_cmp_eq_f64_e32 vcc, 0, v[118:119]
	s_and_saveexec_b64 s[0:1], vcc
	s_xor_b64 s[0:1], exec, s[0:1]
; %bb.594:
	v_cmp_ne_u32_e32 vcc, 0, v126
	v_cndmask_b32_e32 v126, 36, v126, vcc
; %bb.595:
	s_andn2_saveexec_b64 s[0:1], s[0:1]
; %bb.596:
	v_div_scale_f64 v[128:129], s[2:3], v[118:119], v[118:119], 1.0
	v_rcp_f64_e32 v[130:131], v[128:129]
	v_div_scale_f64 v[132:133], vcc, 1.0, v[118:119], 1.0
	v_fma_f64 v[134:135], -v[128:129], v[130:131], 1.0
	v_fmac_f64_e32 v[130:131], v[130:131], v[134:135]
	v_fma_f64 v[134:135], -v[128:129], v[130:131], 1.0
	v_fmac_f64_e32 v[130:131], v[130:131], v[134:135]
	v_mul_f64 v[134:135], v[132:133], v[130:131]
	v_fma_f64 v[128:129], -v[128:129], v[134:135], v[132:133]
	v_div_fmas_f64 v[128:129], v[128:129], v[130:131], v[134:135]
	v_div_fixup_f64 v[118:119], v[128:129], v[118:119], 1.0
; %bb.597:
	s_or_b64 exec, exec, s[0:1]
	v_cmp_ne_u32_e32 vcc, v123, v120
	s_and_saveexec_b64 s[0:1], vcc
	s_xor_b64 s[0:1], exec, s[0:1]
	s_cbranch_execz .LBB112_603
; %bb.598:
	v_cmp_eq_u32_e32 vcc, 35, v123
	s_and_saveexec_b64 s[2:3], vcc
	s_cbranch_execz .LBB112_602
; %bb.599:
	v_cmp_ne_u32_e32 vcc, 35, v120
	s_xor_b64 s[14:15], s[6:7], -1
	s_and_b64 s[16:17], s[14:15], vcc
	s_and_saveexec_b64 s[14:15], s[16:17]
	s_cbranch_execz .LBB112_601
; %bb.600:
	v_ashrrev_i32_e32 v121, 31, v120
	v_lshlrev_b64 v[128:129], 2, v[120:121]
	v_add_co_u32_e32 v128, vcc, v4, v128
	v_addc_co_u32_e32 v129, vcc, v5, v129, vcc
	flat_load_dword v121, v[128:129]
	flat_load_dword v123, v[4:5] offset:140
	s_waitcnt vmcnt(0) lgkmcnt(0)
	flat_store_dword v[4:5], v121 offset:140
	flat_store_dword v[128:129], v123
.LBB112_601:
	s_or_b64 exec, exec, s[14:15]
	v_mov_b32_e32 v121, v120
	v_mov_b32_e32 v123, v120
.LBB112_602:
	s_or_b64 exec, exec, s[2:3]
.LBB112_603:
	s_andn2_saveexec_b64 s[0:1], s[0:1]
	s_cbranch_execz .LBB112_605
; %bb.604:
	v_mov_b32_e32 v128, v42
	v_mov_b32_e32 v129, v43
	v_mov_b32_e32 v130, v40
	v_mov_b32_e32 v131, v41
	ds_write2_b64 v122, v[128:129], v[130:131] offset0:36 offset1:37
	v_mov_b32_e32 v128, v38
	v_mov_b32_e32 v129, v39
	v_mov_b32_e32 v130, v36
	v_mov_b32_e32 v131, v37
	ds_write2_b64 v122, v[128:129], v[130:131] offset0:38 offset1:39
	;; [unrolled: 5-line block ×9, first 2 shown]
	v_mov_b32_e32 v128, v6
	v_mov_b32_e32 v129, v7
	;; [unrolled: 1-line block ×5, first 2 shown]
	ds_write2_b64 v122, v[128:129], v[130:131] offset0:54 offset1:55
	ds_write_b64 v122, v[116:117] offset:448
.LBB112_605:
	s_or_b64 exec, exec, s[0:1]
	v_cmp_lt_i32_e32 vcc, 35, v123
	s_waitcnt lgkmcnt(0)
	s_barrier
	s_and_saveexec_b64 s[0:1], vcc
	s_cbranch_execz .LBB112_607
; %bb.606:
	ds_read2_b64 v[128:131], v122 offset0:36 offset1:37
	ds_read2_b64 v[132:135], v122 offset0:38 offset1:39
	v_mul_f64 v[44:45], v[118:119], v[44:45]
	ds_read2_b64 v[136:139], v122 offset0:40 offset1:41
	ds_read_b64 v[118:119], v122 offset:448
	s_waitcnt lgkmcnt(0)
	v_fma_f64 v[42:43], -v[44:45], v[128:129], v[42:43]
	v_fma_f64 v[40:41], -v[44:45], v[130:131], v[40:41]
	ds_read2_b64 v[128:131], v122 offset0:42 offset1:43
	v_fma_f64 v[38:39], -v[44:45], v[132:133], v[38:39]
	v_fma_f64 v[36:37], -v[44:45], v[134:135], v[36:37]
	;; [unrolled: 1-line block ×3, first 2 shown]
	ds_read2_b64 v[132:135], v122 offset0:44 offset1:45
	v_fma_f64 v[32:33], -v[44:45], v[138:139], v[32:33]
	ds_read2_b64 v[136:139], v122 offset0:46 offset1:47
	s_waitcnt lgkmcnt(0)
	v_fma_f64 v[30:31], -v[44:45], v[128:129], v[30:31]
	v_fma_f64 v[28:29], -v[44:45], v[130:131], v[28:29]
	ds_read2_b64 v[128:131], v122 offset0:48 offset1:49
	v_fma_f64 v[26:27], -v[44:45], v[132:133], v[26:27]
	v_fma_f64 v[24:25], -v[44:45], v[134:135], v[24:25]
	ds_read2_b64 v[132:135], v122 offset0:50 offset1:51
	v_fma_f64 v[22:23], -v[44:45], v[136:137], v[22:23]
	v_fma_f64 v[20:21], -v[44:45], v[138:139], v[20:21]
	s_waitcnt lgkmcnt(0)
	v_fma_f64 v[18:19], -v[44:45], v[128:129], v[18:19]
	v_fma_f64 v[16:17], -v[44:45], v[130:131], v[16:17]
	ds_read2_b64 v[128:131], v122 offset0:52 offset1:53
	ds_read2_b64 v[136:139], v122 offset0:54 offset1:55
	v_fma_f64 v[14:15], -v[44:45], v[132:133], v[14:15]
	v_fma_f64 v[12:13], -v[44:45], v[134:135], v[12:13]
	;; [unrolled: 1-line block ×3, first 2 shown]
	s_waitcnt lgkmcnt(0)
	v_fma_f64 v[10:11], -v[44:45], v[128:129], v[10:11]
	v_fma_f64 v[8:9], -v[44:45], v[130:131], v[8:9]
	;; [unrolled: 1-line block ×4, first 2 shown]
.LBB112_607:
	s_or_b64 exec, exec, s[0:1]
	v_lshl_add_u32 v118, v123, 3, v122
	s_barrier
	ds_write_b64 v118, v[42:43]
	s_waitcnt lgkmcnt(0)
	s_barrier
	ds_read_b64 v[118:119], v122 offset:288
	s_cmp_lt_i32 s18, 38
	v_mov_b32_e32 v120, 36
	s_cbranch_scc1 .LBB112_610
; %bb.608:
	v_add_u32_e32 v127, 0x128, v122
	s_mov_b32 s0, 37
	v_mov_b32_e32 v120, 36
.LBB112_609:                            ; =>This Inner Loop Header: Depth=1
	ds_read_b64 v[128:129], v127
	v_mov_b32_e32 v130, s0
	s_add_i32 s0, s0, 1
	v_add_u32_e32 v127, 8, v127
	s_cmp_lg_u32 s18, s0
	s_waitcnt lgkmcnt(0)
	v_cmp_lt_f64_e64 vcc, |v[118:119]|, |v[128:129]|
	v_cndmask_b32_e32 v119, v119, v129, vcc
	v_cndmask_b32_e32 v118, v118, v128, vcc
	;; [unrolled: 1-line block ×3, first 2 shown]
	s_cbranch_scc1 .LBB112_609
.LBB112_610:
	s_waitcnt lgkmcnt(0)
	v_cmp_eq_f64_e32 vcc, 0, v[118:119]
	s_and_saveexec_b64 s[0:1], vcc
	s_xor_b64 s[0:1], exec, s[0:1]
; %bb.611:
	v_cmp_ne_u32_e32 vcc, 0, v126
	v_cndmask_b32_e32 v126, 37, v126, vcc
; %bb.612:
	s_andn2_saveexec_b64 s[0:1], s[0:1]
; %bb.613:
	v_div_scale_f64 v[128:129], s[2:3], v[118:119], v[118:119], 1.0
	v_rcp_f64_e32 v[130:131], v[128:129]
	v_div_scale_f64 v[132:133], vcc, 1.0, v[118:119], 1.0
	v_fma_f64 v[134:135], -v[128:129], v[130:131], 1.0
	v_fmac_f64_e32 v[130:131], v[130:131], v[134:135]
	v_fma_f64 v[134:135], -v[128:129], v[130:131], 1.0
	v_fmac_f64_e32 v[130:131], v[130:131], v[134:135]
	v_mul_f64 v[134:135], v[132:133], v[130:131]
	v_fma_f64 v[128:129], -v[128:129], v[134:135], v[132:133]
	v_div_fmas_f64 v[128:129], v[128:129], v[130:131], v[134:135]
	v_div_fixup_f64 v[118:119], v[128:129], v[118:119], 1.0
; %bb.614:
	s_or_b64 exec, exec, s[0:1]
	v_cmp_ne_u32_e32 vcc, v123, v120
	s_and_saveexec_b64 s[0:1], vcc
	s_xor_b64 s[0:1], exec, s[0:1]
	s_cbranch_execz .LBB112_620
; %bb.615:
	v_cmp_eq_u32_e32 vcc, 36, v123
	s_and_saveexec_b64 s[2:3], vcc
	s_cbranch_execz .LBB112_619
; %bb.616:
	v_cmp_ne_u32_e32 vcc, 36, v120
	s_xor_b64 s[14:15], s[6:7], -1
	s_and_b64 s[16:17], s[14:15], vcc
	s_and_saveexec_b64 s[14:15], s[16:17]
	s_cbranch_execz .LBB112_618
; %bb.617:
	v_ashrrev_i32_e32 v121, 31, v120
	v_lshlrev_b64 v[128:129], 2, v[120:121]
	v_add_co_u32_e32 v128, vcc, v4, v128
	v_addc_co_u32_e32 v129, vcc, v5, v129, vcc
	flat_load_dword v121, v[128:129]
	flat_load_dword v123, v[4:5] offset:144
	s_waitcnt vmcnt(0) lgkmcnt(0)
	flat_store_dword v[4:5], v121 offset:144
	flat_store_dword v[128:129], v123
.LBB112_618:
	s_or_b64 exec, exec, s[14:15]
	v_mov_b32_e32 v121, v120
	v_mov_b32_e32 v123, v120
.LBB112_619:
	s_or_b64 exec, exec, s[2:3]
.LBB112_620:
	s_andn2_saveexec_b64 s[0:1], s[0:1]
	s_cbranch_execz .LBB112_622
; %bb.621:
	v_mov_b32_e32 v123, 36
	ds_write2_b64 v122, v[40:41], v[38:39] offset0:37 offset1:38
	ds_write2_b64 v122, v[36:37], v[34:35] offset0:39 offset1:40
	;; [unrolled: 1-line block ×10, first 2 shown]
.LBB112_622:
	s_or_b64 exec, exec, s[0:1]
	v_cmp_lt_i32_e32 vcc, 36, v123
	s_waitcnt lgkmcnt(0)
	s_barrier
	s_and_saveexec_b64 s[0:1], vcc
	s_cbranch_execz .LBB112_624
; %bb.623:
	ds_read2_b64 v[128:131], v122 offset0:37 offset1:38
	ds_read2_b64 v[132:135], v122 offset0:39 offset1:40
	v_mul_f64 v[42:43], v[118:119], v[42:43]
	ds_read2_b64 v[136:139], v122 offset0:41 offset1:42
	s_waitcnt lgkmcnt(0)
	v_fma_f64 v[40:41], -v[42:43], v[128:129], v[40:41]
	v_fma_f64 v[38:39], -v[42:43], v[130:131], v[38:39]
	ds_read2_b64 v[128:131], v122 offset0:43 offset1:44
	v_fma_f64 v[36:37], -v[42:43], v[132:133], v[36:37]
	v_fma_f64 v[34:35], -v[42:43], v[134:135], v[34:35]
	;; [unrolled: 1-line block ×3, first 2 shown]
	ds_read2_b64 v[132:135], v122 offset0:45 offset1:46
	v_fma_f64 v[30:31], -v[42:43], v[138:139], v[30:31]
	ds_read2_b64 v[136:139], v122 offset0:47 offset1:48
	s_waitcnt lgkmcnt(0)
	v_fma_f64 v[28:29], -v[42:43], v[128:129], v[28:29]
	v_fma_f64 v[26:27], -v[42:43], v[130:131], v[26:27]
	ds_read2_b64 v[128:131], v122 offset0:49 offset1:50
	v_fma_f64 v[24:25], -v[42:43], v[132:133], v[24:25]
	v_fma_f64 v[22:23], -v[42:43], v[134:135], v[22:23]
	ds_read2_b64 v[132:135], v122 offset0:51 offset1:52
	v_fma_f64 v[20:21], -v[42:43], v[136:137], v[20:21]
	v_fma_f64 v[18:19], -v[42:43], v[138:139], v[18:19]
	s_waitcnt lgkmcnt(0)
	v_fma_f64 v[16:17], -v[42:43], v[128:129], v[16:17]
	ds_read2_b64 v[136:139], v122 offset0:53 offset1:54
	v_fma_f64 v[14:15], -v[42:43], v[130:131], v[14:15]
	ds_read2_b64 v[128:131], v122 offset0:55 offset1:56
	v_fma_f64 v[12:13], -v[42:43], v[132:133], v[12:13]
	v_fma_f64 v[10:11], -v[42:43], v[134:135], v[10:11]
	s_waitcnt lgkmcnt(0)
	v_fma_f64 v[8:9], -v[42:43], v[136:137], v[8:9]
	v_fma_f64 v[6:7], -v[42:43], v[138:139], v[6:7]
	;; [unrolled: 1-line block ×4, first 2 shown]
.LBB112_624:
	s_or_b64 exec, exec, s[0:1]
	v_lshl_add_u32 v118, v123, 3, v122
	s_barrier
	ds_write_b64 v118, v[40:41]
	s_waitcnt lgkmcnt(0)
	s_barrier
	ds_read_b64 v[118:119], v122 offset:296
	s_cmp_lt_i32 s18, 39
	v_mov_b32_e32 v120, 37
	s_cbranch_scc1 .LBB112_627
; %bb.625:
	v_add_u32_e32 v127, 0x130, v122
	s_mov_b32 s0, 38
	v_mov_b32_e32 v120, 37
.LBB112_626:                            ; =>This Inner Loop Header: Depth=1
	ds_read_b64 v[128:129], v127
	v_mov_b32_e32 v130, s0
	s_add_i32 s0, s0, 1
	v_add_u32_e32 v127, 8, v127
	s_cmp_lg_u32 s18, s0
	s_waitcnt lgkmcnt(0)
	v_cmp_lt_f64_e64 vcc, |v[118:119]|, |v[128:129]|
	v_cndmask_b32_e32 v119, v119, v129, vcc
	v_cndmask_b32_e32 v118, v118, v128, vcc
	;; [unrolled: 1-line block ×3, first 2 shown]
	s_cbranch_scc1 .LBB112_626
.LBB112_627:
	s_waitcnt lgkmcnt(0)
	v_cmp_eq_f64_e32 vcc, 0, v[118:119]
	s_and_saveexec_b64 s[0:1], vcc
	s_xor_b64 s[0:1], exec, s[0:1]
; %bb.628:
	v_cmp_ne_u32_e32 vcc, 0, v126
	v_cndmask_b32_e32 v126, 38, v126, vcc
; %bb.629:
	s_andn2_saveexec_b64 s[0:1], s[0:1]
; %bb.630:
	v_div_scale_f64 v[128:129], s[2:3], v[118:119], v[118:119], 1.0
	v_rcp_f64_e32 v[130:131], v[128:129]
	v_div_scale_f64 v[132:133], vcc, 1.0, v[118:119], 1.0
	v_fma_f64 v[134:135], -v[128:129], v[130:131], 1.0
	v_fmac_f64_e32 v[130:131], v[130:131], v[134:135]
	v_fma_f64 v[134:135], -v[128:129], v[130:131], 1.0
	v_fmac_f64_e32 v[130:131], v[130:131], v[134:135]
	v_mul_f64 v[134:135], v[132:133], v[130:131]
	v_fma_f64 v[128:129], -v[128:129], v[134:135], v[132:133]
	v_div_fmas_f64 v[128:129], v[128:129], v[130:131], v[134:135]
	v_div_fixup_f64 v[118:119], v[128:129], v[118:119], 1.0
; %bb.631:
	s_or_b64 exec, exec, s[0:1]
	v_cmp_ne_u32_e32 vcc, v123, v120
	s_and_saveexec_b64 s[0:1], vcc
	s_xor_b64 s[0:1], exec, s[0:1]
	s_cbranch_execz .LBB112_637
; %bb.632:
	v_cmp_eq_u32_e32 vcc, 37, v123
	s_and_saveexec_b64 s[2:3], vcc
	s_cbranch_execz .LBB112_636
; %bb.633:
	v_cmp_ne_u32_e32 vcc, 37, v120
	s_xor_b64 s[14:15], s[6:7], -1
	s_and_b64 s[16:17], s[14:15], vcc
	s_and_saveexec_b64 s[14:15], s[16:17]
	s_cbranch_execz .LBB112_635
; %bb.634:
	v_ashrrev_i32_e32 v121, 31, v120
	v_lshlrev_b64 v[128:129], 2, v[120:121]
	v_add_co_u32_e32 v128, vcc, v4, v128
	v_addc_co_u32_e32 v129, vcc, v5, v129, vcc
	flat_load_dword v121, v[128:129]
	flat_load_dword v123, v[4:5] offset:148
	s_waitcnt vmcnt(0) lgkmcnt(0)
	flat_store_dword v[4:5], v121 offset:148
	flat_store_dword v[128:129], v123
.LBB112_635:
	s_or_b64 exec, exec, s[14:15]
	v_mov_b32_e32 v121, v120
	v_mov_b32_e32 v123, v120
.LBB112_636:
	s_or_b64 exec, exec, s[2:3]
.LBB112_637:
	s_andn2_saveexec_b64 s[0:1], s[0:1]
	s_cbranch_execz .LBB112_639
; %bb.638:
	v_mov_b32_e32 v128, v38
	v_mov_b32_e32 v129, v39
	v_mov_b32_e32 v130, v36
	v_mov_b32_e32 v131, v37
	ds_write2_b64 v122, v[128:129], v[130:131] offset0:38 offset1:39
	v_mov_b32_e32 v128, v34
	v_mov_b32_e32 v129, v35
	v_mov_b32_e32 v130, v32
	v_mov_b32_e32 v131, v33
	ds_write2_b64 v122, v[128:129], v[130:131] offset0:40 offset1:41
	;; [unrolled: 5-line block ×8, first 2 shown]
	v_mov_b32_e32 v128, v6
	v_mov_b32_e32 v129, v7
	;; [unrolled: 1-line block ×5, first 2 shown]
	ds_write2_b64 v122, v[128:129], v[130:131] offset0:54 offset1:55
	ds_write_b64 v122, v[116:117] offset:448
.LBB112_639:
	s_or_b64 exec, exec, s[0:1]
	v_cmp_lt_i32_e32 vcc, 37, v123
	s_waitcnt lgkmcnt(0)
	s_barrier
	s_and_saveexec_b64 s[0:1], vcc
	s_cbranch_execz .LBB112_641
; %bb.640:
	ds_read2_b64 v[128:131], v122 offset0:38 offset1:39
	ds_read2_b64 v[132:135], v122 offset0:40 offset1:41
	;; [unrolled: 1-line block ×3, first 2 shown]
	v_mul_f64 v[40:41], v[118:119], v[40:41]
	ds_read_b64 v[118:119], v122 offset:448
	s_waitcnt lgkmcnt(0)
	v_fma_f64 v[38:39], -v[40:41], v[128:129], v[38:39]
	v_fma_f64 v[36:37], -v[40:41], v[130:131], v[36:37]
	ds_read2_b64 v[128:131], v122 offset0:44 offset1:45
	v_fma_f64 v[34:35], -v[40:41], v[132:133], v[34:35]
	v_fma_f64 v[32:33], -v[40:41], v[134:135], v[32:33]
	;; [unrolled: 1-line block ×3, first 2 shown]
	ds_read2_b64 v[132:135], v122 offset0:46 offset1:47
	v_fma_f64 v[28:29], -v[40:41], v[138:139], v[28:29]
	ds_read2_b64 v[136:139], v122 offset0:48 offset1:49
	s_waitcnt lgkmcnt(0)
	v_fma_f64 v[26:27], -v[40:41], v[128:129], v[26:27]
	v_fma_f64 v[24:25], -v[40:41], v[130:131], v[24:25]
	;; [unrolled: 1-line block ×3, first 2 shown]
	ds_read2_b64 v[128:131], v122 offset0:50 offset1:51
	v_fma_f64 v[20:21], -v[40:41], v[134:135], v[20:21]
	ds_read2_b64 v[132:135], v122 offset0:52 offset1:53
	v_fma_f64 v[18:19], -v[40:41], v[136:137], v[18:19]
	v_fma_f64 v[16:17], -v[40:41], v[138:139], v[16:17]
	ds_read2_b64 v[136:139], v122 offset0:54 offset1:55
	s_waitcnt lgkmcnt(0)
	v_fma_f64 v[14:15], -v[40:41], v[128:129], v[14:15]
	v_fma_f64 v[12:13], -v[40:41], v[130:131], v[12:13]
	;; [unrolled: 1-line block ×7, first 2 shown]
.LBB112_641:
	s_or_b64 exec, exec, s[0:1]
	v_lshl_add_u32 v118, v123, 3, v122
	s_barrier
	ds_write_b64 v118, v[38:39]
	s_waitcnt lgkmcnt(0)
	s_barrier
	ds_read_b64 v[118:119], v122 offset:304
	s_cmp_lt_i32 s18, 40
	v_mov_b32_e32 v120, 38
	s_cbranch_scc1 .LBB112_644
; %bb.642:
	v_add_u32_e32 v127, 0x138, v122
	s_mov_b32 s0, 39
	v_mov_b32_e32 v120, 38
.LBB112_643:                            ; =>This Inner Loop Header: Depth=1
	ds_read_b64 v[128:129], v127
	v_mov_b32_e32 v130, s0
	s_add_i32 s0, s0, 1
	v_add_u32_e32 v127, 8, v127
	s_cmp_lg_u32 s18, s0
	s_waitcnt lgkmcnt(0)
	v_cmp_lt_f64_e64 vcc, |v[118:119]|, |v[128:129]|
	v_cndmask_b32_e32 v119, v119, v129, vcc
	v_cndmask_b32_e32 v118, v118, v128, vcc
	v_cndmask_b32_e32 v120, v120, v130, vcc
	s_cbranch_scc1 .LBB112_643
.LBB112_644:
	s_waitcnt lgkmcnt(0)
	v_cmp_eq_f64_e32 vcc, 0, v[118:119]
	s_and_saveexec_b64 s[0:1], vcc
	s_xor_b64 s[0:1], exec, s[0:1]
; %bb.645:
	v_cmp_ne_u32_e32 vcc, 0, v126
	v_cndmask_b32_e32 v126, 39, v126, vcc
; %bb.646:
	s_andn2_saveexec_b64 s[0:1], s[0:1]
; %bb.647:
	v_div_scale_f64 v[128:129], s[2:3], v[118:119], v[118:119], 1.0
	v_rcp_f64_e32 v[130:131], v[128:129]
	v_div_scale_f64 v[132:133], vcc, 1.0, v[118:119], 1.0
	v_fma_f64 v[134:135], -v[128:129], v[130:131], 1.0
	v_fmac_f64_e32 v[130:131], v[130:131], v[134:135]
	v_fma_f64 v[134:135], -v[128:129], v[130:131], 1.0
	v_fmac_f64_e32 v[130:131], v[130:131], v[134:135]
	v_mul_f64 v[134:135], v[132:133], v[130:131]
	v_fma_f64 v[128:129], -v[128:129], v[134:135], v[132:133]
	v_div_fmas_f64 v[128:129], v[128:129], v[130:131], v[134:135]
	v_div_fixup_f64 v[118:119], v[128:129], v[118:119], 1.0
; %bb.648:
	s_or_b64 exec, exec, s[0:1]
	v_cmp_ne_u32_e32 vcc, v123, v120
	s_and_saveexec_b64 s[0:1], vcc
	s_xor_b64 s[0:1], exec, s[0:1]
	s_cbranch_execz .LBB112_654
; %bb.649:
	v_cmp_eq_u32_e32 vcc, 38, v123
	s_and_saveexec_b64 s[2:3], vcc
	s_cbranch_execz .LBB112_653
; %bb.650:
	v_cmp_ne_u32_e32 vcc, 38, v120
	s_xor_b64 s[14:15], s[6:7], -1
	s_and_b64 s[16:17], s[14:15], vcc
	s_and_saveexec_b64 s[14:15], s[16:17]
	s_cbranch_execz .LBB112_652
; %bb.651:
	v_ashrrev_i32_e32 v121, 31, v120
	v_lshlrev_b64 v[128:129], 2, v[120:121]
	v_add_co_u32_e32 v128, vcc, v4, v128
	v_addc_co_u32_e32 v129, vcc, v5, v129, vcc
	flat_load_dword v121, v[128:129]
	flat_load_dword v123, v[4:5] offset:152
	s_waitcnt vmcnt(0) lgkmcnt(0)
	flat_store_dword v[4:5], v121 offset:152
	flat_store_dword v[128:129], v123
.LBB112_652:
	s_or_b64 exec, exec, s[14:15]
	v_mov_b32_e32 v121, v120
	v_mov_b32_e32 v123, v120
.LBB112_653:
	s_or_b64 exec, exec, s[2:3]
.LBB112_654:
	s_andn2_saveexec_b64 s[0:1], s[0:1]
	s_cbranch_execz .LBB112_656
; %bb.655:
	v_mov_b32_e32 v123, 38
	ds_write2_b64 v122, v[36:37], v[34:35] offset0:39 offset1:40
	ds_write2_b64 v122, v[32:33], v[30:31] offset0:41 offset1:42
	;; [unrolled: 1-line block ×9, first 2 shown]
.LBB112_656:
	s_or_b64 exec, exec, s[0:1]
	v_cmp_lt_i32_e32 vcc, 38, v123
	s_waitcnt lgkmcnt(0)
	s_barrier
	s_and_saveexec_b64 s[0:1], vcc
	s_cbranch_execz .LBB112_658
; %bb.657:
	ds_read2_b64 v[128:131], v122 offset0:39 offset1:40
	ds_read2_b64 v[132:135], v122 offset0:41 offset1:42
	;; [unrolled: 1-line block ×3, first 2 shown]
	v_mul_f64 v[38:39], v[118:119], v[38:39]
	s_waitcnt lgkmcnt(0)
	v_fma_f64 v[36:37], -v[38:39], v[128:129], v[36:37]
	v_fma_f64 v[34:35], -v[38:39], v[130:131], v[34:35]
	ds_read2_b64 v[128:131], v122 offset0:45 offset1:46
	v_fma_f64 v[32:33], -v[38:39], v[132:133], v[32:33]
	v_fma_f64 v[30:31], -v[38:39], v[134:135], v[30:31]
	v_fma_f64 v[28:29], -v[38:39], v[136:137], v[28:29]
	ds_read2_b64 v[132:135], v122 offset0:47 offset1:48
	v_fma_f64 v[26:27], -v[38:39], v[138:139], v[26:27]
	ds_read2_b64 v[136:139], v122 offset0:49 offset1:50
	s_waitcnt lgkmcnt(0)
	v_fma_f64 v[24:25], -v[38:39], v[128:129], v[24:25]
	v_fma_f64 v[22:23], -v[38:39], v[130:131], v[22:23]
	;; [unrolled: 1-line block ×4, first 2 shown]
	ds_read2_b64 v[128:131], v122 offset0:51 offset1:52
	ds_read2_b64 v[132:135], v122 offset0:53 offset1:54
	v_fma_f64 v[16:17], -v[38:39], v[136:137], v[16:17]
	v_fma_f64 v[14:15], -v[38:39], v[138:139], v[14:15]
	ds_read2_b64 v[136:139], v122 offset0:55 offset1:56
	s_waitcnt lgkmcnt(0)
	v_fma_f64 v[12:13], -v[38:39], v[128:129], v[12:13]
	v_fma_f64 v[10:11], -v[38:39], v[130:131], v[10:11]
	;; [unrolled: 1-line block ×6, first 2 shown]
.LBB112_658:
	s_or_b64 exec, exec, s[0:1]
	v_lshl_add_u32 v118, v123, 3, v122
	s_barrier
	ds_write_b64 v118, v[36:37]
	s_waitcnt lgkmcnt(0)
	s_barrier
	ds_read_b64 v[118:119], v122 offset:312
	s_cmp_lt_i32 s18, 41
	v_mov_b32_e32 v120, 39
	s_cbranch_scc1 .LBB112_661
; %bb.659:
	v_add_u32_e32 v127, 0x140, v122
	s_mov_b32 s0, 40
	v_mov_b32_e32 v120, 39
.LBB112_660:                            ; =>This Inner Loop Header: Depth=1
	ds_read_b64 v[128:129], v127
	v_mov_b32_e32 v130, s0
	s_add_i32 s0, s0, 1
	v_add_u32_e32 v127, 8, v127
	s_cmp_lg_u32 s18, s0
	s_waitcnt lgkmcnt(0)
	v_cmp_lt_f64_e64 vcc, |v[118:119]|, |v[128:129]|
	v_cndmask_b32_e32 v119, v119, v129, vcc
	v_cndmask_b32_e32 v118, v118, v128, vcc
	;; [unrolled: 1-line block ×3, first 2 shown]
	s_cbranch_scc1 .LBB112_660
.LBB112_661:
	s_waitcnt lgkmcnt(0)
	v_cmp_eq_f64_e32 vcc, 0, v[118:119]
	s_and_saveexec_b64 s[0:1], vcc
	s_xor_b64 s[0:1], exec, s[0:1]
; %bb.662:
	v_cmp_ne_u32_e32 vcc, 0, v126
	v_cndmask_b32_e32 v126, 40, v126, vcc
; %bb.663:
	s_andn2_saveexec_b64 s[0:1], s[0:1]
; %bb.664:
	v_div_scale_f64 v[128:129], s[2:3], v[118:119], v[118:119], 1.0
	v_rcp_f64_e32 v[130:131], v[128:129]
	v_div_scale_f64 v[132:133], vcc, 1.0, v[118:119], 1.0
	v_fma_f64 v[134:135], -v[128:129], v[130:131], 1.0
	v_fmac_f64_e32 v[130:131], v[130:131], v[134:135]
	v_fma_f64 v[134:135], -v[128:129], v[130:131], 1.0
	v_fmac_f64_e32 v[130:131], v[130:131], v[134:135]
	v_mul_f64 v[134:135], v[132:133], v[130:131]
	v_fma_f64 v[128:129], -v[128:129], v[134:135], v[132:133]
	v_div_fmas_f64 v[128:129], v[128:129], v[130:131], v[134:135]
	v_div_fixup_f64 v[118:119], v[128:129], v[118:119], 1.0
; %bb.665:
	s_or_b64 exec, exec, s[0:1]
	v_cmp_ne_u32_e32 vcc, v123, v120
	s_and_saveexec_b64 s[0:1], vcc
	s_xor_b64 s[0:1], exec, s[0:1]
	s_cbranch_execz .LBB112_671
; %bb.666:
	v_cmp_eq_u32_e32 vcc, 39, v123
	s_and_saveexec_b64 s[2:3], vcc
	s_cbranch_execz .LBB112_670
; %bb.667:
	v_cmp_ne_u32_e32 vcc, 39, v120
	s_xor_b64 s[14:15], s[6:7], -1
	s_and_b64 s[16:17], s[14:15], vcc
	s_and_saveexec_b64 s[14:15], s[16:17]
	s_cbranch_execz .LBB112_669
; %bb.668:
	v_ashrrev_i32_e32 v121, 31, v120
	v_lshlrev_b64 v[128:129], 2, v[120:121]
	v_add_co_u32_e32 v128, vcc, v4, v128
	v_addc_co_u32_e32 v129, vcc, v5, v129, vcc
	flat_load_dword v121, v[128:129]
	flat_load_dword v123, v[4:5] offset:156
	s_waitcnt vmcnt(0) lgkmcnt(0)
	flat_store_dword v[4:5], v121 offset:156
	flat_store_dword v[128:129], v123
.LBB112_669:
	s_or_b64 exec, exec, s[14:15]
	v_mov_b32_e32 v121, v120
	v_mov_b32_e32 v123, v120
.LBB112_670:
	s_or_b64 exec, exec, s[2:3]
.LBB112_671:
	s_andn2_saveexec_b64 s[0:1], s[0:1]
	s_cbranch_execz .LBB112_673
; %bb.672:
	v_mov_b32_e32 v128, v34
	v_mov_b32_e32 v129, v35
	v_mov_b32_e32 v130, v32
	v_mov_b32_e32 v131, v33
	ds_write2_b64 v122, v[128:129], v[130:131] offset0:40 offset1:41
	v_mov_b32_e32 v128, v30
	v_mov_b32_e32 v129, v31
	v_mov_b32_e32 v130, v28
	v_mov_b32_e32 v131, v29
	ds_write2_b64 v122, v[128:129], v[130:131] offset0:42 offset1:43
	v_mov_b32_e32 v128, v26
	v_mov_b32_e32 v129, v27
	v_mov_b32_e32 v130, v24
	v_mov_b32_e32 v131, v25
	ds_write2_b64 v122, v[128:129], v[130:131] offset0:44 offset1:45
	v_mov_b32_e32 v128, v22
	v_mov_b32_e32 v129, v23
	v_mov_b32_e32 v130, v20
	v_mov_b32_e32 v131, v21
	ds_write2_b64 v122, v[128:129], v[130:131] offset0:46 offset1:47
	v_mov_b32_e32 v128, v18
	v_mov_b32_e32 v129, v19
	v_mov_b32_e32 v130, v16
	v_mov_b32_e32 v131, v17
	ds_write2_b64 v122, v[128:129], v[130:131] offset0:48 offset1:49
	v_mov_b32_e32 v128, v14
	v_mov_b32_e32 v129, v15
	v_mov_b32_e32 v130, v12
	v_mov_b32_e32 v131, v13
	ds_write2_b64 v122, v[128:129], v[130:131] offset0:50 offset1:51
	v_mov_b32_e32 v128, v10
	v_mov_b32_e32 v129, v11
	v_mov_b32_e32 v130, v8
	v_mov_b32_e32 v131, v9
	ds_write2_b64 v122, v[128:129], v[130:131] offset0:52 offset1:53
	v_mov_b32_e32 v128, v6
	v_mov_b32_e32 v129, v7
	;; [unrolled: 1-line block ×5, first 2 shown]
	ds_write2_b64 v122, v[128:129], v[130:131] offset0:54 offset1:55
	ds_write_b64 v122, v[116:117] offset:448
.LBB112_673:
	s_or_b64 exec, exec, s[0:1]
	v_cmp_lt_i32_e32 vcc, 39, v123
	s_waitcnt lgkmcnt(0)
	s_barrier
	s_and_saveexec_b64 s[0:1], vcc
	s_cbranch_execz .LBB112_675
; %bb.674:
	ds_read2_b64 v[128:131], v122 offset0:40 offset1:41
	ds_read2_b64 v[132:135], v122 offset0:42 offset1:43
	v_mul_f64 v[36:37], v[118:119], v[36:37]
	ds_read2_b64 v[136:139], v122 offset0:44 offset1:45
	ds_read_b64 v[118:119], v122 offset:448
	s_waitcnt lgkmcnt(0)
	v_fma_f64 v[34:35], -v[36:37], v[128:129], v[34:35]
	v_fma_f64 v[32:33], -v[36:37], v[130:131], v[32:33]
	ds_read2_b64 v[128:131], v122 offset0:46 offset1:47
	v_fma_f64 v[30:31], -v[36:37], v[132:133], v[30:31]
	v_fma_f64 v[28:29], -v[36:37], v[134:135], v[28:29]
	ds_read2_b64 v[132:135], v122 offset0:48 offset1:49
	;; [unrolled: 3-line block ×3, first 2 shown]
	s_waitcnt lgkmcnt(0)
	v_fma_f64 v[22:23], -v[36:37], v[128:129], v[22:23]
	v_fma_f64 v[20:21], -v[36:37], v[130:131], v[20:21]
	v_fma_f64 v[18:19], -v[36:37], v[132:133], v[18:19]
	v_fma_f64 v[16:17], -v[36:37], v[134:135], v[16:17]
	ds_read2_b64 v[128:131], v122 offset0:52 offset1:53
	ds_read2_b64 v[132:135], v122 offset0:54 offset1:55
	v_fma_f64 v[14:15], -v[36:37], v[136:137], v[14:15]
	v_fma_f64 v[12:13], -v[36:37], v[138:139], v[12:13]
	;; [unrolled: 1-line block ×3, first 2 shown]
	s_waitcnt lgkmcnt(0)
	v_fma_f64 v[10:11], -v[36:37], v[128:129], v[10:11]
	v_fma_f64 v[8:9], -v[36:37], v[130:131], v[8:9]
	;; [unrolled: 1-line block ×4, first 2 shown]
.LBB112_675:
	s_or_b64 exec, exec, s[0:1]
	v_lshl_add_u32 v118, v123, 3, v122
	s_barrier
	ds_write_b64 v118, v[34:35]
	s_waitcnt lgkmcnt(0)
	s_barrier
	ds_read_b64 v[118:119], v122 offset:320
	s_cmp_lt_i32 s18, 42
	v_mov_b32_e32 v120, 40
	s_cbranch_scc1 .LBB112_678
; %bb.676:
	v_add_u32_e32 v127, 0x148, v122
	s_mov_b32 s0, 41
	v_mov_b32_e32 v120, 40
.LBB112_677:                            ; =>This Inner Loop Header: Depth=1
	ds_read_b64 v[128:129], v127
	v_mov_b32_e32 v130, s0
	s_add_i32 s0, s0, 1
	v_add_u32_e32 v127, 8, v127
	s_cmp_lg_u32 s18, s0
	s_waitcnt lgkmcnt(0)
	v_cmp_lt_f64_e64 vcc, |v[118:119]|, |v[128:129]|
	v_cndmask_b32_e32 v119, v119, v129, vcc
	v_cndmask_b32_e32 v118, v118, v128, vcc
	;; [unrolled: 1-line block ×3, first 2 shown]
	s_cbranch_scc1 .LBB112_677
.LBB112_678:
	s_waitcnt lgkmcnt(0)
	v_cmp_eq_f64_e32 vcc, 0, v[118:119]
	s_and_saveexec_b64 s[0:1], vcc
	s_xor_b64 s[0:1], exec, s[0:1]
; %bb.679:
	v_cmp_ne_u32_e32 vcc, 0, v126
	v_cndmask_b32_e32 v126, 41, v126, vcc
; %bb.680:
	s_andn2_saveexec_b64 s[0:1], s[0:1]
; %bb.681:
	v_div_scale_f64 v[128:129], s[2:3], v[118:119], v[118:119], 1.0
	v_rcp_f64_e32 v[130:131], v[128:129]
	v_div_scale_f64 v[132:133], vcc, 1.0, v[118:119], 1.0
	v_fma_f64 v[134:135], -v[128:129], v[130:131], 1.0
	v_fmac_f64_e32 v[130:131], v[130:131], v[134:135]
	v_fma_f64 v[134:135], -v[128:129], v[130:131], 1.0
	v_fmac_f64_e32 v[130:131], v[130:131], v[134:135]
	v_mul_f64 v[134:135], v[132:133], v[130:131]
	v_fma_f64 v[128:129], -v[128:129], v[134:135], v[132:133]
	v_div_fmas_f64 v[128:129], v[128:129], v[130:131], v[134:135]
	v_div_fixup_f64 v[118:119], v[128:129], v[118:119], 1.0
; %bb.682:
	s_or_b64 exec, exec, s[0:1]
	v_cmp_ne_u32_e32 vcc, v123, v120
	s_and_saveexec_b64 s[0:1], vcc
	s_xor_b64 s[0:1], exec, s[0:1]
	s_cbranch_execz .LBB112_688
; %bb.683:
	v_cmp_eq_u32_e32 vcc, 40, v123
	s_and_saveexec_b64 s[2:3], vcc
	s_cbranch_execz .LBB112_687
; %bb.684:
	v_cmp_ne_u32_e32 vcc, 40, v120
	s_xor_b64 s[14:15], s[6:7], -1
	s_and_b64 s[16:17], s[14:15], vcc
	s_and_saveexec_b64 s[14:15], s[16:17]
	s_cbranch_execz .LBB112_686
; %bb.685:
	v_ashrrev_i32_e32 v121, 31, v120
	v_lshlrev_b64 v[128:129], 2, v[120:121]
	v_add_co_u32_e32 v128, vcc, v4, v128
	v_addc_co_u32_e32 v129, vcc, v5, v129, vcc
	flat_load_dword v121, v[128:129]
	flat_load_dword v123, v[4:5] offset:160
	s_waitcnt vmcnt(0) lgkmcnt(0)
	flat_store_dword v[4:5], v121 offset:160
	flat_store_dword v[128:129], v123
.LBB112_686:
	s_or_b64 exec, exec, s[14:15]
	v_mov_b32_e32 v121, v120
	v_mov_b32_e32 v123, v120
.LBB112_687:
	s_or_b64 exec, exec, s[2:3]
.LBB112_688:
	s_andn2_saveexec_b64 s[0:1], s[0:1]
	s_cbranch_execz .LBB112_690
; %bb.689:
	v_mov_b32_e32 v123, 40
	ds_write2_b64 v122, v[32:33], v[30:31] offset0:41 offset1:42
	ds_write2_b64 v122, v[28:29], v[26:27] offset0:43 offset1:44
	;; [unrolled: 1-line block ×8, first 2 shown]
.LBB112_690:
	s_or_b64 exec, exec, s[0:1]
	v_cmp_lt_i32_e32 vcc, 40, v123
	s_waitcnt lgkmcnt(0)
	s_barrier
	s_and_saveexec_b64 s[0:1], vcc
	s_cbranch_execz .LBB112_692
; %bb.691:
	ds_read2_b64 v[128:131], v122 offset0:41 offset1:42
	ds_read2_b64 v[132:135], v122 offset0:43 offset1:44
	v_mul_f64 v[34:35], v[118:119], v[34:35]
	ds_read2_b64 v[136:139], v122 offset0:45 offset1:46
	s_waitcnt lgkmcnt(0)
	v_fma_f64 v[32:33], -v[34:35], v[128:129], v[32:33]
	v_fma_f64 v[30:31], -v[34:35], v[130:131], v[30:31]
	ds_read2_b64 v[128:131], v122 offset0:47 offset1:48
	v_fma_f64 v[28:29], -v[34:35], v[132:133], v[28:29]
	v_fma_f64 v[26:27], -v[34:35], v[134:135], v[26:27]
	ds_read2_b64 v[132:135], v122 offset0:49 offset1:50
	v_fma_f64 v[24:25], -v[34:35], v[136:137], v[24:25]
	v_fma_f64 v[22:23], -v[34:35], v[138:139], v[22:23]
	s_waitcnt lgkmcnt(0)
	v_fma_f64 v[20:21], -v[34:35], v[128:129], v[20:21]
	v_fma_f64 v[18:19], -v[34:35], v[130:131], v[18:19]
	ds_read2_b64 v[128:131], v122 offset0:51 offset1:52
	v_fma_f64 v[16:17], -v[34:35], v[132:133], v[16:17]
	ds_read2_b64 v[136:139], v122 offset0:53 offset1:54
	;; [unrolled: 2-line block ×3, first 2 shown]
	s_waitcnt lgkmcnt(0)
	v_fma_f64 v[12:13], -v[34:35], v[128:129], v[12:13]
	v_fma_f64 v[10:11], -v[34:35], v[130:131], v[10:11]
	;; [unrolled: 1-line block ×6, first 2 shown]
.LBB112_692:
	s_or_b64 exec, exec, s[0:1]
	v_lshl_add_u32 v118, v123, 3, v122
	s_barrier
	ds_write_b64 v118, v[32:33]
	s_waitcnt lgkmcnt(0)
	s_barrier
	ds_read_b64 v[118:119], v122 offset:328
	s_cmp_lt_i32 s18, 43
	v_mov_b32_e32 v120, 41
	s_cbranch_scc1 .LBB112_695
; %bb.693:
	v_add_u32_e32 v127, 0x150, v122
	s_mov_b32 s0, 42
	v_mov_b32_e32 v120, 41
.LBB112_694:                            ; =>This Inner Loop Header: Depth=1
	ds_read_b64 v[128:129], v127
	v_mov_b32_e32 v130, s0
	s_add_i32 s0, s0, 1
	v_add_u32_e32 v127, 8, v127
	s_cmp_lg_u32 s18, s0
	s_waitcnt lgkmcnt(0)
	v_cmp_lt_f64_e64 vcc, |v[118:119]|, |v[128:129]|
	v_cndmask_b32_e32 v119, v119, v129, vcc
	v_cndmask_b32_e32 v118, v118, v128, vcc
	;; [unrolled: 1-line block ×3, first 2 shown]
	s_cbranch_scc1 .LBB112_694
.LBB112_695:
	s_waitcnt lgkmcnt(0)
	v_cmp_eq_f64_e32 vcc, 0, v[118:119]
	s_and_saveexec_b64 s[0:1], vcc
	s_xor_b64 s[0:1], exec, s[0:1]
; %bb.696:
	v_cmp_ne_u32_e32 vcc, 0, v126
	v_cndmask_b32_e32 v126, 42, v126, vcc
; %bb.697:
	s_andn2_saveexec_b64 s[0:1], s[0:1]
; %bb.698:
	v_div_scale_f64 v[128:129], s[2:3], v[118:119], v[118:119], 1.0
	v_rcp_f64_e32 v[130:131], v[128:129]
	v_div_scale_f64 v[132:133], vcc, 1.0, v[118:119], 1.0
	v_fma_f64 v[134:135], -v[128:129], v[130:131], 1.0
	v_fmac_f64_e32 v[130:131], v[130:131], v[134:135]
	v_fma_f64 v[134:135], -v[128:129], v[130:131], 1.0
	v_fmac_f64_e32 v[130:131], v[130:131], v[134:135]
	v_mul_f64 v[134:135], v[132:133], v[130:131]
	v_fma_f64 v[128:129], -v[128:129], v[134:135], v[132:133]
	v_div_fmas_f64 v[128:129], v[128:129], v[130:131], v[134:135]
	v_div_fixup_f64 v[118:119], v[128:129], v[118:119], 1.0
; %bb.699:
	s_or_b64 exec, exec, s[0:1]
	v_cmp_ne_u32_e32 vcc, v123, v120
	s_and_saveexec_b64 s[0:1], vcc
	s_xor_b64 s[0:1], exec, s[0:1]
	s_cbranch_execz .LBB112_705
; %bb.700:
	v_cmp_eq_u32_e32 vcc, 41, v123
	s_and_saveexec_b64 s[2:3], vcc
	s_cbranch_execz .LBB112_704
; %bb.701:
	v_cmp_ne_u32_e32 vcc, 41, v120
	s_xor_b64 s[14:15], s[6:7], -1
	s_and_b64 s[16:17], s[14:15], vcc
	s_and_saveexec_b64 s[14:15], s[16:17]
	s_cbranch_execz .LBB112_703
; %bb.702:
	v_ashrrev_i32_e32 v121, 31, v120
	v_lshlrev_b64 v[128:129], 2, v[120:121]
	v_add_co_u32_e32 v128, vcc, v4, v128
	v_addc_co_u32_e32 v129, vcc, v5, v129, vcc
	flat_load_dword v121, v[128:129]
	flat_load_dword v123, v[4:5] offset:164
	s_waitcnt vmcnt(0) lgkmcnt(0)
	flat_store_dword v[4:5], v121 offset:164
	flat_store_dword v[128:129], v123
.LBB112_703:
	s_or_b64 exec, exec, s[14:15]
	v_mov_b32_e32 v121, v120
	v_mov_b32_e32 v123, v120
.LBB112_704:
	s_or_b64 exec, exec, s[2:3]
.LBB112_705:
	s_andn2_saveexec_b64 s[0:1], s[0:1]
	s_cbranch_execz .LBB112_707
; %bb.706:
	v_mov_b32_e32 v128, v30
	v_mov_b32_e32 v129, v31
	v_mov_b32_e32 v130, v28
	v_mov_b32_e32 v131, v29
	ds_write2_b64 v122, v[128:129], v[130:131] offset0:42 offset1:43
	v_mov_b32_e32 v128, v26
	v_mov_b32_e32 v129, v27
	v_mov_b32_e32 v130, v24
	v_mov_b32_e32 v131, v25
	ds_write2_b64 v122, v[128:129], v[130:131] offset0:44 offset1:45
	v_mov_b32_e32 v128, v22
	v_mov_b32_e32 v129, v23
	v_mov_b32_e32 v130, v20
	v_mov_b32_e32 v131, v21
	ds_write2_b64 v122, v[128:129], v[130:131] offset0:46 offset1:47
	v_mov_b32_e32 v128, v18
	v_mov_b32_e32 v129, v19
	v_mov_b32_e32 v130, v16
	v_mov_b32_e32 v131, v17
	ds_write2_b64 v122, v[128:129], v[130:131] offset0:48 offset1:49
	v_mov_b32_e32 v128, v14
	v_mov_b32_e32 v129, v15
	v_mov_b32_e32 v130, v12
	v_mov_b32_e32 v131, v13
	ds_write2_b64 v122, v[128:129], v[130:131] offset0:50 offset1:51
	v_mov_b32_e32 v128, v10
	v_mov_b32_e32 v129, v11
	v_mov_b32_e32 v130, v8
	v_mov_b32_e32 v131, v9
	ds_write2_b64 v122, v[128:129], v[130:131] offset0:52 offset1:53
	v_mov_b32_e32 v128, v6
	v_mov_b32_e32 v129, v7
	;; [unrolled: 1-line block ×5, first 2 shown]
	ds_write2_b64 v122, v[128:129], v[130:131] offset0:54 offset1:55
	ds_write_b64 v122, v[116:117] offset:448
.LBB112_707:
	s_or_b64 exec, exec, s[0:1]
	v_cmp_lt_i32_e32 vcc, 41, v123
	s_waitcnt lgkmcnt(0)
	s_barrier
	s_and_saveexec_b64 s[0:1], vcc
	s_cbranch_execz .LBB112_709
; %bb.708:
	ds_read2_b64 v[128:131], v122 offset0:42 offset1:43
	ds_read2_b64 v[132:135], v122 offset0:44 offset1:45
	v_mul_f64 v[32:33], v[118:119], v[32:33]
	ds_read2_b64 v[136:139], v122 offset0:46 offset1:47
	ds_read_b64 v[118:119], v122 offset:448
	s_waitcnt lgkmcnt(0)
	v_fma_f64 v[30:31], -v[32:33], v[128:129], v[30:31]
	v_fma_f64 v[28:29], -v[32:33], v[130:131], v[28:29]
	ds_read2_b64 v[128:131], v122 offset0:48 offset1:49
	v_fma_f64 v[26:27], -v[32:33], v[132:133], v[26:27]
	v_fma_f64 v[24:25], -v[32:33], v[134:135], v[24:25]
	;; [unrolled: 1-line block ×3, first 2 shown]
	ds_read2_b64 v[132:135], v122 offset0:50 offset1:51
	v_fma_f64 v[20:21], -v[32:33], v[138:139], v[20:21]
	s_waitcnt lgkmcnt(0)
	v_fma_f64 v[18:19], -v[32:33], v[128:129], v[18:19]
	v_fma_f64 v[16:17], -v[32:33], v[130:131], v[16:17]
	ds_read2_b64 v[128:131], v122 offset0:52 offset1:53
	ds_read2_b64 v[136:139], v122 offset0:54 offset1:55
	v_fma_f64 v[14:15], -v[32:33], v[132:133], v[14:15]
	v_fma_f64 v[12:13], -v[32:33], v[134:135], v[12:13]
	;; [unrolled: 1-line block ×3, first 2 shown]
	s_waitcnt lgkmcnt(0)
	v_fma_f64 v[10:11], -v[32:33], v[128:129], v[10:11]
	v_fma_f64 v[8:9], -v[32:33], v[130:131], v[8:9]
	;; [unrolled: 1-line block ×4, first 2 shown]
.LBB112_709:
	s_or_b64 exec, exec, s[0:1]
	v_lshl_add_u32 v118, v123, 3, v122
	s_barrier
	ds_write_b64 v118, v[30:31]
	s_waitcnt lgkmcnt(0)
	s_barrier
	ds_read_b64 v[118:119], v122 offset:336
	s_cmp_lt_i32 s18, 44
	v_mov_b32_e32 v120, 42
	s_cbranch_scc1 .LBB112_712
; %bb.710:
	v_add_u32_e32 v127, 0x158, v122
	s_mov_b32 s0, 43
	v_mov_b32_e32 v120, 42
.LBB112_711:                            ; =>This Inner Loop Header: Depth=1
	ds_read_b64 v[128:129], v127
	v_mov_b32_e32 v130, s0
	s_add_i32 s0, s0, 1
	v_add_u32_e32 v127, 8, v127
	s_cmp_lg_u32 s18, s0
	s_waitcnt lgkmcnt(0)
	v_cmp_lt_f64_e64 vcc, |v[118:119]|, |v[128:129]|
	v_cndmask_b32_e32 v119, v119, v129, vcc
	v_cndmask_b32_e32 v118, v118, v128, vcc
	v_cndmask_b32_e32 v120, v120, v130, vcc
	s_cbranch_scc1 .LBB112_711
.LBB112_712:
	s_waitcnt lgkmcnt(0)
	v_cmp_eq_f64_e32 vcc, 0, v[118:119]
	s_and_saveexec_b64 s[0:1], vcc
	s_xor_b64 s[0:1], exec, s[0:1]
; %bb.713:
	v_cmp_ne_u32_e32 vcc, 0, v126
	v_cndmask_b32_e32 v126, 43, v126, vcc
; %bb.714:
	s_andn2_saveexec_b64 s[0:1], s[0:1]
; %bb.715:
	v_div_scale_f64 v[128:129], s[2:3], v[118:119], v[118:119], 1.0
	v_rcp_f64_e32 v[130:131], v[128:129]
	v_div_scale_f64 v[132:133], vcc, 1.0, v[118:119], 1.0
	v_fma_f64 v[134:135], -v[128:129], v[130:131], 1.0
	v_fmac_f64_e32 v[130:131], v[130:131], v[134:135]
	v_fma_f64 v[134:135], -v[128:129], v[130:131], 1.0
	v_fmac_f64_e32 v[130:131], v[130:131], v[134:135]
	v_mul_f64 v[134:135], v[132:133], v[130:131]
	v_fma_f64 v[128:129], -v[128:129], v[134:135], v[132:133]
	v_div_fmas_f64 v[128:129], v[128:129], v[130:131], v[134:135]
	v_div_fixup_f64 v[118:119], v[128:129], v[118:119], 1.0
; %bb.716:
	s_or_b64 exec, exec, s[0:1]
	v_cmp_ne_u32_e32 vcc, v123, v120
	s_and_saveexec_b64 s[0:1], vcc
	s_xor_b64 s[0:1], exec, s[0:1]
	s_cbranch_execz .LBB112_722
; %bb.717:
	v_cmp_eq_u32_e32 vcc, 42, v123
	s_and_saveexec_b64 s[2:3], vcc
	s_cbranch_execz .LBB112_721
; %bb.718:
	v_cmp_ne_u32_e32 vcc, 42, v120
	s_xor_b64 s[14:15], s[6:7], -1
	s_and_b64 s[16:17], s[14:15], vcc
	s_and_saveexec_b64 s[14:15], s[16:17]
	s_cbranch_execz .LBB112_720
; %bb.719:
	v_ashrrev_i32_e32 v121, 31, v120
	v_lshlrev_b64 v[128:129], 2, v[120:121]
	v_add_co_u32_e32 v128, vcc, v4, v128
	v_addc_co_u32_e32 v129, vcc, v5, v129, vcc
	flat_load_dword v121, v[128:129]
	flat_load_dword v123, v[4:5] offset:168
	s_waitcnt vmcnt(0) lgkmcnt(0)
	flat_store_dword v[4:5], v121 offset:168
	flat_store_dword v[128:129], v123
.LBB112_720:
	s_or_b64 exec, exec, s[14:15]
	v_mov_b32_e32 v121, v120
	v_mov_b32_e32 v123, v120
.LBB112_721:
	s_or_b64 exec, exec, s[2:3]
.LBB112_722:
	s_andn2_saveexec_b64 s[0:1], s[0:1]
	s_cbranch_execz .LBB112_724
; %bb.723:
	v_mov_b32_e32 v123, 42
	ds_write2_b64 v122, v[28:29], v[26:27] offset0:43 offset1:44
	ds_write2_b64 v122, v[24:25], v[22:23] offset0:45 offset1:46
	ds_write2_b64 v122, v[20:21], v[18:19] offset0:47 offset1:48
	ds_write2_b64 v122, v[16:17], v[14:15] offset0:49 offset1:50
	ds_write2_b64 v122, v[12:13], v[10:11] offset0:51 offset1:52
	ds_write2_b64 v122, v[8:9], v[6:7] offset0:53 offset1:54
	ds_write2_b64 v122, v[0:1], v[116:117] offset0:55 offset1:56
.LBB112_724:
	s_or_b64 exec, exec, s[0:1]
	v_cmp_lt_i32_e32 vcc, 42, v123
	s_waitcnt lgkmcnt(0)
	s_barrier
	s_and_saveexec_b64 s[0:1], vcc
	s_cbranch_execz .LBB112_726
; %bb.725:
	ds_read2_b64 v[128:131], v122 offset0:43 offset1:44
	ds_read2_b64 v[132:135], v122 offset0:45 offset1:46
	v_mul_f64 v[30:31], v[118:119], v[30:31]
	ds_read2_b64 v[136:139], v122 offset0:47 offset1:48
	s_waitcnt lgkmcnt(0)
	v_fma_f64 v[28:29], -v[30:31], v[128:129], v[28:29]
	v_fma_f64 v[26:27], -v[30:31], v[130:131], v[26:27]
	ds_read2_b64 v[128:131], v122 offset0:49 offset1:50
	v_fma_f64 v[24:25], -v[30:31], v[132:133], v[24:25]
	v_fma_f64 v[22:23], -v[30:31], v[134:135], v[22:23]
	;; [unrolled: 1-line block ×4, first 2 shown]
	ds_read2_b64 v[132:135], v122 offset0:51 offset1:52
	ds_read2_b64 v[136:139], v122 offset0:53 offset1:54
	s_waitcnt lgkmcnt(0)
	v_fma_f64 v[16:17], -v[30:31], v[128:129], v[16:17]
	v_fma_f64 v[14:15], -v[30:31], v[130:131], v[14:15]
	ds_read2_b64 v[128:131], v122 offset0:55 offset1:56
	v_fma_f64 v[12:13], -v[30:31], v[132:133], v[12:13]
	v_fma_f64 v[10:11], -v[30:31], v[134:135], v[10:11]
	;; [unrolled: 1-line block ×4, first 2 shown]
	s_waitcnt lgkmcnt(0)
	v_fma_f64 v[0:1], -v[30:31], v[128:129], v[0:1]
	v_fma_f64 v[116:117], -v[30:31], v[130:131], v[116:117]
.LBB112_726:
	s_or_b64 exec, exec, s[0:1]
	v_lshl_add_u32 v118, v123, 3, v122
	s_barrier
	ds_write_b64 v118, v[28:29]
	s_waitcnt lgkmcnt(0)
	s_barrier
	ds_read_b64 v[118:119], v122 offset:344
	s_cmp_lt_i32 s18, 45
	v_mov_b32_e32 v120, 43
	s_cbranch_scc1 .LBB112_729
; %bb.727:
	v_add_u32_e32 v127, 0x160, v122
	s_mov_b32 s0, 44
	v_mov_b32_e32 v120, 43
.LBB112_728:                            ; =>This Inner Loop Header: Depth=1
	ds_read_b64 v[128:129], v127
	v_mov_b32_e32 v130, s0
	s_add_i32 s0, s0, 1
	v_add_u32_e32 v127, 8, v127
	s_cmp_lg_u32 s18, s0
	s_waitcnt lgkmcnt(0)
	v_cmp_lt_f64_e64 vcc, |v[118:119]|, |v[128:129]|
	v_cndmask_b32_e32 v119, v119, v129, vcc
	v_cndmask_b32_e32 v118, v118, v128, vcc
	;; [unrolled: 1-line block ×3, first 2 shown]
	s_cbranch_scc1 .LBB112_728
.LBB112_729:
	s_waitcnt lgkmcnt(0)
	v_cmp_eq_f64_e32 vcc, 0, v[118:119]
	s_and_saveexec_b64 s[0:1], vcc
	s_xor_b64 s[0:1], exec, s[0:1]
; %bb.730:
	v_cmp_ne_u32_e32 vcc, 0, v126
	v_cndmask_b32_e32 v126, 44, v126, vcc
; %bb.731:
	s_andn2_saveexec_b64 s[0:1], s[0:1]
; %bb.732:
	v_div_scale_f64 v[128:129], s[2:3], v[118:119], v[118:119], 1.0
	v_rcp_f64_e32 v[130:131], v[128:129]
	v_div_scale_f64 v[132:133], vcc, 1.0, v[118:119], 1.0
	v_fma_f64 v[134:135], -v[128:129], v[130:131], 1.0
	v_fmac_f64_e32 v[130:131], v[130:131], v[134:135]
	v_fma_f64 v[134:135], -v[128:129], v[130:131], 1.0
	v_fmac_f64_e32 v[130:131], v[130:131], v[134:135]
	v_mul_f64 v[134:135], v[132:133], v[130:131]
	v_fma_f64 v[128:129], -v[128:129], v[134:135], v[132:133]
	v_div_fmas_f64 v[128:129], v[128:129], v[130:131], v[134:135]
	v_div_fixup_f64 v[118:119], v[128:129], v[118:119], 1.0
; %bb.733:
	s_or_b64 exec, exec, s[0:1]
	v_cmp_ne_u32_e32 vcc, v123, v120
	s_and_saveexec_b64 s[0:1], vcc
	s_xor_b64 s[0:1], exec, s[0:1]
	s_cbranch_execz .LBB112_739
; %bb.734:
	v_cmp_eq_u32_e32 vcc, 43, v123
	s_and_saveexec_b64 s[2:3], vcc
	s_cbranch_execz .LBB112_738
; %bb.735:
	v_cmp_ne_u32_e32 vcc, 43, v120
	s_xor_b64 s[14:15], s[6:7], -1
	s_and_b64 s[16:17], s[14:15], vcc
	s_and_saveexec_b64 s[14:15], s[16:17]
	s_cbranch_execz .LBB112_737
; %bb.736:
	v_ashrrev_i32_e32 v121, 31, v120
	v_lshlrev_b64 v[128:129], 2, v[120:121]
	v_add_co_u32_e32 v128, vcc, v4, v128
	v_addc_co_u32_e32 v129, vcc, v5, v129, vcc
	flat_load_dword v121, v[128:129]
	flat_load_dword v123, v[4:5] offset:172
	s_waitcnt vmcnt(0) lgkmcnt(0)
	flat_store_dword v[4:5], v121 offset:172
	flat_store_dword v[128:129], v123
.LBB112_737:
	s_or_b64 exec, exec, s[14:15]
	v_mov_b32_e32 v121, v120
	v_mov_b32_e32 v123, v120
.LBB112_738:
	s_or_b64 exec, exec, s[2:3]
.LBB112_739:
	s_andn2_saveexec_b64 s[0:1], s[0:1]
	s_cbranch_execz .LBB112_741
; %bb.740:
	v_mov_b32_e32 v128, v26
	v_mov_b32_e32 v129, v27
	v_mov_b32_e32 v130, v24
	v_mov_b32_e32 v131, v25
	ds_write2_b64 v122, v[128:129], v[130:131] offset0:44 offset1:45
	v_mov_b32_e32 v128, v22
	v_mov_b32_e32 v129, v23
	v_mov_b32_e32 v130, v20
	v_mov_b32_e32 v131, v21
	ds_write2_b64 v122, v[128:129], v[130:131] offset0:46 offset1:47
	;; [unrolled: 5-line block ×5, first 2 shown]
	v_mov_b32_e32 v128, v6
	v_mov_b32_e32 v129, v7
	;; [unrolled: 1-line block ×5, first 2 shown]
	ds_write2_b64 v122, v[128:129], v[130:131] offset0:54 offset1:55
	ds_write_b64 v122, v[116:117] offset:448
.LBB112_741:
	s_or_b64 exec, exec, s[0:1]
	v_cmp_lt_i32_e32 vcc, 43, v123
	s_waitcnt lgkmcnt(0)
	s_barrier
	s_and_saveexec_b64 s[0:1], vcc
	s_cbranch_execz .LBB112_743
; %bb.742:
	ds_read2_b64 v[128:131], v122 offset0:44 offset1:45
	ds_read2_b64 v[132:135], v122 offset0:46 offset1:47
	;; [unrolled: 1-line block ×3, first 2 shown]
	v_mul_f64 v[28:29], v[118:119], v[28:29]
	ds_read_b64 v[118:119], v122 offset:448
	s_waitcnt lgkmcnt(0)
	v_fma_f64 v[26:27], -v[28:29], v[128:129], v[26:27]
	v_fma_f64 v[24:25], -v[28:29], v[130:131], v[24:25]
	ds_read2_b64 v[128:131], v122 offset0:50 offset1:51
	v_fma_f64 v[22:23], -v[28:29], v[132:133], v[22:23]
	v_fma_f64 v[20:21], -v[28:29], v[134:135], v[20:21]
	;; [unrolled: 1-line block ×4, first 2 shown]
	ds_read2_b64 v[132:135], v122 offset0:52 offset1:53
	ds_read2_b64 v[136:139], v122 offset0:54 offset1:55
	s_waitcnt lgkmcnt(0)
	v_fma_f64 v[14:15], -v[28:29], v[128:129], v[14:15]
	v_fma_f64 v[12:13], -v[28:29], v[130:131], v[12:13]
	;; [unrolled: 1-line block ×7, first 2 shown]
.LBB112_743:
	s_or_b64 exec, exec, s[0:1]
	v_lshl_add_u32 v118, v123, 3, v122
	s_barrier
	ds_write_b64 v118, v[26:27]
	s_waitcnt lgkmcnt(0)
	s_barrier
	ds_read_b64 v[118:119], v122 offset:352
	s_cmp_lt_i32 s18, 46
	v_mov_b32_e32 v120, 44
	s_cbranch_scc1 .LBB112_746
; %bb.744:
	v_add_u32_e32 v127, 0x168, v122
	s_mov_b32 s0, 45
	v_mov_b32_e32 v120, 44
.LBB112_745:                            ; =>This Inner Loop Header: Depth=1
	ds_read_b64 v[128:129], v127
	v_mov_b32_e32 v130, s0
	s_add_i32 s0, s0, 1
	v_add_u32_e32 v127, 8, v127
	s_cmp_lg_u32 s18, s0
	s_waitcnt lgkmcnt(0)
	v_cmp_lt_f64_e64 vcc, |v[118:119]|, |v[128:129]|
	v_cndmask_b32_e32 v119, v119, v129, vcc
	v_cndmask_b32_e32 v118, v118, v128, vcc
	;; [unrolled: 1-line block ×3, first 2 shown]
	s_cbranch_scc1 .LBB112_745
.LBB112_746:
	s_waitcnt lgkmcnt(0)
	v_cmp_eq_f64_e32 vcc, 0, v[118:119]
	s_and_saveexec_b64 s[0:1], vcc
	s_xor_b64 s[0:1], exec, s[0:1]
; %bb.747:
	v_cmp_ne_u32_e32 vcc, 0, v126
	v_cndmask_b32_e32 v126, 45, v126, vcc
; %bb.748:
	s_andn2_saveexec_b64 s[0:1], s[0:1]
; %bb.749:
	v_div_scale_f64 v[128:129], s[2:3], v[118:119], v[118:119], 1.0
	v_rcp_f64_e32 v[130:131], v[128:129]
	v_div_scale_f64 v[132:133], vcc, 1.0, v[118:119], 1.0
	v_fma_f64 v[134:135], -v[128:129], v[130:131], 1.0
	v_fmac_f64_e32 v[130:131], v[130:131], v[134:135]
	v_fma_f64 v[134:135], -v[128:129], v[130:131], 1.0
	v_fmac_f64_e32 v[130:131], v[130:131], v[134:135]
	v_mul_f64 v[134:135], v[132:133], v[130:131]
	v_fma_f64 v[128:129], -v[128:129], v[134:135], v[132:133]
	v_div_fmas_f64 v[128:129], v[128:129], v[130:131], v[134:135]
	v_div_fixup_f64 v[118:119], v[128:129], v[118:119], 1.0
; %bb.750:
	s_or_b64 exec, exec, s[0:1]
	v_cmp_ne_u32_e32 vcc, v123, v120
	s_and_saveexec_b64 s[0:1], vcc
	s_xor_b64 s[0:1], exec, s[0:1]
	s_cbranch_execz .LBB112_756
; %bb.751:
	v_cmp_eq_u32_e32 vcc, 44, v123
	s_and_saveexec_b64 s[2:3], vcc
	s_cbranch_execz .LBB112_755
; %bb.752:
	v_cmp_ne_u32_e32 vcc, 44, v120
	s_xor_b64 s[14:15], s[6:7], -1
	s_and_b64 s[16:17], s[14:15], vcc
	s_and_saveexec_b64 s[14:15], s[16:17]
	s_cbranch_execz .LBB112_754
; %bb.753:
	v_ashrrev_i32_e32 v121, 31, v120
	v_lshlrev_b64 v[128:129], 2, v[120:121]
	v_add_co_u32_e32 v128, vcc, v4, v128
	v_addc_co_u32_e32 v129, vcc, v5, v129, vcc
	flat_load_dword v121, v[128:129]
	flat_load_dword v123, v[4:5] offset:176
	s_waitcnt vmcnt(0) lgkmcnt(0)
	flat_store_dword v[4:5], v121 offset:176
	flat_store_dword v[128:129], v123
.LBB112_754:
	s_or_b64 exec, exec, s[14:15]
	v_mov_b32_e32 v121, v120
	v_mov_b32_e32 v123, v120
.LBB112_755:
	s_or_b64 exec, exec, s[2:3]
.LBB112_756:
	s_andn2_saveexec_b64 s[0:1], s[0:1]
	s_cbranch_execz .LBB112_758
; %bb.757:
	v_mov_b32_e32 v123, 44
	ds_write2_b64 v122, v[24:25], v[22:23] offset0:45 offset1:46
	ds_write2_b64 v122, v[20:21], v[18:19] offset0:47 offset1:48
	;; [unrolled: 1-line block ×6, first 2 shown]
.LBB112_758:
	s_or_b64 exec, exec, s[0:1]
	v_cmp_lt_i32_e32 vcc, 44, v123
	s_waitcnt lgkmcnt(0)
	s_barrier
	s_and_saveexec_b64 s[0:1], vcc
	s_cbranch_execz .LBB112_760
; %bb.759:
	ds_read2_b64 v[128:131], v122 offset0:45 offset1:46
	ds_read2_b64 v[132:135], v122 offset0:47 offset1:48
	;; [unrolled: 1-line block ×3, first 2 shown]
	v_mul_f64 v[26:27], v[118:119], v[26:27]
	s_waitcnt lgkmcnt(0)
	v_fma_f64 v[24:25], -v[26:27], v[128:129], v[24:25]
	v_fma_f64 v[22:23], -v[26:27], v[130:131], v[22:23]
	ds_read2_b64 v[128:131], v122 offset0:51 offset1:52
	v_fma_f64 v[20:21], -v[26:27], v[132:133], v[20:21]
	v_fma_f64 v[18:19], -v[26:27], v[134:135], v[18:19]
	;; [unrolled: 1-line block ×3, first 2 shown]
	ds_read2_b64 v[132:135], v122 offset0:53 offset1:54
	v_fma_f64 v[14:15], -v[26:27], v[138:139], v[14:15]
	ds_read2_b64 v[136:139], v122 offset0:55 offset1:56
	s_waitcnt lgkmcnt(0)
	v_fma_f64 v[12:13], -v[26:27], v[128:129], v[12:13]
	v_fma_f64 v[10:11], -v[26:27], v[130:131], v[10:11]
	;; [unrolled: 1-line block ×6, first 2 shown]
.LBB112_760:
	s_or_b64 exec, exec, s[0:1]
	v_lshl_add_u32 v118, v123, 3, v122
	s_barrier
	ds_write_b64 v118, v[24:25]
	s_waitcnt lgkmcnt(0)
	s_barrier
	ds_read_b64 v[118:119], v122 offset:360
	s_cmp_lt_i32 s18, 47
	v_mov_b32_e32 v120, 45
	s_cbranch_scc1 .LBB112_763
; %bb.761:
	v_add_u32_e32 v127, 0x170, v122
	s_mov_b32 s0, 46
	v_mov_b32_e32 v120, 45
.LBB112_762:                            ; =>This Inner Loop Header: Depth=1
	ds_read_b64 v[128:129], v127
	v_mov_b32_e32 v130, s0
	s_add_i32 s0, s0, 1
	v_add_u32_e32 v127, 8, v127
	s_cmp_lg_u32 s18, s0
	s_waitcnt lgkmcnt(0)
	v_cmp_lt_f64_e64 vcc, |v[118:119]|, |v[128:129]|
	v_cndmask_b32_e32 v119, v119, v129, vcc
	v_cndmask_b32_e32 v118, v118, v128, vcc
	;; [unrolled: 1-line block ×3, first 2 shown]
	s_cbranch_scc1 .LBB112_762
.LBB112_763:
	s_waitcnt lgkmcnt(0)
	v_cmp_eq_f64_e32 vcc, 0, v[118:119]
	s_and_saveexec_b64 s[0:1], vcc
	s_xor_b64 s[0:1], exec, s[0:1]
; %bb.764:
	v_cmp_ne_u32_e32 vcc, 0, v126
	v_cndmask_b32_e32 v126, 46, v126, vcc
; %bb.765:
	s_andn2_saveexec_b64 s[0:1], s[0:1]
; %bb.766:
	v_div_scale_f64 v[128:129], s[2:3], v[118:119], v[118:119], 1.0
	v_rcp_f64_e32 v[130:131], v[128:129]
	v_div_scale_f64 v[132:133], vcc, 1.0, v[118:119], 1.0
	v_fma_f64 v[134:135], -v[128:129], v[130:131], 1.0
	v_fmac_f64_e32 v[130:131], v[130:131], v[134:135]
	v_fma_f64 v[134:135], -v[128:129], v[130:131], 1.0
	v_fmac_f64_e32 v[130:131], v[130:131], v[134:135]
	v_mul_f64 v[134:135], v[132:133], v[130:131]
	v_fma_f64 v[128:129], -v[128:129], v[134:135], v[132:133]
	v_div_fmas_f64 v[128:129], v[128:129], v[130:131], v[134:135]
	v_div_fixup_f64 v[118:119], v[128:129], v[118:119], 1.0
; %bb.767:
	s_or_b64 exec, exec, s[0:1]
	v_cmp_ne_u32_e32 vcc, v123, v120
	s_and_saveexec_b64 s[0:1], vcc
	s_xor_b64 s[0:1], exec, s[0:1]
	s_cbranch_execz .LBB112_773
; %bb.768:
	v_cmp_eq_u32_e32 vcc, 45, v123
	s_and_saveexec_b64 s[2:3], vcc
	s_cbranch_execz .LBB112_772
; %bb.769:
	v_cmp_ne_u32_e32 vcc, 45, v120
	s_xor_b64 s[14:15], s[6:7], -1
	s_and_b64 s[16:17], s[14:15], vcc
	s_and_saveexec_b64 s[14:15], s[16:17]
	s_cbranch_execz .LBB112_771
; %bb.770:
	v_ashrrev_i32_e32 v121, 31, v120
	v_lshlrev_b64 v[128:129], 2, v[120:121]
	v_add_co_u32_e32 v128, vcc, v4, v128
	v_addc_co_u32_e32 v129, vcc, v5, v129, vcc
	flat_load_dword v121, v[128:129]
	flat_load_dword v123, v[4:5] offset:180
	s_waitcnt vmcnt(0) lgkmcnt(0)
	flat_store_dword v[4:5], v121 offset:180
	flat_store_dword v[128:129], v123
.LBB112_771:
	s_or_b64 exec, exec, s[14:15]
	v_mov_b32_e32 v121, v120
	v_mov_b32_e32 v123, v120
.LBB112_772:
	s_or_b64 exec, exec, s[2:3]
.LBB112_773:
	s_andn2_saveexec_b64 s[0:1], s[0:1]
	s_cbranch_execz .LBB112_775
; %bb.774:
	v_mov_b32_e32 v128, v22
	v_mov_b32_e32 v129, v23
	v_mov_b32_e32 v130, v20
	v_mov_b32_e32 v131, v21
	ds_write2_b64 v122, v[128:129], v[130:131] offset0:46 offset1:47
	v_mov_b32_e32 v128, v18
	v_mov_b32_e32 v129, v19
	v_mov_b32_e32 v130, v16
	v_mov_b32_e32 v131, v17
	ds_write2_b64 v122, v[128:129], v[130:131] offset0:48 offset1:49
	;; [unrolled: 5-line block ×4, first 2 shown]
	v_mov_b32_e32 v128, v6
	v_mov_b32_e32 v129, v7
	v_mov_b32_e32 v130, v0
	v_mov_b32_e32 v131, v1
	v_mov_b32_e32 v123, 45
	ds_write2_b64 v122, v[128:129], v[130:131] offset0:54 offset1:55
	ds_write_b64 v122, v[116:117] offset:448
.LBB112_775:
	s_or_b64 exec, exec, s[0:1]
	v_cmp_lt_i32_e32 vcc, 45, v123
	s_waitcnt lgkmcnt(0)
	s_barrier
	s_and_saveexec_b64 s[0:1], vcc
	s_cbranch_execz .LBB112_777
; %bb.776:
	ds_read2_b64 v[128:131], v122 offset0:46 offset1:47
	ds_read2_b64 v[132:135], v122 offset0:48 offset1:49
	v_mul_f64 v[24:25], v[118:119], v[24:25]
	ds_read2_b64 v[136:139], v122 offset0:50 offset1:51
	ds_read_b64 v[118:119], v122 offset:448
	s_waitcnt lgkmcnt(0)
	v_fma_f64 v[22:23], -v[24:25], v[128:129], v[22:23]
	v_fma_f64 v[20:21], -v[24:25], v[130:131], v[20:21]
	ds_read2_b64 v[128:131], v122 offset0:52 offset1:53
	v_fma_f64 v[18:19], -v[24:25], v[132:133], v[18:19]
	v_fma_f64 v[16:17], -v[24:25], v[134:135], v[16:17]
	ds_read2_b64 v[132:135], v122 offset0:54 offset1:55
	v_fma_f64 v[14:15], -v[24:25], v[136:137], v[14:15]
	v_fma_f64 v[12:13], -v[24:25], v[138:139], v[12:13]
	s_waitcnt lgkmcnt(0)
	v_fma_f64 v[10:11], -v[24:25], v[128:129], v[10:11]
	v_fma_f64 v[8:9], -v[24:25], v[130:131], v[8:9]
	;; [unrolled: 1-line block ×5, first 2 shown]
.LBB112_777:
	s_or_b64 exec, exec, s[0:1]
	v_lshl_add_u32 v118, v123, 3, v122
	s_barrier
	ds_write_b64 v118, v[22:23]
	s_waitcnt lgkmcnt(0)
	s_barrier
	ds_read_b64 v[118:119], v122 offset:368
	s_cmp_lt_i32 s18, 48
	v_mov_b32_e32 v120, 46
	s_cbranch_scc1 .LBB112_780
; %bb.778:
	v_add_u32_e32 v127, 0x178, v122
	s_mov_b32 s0, 47
	v_mov_b32_e32 v120, 46
.LBB112_779:                            ; =>This Inner Loop Header: Depth=1
	ds_read_b64 v[128:129], v127
	v_mov_b32_e32 v130, s0
	s_add_i32 s0, s0, 1
	v_add_u32_e32 v127, 8, v127
	s_cmp_lg_u32 s18, s0
	s_waitcnt lgkmcnt(0)
	v_cmp_lt_f64_e64 vcc, |v[118:119]|, |v[128:129]|
	v_cndmask_b32_e32 v119, v119, v129, vcc
	v_cndmask_b32_e32 v118, v118, v128, vcc
	;; [unrolled: 1-line block ×3, first 2 shown]
	s_cbranch_scc1 .LBB112_779
.LBB112_780:
	s_waitcnt lgkmcnt(0)
	v_cmp_eq_f64_e32 vcc, 0, v[118:119]
	s_and_saveexec_b64 s[0:1], vcc
	s_xor_b64 s[0:1], exec, s[0:1]
; %bb.781:
	v_cmp_ne_u32_e32 vcc, 0, v126
	v_cndmask_b32_e32 v126, 47, v126, vcc
; %bb.782:
	s_andn2_saveexec_b64 s[0:1], s[0:1]
; %bb.783:
	v_div_scale_f64 v[128:129], s[2:3], v[118:119], v[118:119], 1.0
	v_rcp_f64_e32 v[130:131], v[128:129]
	v_div_scale_f64 v[132:133], vcc, 1.0, v[118:119], 1.0
	v_fma_f64 v[134:135], -v[128:129], v[130:131], 1.0
	v_fmac_f64_e32 v[130:131], v[130:131], v[134:135]
	v_fma_f64 v[134:135], -v[128:129], v[130:131], 1.0
	v_fmac_f64_e32 v[130:131], v[130:131], v[134:135]
	v_mul_f64 v[134:135], v[132:133], v[130:131]
	v_fma_f64 v[128:129], -v[128:129], v[134:135], v[132:133]
	v_div_fmas_f64 v[128:129], v[128:129], v[130:131], v[134:135]
	v_div_fixup_f64 v[118:119], v[128:129], v[118:119], 1.0
; %bb.784:
	s_or_b64 exec, exec, s[0:1]
	v_cmp_ne_u32_e32 vcc, v123, v120
	s_and_saveexec_b64 s[0:1], vcc
	s_xor_b64 s[0:1], exec, s[0:1]
	s_cbranch_execz .LBB112_790
; %bb.785:
	v_cmp_eq_u32_e32 vcc, 46, v123
	s_and_saveexec_b64 s[2:3], vcc
	s_cbranch_execz .LBB112_789
; %bb.786:
	v_cmp_ne_u32_e32 vcc, 46, v120
	s_xor_b64 s[14:15], s[6:7], -1
	s_and_b64 s[16:17], s[14:15], vcc
	s_and_saveexec_b64 s[14:15], s[16:17]
	s_cbranch_execz .LBB112_788
; %bb.787:
	v_ashrrev_i32_e32 v121, 31, v120
	v_lshlrev_b64 v[128:129], 2, v[120:121]
	v_add_co_u32_e32 v128, vcc, v4, v128
	v_addc_co_u32_e32 v129, vcc, v5, v129, vcc
	flat_load_dword v121, v[128:129]
	flat_load_dword v123, v[4:5] offset:184
	s_waitcnt vmcnt(0) lgkmcnt(0)
	flat_store_dword v[4:5], v121 offset:184
	flat_store_dword v[128:129], v123
.LBB112_788:
	s_or_b64 exec, exec, s[14:15]
	v_mov_b32_e32 v121, v120
	v_mov_b32_e32 v123, v120
.LBB112_789:
	s_or_b64 exec, exec, s[2:3]
.LBB112_790:
	s_andn2_saveexec_b64 s[0:1], s[0:1]
	s_cbranch_execz .LBB112_792
; %bb.791:
	v_mov_b32_e32 v123, 46
	ds_write2_b64 v122, v[20:21], v[18:19] offset0:47 offset1:48
	ds_write2_b64 v122, v[16:17], v[14:15] offset0:49 offset1:50
	;; [unrolled: 1-line block ×5, first 2 shown]
.LBB112_792:
	s_or_b64 exec, exec, s[0:1]
	v_cmp_lt_i32_e32 vcc, 46, v123
	s_waitcnt lgkmcnt(0)
	s_barrier
	s_and_saveexec_b64 s[0:1], vcc
	s_cbranch_execz .LBB112_794
; %bb.793:
	ds_read2_b64 v[128:131], v122 offset0:47 offset1:48
	ds_read2_b64 v[132:135], v122 offset0:49 offset1:50
	v_mul_f64 v[22:23], v[118:119], v[22:23]
	ds_read2_b64 v[136:139], v122 offset0:53 offset1:54
	s_waitcnt lgkmcnt(0)
	v_fma_f64 v[20:21], -v[22:23], v[128:129], v[20:21]
	v_fma_f64 v[18:19], -v[22:23], v[130:131], v[18:19]
	ds_read2_b64 v[128:131], v122 offset0:51 offset1:52
	v_fma_f64 v[16:17], -v[22:23], v[132:133], v[16:17]
	v_fma_f64 v[14:15], -v[22:23], v[134:135], v[14:15]
	ds_read2_b64 v[132:135], v122 offset0:55 offset1:56
	v_fma_f64 v[8:9], -v[22:23], v[136:137], v[8:9]
	s_waitcnt lgkmcnt(0)
	v_fma_f64 v[12:13], -v[22:23], v[128:129], v[12:13]
	v_fma_f64 v[10:11], -v[22:23], v[130:131], v[10:11]
	;; [unrolled: 1-line block ×5, first 2 shown]
.LBB112_794:
	s_or_b64 exec, exec, s[0:1]
	v_lshl_add_u32 v118, v123, 3, v122
	s_barrier
	ds_write_b64 v118, v[20:21]
	s_waitcnt lgkmcnt(0)
	s_barrier
	ds_read_b64 v[118:119], v122 offset:376
	s_cmp_lt_i32 s18, 49
	v_mov_b32_e32 v120, 47
	s_cbranch_scc1 .LBB112_797
; %bb.795:
	v_add_u32_e32 v127, 0x180, v122
	s_mov_b32 s0, 48
	v_mov_b32_e32 v120, 47
.LBB112_796:                            ; =>This Inner Loop Header: Depth=1
	ds_read_b64 v[128:129], v127
	v_mov_b32_e32 v130, s0
	s_add_i32 s0, s0, 1
	v_add_u32_e32 v127, 8, v127
	s_cmp_lg_u32 s18, s0
	s_waitcnt lgkmcnt(0)
	v_cmp_lt_f64_e64 vcc, |v[118:119]|, |v[128:129]|
	v_cndmask_b32_e32 v119, v119, v129, vcc
	v_cndmask_b32_e32 v118, v118, v128, vcc
	;; [unrolled: 1-line block ×3, first 2 shown]
	s_cbranch_scc1 .LBB112_796
.LBB112_797:
	s_waitcnt lgkmcnt(0)
	v_cmp_eq_f64_e32 vcc, 0, v[118:119]
	s_and_saveexec_b64 s[0:1], vcc
	s_xor_b64 s[0:1], exec, s[0:1]
; %bb.798:
	v_cmp_ne_u32_e32 vcc, 0, v126
	v_cndmask_b32_e32 v126, 48, v126, vcc
; %bb.799:
	s_andn2_saveexec_b64 s[0:1], s[0:1]
; %bb.800:
	v_div_scale_f64 v[128:129], s[2:3], v[118:119], v[118:119], 1.0
	v_rcp_f64_e32 v[130:131], v[128:129]
	v_div_scale_f64 v[132:133], vcc, 1.0, v[118:119], 1.0
	v_fma_f64 v[134:135], -v[128:129], v[130:131], 1.0
	v_fmac_f64_e32 v[130:131], v[130:131], v[134:135]
	v_fma_f64 v[134:135], -v[128:129], v[130:131], 1.0
	v_fmac_f64_e32 v[130:131], v[130:131], v[134:135]
	v_mul_f64 v[134:135], v[132:133], v[130:131]
	v_fma_f64 v[128:129], -v[128:129], v[134:135], v[132:133]
	v_div_fmas_f64 v[128:129], v[128:129], v[130:131], v[134:135]
	v_div_fixup_f64 v[118:119], v[128:129], v[118:119], 1.0
; %bb.801:
	s_or_b64 exec, exec, s[0:1]
	v_cmp_ne_u32_e32 vcc, v123, v120
	s_and_saveexec_b64 s[0:1], vcc
	s_xor_b64 s[0:1], exec, s[0:1]
	s_cbranch_execz .LBB112_807
; %bb.802:
	v_cmp_eq_u32_e32 vcc, 47, v123
	s_and_saveexec_b64 s[2:3], vcc
	s_cbranch_execz .LBB112_806
; %bb.803:
	v_cmp_ne_u32_e32 vcc, 47, v120
	s_xor_b64 s[14:15], s[6:7], -1
	s_and_b64 s[16:17], s[14:15], vcc
	s_and_saveexec_b64 s[14:15], s[16:17]
	s_cbranch_execz .LBB112_805
; %bb.804:
	v_ashrrev_i32_e32 v121, 31, v120
	v_lshlrev_b64 v[128:129], 2, v[120:121]
	v_add_co_u32_e32 v128, vcc, v4, v128
	v_addc_co_u32_e32 v129, vcc, v5, v129, vcc
	flat_load_dword v121, v[128:129]
	flat_load_dword v123, v[4:5] offset:188
	s_waitcnt vmcnt(0) lgkmcnt(0)
	flat_store_dword v[4:5], v121 offset:188
	flat_store_dword v[128:129], v123
.LBB112_805:
	s_or_b64 exec, exec, s[14:15]
	v_mov_b32_e32 v121, v120
	v_mov_b32_e32 v123, v120
.LBB112_806:
	s_or_b64 exec, exec, s[2:3]
.LBB112_807:
	s_andn2_saveexec_b64 s[0:1], s[0:1]
	s_cbranch_execz .LBB112_809
; %bb.808:
	v_mov_b32_e32 v128, v18
	v_mov_b32_e32 v129, v19
	v_mov_b32_e32 v130, v16
	v_mov_b32_e32 v131, v17
	ds_write2_b64 v122, v[128:129], v[130:131] offset0:48 offset1:49
	v_mov_b32_e32 v128, v14
	v_mov_b32_e32 v129, v15
	v_mov_b32_e32 v130, v12
	v_mov_b32_e32 v131, v13
	ds_write2_b64 v122, v[128:129], v[130:131] offset0:50 offset1:51
	;; [unrolled: 5-line block ×3, first 2 shown]
	v_mov_b32_e32 v128, v6
	v_mov_b32_e32 v129, v7
	;; [unrolled: 1-line block ×5, first 2 shown]
	ds_write2_b64 v122, v[128:129], v[130:131] offset0:54 offset1:55
	ds_write_b64 v122, v[116:117] offset:448
.LBB112_809:
	s_or_b64 exec, exec, s[0:1]
	v_cmp_lt_i32_e32 vcc, 47, v123
	s_waitcnt lgkmcnt(0)
	s_barrier
	s_and_saveexec_b64 s[0:1], vcc
	s_cbranch_execz .LBB112_811
; %bb.810:
	ds_read2_b64 v[128:131], v122 offset0:48 offset1:49
	ds_read2_b64 v[132:135], v122 offset0:50 offset1:51
	v_mul_f64 v[20:21], v[118:119], v[20:21]
	ds_read_b64 v[118:119], v122 offset:448
	ds_read2_b64 v[136:139], v122 offset0:54 offset1:55
	s_waitcnt lgkmcnt(0)
	v_fma_f64 v[18:19], -v[20:21], v[128:129], v[18:19]
	v_fma_f64 v[16:17], -v[20:21], v[130:131], v[16:17]
	ds_read2_b64 v[128:131], v122 offset0:52 offset1:53
	v_fma_f64 v[14:15], -v[20:21], v[132:133], v[14:15]
	v_fma_f64 v[12:13], -v[20:21], v[134:135], v[12:13]
	;; [unrolled: 1-line block ×4, first 2 shown]
	s_waitcnt lgkmcnt(0)
	v_fma_f64 v[10:11], -v[20:21], v[128:129], v[10:11]
	v_fma_f64 v[8:9], -v[20:21], v[130:131], v[8:9]
	;; [unrolled: 1-line block ×3, first 2 shown]
.LBB112_811:
	s_or_b64 exec, exec, s[0:1]
	v_lshl_add_u32 v118, v123, 3, v122
	s_barrier
	ds_write_b64 v118, v[18:19]
	s_waitcnt lgkmcnt(0)
	s_barrier
	ds_read_b64 v[118:119], v122 offset:384
	s_cmp_lt_i32 s18, 50
	v_mov_b32_e32 v120, 48
	s_cbranch_scc1 .LBB112_814
; %bb.812:
	v_add_u32_e32 v127, 0x188, v122
	s_mov_b32 s0, 49
	v_mov_b32_e32 v120, 48
.LBB112_813:                            ; =>This Inner Loop Header: Depth=1
	ds_read_b64 v[128:129], v127
	v_mov_b32_e32 v130, s0
	s_add_i32 s0, s0, 1
	v_add_u32_e32 v127, 8, v127
	s_cmp_lg_u32 s18, s0
	s_waitcnt lgkmcnt(0)
	v_cmp_lt_f64_e64 vcc, |v[118:119]|, |v[128:129]|
	v_cndmask_b32_e32 v119, v119, v129, vcc
	v_cndmask_b32_e32 v118, v118, v128, vcc
	;; [unrolled: 1-line block ×3, first 2 shown]
	s_cbranch_scc1 .LBB112_813
.LBB112_814:
	s_waitcnt lgkmcnt(0)
	v_cmp_eq_f64_e32 vcc, 0, v[118:119]
	s_and_saveexec_b64 s[0:1], vcc
	s_xor_b64 s[0:1], exec, s[0:1]
; %bb.815:
	v_cmp_ne_u32_e32 vcc, 0, v126
	v_cndmask_b32_e32 v126, 49, v126, vcc
; %bb.816:
	s_andn2_saveexec_b64 s[0:1], s[0:1]
; %bb.817:
	v_div_scale_f64 v[128:129], s[2:3], v[118:119], v[118:119], 1.0
	v_rcp_f64_e32 v[130:131], v[128:129]
	v_div_scale_f64 v[132:133], vcc, 1.0, v[118:119], 1.0
	v_fma_f64 v[134:135], -v[128:129], v[130:131], 1.0
	v_fmac_f64_e32 v[130:131], v[130:131], v[134:135]
	v_fma_f64 v[134:135], -v[128:129], v[130:131], 1.0
	v_fmac_f64_e32 v[130:131], v[130:131], v[134:135]
	v_mul_f64 v[134:135], v[132:133], v[130:131]
	v_fma_f64 v[128:129], -v[128:129], v[134:135], v[132:133]
	v_div_fmas_f64 v[128:129], v[128:129], v[130:131], v[134:135]
	v_div_fixup_f64 v[118:119], v[128:129], v[118:119], 1.0
; %bb.818:
	s_or_b64 exec, exec, s[0:1]
	v_cmp_ne_u32_e32 vcc, v123, v120
	s_and_saveexec_b64 s[0:1], vcc
	s_xor_b64 s[0:1], exec, s[0:1]
	s_cbranch_execz .LBB112_824
; %bb.819:
	v_cmp_eq_u32_e32 vcc, 48, v123
	s_and_saveexec_b64 s[2:3], vcc
	s_cbranch_execz .LBB112_823
; %bb.820:
	v_cmp_ne_u32_e32 vcc, 48, v120
	s_xor_b64 s[14:15], s[6:7], -1
	s_and_b64 s[16:17], s[14:15], vcc
	s_and_saveexec_b64 s[14:15], s[16:17]
	s_cbranch_execz .LBB112_822
; %bb.821:
	v_ashrrev_i32_e32 v121, 31, v120
	v_lshlrev_b64 v[128:129], 2, v[120:121]
	v_add_co_u32_e32 v128, vcc, v4, v128
	v_addc_co_u32_e32 v129, vcc, v5, v129, vcc
	flat_load_dword v121, v[128:129]
	flat_load_dword v123, v[4:5] offset:192
	s_waitcnt vmcnt(0) lgkmcnt(0)
	flat_store_dword v[4:5], v121 offset:192
	flat_store_dword v[128:129], v123
.LBB112_822:
	s_or_b64 exec, exec, s[14:15]
	v_mov_b32_e32 v121, v120
	v_mov_b32_e32 v123, v120
.LBB112_823:
	s_or_b64 exec, exec, s[2:3]
.LBB112_824:
	s_andn2_saveexec_b64 s[0:1], s[0:1]
	s_cbranch_execz .LBB112_826
; %bb.825:
	v_mov_b32_e32 v123, 48
	ds_write2_b64 v122, v[16:17], v[14:15] offset0:49 offset1:50
	ds_write2_b64 v122, v[12:13], v[10:11] offset0:51 offset1:52
	;; [unrolled: 1-line block ×4, first 2 shown]
.LBB112_826:
	s_or_b64 exec, exec, s[0:1]
	v_cmp_lt_i32_e32 vcc, 48, v123
	s_waitcnt lgkmcnt(0)
	s_barrier
	s_and_saveexec_b64 s[0:1], vcc
	s_cbranch_execz .LBB112_828
; %bb.827:
	ds_read2_b64 v[128:131], v122 offset0:49 offset1:50
	ds_read2_b64 v[132:135], v122 offset0:51 offset1:52
	v_mul_f64 v[18:19], v[118:119], v[18:19]
	ds_read2_b64 v[136:139], v122 offset0:53 offset1:54
	s_waitcnt lgkmcnt(0)
	v_fma_f64 v[16:17], -v[18:19], v[128:129], v[16:17]
	v_fma_f64 v[14:15], -v[18:19], v[130:131], v[14:15]
	ds_read2_b64 v[128:131], v122 offset0:55 offset1:56
	v_fma_f64 v[12:13], -v[18:19], v[132:133], v[12:13]
	v_fma_f64 v[10:11], -v[18:19], v[134:135], v[10:11]
	;; [unrolled: 1-line block ×4, first 2 shown]
	s_waitcnt lgkmcnt(0)
	v_fma_f64 v[0:1], -v[18:19], v[128:129], v[0:1]
	v_fma_f64 v[116:117], -v[18:19], v[130:131], v[116:117]
.LBB112_828:
	s_or_b64 exec, exec, s[0:1]
	v_lshl_add_u32 v118, v123, 3, v122
	s_barrier
	ds_write_b64 v118, v[16:17]
	s_waitcnt lgkmcnt(0)
	s_barrier
	ds_read_b64 v[118:119], v122 offset:392
	s_cmp_lt_i32 s18, 51
	v_mov_b32_e32 v120, 49
	s_cbranch_scc1 .LBB112_831
; %bb.829:
	v_add_u32_e32 v127, 0x190, v122
	s_mov_b32 s0, 50
	v_mov_b32_e32 v120, 49
.LBB112_830:                            ; =>This Inner Loop Header: Depth=1
	ds_read_b64 v[128:129], v127
	v_mov_b32_e32 v130, s0
	s_add_i32 s0, s0, 1
	v_add_u32_e32 v127, 8, v127
	s_cmp_lg_u32 s18, s0
	s_waitcnt lgkmcnt(0)
	v_cmp_lt_f64_e64 vcc, |v[118:119]|, |v[128:129]|
	v_cndmask_b32_e32 v119, v119, v129, vcc
	v_cndmask_b32_e32 v118, v118, v128, vcc
	;; [unrolled: 1-line block ×3, first 2 shown]
	s_cbranch_scc1 .LBB112_830
.LBB112_831:
	s_waitcnt lgkmcnt(0)
	v_cmp_eq_f64_e32 vcc, 0, v[118:119]
	s_and_saveexec_b64 s[0:1], vcc
	s_xor_b64 s[0:1], exec, s[0:1]
; %bb.832:
	v_cmp_ne_u32_e32 vcc, 0, v126
	v_cndmask_b32_e32 v126, 50, v126, vcc
; %bb.833:
	s_andn2_saveexec_b64 s[0:1], s[0:1]
; %bb.834:
	v_div_scale_f64 v[128:129], s[2:3], v[118:119], v[118:119], 1.0
	v_rcp_f64_e32 v[130:131], v[128:129]
	v_div_scale_f64 v[132:133], vcc, 1.0, v[118:119], 1.0
	v_fma_f64 v[134:135], -v[128:129], v[130:131], 1.0
	v_fmac_f64_e32 v[130:131], v[130:131], v[134:135]
	v_fma_f64 v[134:135], -v[128:129], v[130:131], 1.0
	v_fmac_f64_e32 v[130:131], v[130:131], v[134:135]
	v_mul_f64 v[134:135], v[132:133], v[130:131]
	v_fma_f64 v[128:129], -v[128:129], v[134:135], v[132:133]
	v_div_fmas_f64 v[128:129], v[128:129], v[130:131], v[134:135]
	v_div_fixup_f64 v[118:119], v[128:129], v[118:119], 1.0
; %bb.835:
	s_or_b64 exec, exec, s[0:1]
	v_cmp_ne_u32_e32 vcc, v123, v120
	s_and_saveexec_b64 s[0:1], vcc
	s_xor_b64 s[0:1], exec, s[0:1]
	s_cbranch_execz .LBB112_841
; %bb.836:
	v_cmp_eq_u32_e32 vcc, 49, v123
	s_and_saveexec_b64 s[2:3], vcc
	s_cbranch_execz .LBB112_840
; %bb.837:
	v_cmp_ne_u32_e32 vcc, 49, v120
	s_xor_b64 s[14:15], s[6:7], -1
	s_and_b64 s[16:17], s[14:15], vcc
	s_and_saveexec_b64 s[14:15], s[16:17]
	s_cbranch_execz .LBB112_839
; %bb.838:
	v_ashrrev_i32_e32 v121, 31, v120
	v_lshlrev_b64 v[128:129], 2, v[120:121]
	v_add_co_u32_e32 v128, vcc, v4, v128
	v_addc_co_u32_e32 v129, vcc, v5, v129, vcc
	flat_load_dword v121, v[128:129]
	flat_load_dword v123, v[4:5] offset:196
	s_waitcnt vmcnt(0) lgkmcnt(0)
	flat_store_dword v[4:5], v121 offset:196
	flat_store_dword v[128:129], v123
.LBB112_839:
	s_or_b64 exec, exec, s[14:15]
	v_mov_b32_e32 v121, v120
	v_mov_b32_e32 v123, v120
.LBB112_840:
	s_or_b64 exec, exec, s[2:3]
.LBB112_841:
	s_andn2_saveexec_b64 s[0:1], s[0:1]
	s_cbranch_execz .LBB112_843
; %bb.842:
	v_mov_b32_e32 v128, v14
	v_mov_b32_e32 v129, v15
	;; [unrolled: 1-line block ×4, first 2 shown]
	ds_write2_b64 v122, v[128:129], v[130:131] offset0:50 offset1:51
	v_mov_b32_e32 v128, v10
	v_mov_b32_e32 v129, v11
	;; [unrolled: 1-line block ×4, first 2 shown]
	ds_write2_b64 v122, v[128:129], v[130:131] offset0:52 offset1:53
	v_mov_b32_e32 v128, v6
	v_mov_b32_e32 v129, v7
	;; [unrolled: 1-line block ×5, first 2 shown]
	ds_write2_b64 v122, v[128:129], v[130:131] offset0:54 offset1:55
	ds_write_b64 v122, v[116:117] offset:448
.LBB112_843:
	s_or_b64 exec, exec, s[0:1]
	v_cmp_lt_i32_e32 vcc, 49, v123
	s_waitcnt lgkmcnt(0)
	s_barrier
	s_and_saveexec_b64 s[0:1], vcc
	s_cbranch_execz .LBB112_845
; %bb.844:
	ds_read2_b64 v[128:131], v122 offset0:50 offset1:51
	ds_read2_b64 v[132:135], v122 offset0:52 offset1:53
	v_mul_f64 v[16:17], v[118:119], v[16:17]
	ds_read2_b64 v[136:139], v122 offset0:54 offset1:55
	ds_read_b64 v[118:119], v122 offset:448
	s_waitcnt lgkmcnt(0)
	v_fma_f64 v[14:15], -v[16:17], v[128:129], v[14:15]
	v_fma_f64 v[12:13], -v[16:17], v[130:131], v[12:13]
	;; [unrolled: 1-line block ×7, first 2 shown]
.LBB112_845:
	s_or_b64 exec, exec, s[0:1]
	v_lshl_add_u32 v118, v123, 3, v122
	s_barrier
	ds_write_b64 v118, v[14:15]
	s_waitcnt lgkmcnt(0)
	s_barrier
	ds_read_b64 v[118:119], v122 offset:400
	s_cmp_lt_i32 s18, 52
	v_mov_b32_e32 v120, 50
	s_cbranch_scc1 .LBB112_848
; %bb.846:
	v_add_u32_e32 v127, 0x198, v122
	s_mov_b32 s0, 51
	v_mov_b32_e32 v120, 50
.LBB112_847:                            ; =>This Inner Loop Header: Depth=1
	ds_read_b64 v[128:129], v127
	v_mov_b32_e32 v130, s0
	s_add_i32 s0, s0, 1
	v_add_u32_e32 v127, 8, v127
	s_cmp_lg_u32 s18, s0
	s_waitcnt lgkmcnt(0)
	v_cmp_lt_f64_e64 vcc, |v[118:119]|, |v[128:129]|
	v_cndmask_b32_e32 v119, v119, v129, vcc
	v_cndmask_b32_e32 v118, v118, v128, vcc
	;; [unrolled: 1-line block ×3, first 2 shown]
	s_cbranch_scc1 .LBB112_847
.LBB112_848:
	s_waitcnt lgkmcnt(0)
	v_cmp_eq_f64_e32 vcc, 0, v[118:119]
	s_and_saveexec_b64 s[0:1], vcc
	s_xor_b64 s[0:1], exec, s[0:1]
; %bb.849:
	v_cmp_ne_u32_e32 vcc, 0, v126
	v_cndmask_b32_e32 v126, 51, v126, vcc
; %bb.850:
	s_andn2_saveexec_b64 s[0:1], s[0:1]
; %bb.851:
	v_div_scale_f64 v[128:129], s[2:3], v[118:119], v[118:119], 1.0
	v_rcp_f64_e32 v[130:131], v[128:129]
	v_div_scale_f64 v[132:133], vcc, 1.0, v[118:119], 1.0
	v_fma_f64 v[134:135], -v[128:129], v[130:131], 1.0
	v_fmac_f64_e32 v[130:131], v[130:131], v[134:135]
	v_fma_f64 v[134:135], -v[128:129], v[130:131], 1.0
	v_fmac_f64_e32 v[130:131], v[130:131], v[134:135]
	v_mul_f64 v[134:135], v[132:133], v[130:131]
	v_fma_f64 v[128:129], -v[128:129], v[134:135], v[132:133]
	v_div_fmas_f64 v[128:129], v[128:129], v[130:131], v[134:135]
	v_div_fixup_f64 v[118:119], v[128:129], v[118:119], 1.0
; %bb.852:
	s_or_b64 exec, exec, s[0:1]
	v_cmp_ne_u32_e32 vcc, v123, v120
	s_and_saveexec_b64 s[0:1], vcc
	s_xor_b64 s[0:1], exec, s[0:1]
	s_cbranch_execz .LBB112_858
; %bb.853:
	v_cmp_eq_u32_e32 vcc, 50, v123
	s_and_saveexec_b64 s[2:3], vcc
	s_cbranch_execz .LBB112_857
; %bb.854:
	v_cmp_ne_u32_e32 vcc, 50, v120
	s_xor_b64 s[14:15], s[6:7], -1
	s_and_b64 s[16:17], s[14:15], vcc
	s_and_saveexec_b64 s[14:15], s[16:17]
	s_cbranch_execz .LBB112_856
; %bb.855:
	v_ashrrev_i32_e32 v121, 31, v120
	v_lshlrev_b64 v[128:129], 2, v[120:121]
	v_add_co_u32_e32 v128, vcc, v4, v128
	v_addc_co_u32_e32 v129, vcc, v5, v129, vcc
	flat_load_dword v121, v[128:129]
	flat_load_dword v123, v[4:5] offset:200
	s_waitcnt vmcnt(0) lgkmcnt(0)
	flat_store_dword v[4:5], v121 offset:200
	flat_store_dword v[128:129], v123
.LBB112_856:
	s_or_b64 exec, exec, s[14:15]
	v_mov_b32_e32 v121, v120
	v_mov_b32_e32 v123, v120
.LBB112_857:
	s_or_b64 exec, exec, s[2:3]
.LBB112_858:
	s_andn2_saveexec_b64 s[0:1], s[0:1]
	s_cbranch_execz .LBB112_860
; %bb.859:
	v_mov_b32_e32 v123, 50
	ds_write2_b64 v122, v[12:13], v[10:11] offset0:51 offset1:52
	ds_write2_b64 v122, v[8:9], v[6:7] offset0:53 offset1:54
	;; [unrolled: 1-line block ×3, first 2 shown]
.LBB112_860:
	s_or_b64 exec, exec, s[0:1]
	v_cmp_lt_i32_e32 vcc, 50, v123
	s_waitcnt lgkmcnt(0)
	s_barrier
	s_and_saveexec_b64 s[0:1], vcc
	s_cbranch_execz .LBB112_862
; %bb.861:
	ds_read2_b64 v[128:131], v122 offset0:51 offset1:52
	ds_read2_b64 v[132:135], v122 offset0:53 offset1:54
	;; [unrolled: 1-line block ×3, first 2 shown]
	v_mul_f64 v[14:15], v[118:119], v[14:15]
	s_waitcnt lgkmcnt(0)
	v_fma_f64 v[12:13], -v[14:15], v[128:129], v[12:13]
	v_fma_f64 v[10:11], -v[14:15], v[130:131], v[10:11]
	;; [unrolled: 1-line block ×6, first 2 shown]
.LBB112_862:
	s_or_b64 exec, exec, s[0:1]
	v_lshl_add_u32 v118, v123, 3, v122
	s_barrier
	ds_write_b64 v118, v[12:13]
	s_waitcnt lgkmcnt(0)
	s_barrier
	ds_read_b64 v[118:119], v122 offset:408
	s_cmp_lt_i32 s18, 53
	v_mov_b32_e32 v120, 51
	s_cbranch_scc1 .LBB112_865
; %bb.863:
	v_add_u32_e32 v127, 0x1a0, v122
	s_mov_b32 s0, 52
	v_mov_b32_e32 v120, 51
.LBB112_864:                            ; =>This Inner Loop Header: Depth=1
	ds_read_b64 v[128:129], v127
	v_mov_b32_e32 v130, s0
	s_add_i32 s0, s0, 1
	v_add_u32_e32 v127, 8, v127
	s_cmp_lg_u32 s18, s0
	s_waitcnt lgkmcnt(0)
	v_cmp_lt_f64_e64 vcc, |v[118:119]|, |v[128:129]|
	v_cndmask_b32_e32 v119, v119, v129, vcc
	v_cndmask_b32_e32 v118, v118, v128, vcc
	;; [unrolled: 1-line block ×3, first 2 shown]
	s_cbranch_scc1 .LBB112_864
.LBB112_865:
	s_waitcnt lgkmcnt(0)
	v_cmp_eq_f64_e32 vcc, 0, v[118:119]
	s_and_saveexec_b64 s[0:1], vcc
	s_xor_b64 s[0:1], exec, s[0:1]
; %bb.866:
	v_cmp_ne_u32_e32 vcc, 0, v126
	v_cndmask_b32_e32 v126, 52, v126, vcc
; %bb.867:
	s_andn2_saveexec_b64 s[0:1], s[0:1]
; %bb.868:
	v_div_scale_f64 v[128:129], s[2:3], v[118:119], v[118:119], 1.0
	v_rcp_f64_e32 v[130:131], v[128:129]
	v_div_scale_f64 v[132:133], vcc, 1.0, v[118:119], 1.0
	v_fma_f64 v[134:135], -v[128:129], v[130:131], 1.0
	v_fmac_f64_e32 v[130:131], v[130:131], v[134:135]
	v_fma_f64 v[134:135], -v[128:129], v[130:131], 1.0
	v_fmac_f64_e32 v[130:131], v[130:131], v[134:135]
	v_mul_f64 v[134:135], v[132:133], v[130:131]
	v_fma_f64 v[128:129], -v[128:129], v[134:135], v[132:133]
	v_div_fmas_f64 v[128:129], v[128:129], v[130:131], v[134:135]
	v_div_fixup_f64 v[118:119], v[128:129], v[118:119], 1.0
; %bb.869:
	s_or_b64 exec, exec, s[0:1]
	v_cmp_ne_u32_e32 vcc, v123, v120
	s_and_saveexec_b64 s[0:1], vcc
	s_xor_b64 s[0:1], exec, s[0:1]
	s_cbranch_execz .LBB112_875
; %bb.870:
	v_cmp_eq_u32_e32 vcc, 51, v123
	s_and_saveexec_b64 s[2:3], vcc
	s_cbranch_execz .LBB112_874
; %bb.871:
	v_cmp_ne_u32_e32 vcc, 51, v120
	s_xor_b64 s[14:15], s[6:7], -1
	s_and_b64 s[16:17], s[14:15], vcc
	s_and_saveexec_b64 s[14:15], s[16:17]
	s_cbranch_execz .LBB112_873
; %bb.872:
	v_ashrrev_i32_e32 v121, 31, v120
	v_lshlrev_b64 v[128:129], 2, v[120:121]
	v_add_co_u32_e32 v128, vcc, v4, v128
	v_addc_co_u32_e32 v129, vcc, v5, v129, vcc
	flat_load_dword v121, v[128:129]
	flat_load_dword v123, v[4:5] offset:204
	s_waitcnt vmcnt(0) lgkmcnt(0)
	flat_store_dword v[4:5], v121 offset:204
	flat_store_dword v[128:129], v123
.LBB112_873:
	s_or_b64 exec, exec, s[14:15]
	v_mov_b32_e32 v121, v120
	v_mov_b32_e32 v123, v120
.LBB112_874:
	s_or_b64 exec, exec, s[2:3]
.LBB112_875:
	s_andn2_saveexec_b64 s[0:1], s[0:1]
	s_cbranch_execz .LBB112_877
; %bb.876:
	v_mov_b32_e32 v128, v10
	v_mov_b32_e32 v129, v11
	;; [unrolled: 1-line block ×4, first 2 shown]
	ds_write2_b64 v122, v[128:129], v[130:131] offset0:52 offset1:53
	v_mov_b32_e32 v128, v6
	v_mov_b32_e32 v129, v7
	;; [unrolled: 1-line block ×5, first 2 shown]
	ds_write2_b64 v122, v[128:129], v[130:131] offset0:54 offset1:55
	ds_write_b64 v122, v[116:117] offset:448
.LBB112_877:
	s_or_b64 exec, exec, s[0:1]
	v_cmp_lt_i32_e32 vcc, 51, v123
	s_waitcnt lgkmcnt(0)
	s_barrier
	s_and_saveexec_b64 s[0:1], vcc
	s_cbranch_execz .LBB112_879
; %bb.878:
	ds_read2_b64 v[128:131], v122 offset0:52 offset1:53
	ds_read2_b64 v[132:135], v122 offset0:54 offset1:55
	v_mul_f64 v[12:13], v[118:119], v[12:13]
	ds_read_b64 v[118:119], v122 offset:448
	s_waitcnt lgkmcnt(0)
	v_fma_f64 v[10:11], -v[12:13], v[128:129], v[10:11]
	v_fma_f64 v[8:9], -v[12:13], v[130:131], v[8:9]
	;; [unrolled: 1-line block ×5, first 2 shown]
.LBB112_879:
	s_or_b64 exec, exec, s[0:1]
	v_lshl_add_u32 v118, v123, 3, v122
	s_barrier
	ds_write_b64 v118, v[10:11]
	s_waitcnt lgkmcnt(0)
	s_barrier
	ds_read_b64 v[118:119], v122 offset:416
	s_cmp_lt_i32 s18, 54
	v_mov_b32_e32 v120, 52
	s_cbranch_scc1 .LBB112_882
; %bb.880:
	v_add_u32_e32 v127, 0x1a8, v122
	s_mov_b32 s0, 53
	v_mov_b32_e32 v120, 52
.LBB112_881:                            ; =>This Inner Loop Header: Depth=1
	ds_read_b64 v[128:129], v127
	v_mov_b32_e32 v130, s0
	s_add_i32 s0, s0, 1
	v_add_u32_e32 v127, 8, v127
	s_cmp_lg_u32 s18, s0
	s_waitcnt lgkmcnt(0)
	v_cmp_lt_f64_e64 vcc, |v[118:119]|, |v[128:129]|
	v_cndmask_b32_e32 v119, v119, v129, vcc
	v_cndmask_b32_e32 v118, v118, v128, vcc
	;; [unrolled: 1-line block ×3, first 2 shown]
	s_cbranch_scc1 .LBB112_881
.LBB112_882:
	s_waitcnt lgkmcnt(0)
	v_cmp_eq_f64_e32 vcc, 0, v[118:119]
	s_and_saveexec_b64 s[0:1], vcc
	s_xor_b64 s[0:1], exec, s[0:1]
; %bb.883:
	v_cmp_ne_u32_e32 vcc, 0, v126
	v_cndmask_b32_e32 v126, 53, v126, vcc
; %bb.884:
	s_andn2_saveexec_b64 s[0:1], s[0:1]
; %bb.885:
	v_div_scale_f64 v[128:129], s[2:3], v[118:119], v[118:119], 1.0
	v_rcp_f64_e32 v[130:131], v[128:129]
	v_div_scale_f64 v[132:133], vcc, 1.0, v[118:119], 1.0
	v_fma_f64 v[134:135], -v[128:129], v[130:131], 1.0
	v_fmac_f64_e32 v[130:131], v[130:131], v[134:135]
	v_fma_f64 v[134:135], -v[128:129], v[130:131], 1.0
	v_fmac_f64_e32 v[130:131], v[130:131], v[134:135]
	v_mul_f64 v[134:135], v[132:133], v[130:131]
	v_fma_f64 v[128:129], -v[128:129], v[134:135], v[132:133]
	v_div_fmas_f64 v[128:129], v[128:129], v[130:131], v[134:135]
	v_div_fixup_f64 v[118:119], v[128:129], v[118:119], 1.0
; %bb.886:
	s_or_b64 exec, exec, s[0:1]
	v_cmp_ne_u32_e32 vcc, v123, v120
	s_and_saveexec_b64 s[0:1], vcc
	s_xor_b64 s[0:1], exec, s[0:1]
	s_cbranch_execz .LBB112_892
; %bb.887:
	v_cmp_eq_u32_e32 vcc, 52, v123
	s_and_saveexec_b64 s[2:3], vcc
	s_cbranch_execz .LBB112_891
; %bb.888:
	v_cmp_ne_u32_e32 vcc, 52, v120
	s_xor_b64 s[14:15], s[6:7], -1
	s_and_b64 s[16:17], s[14:15], vcc
	s_and_saveexec_b64 s[14:15], s[16:17]
	s_cbranch_execz .LBB112_890
; %bb.889:
	v_ashrrev_i32_e32 v121, 31, v120
	v_lshlrev_b64 v[128:129], 2, v[120:121]
	v_add_co_u32_e32 v128, vcc, v4, v128
	v_addc_co_u32_e32 v129, vcc, v5, v129, vcc
	flat_load_dword v121, v[128:129]
	flat_load_dword v123, v[4:5] offset:208
	s_waitcnt vmcnt(0) lgkmcnt(0)
	flat_store_dword v[4:5], v121 offset:208
	flat_store_dword v[128:129], v123
.LBB112_890:
	s_or_b64 exec, exec, s[14:15]
	v_mov_b32_e32 v121, v120
	v_mov_b32_e32 v123, v120
.LBB112_891:
	s_or_b64 exec, exec, s[2:3]
.LBB112_892:
	s_andn2_saveexec_b64 s[0:1], s[0:1]
	s_cbranch_execz .LBB112_894
; %bb.893:
	v_mov_b32_e32 v123, 52
	ds_write2_b64 v122, v[8:9], v[6:7] offset0:53 offset1:54
	ds_write2_b64 v122, v[0:1], v[116:117] offset0:55 offset1:56
.LBB112_894:
	s_or_b64 exec, exec, s[0:1]
	v_cmp_lt_i32_e32 vcc, 52, v123
	s_waitcnt lgkmcnt(0)
	s_barrier
	s_and_saveexec_b64 s[0:1], vcc
	s_cbranch_execz .LBB112_896
; %bb.895:
	ds_read2_b64 v[128:131], v122 offset0:53 offset1:54
	ds_read2_b64 v[132:135], v122 offset0:55 offset1:56
	v_mul_f64 v[10:11], v[118:119], v[10:11]
	s_waitcnt lgkmcnt(0)
	v_fma_f64 v[8:9], -v[10:11], v[128:129], v[8:9]
	v_fma_f64 v[6:7], -v[10:11], v[130:131], v[6:7]
	;; [unrolled: 1-line block ×4, first 2 shown]
.LBB112_896:
	s_or_b64 exec, exec, s[0:1]
	v_lshl_add_u32 v118, v123, 3, v122
	s_barrier
	ds_write_b64 v118, v[8:9]
	s_waitcnt lgkmcnt(0)
	s_barrier
	ds_read_b64 v[118:119], v122 offset:424
	s_cmp_lt_i32 s18, 55
	v_mov_b32_e32 v120, 53
	s_cbranch_scc1 .LBB112_899
; %bb.897:
	v_add_u32_e32 v127, 0x1b0, v122
	s_mov_b32 s0, 54
	v_mov_b32_e32 v120, 53
.LBB112_898:                            ; =>This Inner Loop Header: Depth=1
	ds_read_b64 v[128:129], v127
	v_mov_b32_e32 v130, s0
	s_add_i32 s0, s0, 1
	v_add_u32_e32 v127, 8, v127
	s_cmp_lg_u32 s18, s0
	s_waitcnt lgkmcnt(0)
	v_cmp_lt_f64_e64 vcc, |v[118:119]|, |v[128:129]|
	v_cndmask_b32_e32 v119, v119, v129, vcc
	v_cndmask_b32_e32 v118, v118, v128, vcc
	;; [unrolled: 1-line block ×3, first 2 shown]
	s_cbranch_scc1 .LBB112_898
.LBB112_899:
	s_waitcnt lgkmcnt(0)
	v_cmp_eq_f64_e32 vcc, 0, v[118:119]
	s_and_saveexec_b64 s[0:1], vcc
	s_xor_b64 s[0:1], exec, s[0:1]
; %bb.900:
	v_cmp_ne_u32_e32 vcc, 0, v126
	v_cndmask_b32_e32 v126, 54, v126, vcc
; %bb.901:
	s_andn2_saveexec_b64 s[0:1], s[0:1]
; %bb.902:
	v_div_scale_f64 v[128:129], s[2:3], v[118:119], v[118:119], 1.0
	v_rcp_f64_e32 v[130:131], v[128:129]
	v_div_scale_f64 v[132:133], vcc, 1.0, v[118:119], 1.0
	v_fma_f64 v[134:135], -v[128:129], v[130:131], 1.0
	v_fmac_f64_e32 v[130:131], v[130:131], v[134:135]
	v_fma_f64 v[134:135], -v[128:129], v[130:131], 1.0
	v_fmac_f64_e32 v[130:131], v[130:131], v[134:135]
	v_mul_f64 v[134:135], v[132:133], v[130:131]
	v_fma_f64 v[128:129], -v[128:129], v[134:135], v[132:133]
	v_div_fmas_f64 v[128:129], v[128:129], v[130:131], v[134:135]
	v_div_fixup_f64 v[118:119], v[128:129], v[118:119], 1.0
; %bb.903:
	s_or_b64 exec, exec, s[0:1]
	v_cmp_ne_u32_e32 vcc, v123, v120
	s_and_saveexec_b64 s[0:1], vcc
	s_xor_b64 s[0:1], exec, s[0:1]
	s_cbranch_execz .LBB112_909
; %bb.904:
	v_cmp_eq_u32_e32 vcc, 53, v123
	s_and_saveexec_b64 s[2:3], vcc
	s_cbranch_execz .LBB112_908
; %bb.905:
	v_cmp_ne_u32_e32 vcc, 53, v120
	s_xor_b64 s[14:15], s[6:7], -1
	s_and_b64 s[16:17], s[14:15], vcc
	s_and_saveexec_b64 s[14:15], s[16:17]
	s_cbranch_execz .LBB112_907
; %bb.906:
	v_ashrrev_i32_e32 v121, 31, v120
	v_lshlrev_b64 v[128:129], 2, v[120:121]
	v_add_co_u32_e32 v128, vcc, v4, v128
	v_addc_co_u32_e32 v129, vcc, v5, v129, vcc
	flat_load_dword v121, v[128:129]
	flat_load_dword v123, v[4:5] offset:212
	s_waitcnt vmcnt(0) lgkmcnt(0)
	flat_store_dword v[4:5], v121 offset:212
	flat_store_dword v[128:129], v123
.LBB112_907:
	s_or_b64 exec, exec, s[14:15]
	v_mov_b32_e32 v121, v120
	v_mov_b32_e32 v123, v120
.LBB112_908:
	s_or_b64 exec, exec, s[2:3]
.LBB112_909:
	s_andn2_saveexec_b64 s[0:1], s[0:1]
	s_cbranch_execz .LBB112_911
; %bb.910:
	v_mov_b32_e32 v128, v6
	v_mov_b32_e32 v129, v7
	;; [unrolled: 1-line block ×5, first 2 shown]
	ds_write2_b64 v122, v[128:129], v[130:131] offset0:54 offset1:55
	ds_write_b64 v122, v[116:117] offset:448
.LBB112_911:
	s_or_b64 exec, exec, s[0:1]
	v_cmp_lt_i32_e32 vcc, 53, v123
	s_waitcnt lgkmcnt(0)
	s_barrier
	s_and_saveexec_b64 s[0:1], vcc
	s_cbranch_execz .LBB112_913
; %bb.912:
	ds_read2_b64 v[128:131], v122 offset0:54 offset1:55
	ds_read_b64 v[132:133], v122 offset:448
	v_mul_f64 v[8:9], v[118:119], v[8:9]
	s_waitcnt lgkmcnt(0)
	v_fma_f64 v[6:7], -v[8:9], v[128:129], v[6:7]
	v_fma_f64 v[0:1], -v[8:9], v[130:131], v[0:1]
	;; [unrolled: 1-line block ×3, first 2 shown]
.LBB112_913:
	s_or_b64 exec, exec, s[0:1]
	v_lshl_add_u32 v118, v123, 3, v122
	s_barrier
	ds_write_b64 v118, v[6:7]
	s_waitcnt lgkmcnt(0)
	s_barrier
	ds_read_b64 v[118:119], v122 offset:432
	s_cmp_lt_i32 s18, 56
	v_mov_b32_e32 v120, 54
	s_cbranch_scc1 .LBB112_916
; %bb.914:
	v_add_u32_e32 v127, 0x1b8, v122
	s_mov_b32 s0, 55
	v_mov_b32_e32 v120, 54
.LBB112_915:                            ; =>This Inner Loop Header: Depth=1
	ds_read_b64 v[128:129], v127
	v_mov_b32_e32 v130, s0
	s_add_i32 s0, s0, 1
	v_add_u32_e32 v127, 8, v127
	s_cmp_lg_u32 s18, s0
	s_waitcnt lgkmcnt(0)
	v_cmp_lt_f64_e64 vcc, |v[118:119]|, |v[128:129]|
	v_cndmask_b32_e32 v119, v119, v129, vcc
	v_cndmask_b32_e32 v118, v118, v128, vcc
	;; [unrolled: 1-line block ×3, first 2 shown]
	s_cbranch_scc1 .LBB112_915
.LBB112_916:
	s_waitcnt lgkmcnt(0)
	v_cmp_eq_f64_e32 vcc, 0, v[118:119]
	s_and_saveexec_b64 s[0:1], vcc
	s_xor_b64 s[0:1], exec, s[0:1]
; %bb.917:
	v_cmp_ne_u32_e32 vcc, 0, v126
	v_cndmask_b32_e32 v126, 55, v126, vcc
; %bb.918:
	s_andn2_saveexec_b64 s[0:1], s[0:1]
; %bb.919:
	v_div_scale_f64 v[128:129], s[2:3], v[118:119], v[118:119], 1.0
	v_rcp_f64_e32 v[130:131], v[128:129]
	v_div_scale_f64 v[132:133], vcc, 1.0, v[118:119], 1.0
	v_fma_f64 v[134:135], -v[128:129], v[130:131], 1.0
	v_fmac_f64_e32 v[130:131], v[130:131], v[134:135]
	v_fma_f64 v[134:135], -v[128:129], v[130:131], 1.0
	v_fmac_f64_e32 v[130:131], v[130:131], v[134:135]
	v_mul_f64 v[134:135], v[132:133], v[130:131]
	v_fma_f64 v[128:129], -v[128:129], v[134:135], v[132:133]
	v_div_fmas_f64 v[128:129], v[128:129], v[130:131], v[134:135]
	v_div_fixup_f64 v[118:119], v[128:129], v[118:119], 1.0
; %bb.920:
	s_or_b64 exec, exec, s[0:1]
	v_cmp_ne_u32_e32 vcc, v123, v120
	s_and_saveexec_b64 s[0:1], vcc
	s_xor_b64 s[0:1], exec, s[0:1]
	s_cbranch_execz .LBB112_926
; %bb.921:
	v_cmp_eq_u32_e32 vcc, 54, v123
	s_and_saveexec_b64 s[2:3], vcc
	s_cbranch_execz .LBB112_925
; %bb.922:
	v_cmp_ne_u32_e32 vcc, 54, v120
	s_xor_b64 s[14:15], s[6:7], -1
	s_and_b64 s[16:17], s[14:15], vcc
	s_and_saveexec_b64 s[14:15], s[16:17]
	s_cbranch_execz .LBB112_924
; %bb.923:
	v_ashrrev_i32_e32 v121, 31, v120
	v_lshlrev_b64 v[128:129], 2, v[120:121]
	v_add_co_u32_e32 v128, vcc, v4, v128
	v_addc_co_u32_e32 v129, vcc, v5, v129, vcc
	flat_load_dword v121, v[128:129]
	flat_load_dword v123, v[4:5] offset:216
	s_waitcnt vmcnt(0) lgkmcnt(0)
	flat_store_dword v[4:5], v121 offset:216
	flat_store_dword v[128:129], v123
.LBB112_924:
	s_or_b64 exec, exec, s[14:15]
	v_mov_b32_e32 v121, v120
	v_mov_b32_e32 v123, v120
.LBB112_925:
	s_or_b64 exec, exec, s[2:3]
.LBB112_926:
	s_andn2_saveexec_b64 s[0:1], s[0:1]
	s_cbranch_execz .LBB112_928
; %bb.927:
	v_mov_b32_e32 v123, 54
	ds_write2_b64 v122, v[0:1], v[116:117] offset0:55 offset1:56
.LBB112_928:
	s_or_b64 exec, exec, s[0:1]
	v_cmp_lt_i32_e32 vcc, 54, v123
	s_waitcnt lgkmcnt(0)
	s_barrier
	s_and_saveexec_b64 s[0:1], vcc
	s_cbranch_execz .LBB112_930
; %bb.929:
	ds_read2_b64 v[128:131], v122 offset0:55 offset1:56
	v_mul_f64 v[6:7], v[118:119], v[6:7]
	s_waitcnt lgkmcnt(0)
	v_fma_f64 v[0:1], -v[6:7], v[128:129], v[0:1]
	v_fma_f64 v[116:117], -v[6:7], v[130:131], v[116:117]
.LBB112_930:
	s_or_b64 exec, exec, s[0:1]
	v_lshl_add_u32 v118, v123, 3, v122
	s_barrier
	ds_write_b64 v118, v[0:1]
	s_waitcnt lgkmcnt(0)
	s_barrier
	ds_read_b64 v[118:119], v122 offset:440
	s_cmp_lt_i32 s18, 57
	v_mov_b32_e32 v120, 55
	s_cbranch_scc1 .LBB112_933
; %bb.931:
	v_add_u32_e32 v127, 0x1c0, v122
	s_mov_b32 s0, 56
	v_mov_b32_e32 v120, 55
.LBB112_932:                            ; =>This Inner Loop Header: Depth=1
	ds_read_b64 v[128:129], v127
	v_mov_b32_e32 v130, s0
	s_add_i32 s0, s0, 1
	v_add_u32_e32 v127, 8, v127
	s_cmp_lg_u32 s18, s0
	s_waitcnt lgkmcnt(0)
	v_cmp_lt_f64_e64 vcc, |v[118:119]|, |v[128:129]|
	v_cndmask_b32_e32 v119, v119, v129, vcc
	v_cndmask_b32_e32 v118, v118, v128, vcc
	v_cndmask_b32_e32 v120, v120, v130, vcc
	s_cbranch_scc1 .LBB112_932
.LBB112_933:
	s_waitcnt lgkmcnt(0)
	v_cmp_eq_f64_e32 vcc, 0, v[118:119]
	s_and_saveexec_b64 s[0:1], vcc
	s_xor_b64 s[0:1], exec, s[0:1]
; %bb.934:
	v_cmp_ne_u32_e32 vcc, 0, v126
	v_cndmask_b32_e32 v126, 56, v126, vcc
; %bb.935:
	s_andn2_saveexec_b64 s[0:1], s[0:1]
; %bb.936:
	v_div_scale_f64 v[128:129], s[2:3], v[118:119], v[118:119], 1.0
	v_rcp_f64_e32 v[130:131], v[128:129]
	v_div_scale_f64 v[132:133], vcc, 1.0, v[118:119], 1.0
	v_fma_f64 v[134:135], -v[128:129], v[130:131], 1.0
	v_fmac_f64_e32 v[130:131], v[130:131], v[134:135]
	v_fma_f64 v[134:135], -v[128:129], v[130:131], 1.0
	v_fmac_f64_e32 v[130:131], v[130:131], v[134:135]
	v_mul_f64 v[134:135], v[132:133], v[130:131]
	v_fma_f64 v[128:129], -v[128:129], v[134:135], v[132:133]
	v_div_fmas_f64 v[128:129], v[128:129], v[130:131], v[134:135]
	v_div_fixup_f64 v[118:119], v[128:129], v[118:119], 1.0
; %bb.937:
	s_or_b64 exec, exec, s[0:1]
	v_cmp_ne_u32_e32 vcc, v123, v120
	s_and_saveexec_b64 s[0:1], vcc
	s_xor_b64 s[0:1], exec, s[0:1]
	s_cbranch_execz .LBB112_943
; %bb.938:
	v_cmp_eq_u32_e32 vcc, 55, v123
	s_and_saveexec_b64 s[2:3], vcc
	s_cbranch_execz .LBB112_942
; %bb.939:
	v_cmp_ne_u32_e32 vcc, 55, v120
	s_xor_b64 s[14:15], s[6:7], -1
	s_and_b64 s[16:17], s[14:15], vcc
	s_and_saveexec_b64 s[14:15], s[16:17]
	s_cbranch_execz .LBB112_941
; %bb.940:
	v_ashrrev_i32_e32 v121, 31, v120
	v_lshlrev_b64 v[128:129], 2, v[120:121]
	v_add_co_u32_e32 v128, vcc, v4, v128
	v_addc_co_u32_e32 v129, vcc, v5, v129, vcc
	flat_load_dword v121, v[128:129]
	flat_load_dword v123, v[4:5] offset:220
	s_waitcnt vmcnt(0) lgkmcnt(0)
	flat_store_dword v[4:5], v121 offset:220
	flat_store_dword v[128:129], v123
.LBB112_941:
	s_or_b64 exec, exec, s[14:15]
	v_mov_b32_e32 v121, v120
	v_mov_b32_e32 v123, v120
.LBB112_942:
	s_or_b64 exec, exec, s[2:3]
.LBB112_943:
	s_andn2_saveexec_b64 s[0:1], s[0:1]
	s_cbranch_execz .LBB112_945
; %bb.944:
	v_mov_b32_e32 v123, 55
	ds_write_b64 v122, v[116:117] offset:448
.LBB112_945:
	s_or_b64 exec, exec, s[0:1]
	v_cmp_lt_i32_e32 vcc, 55, v123
	s_waitcnt lgkmcnt(0)
	s_barrier
	s_and_saveexec_b64 s[0:1], vcc
	s_cbranch_execz .LBB112_947
; %bb.946:
	ds_read_b64 v[128:129], v122 offset:448
	v_mul_f64 v[0:1], v[118:119], v[0:1]
	s_waitcnt lgkmcnt(0)
	v_fma_f64 v[116:117], -v[0:1], v[128:129], v[116:117]
.LBB112_947:
	s_or_b64 exec, exec, s[0:1]
	v_lshl_add_u32 v118, v123, 3, v122
	s_barrier
	ds_write_b64 v118, v[116:117]
	s_waitcnt lgkmcnt(0)
	s_barrier
	ds_read_b64 v[118:119], v122 offset:448
	s_cmp_lt_i32 s18, 58
	v_mov_b32_e32 v120, 56
	s_cbranch_scc1 .LBB112_950
; %bb.948:
	v_add_u32_e32 v122, 0x1c8, v122
	s_mov_b32 s0, 57
	v_mov_b32_e32 v120, 56
.LBB112_949:                            ; =>This Inner Loop Header: Depth=1
	ds_read_b64 v[128:129], v122
	v_mov_b32_e32 v127, s0
	s_add_i32 s0, s0, 1
	v_add_u32_e32 v122, 8, v122
	s_cmp_lg_u32 s18, s0
	s_waitcnt lgkmcnt(0)
	v_cmp_lt_f64_e64 vcc, |v[118:119]|, |v[128:129]|
	v_cndmask_b32_e32 v119, v119, v129, vcc
	v_cndmask_b32_e32 v118, v118, v128, vcc
	v_cndmask_b32_e32 v120, v120, v127, vcc
	s_cbranch_scc1 .LBB112_949
.LBB112_950:
	s_waitcnt lgkmcnt(0)
	v_cmp_eq_f64_e32 vcc, 0, v[118:119]
	s_and_saveexec_b64 s[0:1], vcc
	s_xor_b64 s[0:1], exec, s[0:1]
; %bb.951:
	v_cmp_ne_u32_e32 vcc, 0, v126
	v_cndmask_b32_e32 v126, 57, v126, vcc
; %bb.952:
	s_andn2_saveexec_b64 s[0:1], s[0:1]
; %bb.953:
	v_div_scale_f64 v[128:129], s[2:3], v[118:119], v[118:119], 1.0
	v_rcp_f64_e32 v[130:131], v[128:129]
	v_div_scale_f64 v[132:133], vcc, 1.0, v[118:119], 1.0
	v_fma_f64 v[134:135], -v[128:129], v[130:131], 1.0
	v_fmac_f64_e32 v[130:131], v[130:131], v[134:135]
	v_fma_f64 v[134:135], -v[128:129], v[130:131], 1.0
	v_fmac_f64_e32 v[130:131], v[130:131], v[134:135]
	v_mul_f64 v[134:135], v[132:133], v[130:131]
	v_fma_f64 v[128:129], -v[128:129], v[134:135], v[132:133]
	v_div_fmas_f64 v[128:129], v[128:129], v[130:131], v[134:135]
	v_div_fixup_f64 v[118:119], v[128:129], v[118:119], 1.0
; %bb.954:
	s_or_b64 exec, exec, s[0:1]
	v_cmp_ne_u32_e32 vcc, v123, v120
	v_mov_b32_e32 v122, 56
	s_and_saveexec_b64 s[0:1], vcc
	s_cbranch_execz .LBB112_960
; %bb.955:
	v_cmp_eq_u32_e32 vcc, 56, v123
	s_and_saveexec_b64 s[2:3], vcc
	s_cbranch_execz .LBB112_959
; %bb.956:
	v_cmp_ne_u32_e32 vcc, 56, v120
	s_xor_b64 s[6:7], s[6:7], -1
	s_and_b64 s[14:15], s[6:7], vcc
	s_and_saveexec_b64 s[6:7], s[14:15]
	s_cbranch_execz .LBB112_958
; %bb.957:
	v_ashrrev_i32_e32 v121, 31, v120
	v_lshlrev_b64 v[122:123], 2, v[120:121]
	v_add_co_u32_e32 v122, vcc, v4, v122
	v_addc_co_u32_e32 v123, vcc, v5, v123, vcc
	flat_load_dword v121, v[122:123]
	flat_load_dword v127, v[4:5] offset:224
	s_waitcnt vmcnt(0) lgkmcnt(0)
	flat_store_dword v[4:5], v121 offset:224
	flat_store_dword v[122:123], v127
.LBB112_958:
	s_or_b64 exec, exec, s[6:7]
	v_mov_b32_e32 v121, v120
	v_mov_b32_e32 v123, v120
.LBB112_959:
	s_or_b64 exec, exec, s[2:3]
	v_mov_b32_e32 v122, v123
.LBB112_960:
	s_or_b64 exec, exec, s[0:1]
	s_load_dwordx8 s[0:7], s[4:5], 0x28
	v_cmp_gt_i32_e32 vcc, 57, v122
	v_ashrrev_i32_e32 v123, 31, v122
	s_waitcnt lgkmcnt(0)
	s_barrier
	s_barrier
	s_and_saveexec_b64 s[14:15], vcc
	s_cbranch_execz .LBB112_962
; %bb.961:
	v_mul_lo_u32 v120, v3, s4
	v_mul_lo_u32 v127, v2, s5
	v_mad_u64_u32 v[4:5], s[4:5], v2, s4, 0
	s_lshl_b64 s[2:3], s[2:3], 2
	v_add3_u32 v5, v5, v127, v120
	s_add_u32 s0, s2, s0
	v_lshlrev_b64 v[4:5], 2, v[4:5]
	s_addc_u32 s1, s3, s1
	v_mov_b32_e32 v120, s1
	v_add_co_u32_e32 v127, vcc, s0, v4
	v_addc_co_u32_e32 v120, vcc, v120, v5, vcc
	v_lshlrev_b64 v[4:5], 2, v[122:123]
	v_add_co_u32_e32 v4, vcc, v127, v4
	v_addc_co_u32_e32 v5, vcc, v120, v5, vcc
	v_add3_u32 v120, v121, s13, 1
	global_store_dword v[4:5], v120, off
.LBB112_962:
	s_or_b64 exec, exec, s[14:15]
	v_cmp_eq_u32_e32 vcc, 0, v122
	s_and_saveexec_b64 s[2:3], vcc
	s_cbranch_execz .LBB112_965
; %bb.963:
	v_lshlrev_b64 v[2:3], 2, v[2:3]
	v_mov_b32_e32 v4, s7
	v_add_co_u32_e32 v2, vcc, s6, v2
	v_addc_co_u32_e32 v3, vcc, v4, v3, vcc
	global_load_dword v4, v[2:3], off
	v_cmp_lt_i32_e64 s[0:1], 0, v126
	s_waitcnt vmcnt(0)
	v_cmp_eq_u32_e32 vcc, 0, v4
	s_and_b64 s[0:1], vcc, s[0:1]
	s_and_b64 exec, exec, s[0:1]
	s_cbranch_execz .LBB112_965
; %bb.964:
	v_add_u32_e32 v4, s13, v126
	global_store_dword v[2:3], v4, off
.LBB112_965:
	s_or_b64 exec, exec, s[2:3]
	v_mul_f64 v[2:3], v[118:119], v[116:117]
	v_cmp_lt_i32_e32 vcc, 56, v122
	v_lshlrev_b64 v[4:5], 3, v[122:123]
	v_cndmask_b32_e32 v3, v117, v3, vcc
	v_cndmask_b32_e32 v2, v116, v2, vcc
	v_add_co_u32_e32 v4, vcc, v124, v4
	v_addc_co_u32_e32 v5, vcc, v125, v5, vcc
	global_store_dwordx2 v[4:5], v[114:115], off
	v_mov_b32_e32 v114, s11
	v_add_co_u32_e32 v4, vcc, s10, v4
	v_addc_co_u32_e32 v5, vcc, v5, v114, vcc
	global_store_dwordx2 v[4:5], v[112:113], off
	v_add_u32_e32 v4, s12, v122
	v_ashrrev_i32_e32 v5, 31, v4
	v_lshlrev_b64 v[112:113], 3, v[4:5]
	v_add_co_u32_e32 v112, vcc, v124, v112
	v_add_u32_e32 v4, s8, v4
	v_addc_co_u32_e32 v113, vcc, v125, v113, vcc
	v_ashrrev_i32_e32 v5, 31, v4
	global_store_dwordx2 v[112:113], v[110:111], off
	v_lshlrev_b64 v[110:111], 3, v[4:5]
	v_add_co_u32_e32 v110, vcc, v124, v110
	v_add_u32_e32 v4, s8, v4
	v_addc_co_u32_e32 v111, vcc, v125, v111, vcc
	v_ashrrev_i32_e32 v5, 31, v4
	global_store_dwordx2 v[110:111], v[108:109], off
	;; [unrolled: 6-line block ×53, first 2 shown]
	v_lshlrev_b64 v[6:7], 3, v[4:5]
	v_add_co_u32_e32 v6, vcc, v124, v6
	v_addc_co_u32_e32 v7, vcc, v125, v7, vcc
	global_store_dwordx2 v[6:7], v[0:1], off
	v_add_u32_e32 v0, s8, v4
	v_ashrrev_i32_e32 v1, 31, v0
	v_lshlrev_b64 v[0:1], 3, v[0:1]
	v_add_co_u32_e32 v0, vcc, v124, v0
	v_addc_co_u32_e32 v1, vcc, v125, v1, vcc
	global_store_dwordx2 v[0:1], v[2:3], off
.LBB112_966:
	s_endpgm
	.section	.rodata,"a",@progbits
	.p2align	6, 0x0
	.amdhsa_kernel _ZN9rocsolver6v33100L18getf2_small_kernelILi57EdiiPKPdEEvT1_T3_lS5_lPS5_llPT2_S5_S5_S7_l
		.amdhsa_group_segment_fixed_size 0
		.amdhsa_private_segment_fixed_size 0
		.amdhsa_kernarg_size 352
		.amdhsa_user_sgpr_count 6
		.amdhsa_user_sgpr_private_segment_buffer 1
		.amdhsa_user_sgpr_dispatch_ptr 0
		.amdhsa_user_sgpr_queue_ptr 0
		.amdhsa_user_sgpr_kernarg_segment_ptr 1
		.amdhsa_user_sgpr_dispatch_id 0
		.amdhsa_user_sgpr_flat_scratch_init 0
		.amdhsa_user_sgpr_kernarg_preload_length 0
		.amdhsa_user_sgpr_kernarg_preload_offset 0
		.amdhsa_user_sgpr_private_segment_size 0
		.amdhsa_uses_dynamic_stack 0
		.amdhsa_system_sgpr_private_segment_wavefront_offset 0
		.amdhsa_system_sgpr_workgroup_id_x 1
		.amdhsa_system_sgpr_workgroup_id_y 1
		.amdhsa_system_sgpr_workgroup_id_z 0
		.amdhsa_system_sgpr_workgroup_info 0
		.amdhsa_system_vgpr_workitem_id 1
		.amdhsa_next_free_vgpr 180
		.amdhsa_next_free_sgpr 22
		.amdhsa_accum_offset 180
		.amdhsa_reserve_vcc 1
		.amdhsa_reserve_flat_scratch 0
		.amdhsa_float_round_mode_32 0
		.amdhsa_float_round_mode_16_64 0
		.amdhsa_float_denorm_mode_32 3
		.amdhsa_float_denorm_mode_16_64 3
		.amdhsa_dx10_clamp 1
		.amdhsa_ieee_mode 1
		.amdhsa_fp16_overflow 0
		.amdhsa_tg_split 0
		.amdhsa_exception_fp_ieee_invalid_op 0
		.amdhsa_exception_fp_denorm_src 0
		.amdhsa_exception_fp_ieee_div_zero 0
		.amdhsa_exception_fp_ieee_overflow 0
		.amdhsa_exception_fp_ieee_underflow 0
		.amdhsa_exception_fp_ieee_inexact 0
		.amdhsa_exception_int_div_zero 0
	.end_amdhsa_kernel
	.section	.text._ZN9rocsolver6v33100L18getf2_small_kernelILi57EdiiPKPdEEvT1_T3_lS5_lPS5_llPT2_S5_S5_S7_l,"axG",@progbits,_ZN9rocsolver6v33100L18getf2_small_kernelILi57EdiiPKPdEEvT1_T3_lS5_lPS5_llPT2_S5_S5_S7_l,comdat
.Lfunc_end112:
	.size	_ZN9rocsolver6v33100L18getf2_small_kernelILi57EdiiPKPdEEvT1_T3_lS5_lPS5_llPT2_S5_S5_S7_l, .Lfunc_end112-_ZN9rocsolver6v33100L18getf2_small_kernelILi57EdiiPKPdEEvT1_T3_lS5_lPS5_llPT2_S5_S5_S7_l
                                        ; -- End function
	.section	.AMDGPU.csdata,"",@progbits
; Kernel info:
; codeLenInByte = 59440
; NumSgprs: 26
; NumVgprs: 180
; NumAgprs: 0
; TotalNumVgprs: 180
; ScratchSize: 0
; MemoryBound: 0
; FloatMode: 240
; IeeeMode: 1
; LDSByteSize: 0 bytes/workgroup (compile time only)
; SGPRBlocks: 3
; VGPRBlocks: 22
; NumSGPRsForWavesPerEU: 26
; NumVGPRsForWavesPerEU: 180
; AccumOffset: 180
; Occupancy: 2
; WaveLimiterHint : 1
; COMPUTE_PGM_RSRC2:SCRATCH_EN: 0
; COMPUTE_PGM_RSRC2:USER_SGPR: 6
; COMPUTE_PGM_RSRC2:TRAP_HANDLER: 0
; COMPUTE_PGM_RSRC2:TGID_X_EN: 1
; COMPUTE_PGM_RSRC2:TGID_Y_EN: 1
; COMPUTE_PGM_RSRC2:TGID_Z_EN: 0
; COMPUTE_PGM_RSRC2:TIDIG_COMP_CNT: 1
; COMPUTE_PGM_RSRC3_GFX90A:ACCUM_OFFSET: 44
; COMPUTE_PGM_RSRC3_GFX90A:TG_SPLIT: 0
	.section	.text._ZN9rocsolver6v33100L23getf2_npvt_small_kernelILi57EdiiPKPdEEvT1_T3_lS5_lPT2_S5_S5_,"axG",@progbits,_ZN9rocsolver6v33100L23getf2_npvt_small_kernelILi57EdiiPKPdEEvT1_T3_lS5_lPT2_S5_S5_,comdat
	.globl	_ZN9rocsolver6v33100L23getf2_npvt_small_kernelILi57EdiiPKPdEEvT1_T3_lS5_lPT2_S5_S5_ ; -- Begin function _ZN9rocsolver6v33100L23getf2_npvt_small_kernelILi57EdiiPKPdEEvT1_T3_lS5_lPT2_S5_S5_
	.p2align	8
	.type	_ZN9rocsolver6v33100L23getf2_npvt_small_kernelILi57EdiiPKPdEEvT1_T3_lS5_lPT2_S5_S5_,@function
_ZN9rocsolver6v33100L23getf2_npvt_small_kernelILi57EdiiPKPdEEvT1_T3_lS5_lPT2_S5_S5_: ; @_ZN9rocsolver6v33100L23getf2_npvt_small_kernelILi57EdiiPKPdEEvT1_T3_lS5_lPT2_S5_S5_
; %bb.0:
	s_mov_b64 s[18:19], s[2:3]
	s_mov_b64 s[16:17], s[0:1]
	s_add_u32 s16, s16, s8
	s_load_dword s0, s[4:5], 0x44
	s_load_dwordx2 s[8:9], s[4:5], 0x30
	s_addc_u32 s17, s17, 0
	v_bfe_u32 v1, v0, 10, 10
	s_waitcnt lgkmcnt(0)
	s_lshr_b32 s6, s0, 16
	s_mul_i32 s7, s7, s6
	v_add_u32_e32 v50, s7, v1
	v_cmp_gt_i32_e32 vcc, s8, v50
	s_and_saveexec_b64 s[0:1], vcc
	s_cbranch_execz .LBB113_288
; %bb.1:
	s_load_dwordx4 s[12:15], s[4:5], 0x8
	s_load_dword s0, s[4:5], 0x18
	v_ashrrev_i32_e32 v51, 31, v50
	v_lshlrev_b64 v[2:3], 3, v[50:51]
	v_and_b32_e32 v42, 0x3ff, v0
	s_waitcnt lgkmcnt(0)
	v_mov_b32_e32 v4, s13
	v_add_co_u32_e32 v2, vcc, s12, v2
	v_addc_co_u32_e32 v3, vcc, v4, v3, vcc
	global_load_dwordx2 v[2:3], v[2:3], off
	s_add_i32 s1, s0, s0
	s_lshl_b64 s[2:3], s[14:15], 3
	v_add_u32_e32 v4, s1, v42
	v_mov_b32_e32 v0, s3
	v_ashrrev_i32_e32 v5, 31, v4
	v_add_u32_e32 v6, s0, v4
	v_lshlrev_b64 v[4:5], 3, v[4:5]
	v_ashrrev_i32_e32 v7, 31, v6
	v_add_u32_e32 v8, s0, v6
	v_lshlrev_b64 v[6:7], 3, v[6:7]
	;; [unrolled: 3-line block ×10, first 2 shown]
	v_ashrrev_i32_e32 v25, 31, v24
	s_ashr_i32 s1, s0, 31
	s_mulk_i32 s6, 0x1c8
	s_waitcnt vmcnt(0)
	v_add_co_u32_e32 v26, vcc, s2, v2
	v_addc_co_u32_e32 v0, vcc, v3, v0, vcc
	v_add_co_u32_e32 v52, vcc, v26, v4
	v_addc_co_u32_e32 v53, vcc, v0, v5, vcc
	;; [unrolled: 2-line block ×11, first 2 shown]
	v_lshlrev_b64 v[2:3], 3, v[24:25]
	v_add_co_u32_e32 v72, vcc, v26, v2
	v_add_u32_e32 v2, s0, v24
	v_addc_co_u32_e32 v73, vcc, v0, v3, vcc
	v_ashrrev_i32_e32 v3, 31, v2
	v_lshlrev_b64 v[4:5], 3, v[2:3]
	v_add_u32_e32 v2, s0, v2
	v_add_co_u32_e32 v74, vcc, v26, v4
	v_ashrrev_i32_e32 v3, 31, v2
	v_addc_co_u32_e32 v75, vcc, v0, v5, vcc
	v_lshlrev_b64 v[4:5], 3, v[2:3]
	v_add_u32_e32 v2, s0, v2
	v_add_co_u32_e32 v76, vcc, v26, v4
	v_ashrrev_i32_e32 v3, 31, v2
	v_addc_co_u32_e32 v77, vcc, v0, v5, vcc
	;; [unrolled: 5-line block ×43, first 2 shown]
	v_lshlrev_b64 v[2:3], 3, v[2:3]
	v_add_co_u32_e32 v22, vcc, v26, v2
	v_addc_co_u32_e32 v23, vcc, v0, v3, vcc
	v_lshlrev_b32_e32 v2, 3, v42
	v_add_co_u32_e32 v2, vcc, v26, v2
	v_addc_co_u32_e32 v3, vcc, 0, v0, vcc
	s_lshl_b64 s[0:1], s[0:1], 3
	v_mov_b32_e32 v0, s1
	v_add_co_u32_e32 v24, vcc, s0, v2
	v_addc_co_u32_e32 v25, vcc, v3, v0, vcc
	buffer_store_dword v2, off, s[16:19], 0 offset:80 ; 4-byte Folded Spill
	s_nop 0
	buffer_store_dword v3, off, s[16:19], 0 offset:84 ; 4-byte Folded Spill
	s_movk_i32 s0, 0x1c8
	s_add_i32 s1, s6, 0
	v_mad_u32_u24 v41, v1, s0, 0
	v_lshl_add_u32 v40, v1, 3, s1
	v_cmp_ne_u32_e64 s[2:3], 0, v42
	v_cmp_eq_u32_e64 s[0:1], 0, v42
	global_load_dwordx2 v[116:117], v[2:3], off
	s_nop 0
	buffer_store_dword v24, off, s[16:19], 0 offset:88 ; 4-byte Folded Spill
	s_nop 0
	buffer_store_dword v25, off, s[16:19], 0 offset:92 ; 4-byte Folded Spill
	global_load_dwordx2 v[172:173], v[24:25], off
	global_load_dwordx2 v[226:227], v[52:53], off
	global_load_dwordx2 v[170:171], v[54:55], off
	global_load_dwordx2 v[224:225], v[56:57], off
	global_load_dwordx2 v[168:169], v[58:59], off
	global_load_dwordx2 v[222:223], v[60:61], off
	global_load_dwordx2 v[166:167], v[62:63], off
	global_load_dwordx2 v[220:221], v[64:65], off
	global_load_dwordx2 v[164:165], v[66:67], off
	global_load_dwordx2 v[218:219], v[68:69], off
	global_load_dwordx2 v[162:163], v[70:71], off
	global_load_dwordx2 v[216:217], v[72:73], off
	global_load_dwordx2 v[160:161], v[74:75], off
	global_load_dwordx2 v[214:215], v[76:77], off
	global_load_dwordx2 v[158:159], v[78:79], off
	global_load_dwordx2 v[212:213], v[80:81], off
	global_load_dwordx2 v[156:157], v[82:83], off
	global_load_dwordx2 v[210:211], v[84:85], off
	global_load_dwordx2 v[154:155], v[86:87], off
	global_load_dwordx2 v[208:209], v[88:89], off
	global_load_dwordx2 v[152:153], v[90:91], off
	global_load_dwordx2 v[206:207], v[92:93], off
	global_load_dwordx2 v[150:151], v[94:95], off
	global_load_dwordx2 v[204:205], v[96:97], off
	global_load_dwordx2 v[148:149], v[98:99], off
	global_load_dwordx2 v[202:203], v[100:101], off
	global_load_dwordx2 v[146:147], v[102:103], off
	global_load_dwordx2 v[200:201], v[104:105], off
	global_load_dwordx2 v[144:145], v[106:107], off
	global_load_dwordx2 v[198:199], v[108:109], off
	global_load_dwordx2 v[142:143], v[110:111], off
	global_load_dwordx2 v[196:197], v[114:115], off
	global_load_dwordx2 v[140:141], v[250:251], off
	global_load_dwordx2 v[194:195], v[252:253], off
	global_load_dwordx2 v[138:139], v[254:255], off
	global_load_dwordx2 v[192:193], v[230:231], off
	global_load_dwordx2 v[136:137], v[232:233], off
	global_load_dwordx2 v[190:191], v[112:113], off
	global_load_dwordx2 v[134:135], v[234:235], off
	global_load_dwordx2 v[188:189], v[236:237], off
	global_load_dwordx2 v[132:133], v[48:49], off
	global_load_dwordx2 v[186:187], v[238:239], off
	global_load_dwordx2 v[130:131], v[240:241], off
	global_load_dwordx2 v[184:185], v[242:243], off
	global_load_dwordx2 v[128:129], v[244:245], off
	global_load_dwordx2 v[182:183], v[246:247], off
	s_nop 0
	buffer_store_dword v6, off, s[16:19], 0 ; 4-byte Folded Spill
	s_nop 0
	buffer_store_dword v7, off, s[16:19], 0 offset:4 ; 4-byte Folded Spill
	global_load_dwordx2 v[126:127], v[6:7], off
	s_nop 0
	buffer_store_dword v8, off, s[16:19], 0 offset:8 ; 4-byte Folded Spill
	s_nop 0
	buffer_store_dword v9, off, s[16:19], 0 offset:12 ; 4-byte Folded Spill
	global_load_dwordx2 v[180:181], v[8:9], off
	s_nop 0
	buffer_store_dword v10, off, s[16:19], 0 offset:16 ; 4-byte Folded Spill
	;; [unrolled: 5-line block ×9, first 2 shown]
	s_nop 0
	buffer_store_dword v23, off, s[16:19], 0 offset:76 ; 4-byte Folded Spill
	global_load_dwordx2 v[228:229], v[22:23], off
	s_and_saveexec_b64 s[6:7], s[0:1]
	s_cbranch_execz .LBB113_4
; %bb.2:
	s_waitcnt vmcnt(62)
	ds_write_b64 v40, v[116:117]
	ds_write2_b64 v41, v[172:173], v[226:227] offset0:1 offset1:2
	ds_write2_b64 v41, v[170:171], v[224:225] offset0:3 offset1:4
	;; [unrolled: 1-line block ×7, first 2 shown]
	s_waitcnt vmcnt(60)
	ds_write2_b64 v41, v[158:159], v[212:213] offset0:15 offset1:16
	s_waitcnt vmcnt(58)
	ds_write2_b64 v41, v[156:157], v[210:211] offset0:17 offset1:18
	;; [unrolled: 2-line block ×21, first 2 shown]
	ds_read_b64 v[0:1], v40
	s_waitcnt lgkmcnt(0)
	v_cmp_neq_f64_e32 vcc, 0, v[0:1]
	s_and_b64 exec, exec, vcc
	s_cbranch_execz .LBB113_4
; %bb.3:
	v_div_scale_f64 v[2:3], s[10:11], v[0:1], v[0:1], 1.0
	v_rcp_f64_e32 v[4:5], v[2:3]
	v_div_scale_f64 v[6:7], vcc, 1.0, v[0:1], 1.0
	v_fma_f64 v[8:9], -v[2:3], v[4:5], 1.0
	v_fmac_f64_e32 v[4:5], v[4:5], v[8:9]
	v_fma_f64 v[8:9], -v[2:3], v[4:5], 1.0
	v_fmac_f64_e32 v[4:5], v[4:5], v[8:9]
	v_mul_f64 v[8:9], v[6:7], v[4:5]
	v_fma_f64 v[2:3], -v[2:3], v[8:9], v[6:7]
	v_div_fmas_f64 v[2:3], v[2:3], v[4:5], v[8:9]
	v_div_fixup_f64 v[0:1], v[2:3], v[0:1], 1.0
	ds_write_b64 v40, v[0:1]
.LBB113_4:
	s_or_b64 exec, exec, s[6:7]
	s_waitcnt lgkmcnt(0)
	s_barrier
	ds_read_b64 v[0:1], v40
	s_waitcnt lgkmcnt(0)
	buffer_store_dword v0, off, s[16:19], 0 offset:96 ; 4-byte Folded Spill
	s_nop 0
	buffer_store_dword v1, off, s[16:19], 0 offset:100 ; 4-byte Folded Spill
	s_and_saveexec_b64 s[6:7], s[2:3]
	s_cbranch_execz .LBB113_6
; %bb.5:
	ds_read2_b64 v[0:3], v41 offset0:1 offset1:2
	ds_read2_b64 v[4:7], v41 offset0:3 offset1:4
	buffer_load_dword v8, off, s[16:19], 0 offset:96 ; 4-byte Folded Reload
	buffer_load_dword v9, off, s[16:19], 0 offset:100 ; 4-byte Folded Reload
	s_waitcnt vmcnt(0)
	v_mul_f64 v[116:117], v[8:9], v[116:117]
	s_waitcnt lgkmcnt(1)
	v_fma_f64 v[172:173], -v[116:117], v[0:1], v[172:173]
	ds_read2_b64 v[8:11], v41 offset0:5 offset1:6
	v_fma_f64 v[226:227], -v[116:117], v[2:3], v[226:227]
	ds_read2_b64 v[0:3], v41 offset0:7 offset1:8
	s_waitcnt lgkmcnt(2)
	v_fma_f64 v[170:171], -v[116:117], v[4:5], v[170:171]
	v_fma_f64 v[224:225], -v[116:117], v[6:7], v[224:225]
	s_waitcnt lgkmcnt(1)
	v_fma_f64 v[168:169], -v[116:117], v[8:9], v[168:169]
	ds_read2_b64 v[4:7], v41 offset0:9 offset1:10
	v_fma_f64 v[222:223], -v[116:117], v[10:11], v[222:223]
	ds_read2_b64 v[8:11], v41 offset0:11 offset1:12
	s_waitcnt lgkmcnt(2)
	v_fma_f64 v[166:167], -v[116:117], v[0:1], v[166:167]
	v_fma_f64 v[220:221], -v[116:117], v[2:3], v[220:221]
	ds_read2_b64 v[0:3], v41 offset0:13 offset1:14
	s_waitcnt lgkmcnt(2)
	v_fma_f64 v[164:165], -v[116:117], v[4:5], v[164:165]
	v_fma_f64 v[218:219], -v[116:117], v[6:7], v[218:219]
	ds_read2_b64 v[4:7], v41 offset0:15 offset1:16
	s_waitcnt lgkmcnt(2)
	v_fma_f64 v[162:163], -v[116:117], v[8:9], v[162:163]
	v_fma_f64 v[216:217], -v[116:117], v[10:11], v[216:217]
	s_waitcnt lgkmcnt(1)
	v_fma_f64 v[160:161], -v[116:117], v[0:1], v[160:161]
	ds_read2_b64 v[8:11], v41 offset0:17 offset1:18
	v_fma_f64 v[214:215], -v[116:117], v[2:3], v[214:215]
	ds_read2_b64 v[0:3], v41 offset0:19 offset1:20
	s_waitcnt lgkmcnt(2)
	v_fma_f64 v[158:159], -v[116:117], v[4:5], v[158:159]
	v_fma_f64 v[212:213], -v[116:117], v[6:7], v[212:213]
	s_waitcnt lgkmcnt(1)
	v_fma_f64 v[156:157], -v[116:117], v[8:9], v[156:157]
	ds_read2_b64 v[4:7], v41 offset0:21 offset1:22
	v_fma_f64 v[210:211], -v[116:117], v[10:11], v[210:211]
	ds_read2_b64 v[8:11], v41 offset0:23 offset1:24
	s_waitcnt lgkmcnt(2)
	v_fma_f64 v[154:155], -v[116:117], v[0:1], v[154:155]
	v_fma_f64 v[208:209], -v[116:117], v[2:3], v[208:209]
	ds_read2_b64 v[0:3], v41 offset0:25 offset1:26
	s_waitcnt lgkmcnt(2)
	v_fma_f64 v[152:153], -v[116:117], v[4:5], v[152:153]
	v_fma_f64 v[206:207], -v[116:117], v[6:7], v[206:207]
	ds_read2_b64 v[4:7], v41 offset0:27 offset1:28
	s_waitcnt lgkmcnt(2)
	v_fma_f64 v[150:151], -v[116:117], v[8:9], v[150:151]
	v_fma_f64 v[204:205], -v[116:117], v[10:11], v[204:205]
	;; [unrolled: 24-line block ×4, first 2 shown]
	s_waitcnt lgkmcnt(1)
	v_fma_f64 v[124:125], -v[116:117], v[0:1], v[124:125]
	ds_read2_b64 v[8:11], v41 offset0:53 offset1:54
	v_fma_f64 v[178:179], -v[116:117], v[2:3], v[178:179]
	ds_read2_b64 v[0:3], v41 offset0:55 offset1:56
	s_waitcnt lgkmcnt(2)
	v_fma_f64 v[122:123], -v[116:117], v[4:5], v[122:123]
	v_fma_f64 v[176:177], -v[116:117], v[6:7], v[176:177]
	s_waitcnt lgkmcnt(1)
	v_fma_f64 v[120:121], -v[116:117], v[8:9], v[120:121]
	v_fma_f64 v[174:175], -v[116:117], v[10:11], v[174:175]
	;; [unrolled: 3-line block ×3, first 2 shown]
.LBB113_6:
	s_or_b64 exec, exec, s[6:7]
	v_cmp_eq_u32_e32 vcc, 1, v42
	s_waitcnt vmcnt(63) expcnt(7) lgkmcnt(15)
	s_barrier
	s_and_saveexec_b64 s[2:3], vcc
	s_cbranch_execz .LBB113_9
; %bb.7:
	v_mov_b32_e32 v0, v226
	v_mov_b32_e32 v1, v227
	;; [unrolled: 1-line block ×4, first 2 shown]
	ds_write_b64 v40, v[172:173]
	ds_write2_b64 v41, v[0:1], v[2:3] offset0:2 offset1:3
	v_mov_b32_e32 v0, v224
	v_mov_b32_e32 v1, v225
	v_mov_b32_e32 v2, v168
	v_mov_b32_e32 v3, v169
	ds_write2_b64 v41, v[0:1], v[2:3] offset0:4 offset1:5
	v_mov_b32_e32 v0, v222
	v_mov_b32_e32 v1, v223
	v_mov_b32_e32 v2, v166
	v_mov_b32_e32 v3, v167
	ds_write2_b64 v41, v[0:1], v[2:3] offset0:6 offset1:7
	v_mov_b32_e32 v0, v220
	v_mov_b32_e32 v1, v221
	v_mov_b32_e32 v2, v164
	v_mov_b32_e32 v3, v165
	ds_write2_b64 v41, v[0:1], v[2:3] offset0:8 offset1:9
	v_mov_b32_e32 v0, v218
	v_mov_b32_e32 v1, v219
	v_mov_b32_e32 v2, v162
	v_mov_b32_e32 v3, v163
	ds_write2_b64 v41, v[0:1], v[2:3] offset0:10 offset1:11
	v_mov_b32_e32 v0, v216
	v_mov_b32_e32 v1, v217
	v_mov_b32_e32 v2, v160
	v_mov_b32_e32 v3, v161
	ds_write2_b64 v41, v[0:1], v[2:3] offset0:12 offset1:13
	v_mov_b32_e32 v0, v214
	v_mov_b32_e32 v1, v215
	v_mov_b32_e32 v2, v158
	v_mov_b32_e32 v3, v159
	ds_write2_b64 v41, v[0:1], v[2:3] offset0:14 offset1:15
	s_waitcnt vmcnt(62)
	v_mov_b32_e32 v0, v212
	v_mov_b32_e32 v1, v213
	s_waitcnt vmcnt(61)
	v_mov_b32_e32 v2, v156
	v_mov_b32_e32 v3, v157
	ds_write2_b64 v41, v[0:1], v[2:3] offset0:16 offset1:17
	s_waitcnt vmcnt(60)
	v_mov_b32_e32 v0, v210
	v_mov_b32_e32 v1, v211
	s_waitcnt vmcnt(59)
	v_mov_b32_e32 v2, v154
	v_mov_b32_e32 v3, v155
	ds_write2_b64 v41, v[0:1], v[2:3] offset0:18 offset1:19
	s_waitcnt vmcnt(58)
	v_mov_b32_e32 v0, v208
	v_mov_b32_e32 v1, v209
	s_waitcnt vmcnt(57)
	v_mov_b32_e32 v2, v152
	v_mov_b32_e32 v3, v153
	ds_write2_b64 v41, v[0:1], v[2:3] offset0:20 offset1:21
	s_waitcnt vmcnt(56)
	v_mov_b32_e32 v0, v206
	v_mov_b32_e32 v1, v207
	s_waitcnt vmcnt(55)
	v_mov_b32_e32 v2, v150
	v_mov_b32_e32 v3, v151
	ds_write2_b64 v41, v[0:1], v[2:3] offset0:22 offset1:23
	s_waitcnt vmcnt(54)
	v_mov_b32_e32 v0, v204
	v_mov_b32_e32 v1, v205
	s_waitcnt vmcnt(53)
	v_mov_b32_e32 v2, v148
	v_mov_b32_e32 v3, v149
	ds_write2_b64 v41, v[0:1], v[2:3] offset0:24 offset1:25
	s_waitcnt vmcnt(52)
	v_mov_b32_e32 v0, v202
	v_mov_b32_e32 v1, v203
	s_waitcnt vmcnt(51)
	v_mov_b32_e32 v2, v146
	v_mov_b32_e32 v3, v147
	ds_write2_b64 v41, v[0:1], v[2:3] offset0:26 offset1:27
	s_waitcnt vmcnt(50)
	v_mov_b32_e32 v0, v200
	v_mov_b32_e32 v1, v201
	s_waitcnt vmcnt(49)
	v_mov_b32_e32 v2, v144
	v_mov_b32_e32 v3, v145
	ds_write2_b64 v41, v[0:1], v[2:3] offset0:28 offset1:29
	s_waitcnt vmcnt(48)
	v_mov_b32_e32 v0, v198
	v_mov_b32_e32 v1, v199
	s_waitcnt vmcnt(47)
	v_mov_b32_e32 v2, v142
	v_mov_b32_e32 v3, v143
	ds_write2_b64 v41, v[0:1], v[2:3] offset0:30 offset1:31
	s_waitcnt vmcnt(46)
	v_mov_b32_e32 v0, v196
	v_mov_b32_e32 v1, v197
	s_waitcnt vmcnt(45)
	v_mov_b32_e32 v2, v140
	v_mov_b32_e32 v3, v141
	ds_write2_b64 v41, v[0:1], v[2:3] offset0:32 offset1:33
	s_waitcnt vmcnt(44)
	v_mov_b32_e32 v0, v194
	v_mov_b32_e32 v1, v195
	s_waitcnt vmcnt(43)
	v_mov_b32_e32 v2, v138
	v_mov_b32_e32 v3, v139
	ds_write2_b64 v41, v[0:1], v[2:3] offset0:34 offset1:35
	s_waitcnt vmcnt(42)
	v_mov_b32_e32 v0, v192
	v_mov_b32_e32 v1, v193
	s_waitcnt vmcnt(41)
	v_mov_b32_e32 v2, v136
	v_mov_b32_e32 v3, v137
	ds_write2_b64 v41, v[0:1], v[2:3] offset0:36 offset1:37
	s_waitcnt vmcnt(40)
	v_mov_b32_e32 v0, v190
	v_mov_b32_e32 v1, v191
	s_waitcnt vmcnt(39)
	v_mov_b32_e32 v2, v134
	v_mov_b32_e32 v3, v135
	ds_write2_b64 v41, v[0:1], v[2:3] offset0:38 offset1:39
	s_waitcnt vmcnt(38)
	v_mov_b32_e32 v0, v188
	v_mov_b32_e32 v1, v189
	s_waitcnt vmcnt(37)
	v_mov_b32_e32 v2, v132
	v_mov_b32_e32 v3, v133
	ds_write2_b64 v41, v[0:1], v[2:3] offset0:40 offset1:41
	s_waitcnt vmcnt(36)
	v_mov_b32_e32 v0, v186
	v_mov_b32_e32 v1, v187
	s_waitcnt vmcnt(35)
	v_mov_b32_e32 v2, v130
	v_mov_b32_e32 v3, v131
	ds_write2_b64 v41, v[0:1], v[2:3] offset0:42 offset1:43
	s_waitcnt vmcnt(34)
	v_mov_b32_e32 v0, v184
	v_mov_b32_e32 v1, v185
	s_waitcnt vmcnt(33)
	v_mov_b32_e32 v2, v128
	v_mov_b32_e32 v3, v129
	ds_write2_b64 v41, v[0:1], v[2:3] offset0:44 offset1:45
	s_waitcnt vmcnt(32)
	v_mov_b32_e32 v0, v182
	v_mov_b32_e32 v1, v183
	s_waitcnt vmcnt(29)
	v_mov_b32_e32 v2, v126
	v_mov_b32_e32 v3, v127
	ds_write2_b64 v41, v[0:1], v[2:3] offset0:46 offset1:47
	s_waitcnt vmcnt(26)
	v_mov_b32_e32 v0, v180
	v_mov_b32_e32 v1, v181
	s_waitcnt vmcnt(23)
	v_mov_b32_e32 v2, v124
	v_mov_b32_e32 v3, v125
	ds_write2_b64 v41, v[0:1], v[2:3] offset0:48 offset1:49
	s_waitcnt vmcnt(20)
	v_mov_b32_e32 v0, v178
	v_mov_b32_e32 v1, v179
	s_waitcnt vmcnt(17)
	v_mov_b32_e32 v2, v122
	v_mov_b32_e32 v3, v123
	ds_write2_b64 v41, v[0:1], v[2:3] offset0:50 offset1:51
	s_waitcnt vmcnt(14)
	v_mov_b32_e32 v0, v176
	v_mov_b32_e32 v1, v177
	s_waitcnt vmcnt(11)
	v_mov_b32_e32 v2, v120
	v_mov_b32_e32 v3, v121
	ds_write2_b64 v41, v[0:1], v[2:3] offset0:52 offset1:53
	s_waitcnt vmcnt(8)
	v_mov_b32_e32 v0, v174
	v_mov_b32_e32 v1, v175
	s_waitcnt vmcnt(5)
	v_mov_b32_e32 v2, v118
	v_mov_b32_e32 v3, v119
	ds_write2_b64 v41, v[0:1], v[2:3] offset0:54 offset1:55
	s_waitcnt vmcnt(2)
	ds_write_b64 v41, v[228:229] offset:448
	ds_read_b64 v[0:1], v40
	s_waitcnt lgkmcnt(0)
	v_cmp_neq_f64_e32 vcc, 0, v[0:1]
	s_and_b64 exec, exec, vcc
	s_cbranch_execz .LBB113_9
; %bb.8:
	v_div_scale_f64 v[2:3], s[6:7], v[0:1], v[0:1], 1.0
	v_rcp_f64_e32 v[4:5], v[2:3]
	v_div_scale_f64 v[6:7], vcc, 1.0, v[0:1], 1.0
	v_fma_f64 v[8:9], -v[2:3], v[4:5], 1.0
	v_fmac_f64_e32 v[4:5], v[4:5], v[8:9]
	v_fma_f64 v[8:9], -v[2:3], v[4:5], 1.0
	v_fmac_f64_e32 v[4:5], v[4:5], v[8:9]
	v_mul_f64 v[8:9], v[6:7], v[4:5]
	v_fma_f64 v[2:3], -v[2:3], v[8:9], v[6:7]
	v_div_fmas_f64 v[2:3], v[2:3], v[4:5], v[8:9]
	v_div_fixup_f64 v[0:1], v[2:3], v[0:1], 1.0
	ds_write_b64 v40, v[0:1]
.LBB113_9:
	s_or_b64 exec, exec, s[2:3]
	s_waitcnt lgkmcnt(0)
	s_barrier
	ds_read_b64 v[0:1], v40
	v_cmp_lt_u32_e32 vcc, 1, v42
	s_waitcnt lgkmcnt(0)
	buffer_store_dword v0, off, s[16:19], 0 offset:104 ; 4-byte Folded Spill
	s_nop 0
	buffer_store_dword v1, off, s[16:19], 0 offset:108 ; 4-byte Folded Spill
	s_and_saveexec_b64 s[2:3], vcc
	s_cbranch_execz .LBB113_11
; %bb.10:
	ds_read2_b64 v[0:3], v41 offset0:2 offset1:3
	ds_read2_b64 v[4:7], v41 offset0:4 offset1:5
	buffer_load_dword v8, off, s[16:19], 0 offset:104 ; 4-byte Folded Reload
	buffer_load_dword v9, off, s[16:19], 0 offset:108 ; 4-byte Folded Reload
	s_waitcnt vmcnt(0)
	v_mul_f64 v[172:173], v[8:9], v[172:173]
	s_waitcnt lgkmcnt(1)
	v_fma_f64 v[226:227], -v[172:173], v[0:1], v[226:227]
	ds_read2_b64 v[8:11], v41 offset0:6 offset1:7
	v_fma_f64 v[170:171], -v[172:173], v[2:3], v[170:171]
	ds_read2_b64 v[0:3], v41 offset0:8 offset1:9
	s_waitcnt lgkmcnt(2)
	v_fma_f64 v[224:225], -v[172:173], v[4:5], v[224:225]
	v_fma_f64 v[168:169], -v[172:173], v[6:7], v[168:169]
	s_waitcnt lgkmcnt(1)
	v_fma_f64 v[222:223], -v[172:173], v[8:9], v[222:223]
	ds_read2_b64 v[4:7], v41 offset0:10 offset1:11
	v_fma_f64 v[166:167], -v[172:173], v[10:11], v[166:167]
	ds_read2_b64 v[8:11], v41 offset0:12 offset1:13
	s_waitcnt lgkmcnt(2)
	v_fma_f64 v[220:221], -v[172:173], v[0:1], v[220:221]
	v_fma_f64 v[164:165], -v[172:173], v[2:3], v[164:165]
	ds_read2_b64 v[0:3], v41 offset0:14 offset1:15
	s_waitcnt lgkmcnt(2)
	v_fma_f64 v[218:219], -v[172:173], v[4:5], v[218:219]
	v_fma_f64 v[162:163], -v[172:173], v[6:7], v[162:163]
	ds_read2_b64 v[4:7], v41 offset0:16 offset1:17
	s_waitcnt lgkmcnt(2)
	v_fma_f64 v[216:217], -v[172:173], v[8:9], v[216:217]
	v_fma_f64 v[160:161], -v[172:173], v[10:11], v[160:161]
	s_waitcnt lgkmcnt(1)
	v_fma_f64 v[214:215], -v[172:173], v[0:1], v[214:215]
	ds_read2_b64 v[8:11], v41 offset0:18 offset1:19
	v_fma_f64 v[158:159], -v[172:173], v[2:3], v[158:159]
	ds_read2_b64 v[0:3], v41 offset0:20 offset1:21
	s_waitcnt lgkmcnt(2)
	v_fma_f64 v[212:213], -v[172:173], v[4:5], v[212:213]
	v_fma_f64 v[156:157], -v[172:173], v[6:7], v[156:157]
	s_waitcnt lgkmcnt(1)
	v_fma_f64 v[210:211], -v[172:173], v[8:9], v[210:211]
	ds_read2_b64 v[4:7], v41 offset0:22 offset1:23
	v_fma_f64 v[154:155], -v[172:173], v[10:11], v[154:155]
	ds_read2_b64 v[8:11], v41 offset0:24 offset1:25
	s_waitcnt lgkmcnt(2)
	v_fma_f64 v[208:209], -v[172:173], v[0:1], v[208:209]
	v_fma_f64 v[152:153], -v[172:173], v[2:3], v[152:153]
	ds_read2_b64 v[0:3], v41 offset0:26 offset1:27
	s_waitcnt lgkmcnt(2)
	v_fma_f64 v[206:207], -v[172:173], v[4:5], v[206:207]
	v_fma_f64 v[150:151], -v[172:173], v[6:7], v[150:151]
	ds_read2_b64 v[4:7], v41 offset0:28 offset1:29
	s_waitcnt lgkmcnt(2)
	v_fma_f64 v[204:205], -v[172:173], v[8:9], v[204:205]
	v_fma_f64 v[148:149], -v[172:173], v[10:11], v[148:149]
	;; [unrolled: 24-line block ×4, first 2 shown]
	s_waitcnt lgkmcnt(1)
	v_fma_f64 v[178:179], -v[172:173], v[0:1], v[178:179]
	ds_read2_b64 v[8:11], v41 offset0:54 offset1:55
	ds_read_b64 v[0:1], v41 offset:448
	v_fma_f64 v[122:123], -v[172:173], v[2:3], v[122:123]
	s_waitcnt lgkmcnt(2)
	v_fma_f64 v[176:177], -v[172:173], v[4:5], v[176:177]
	v_fma_f64 v[120:121], -v[172:173], v[6:7], v[120:121]
	s_waitcnt lgkmcnt(1)
	v_fma_f64 v[174:175], -v[172:173], v[8:9], v[174:175]
	;; [unrolled: 3-line block ×3, first 2 shown]
.LBB113_11:
	s_or_b64 exec, exec, s[2:3]
	v_cmp_eq_u32_e32 vcc, 2, v42
	s_waitcnt vmcnt(63) expcnt(7) lgkmcnt(15)
	s_barrier
	s_and_saveexec_b64 s[2:3], vcc
	s_cbranch_execz .LBB113_14
; %bb.12:
	ds_write_b64 v40, v[226:227]
	ds_write2_b64 v41, v[170:171], v[224:225] offset0:3 offset1:4
	ds_write2_b64 v41, v[168:169], v[222:223] offset0:5 offset1:6
	;; [unrolled: 1-line block ×7, first 2 shown]
	s_waitcnt vmcnt(62)
	ds_write2_b64 v41, v[156:157], v[210:211] offset0:17 offset1:18
	s_waitcnt vmcnt(60)
	ds_write2_b64 v41, v[154:155], v[208:209] offset0:19 offset1:20
	;; [unrolled: 2-line block ×20, first 2 shown]
	ds_read_b64 v[0:1], v40
	s_waitcnt lgkmcnt(0)
	v_cmp_neq_f64_e32 vcc, 0, v[0:1]
	s_and_b64 exec, exec, vcc
	s_cbranch_execz .LBB113_14
; %bb.13:
	v_div_scale_f64 v[2:3], s[6:7], v[0:1], v[0:1], 1.0
	v_rcp_f64_e32 v[4:5], v[2:3]
	v_div_scale_f64 v[6:7], vcc, 1.0, v[0:1], 1.0
	v_fma_f64 v[8:9], -v[2:3], v[4:5], 1.0
	v_fmac_f64_e32 v[4:5], v[4:5], v[8:9]
	v_fma_f64 v[8:9], -v[2:3], v[4:5], 1.0
	v_fmac_f64_e32 v[4:5], v[4:5], v[8:9]
	v_mul_f64 v[8:9], v[6:7], v[4:5]
	v_fma_f64 v[2:3], -v[2:3], v[8:9], v[6:7]
	v_div_fmas_f64 v[2:3], v[2:3], v[4:5], v[8:9]
	v_div_fixup_f64 v[0:1], v[2:3], v[0:1], 1.0
	ds_write_b64 v40, v[0:1]
.LBB113_14:
	s_or_b64 exec, exec, s[2:3]
	s_waitcnt lgkmcnt(0)
	s_barrier
	ds_read_b64 v[0:1], v40
	v_cmp_lt_u32_e32 vcc, 2, v42
	s_waitcnt lgkmcnt(0)
	buffer_store_dword v0, off, s[16:19], 0 offset:112 ; 4-byte Folded Spill
	s_nop 0
	buffer_store_dword v1, off, s[16:19], 0 offset:116 ; 4-byte Folded Spill
	s_and_saveexec_b64 s[2:3], vcc
	s_cbranch_execz .LBB113_16
; %bb.15:
	ds_read2_b64 v[0:3], v41 offset0:3 offset1:4
	ds_read2_b64 v[4:7], v41 offset0:5 offset1:6
	buffer_load_dword v8, off, s[16:19], 0 offset:112 ; 4-byte Folded Reload
	buffer_load_dword v9, off, s[16:19], 0 offset:116 ; 4-byte Folded Reload
	s_waitcnt vmcnt(0)
	v_mul_f64 v[226:227], v[8:9], v[226:227]
	ds_read2_b64 v[8:11], v41 offset0:7 offset1:8
	s_waitcnt lgkmcnt(2)
	v_fma_f64 v[170:171], -v[226:227], v[0:1], v[170:171]
	v_fma_f64 v[224:225], -v[226:227], v[2:3], v[224:225]
	ds_read2_b64 v[0:3], v41 offset0:9 offset1:10
	s_waitcnt lgkmcnt(2)
	v_fma_f64 v[168:169], -v[226:227], v[4:5], v[168:169]
	v_fma_f64 v[222:223], -v[226:227], v[6:7], v[222:223]
	s_waitcnt lgkmcnt(1)
	v_fma_f64 v[166:167], -v[226:227], v[8:9], v[166:167]
	ds_read2_b64 v[4:7], v41 offset0:11 offset1:12
	v_fma_f64 v[220:221], -v[226:227], v[10:11], v[220:221]
	ds_read2_b64 v[8:11], v41 offset0:13 offset1:14
	s_waitcnt lgkmcnt(2)
	v_fma_f64 v[164:165], -v[226:227], v[0:1], v[164:165]
	v_fma_f64 v[218:219], -v[226:227], v[2:3], v[218:219]
	s_waitcnt lgkmcnt(1)
	v_fma_f64 v[162:163], -v[226:227], v[4:5], v[162:163]
	ds_read2_b64 v[0:3], v41 offset0:15 offset1:16
	v_fma_f64 v[216:217], -v[226:227], v[6:7], v[216:217]
	ds_read2_b64 v[4:7], v41 offset0:17 offset1:18
	s_waitcnt lgkmcnt(2)
	v_fma_f64 v[160:161], -v[226:227], v[8:9], v[160:161]
	v_fma_f64 v[214:215], -v[226:227], v[10:11], v[214:215]
	ds_read2_b64 v[8:11], v41 offset0:19 offset1:20
	s_waitcnt lgkmcnt(2)
	v_fma_f64 v[158:159], -v[226:227], v[0:1], v[158:159]
	v_fma_f64 v[212:213], -v[226:227], v[2:3], v[212:213]
	ds_read2_b64 v[0:3], v41 offset0:21 offset1:22
	s_waitcnt lgkmcnt(2)
	v_fma_f64 v[156:157], -v[226:227], v[4:5], v[156:157]
	v_fma_f64 v[210:211], -v[226:227], v[6:7], v[210:211]
	s_waitcnt lgkmcnt(1)
	v_fma_f64 v[154:155], -v[226:227], v[8:9], v[154:155]
	ds_read2_b64 v[4:7], v41 offset0:23 offset1:24
	v_fma_f64 v[208:209], -v[226:227], v[10:11], v[208:209]
	ds_read2_b64 v[8:11], v41 offset0:25 offset1:26
	s_waitcnt lgkmcnt(2)
	v_fma_f64 v[152:153], -v[226:227], v[0:1], v[152:153]
	v_fma_f64 v[206:207], -v[226:227], v[2:3], v[206:207]
	s_waitcnt lgkmcnt(1)
	v_fma_f64 v[150:151], -v[226:227], v[4:5], v[150:151]
	ds_read2_b64 v[0:3], v41 offset0:27 offset1:28
	v_fma_f64 v[204:205], -v[226:227], v[6:7], v[204:205]
	ds_read2_b64 v[4:7], v41 offset0:29 offset1:30
	s_waitcnt lgkmcnt(2)
	v_fma_f64 v[148:149], -v[226:227], v[8:9], v[148:149]
	v_fma_f64 v[202:203], -v[226:227], v[10:11], v[202:203]
	ds_read2_b64 v[8:11], v41 offset0:31 offset1:32
	s_waitcnt lgkmcnt(2)
	v_fma_f64 v[146:147], -v[226:227], v[0:1], v[146:147]
	v_fma_f64 v[200:201], -v[226:227], v[2:3], v[200:201]
	ds_read2_b64 v[0:3], v41 offset0:33 offset1:34
	s_waitcnt lgkmcnt(2)
	v_fma_f64 v[144:145], -v[226:227], v[4:5], v[144:145]
	v_fma_f64 v[198:199], -v[226:227], v[6:7], v[198:199]
	s_waitcnt lgkmcnt(1)
	v_fma_f64 v[142:143], -v[226:227], v[8:9], v[142:143]
	ds_read2_b64 v[4:7], v41 offset0:35 offset1:36
	v_fma_f64 v[196:197], -v[226:227], v[10:11], v[196:197]
	ds_read2_b64 v[8:11], v41 offset0:37 offset1:38
	s_waitcnt lgkmcnt(2)
	v_fma_f64 v[140:141], -v[226:227], v[0:1], v[140:141]
	v_fma_f64 v[194:195], -v[226:227], v[2:3], v[194:195]
	s_waitcnt lgkmcnt(1)
	v_fma_f64 v[138:139], -v[226:227], v[4:5], v[138:139]
	ds_read2_b64 v[0:3], v41 offset0:39 offset1:40
	v_fma_f64 v[192:193], -v[226:227], v[6:7], v[192:193]
	ds_read2_b64 v[4:7], v41 offset0:41 offset1:42
	s_waitcnt lgkmcnt(2)
	v_fma_f64 v[136:137], -v[226:227], v[8:9], v[136:137]
	v_fma_f64 v[190:191], -v[226:227], v[10:11], v[190:191]
	ds_read2_b64 v[8:11], v41 offset0:43 offset1:44
	s_waitcnt lgkmcnt(2)
	v_fma_f64 v[134:135], -v[226:227], v[0:1], v[134:135]
	v_fma_f64 v[188:189], -v[226:227], v[2:3], v[188:189]
	ds_read2_b64 v[0:3], v41 offset0:45 offset1:46
	s_waitcnt lgkmcnt(2)
	v_fma_f64 v[132:133], -v[226:227], v[4:5], v[132:133]
	v_fma_f64 v[186:187], -v[226:227], v[6:7], v[186:187]
	s_waitcnt lgkmcnt(1)
	v_fma_f64 v[130:131], -v[226:227], v[8:9], v[130:131]
	ds_read2_b64 v[4:7], v41 offset0:47 offset1:48
	v_fma_f64 v[184:185], -v[226:227], v[10:11], v[184:185]
	ds_read2_b64 v[8:11], v41 offset0:49 offset1:50
	s_waitcnt lgkmcnt(2)
	v_fma_f64 v[128:129], -v[226:227], v[0:1], v[128:129]
	v_fma_f64 v[182:183], -v[226:227], v[2:3], v[182:183]
	s_waitcnt lgkmcnt(1)
	v_fma_f64 v[126:127], -v[226:227], v[4:5], v[126:127]
	v_fma_f64 v[180:181], -v[226:227], v[6:7], v[180:181]
	ds_read2_b64 v[0:3], v41 offset0:51 offset1:52
	ds_read2_b64 v[4:7], v41 offset0:53 offset1:54
	s_waitcnt lgkmcnt(2)
	v_fma_f64 v[124:125], -v[226:227], v[8:9], v[124:125]
	v_fma_f64 v[178:179], -v[226:227], v[10:11], v[178:179]
	ds_read2_b64 v[8:11], v41 offset0:55 offset1:56
	s_waitcnt lgkmcnt(2)
	v_fma_f64 v[122:123], -v[226:227], v[0:1], v[122:123]
	v_fma_f64 v[176:177], -v[226:227], v[2:3], v[176:177]
	s_waitcnt lgkmcnt(1)
	v_fma_f64 v[120:121], -v[226:227], v[4:5], v[120:121]
	v_fma_f64 v[174:175], -v[226:227], v[6:7], v[174:175]
	;; [unrolled: 3-line block ×3, first 2 shown]
.LBB113_16:
	s_or_b64 exec, exec, s[2:3]
	v_cmp_eq_u32_e32 vcc, 3, v42
	s_waitcnt vmcnt(63) expcnt(7) lgkmcnt(15)
	s_barrier
	s_and_saveexec_b64 s[2:3], vcc
	s_cbranch_execz .LBB113_19
; %bb.17:
	v_mov_b32_e32 v0, v224
	v_mov_b32_e32 v1, v225
	;; [unrolled: 1-line block ×4, first 2 shown]
	ds_write_b64 v40, v[170:171]
	ds_write2_b64 v41, v[0:1], v[2:3] offset0:4 offset1:5
	v_mov_b32_e32 v0, v222
	v_mov_b32_e32 v1, v223
	v_mov_b32_e32 v2, v166
	v_mov_b32_e32 v3, v167
	ds_write2_b64 v41, v[0:1], v[2:3] offset0:6 offset1:7
	v_mov_b32_e32 v0, v220
	v_mov_b32_e32 v1, v221
	v_mov_b32_e32 v2, v164
	v_mov_b32_e32 v3, v165
	;; [unrolled: 5-line block ×7, first 2 shown]
	ds_write2_b64 v41, v[0:1], v[2:3] offset0:18 offset1:19
	s_waitcnt vmcnt(62)
	v_mov_b32_e32 v0, v208
	v_mov_b32_e32 v1, v209
	s_waitcnt vmcnt(61)
	v_mov_b32_e32 v2, v152
	v_mov_b32_e32 v3, v153
	ds_write2_b64 v41, v[0:1], v[2:3] offset0:20 offset1:21
	s_waitcnt vmcnt(60)
	v_mov_b32_e32 v0, v206
	v_mov_b32_e32 v1, v207
	s_waitcnt vmcnt(59)
	v_mov_b32_e32 v2, v150
	v_mov_b32_e32 v3, v151
	;; [unrolled: 7-line block ×18, first 2 shown]
	ds_write2_b64 v41, v[0:1], v[2:3] offset0:54 offset1:55
	s_waitcnt vmcnt(6)
	ds_write_b64 v41, v[228:229] offset:448
	ds_read_b64 v[0:1], v40
	s_waitcnt lgkmcnt(0)
	v_cmp_neq_f64_e32 vcc, 0, v[0:1]
	s_and_b64 exec, exec, vcc
	s_cbranch_execz .LBB113_19
; %bb.18:
	v_div_scale_f64 v[2:3], s[6:7], v[0:1], v[0:1], 1.0
	v_rcp_f64_e32 v[4:5], v[2:3]
	v_div_scale_f64 v[6:7], vcc, 1.0, v[0:1], 1.0
	v_fma_f64 v[8:9], -v[2:3], v[4:5], 1.0
	v_fmac_f64_e32 v[4:5], v[4:5], v[8:9]
	v_fma_f64 v[8:9], -v[2:3], v[4:5], 1.0
	v_fmac_f64_e32 v[4:5], v[4:5], v[8:9]
	v_mul_f64 v[8:9], v[6:7], v[4:5]
	v_fma_f64 v[2:3], -v[2:3], v[8:9], v[6:7]
	v_div_fmas_f64 v[2:3], v[2:3], v[4:5], v[8:9]
	v_div_fixup_f64 v[0:1], v[2:3], v[0:1], 1.0
	ds_write_b64 v40, v[0:1]
.LBB113_19:
	s_or_b64 exec, exec, s[2:3]
	s_waitcnt lgkmcnt(0)
	s_barrier
	ds_read_b64 v[0:1], v40
	v_cmp_lt_u32_e32 vcc, 3, v42
	s_waitcnt lgkmcnt(0)
	buffer_store_dword v0, off, s[16:19], 0 offset:120 ; 4-byte Folded Spill
	s_nop 0
	buffer_store_dword v1, off, s[16:19], 0 offset:124 ; 4-byte Folded Spill
	s_and_saveexec_b64 s[2:3], vcc
	s_cbranch_execz .LBB113_21
; %bb.20:
	ds_read2_b64 v[0:3], v41 offset0:4 offset1:5
	ds_read2_b64 v[4:7], v41 offset0:6 offset1:7
	buffer_load_dword v8, off, s[16:19], 0 offset:120 ; 4-byte Folded Reload
	buffer_load_dword v9, off, s[16:19], 0 offset:124 ; 4-byte Folded Reload
	s_waitcnt vmcnt(0)
	v_mul_f64 v[170:171], v[8:9], v[170:171]
	ds_read2_b64 v[8:11], v41 offset0:8 offset1:9
	s_waitcnt lgkmcnt(2)
	v_fma_f64 v[224:225], -v[170:171], v[0:1], v[224:225]
	v_fma_f64 v[168:169], -v[170:171], v[2:3], v[168:169]
	ds_read2_b64 v[0:3], v41 offset0:10 offset1:11
	s_waitcnt lgkmcnt(2)
	v_fma_f64 v[222:223], -v[170:171], v[4:5], v[222:223]
	v_fma_f64 v[166:167], -v[170:171], v[6:7], v[166:167]
	s_waitcnt lgkmcnt(1)
	v_fma_f64 v[220:221], -v[170:171], v[8:9], v[220:221]
	ds_read2_b64 v[4:7], v41 offset0:12 offset1:13
	v_fma_f64 v[164:165], -v[170:171], v[10:11], v[164:165]
	ds_read2_b64 v[8:11], v41 offset0:14 offset1:15
	s_waitcnt lgkmcnt(2)
	v_fma_f64 v[218:219], -v[170:171], v[0:1], v[218:219]
	v_fma_f64 v[162:163], -v[170:171], v[2:3], v[162:163]
	s_waitcnt lgkmcnt(1)
	v_fma_f64 v[216:217], -v[170:171], v[4:5], v[216:217]
	ds_read2_b64 v[0:3], v41 offset0:16 offset1:17
	v_fma_f64 v[160:161], -v[170:171], v[6:7], v[160:161]
	ds_read2_b64 v[4:7], v41 offset0:18 offset1:19
	s_waitcnt lgkmcnt(2)
	v_fma_f64 v[214:215], -v[170:171], v[8:9], v[214:215]
	v_fma_f64 v[158:159], -v[170:171], v[10:11], v[158:159]
	ds_read2_b64 v[8:11], v41 offset0:20 offset1:21
	s_waitcnt lgkmcnt(2)
	v_fma_f64 v[212:213], -v[170:171], v[0:1], v[212:213]
	v_fma_f64 v[156:157], -v[170:171], v[2:3], v[156:157]
	ds_read2_b64 v[0:3], v41 offset0:22 offset1:23
	s_waitcnt lgkmcnt(2)
	v_fma_f64 v[210:211], -v[170:171], v[4:5], v[210:211]
	v_fma_f64 v[154:155], -v[170:171], v[6:7], v[154:155]
	s_waitcnt lgkmcnt(1)
	v_fma_f64 v[208:209], -v[170:171], v[8:9], v[208:209]
	ds_read2_b64 v[4:7], v41 offset0:24 offset1:25
	v_fma_f64 v[152:153], -v[170:171], v[10:11], v[152:153]
	ds_read2_b64 v[8:11], v41 offset0:26 offset1:27
	s_waitcnt lgkmcnt(2)
	v_fma_f64 v[206:207], -v[170:171], v[0:1], v[206:207]
	v_fma_f64 v[150:151], -v[170:171], v[2:3], v[150:151]
	s_waitcnt lgkmcnt(1)
	v_fma_f64 v[204:205], -v[170:171], v[4:5], v[204:205]
	ds_read2_b64 v[0:3], v41 offset0:28 offset1:29
	v_fma_f64 v[148:149], -v[170:171], v[6:7], v[148:149]
	ds_read2_b64 v[4:7], v41 offset0:30 offset1:31
	s_waitcnt lgkmcnt(2)
	v_fma_f64 v[202:203], -v[170:171], v[8:9], v[202:203]
	v_fma_f64 v[146:147], -v[170:171], v[10:11], v[146:147]
	;; [unrolled: 24-line block ×3, first 2 shown]
	ds_read2_b64 v[8:11], v41 offset0:44 offset1:45
	s_waitcnt lgkmcnt(2)
	v_fma_f64 v[188:189], -v[170:171], v[0:1], v[188:189]
	v_fma_f64 v[132:133], -v[170:171], v[2:3], v[132:133]
	ds_read2_b64 v[0:3], v41 offset0:46 offset1:47
	s_waitcnt lgkmcnt(2)
	v_fma_f64 v[186:187], -v[170:171], v[4:5], v[186:187]
	v_fma_f64 v[130:131], -v[170:171], v[6:7], v[130:131]
	s_waitcnt lgkmcnt(1)
	v_fma_f64 v[184:185], -v[170:171], v[8:9], v[184:185]
	ds_read2_b64 v[4:7], v41 offset0:48 offset1:49
	v_fma_f64 v[128:129], -v[170:171], v[10:11], v[128:129]
	ds_read2_b64 v[8:11], v41 offset0:50 offset1:51
	s_waitcnt lgkmcnt(2)
	v_fma_f64 v[182:183], -v[170:171], v[0:1], v[182:183]
	v_fma_f64 v[126:127], -v[170:171], v[2:3], v[126:127]
	s_waitcnt lgkmcnt(1)
	v_fma_f64 v[180:181], -v[170:171], v[4:5], v[180:181]
	v_fma_f64 v[124:125], -v[170:171], v[6:7], v[124:125]
	ds_read2_b64 v[0:3], v41 offset0:52 offset1:53
	ds_read2_b64 v[4:7], v41 offset0:54 offset1:55
	s_waitcnt lgkmcnt(2)
	v_fma_f64 v[178:179], -v[170:171], v[8:9], v[178:179]
	ds_read_b64 v[8:9], v41 offset:448
	v_fma_f64 v[122:123], -v[170:171], v[10:11], v[122:123]
	s_waitcnt lgkmcnt(2)
	v_fma_f64 v[176:177], -v[170:171], v[0:1], v[176:177]
	v_fma_f64 v[120:121], -v[170:171], v[2:3], v[120:121]
	s_waitcnt lgkmcnt(1)
	v_fma_f64 v[174:175], -v[170:171], v[4:5], v[174:175]
	;; [unrolled: 3-line block ×3, first 2 shown]
.LBB113_21:
	s_or_b64 exec, exec, s[2:3]
	v_cmp_eq_u32_e32 vcc, 4, v42
	s_waitcnt vmcnt(63) expcnt(7) lgkmcnt(15)
	s_barrier
	s_and_saveexec_b64 s[2:3], vcc
	s_cbranch_execz .LBB113_24
; %bb.22:
	ds_write_b64 v40, v[224:225]
	ds_write2_b64 v41, v[168:169], v[222:223] offset0:5 offset1:6
	ds_write2_b64 v41, v[166:167], v[220:221] offset0:7 offset1:8
	;; [unrolled: 1-line block ×8, first 2 shown]
	s_waitcnt vmcnt(62)
	ds_write2_b64 v41, v[152:153], v[206:207] offset0:21 offset1:22
	s_waitcnt vmcnt(60)
	ds_write2_b64 v41, v[150:151], v[204:205] offset0:23 offset1:24
	;; [unrolled: 2-line block ×18, first 2 shown]
	ds_read_b64 v[0:1], v40
	s_waitcnt lgkmcnt(0)
	v_cmp_neq_f64_e32 vcc, 0, v[0:1]
	s_and_b64 exec, exec, vcc
	s_cbranch_execz .LBB113_24
; %bb.23:
	v_div_scale_f64 v[2:3], s[6:7], v[0:1], v[0:1], 1.0
	v_rcp_f64_e32 v[4:5], v[2:3]
	v_div_scale_f64 v[6:7], vcc, 1.0, v[0:1], 1.0
	v_fma_f64 v[8:9], -v[2:3], v[4:5], 1.0
	v_fmac_f64_e32 v[4:5], v[4:5], v[8:9]
	v_fma_f64 v[8:9], -v[2:3], v[4:5], 1.0
	v_fmac_f64_e32 v[4:5], v[4:5], v[8:9]
	v_mul_f64 v[8:9], v[6:7], v[4:5]
	v_fma_f64 v[2:3], -v[2:3], v[8:9], v[6:7]
	v_div_fmas_f64 v[2:3], v[2:3], v[4:5], v[8:9]
	v_div_fixup_f64 v[0:1], v[2:3], v[0:1], 1.0
	ds_write_b64 v40, v[0:1]
.LBB113_24:
	s_or_b64 exec, exec, s[2:3]
	s_waitcnt lgkmcnt(0)
	s_barrier
	ds_read_b64 v[0:1], v40
	v_cmp_lt_u32_e32 vcc, 4, v42
	s_waitcnt lgkmcnt(0)
	buffer_store_dword v0, off, s[16:19], 0 offset:128 ; 4-byte Folded Spill
	s_nop 0
	buffer_store_dword v1, off, s[16:19], 0 offset:132 ; 4-byte Folded Spill
	s_and_saveexec_b64 s[2:3], vcc
	s_cbranch_execz .LBB113_26
; %bb.25:
	ds_read2_b64 v[0:3], v41 offset0:5 offset1:6
	ds_read2_b64 v[4:7], v41 offset0:7 offset1:8
	buffer_load_dword v8, off, s[16:19], 0 offset:128 ; 4-byte Folded Reload
	buffer_load_dword v9, off, s[16:19], 0 offset:132 ; 4-byte Folded Reload
	s_waitcnt vmcnt(0)
	v_mul_f64 v[224:225], v[8:9], v[224:225]
	s_waitcnt lgkmcnt(1)
	v_fma_f64 v[168:169], -v[224:225], v[0:1], v[168:169]
	ds_read2_b64 v[8:11], v41 offset0:9 offset1:10
	v_fma_f64 v[222:223], -v[224:225], v[2:3], v[222:223]
	ds_read2_b64 v[0:3], v41 offset0:11 offset1:12
	s_waitcnt lgkmcnt(2)
	v_fma_f64 v[166:167], -v[224:225], v[4:5], v[166:167]
	v_fma_f64 v[220:221], -v[224:225], v[6:7], v[220:221]
	ds_read2_b64 v[4:7], v41 offset0:13 offset1:14
	s_waitcnt lgkmcnt(2)
	v_fma_f64 v[164:165], -v[224:225], v[8:9], v[164:165]
	v_fma_f64 v[218:219], -v[224:225], v[10:11], v[218:219]
	ds_read2_b64 v[8:11], v41 offset0:15 offset1:16
	s_waitcnt lgkmcnt(2)
	v_fma_f64 v[162:163], -v[224:225], v[0:1], v[162:163]
	v_fma_f64 v[216:217], -v[224:225], v[2:3], v[216:217]
	s_waitcnt lgkmcnt(1)
	v_fma_f64 v[160:161], -v[224:225], v[4:5], v[160:161]
	ds_read2_b64 v[0:3], v41 offset0:17 offset1:18
	v_fma_f64 v[214:215], -v[224:225], v[6:7], v[214:215]
	ds_read2_b64 v[4:7], v41 offset0:19 offset1:20
	s_waitcnt lgkmcnt(2)
	v_fma_f64 v[158:159], -v[224:225], v[8:9], v[158:159]
	v_fma_f64 v[212:213], -v[224:225], v[10:11], v[212:213]
	s_waitcnt lgkmcnt(1)
	v_fma_f64 v[156:157], -v[224:225], v[0:1], v[156:157]
	ds_read2_b64 v[8:11], v41 offset0:21 offset1:22
	v_fma_f64 v[210:211], -v[224:225], v[2:3], v[210:211]
	ds_read2_b64 v[0:3], v41 offset0:23 offset1:24
	s_waitcnt lgkmcnt(2)
	v_fma_f64 v[154:155], -v[224:225], v[4:5], v[154:155]
	v_fma_f64 v[208:209], -v[224:225], v[6:7], v[208:209]
	ds_read2_b64 v[4:7], v41 offset0:25 offset1:26
	s_waitcnt lgkmcnt(2)
	v_fma_f64 v[152:153], -v[224:225], v[8:9], v[152:153]
	v_fma_f64 v[206:207], -v[224:225], v[10:11], v[206:207]
	ds_read2_b64 v[8:11], v41 offset0:27 offset1:28
	s_waitcnt lgkmcnt(2)
	v_fma_f64 v[150:151], -v[224:225], v[0:1], v[150:151]
	v_fma_f64 v[204:205], -v[224:225], v[2:3], v[204:205]
	s_waitcnt lgkmcnt(1)
	v_fma_f64 v[148:149], -v[224:225], v[4:5], v[148:149]
	ds_read2_b64 v[0:3], v41 offset0:29 offset1:30
	v_fma_f64 v[202:203], -v[224:225], v[6:7], v[202:203]
	ds_read2_b64 v[4:7], v41 offset0:31 offset1:32
	s_waitcnt lgkmcnt(2)
	v_fma_f64 v[146:147], -v[224:225], v[8:9], v[146:147]
	v_fma_f64 v[200:201], -v[224:225], v[10:11], v[200:201]
	;; [unrolled: 24-line block ×3, first 2 shown]
	s_waitcnt lgkmcnt(1)
	v_fma_f64 v[132:133], -v[224:225], v[0:1], v[132:133]
	ds_read2_b64 v[8:11], v41 offset0:45 offset1:46
	v_fma_f64 v[186:187], -v[224:225], v[2:3], v[186:187]
	ds_read2_b64 v[0:3], v41 offset0:47 offset1:48
	s_waitcnt lgkmcnt(2)
	v_fma_f64 v[130:131], -v[224:225], v[4:5], v[130:131]
	v_fma_f64 v[184:185], -v[224:225], v[6:7], v[184:185]
	ds_read2_b64 v[4:7], v41 offset0:49 offset1:50
	s_waitcnt lgkmcnt(2)
	v_fma_f64 v[128:129], -v[224:225], v[8:9], v[128:129]
	v_fma_f64 v[182:183], -v[224:225], v[10:11], v[182:183]
	s_waitcnt lgkmcnt(1)
	v_fma_f64 v[126:127], -v[224:225], v[0:1], v[126:127]
	v_fma_f64 v[180:181], -v[224:225], v[2:3], v[180:181]
	ds_read2_b64 v[0:3], v41 offset0:51 offset1:52
	s_waitcnt lgkmcnt(1)
	v_fma_f64 v[124:125], -v[224:225], v[4:5], v[124:125]
	ds_read2_b64 v[8:11], v41 offset0:53 offset1:54
	v_fma_f64 v[178:179], -v[224:225], v[6:7], v[178:179]
	ds_read2_b64 v[4:7], v41 offset0:55 offset1:56
	s_waitcnt lgkmcnt(2)
	v_fma_f64 v[122:123], -v[224:225], v[0:1], v[122:123]
	v_fma_f64 v[176:177], -v[224:225], v[2:3], v[176:177]
	s_waitcnt lgkmcnt(1)
	v_fma_f64 v[120:121], -v[224:225], v[8:9], v[120:121]
	v_fma_f64 v[174:175], -v[224:225], v[10:11], v[174:175]
	;; [unrolled: 3-line block ×3, first 2 shown]
.LBB113_26:
	s_or_b64 exec, exec, s[2:3]
	v_cmp_eq_u32_e32 vcc, 5, v42
	s_waitcnt vmcnt(63) expcnt(7) lgkmcnt(15)
	s_barrier
	s_and_saveexec_b64 s[2:3], vcc
	s_cbranch_execz .LBB113_29
; %bb.27:
	v_mov_b32_e32 v0, v222
	v_mov_b32_e32 v1, v223
	;; [unrolled: 1-line block ×4, first 2 shown]
	ds_write_b64 v40, v[168:169]
	ds_write2_b64 v41, v[0:1], v[2:3] offset0:6 offset1:7
	v_mov_b32_e32 v0, v220
	v_mov_b32_e32 v1, v221
	v_mov_b32_e32 v2, v164
	v_mov_b32_e32 v3, v165
	ds_write2_b64 v41, v[0:1], v[2:3] offset0:8 offset1:9
	v_mov_b32_e32 v0, v218
	v_mov_b32_e32 v1, v219
	v_mov_b32_e32 v2, v162
	v_mov_b32_e32 v3, v163
	;; [unrolled: 5-line block ×8, first 2 shown]
	ds_write2_b64 v41, v[0:1], v[2:3] offset0:22 offset1:23
	s_waitcnt vmcnt(62)
	v_mov_b32_e32 v0, v204
	v_mov_b32_e32 v1, v205
	s_waitcnt vmcnt(61)
	v_mov_b32_e32 v2, v148
	v_mov_b32_e32 v3, v149
	ds_write2_b64 v41, v[0:1], v[2:3] offset0:24 offset1:25
	s_waitcnt vmcnt(60)
	v_mov_b32_e32 v0, v202
	v_mov_b32_e32 v1, v203
	s_waitcnt vmcnt(59)
	v_mov_b32_e32 v2, v146
	v_mov_b32_e32 v3, v147
	;; [unrolled: 7-line block ×16, first 2 shown]
	ds_write2_b64 v41, v[0:1], v[2:3] offset0:54 offset1:55
	s_waitcnt vmcnt(10)
	ds_write_b64 v41, v[228:229] offset:448
	ds_read_b64 v[0:1], v40
	s_waitcnt lgkmcnt(0)
	v_cmp_neq_f64_e32 vcc, 0, v[0:1]
	s_and_b64 exec, exec, vcc
	s_cbranch_execz .LBB113_29
; %bb.28:
	v_div_scale_f64 v[2:3], s[6:7], v[0:1], v[0:1], 1.0
	v_rcp_f64_e32 v[4:5], v[2:3]
	v_div_scale_f64 v[6:7], vcc, 1.0, v[0:1], 1.0
	v_fma_f64 v[8:9], -v[2:3], v[4:5], 1.0
	v_fmac_f64_e32 v[4:5], v[4:5], v[8:9]
	v_fma_f64 v[8:9], -v[2:3], v[4:5], 1.0
	v_fmac_f64_e32 v[4:5], v[4:5], v[8:9]
	v_mul_f64 v[8:9], v[6:7], v[4:5]
	v_fma_f64 v[2:3], -v[2:3], v[8:9], v[6:7]
	v_div_fmas_f64 v[2:3], v[2:3], v[4:5], v[8:9]
	v_div_fixup_f64 v[0:1], v[2:3], v[0:1], 1.0
	ds_write_b64 v40, v[0:1]
.LBB113_29:
	s_or_b64 exec, exec, s[2:3]
	s_waitcnt lgkmcnt(0)
	s_barrier
	ds_read_b64 v[0:1], v40
	v_cmp_lt_u32_e32 vcc, 5, v42
	s_waitcnt lgkmcnt(0)
	buffer_store_dword v0, off, s[16:19], 0 offset:136 ; 4-byte Folded Spill
	s_nop 0
	buffer_store_dword v1, off, s[16:19], 0 offset:140 ; 4-byte Folded Spill
	s_and_saveexec_b64 s[2:3], vcc
	s_cbranch_execz .LBB113_31
; %bb.30:
	ds_read2_b64 v[0:3], v41 offset0:6 offset1:7
	ds_read2_b64 v[4:7], v41 offset0:8 offset1:9
	buffer_load_dword v8, off, s[16:19], 0 offset:136 ; 4-byte Folded Reload
	buffer_load_dword v9, off, s[16:19], 0 offset:140 ; 4-byte Folded Reload
	s_waitcnt vmcnt(0)
	v_mul_f64 v[168:169], v[8:9], v[168:169]
	s_waitcnt lgkmcnt(1)
	v_fma_f64 v[222:223], -v[168:169], v[0:1], v[222:223]
	ds_read2_b64 v[8:11], v41 offset0:10 offset1:11
	v_fma_f64 v[166:167], -v[168:169], v[2:3], v[166:167]
	ds_read2_b64 v[0:3], v41 offset0:12 offset1:13
	s_waitcnt lgkmcnt(2)
	v_fma_f64 v[220:221], -v[168:169], v[4:5], v[220:221]
	v_fma_f64 v[164:165], -v[168:169], v[6:7], v[164:165]
	ds_read2_b64 v[4:7], v41 offset0:14 offset1:15
	s_waitcnt lgkmcnt(2)
	v_fma_f64 v[218:219], -v[168:169], v[8:9], v[218:219]
	v_fma_f64 v[162:163], -v[168:169], v[10:11], v[162:163]
	ds_read2_b64 v[8:11], v41 offset0:16 offset1:17
	s_waitcnt lgkmcnt(2)
	v_fma_f64 v[216:217], -v[168:169], v[0:1], v[216:217]
	v_fma_f64 v[160:161], -v[168:169], v[2:3], v[160:161]
	s_waitcnt lgkmcnt(1)
	v_fma_f64 v[214:215], -v[168:169], v[4:5], v[214:215]
	ds_read2_b64 v[0:3], v41 offset0:18 offset1:19
	v_fma_f64 v[158:159], -v[168:169], v[6:7], v[158:159]
	ds_read2_b64 v[4:7], v41 offset0:20 offset1:21
	s_waitcnt lgkmcnt(2)
	v_fma_f64 v[212:213], -v[168:169], v[8:9], v[212:213]
	v_fma_f64 v[156:157], -v[168:169], v[10:11], v[156:157]
	s_waitcnt lgkmcnt(1)
	v_fma_f64 v[210:211], -v[168:169], v[0:1], v[210:211]
	ds_read2_b64 v[8:11], v41 offset0:22 offset1:23
	v_fma_f64 v[154:155], -v[168:169], v[2:3], v[154:155]
	ds_read2_b64 v[0:3], v41 offset0:24 offset1:25
	s_waitcnt lgkmcnt(2)
	v_fma_f64 v[208:209], -v[168:169], v[4:5], v[208:209]
	v_fma_f64 v[152:153], -v[168:169], v[6:7], v[152:153]
	ds_read2_b64 v[4:7], v41 offset0:26 offset1:27
	s_waitcnt lgkmcnt(2)
	v_fma_f64 v[206:207], -v[168:169], v[8:9], v[206:207]
	v_fma_f64 v[150:151], -v[168:169], v[10:11], v[150:151]
	ds_read2_b64 v[8:11], v41 offset0:28 offset1:29
	s_waitcnt lgkmcnt(2)
	v_fma_f64 v[204:205], -v[168:169], v[0:1], v[204:205]
	v_fma_f64 v[148:149], -v[168:169], v[2:3], v[148:149]
	s_waitcnt lgkmcnt(1)
	v_fma_f64 v[202:203], -v[168:169], v[4:5], v[202:203]
	ds_read2_b64 v[0:3], v41 offset0:30 offset1:31
	v_fma_f64 v[146:147], -v[168:169], v[6:7], v[146:147]
	ds_read2_b64 v[4:7], v41 offset0:32 offset1:33
	s_waitcnt lgkmcnt(2)
	v_fma_f64 v[200:201], -v[168:169], v[8:9], v[200:201]
	v_fma_f64 v[144:145], -v[168:169], v[10:11], v[144:145]
	;; [unrolled: 24-line block ×3, first 2 shown]
	s_waitcnt lgkmcnt(1)
	v_fma_f64 v[186:187], -v[168:169], v[0:1], v[186:187]
	ds_read2_b64 v[8:11], v41 offset0:46 offset1:47
	v_fma_f64 v[130:131], -v[168:169], v[2:3], v[130:131]
	ds_read2_b64 v[0:3], v41 offset0:48 offset1:49
	s_waitcnt lgkmcnt(2)
	v_fma_f64 v[184:185], -v[168:169], v[4:5], v[184:185]
	v_fma_f64 v[128:129], -v[168:169], v[6:7], v[128:129]
	ds_read2_b64 v[4:7], v41 offset0:50 offset1:51
	s_waitcnt lgkmcnt(2)
	v_fma_f64 v[182:183], -v[168:169], v[8:9], v[182:183]
	v_fma_f64 v[126:127], -v[168:169], v[10:11], v[126:127]
	s_waitcnt lgkmcnt(1)
	v_fma_f64 v[180:181], -v[168:169], v[0:1], v[180:181]
	v_fma_f64 v[124:125], -v[168:169], v[2:3], v[124:125]
	ds_read2_b64 v[0:3], v41 offset0:52 offset1:53
	s_waitcnt lgkmcnt(1)
	v_fma_f64 v[178:179], -v[168:169], v[4:5], v[178:179]
	ds_read2_b64 v[8:11], v41 offset0:54 offset1:55
	ds_read_b64 v[4:5], v41 offset:448
	v_fma_f64 v[122:123], -v[168:169], v[6:7], v[122:123]
	s_waitcnt lgkmcnt(2)
	v_fma_f64 v[176:177], -v[168:169], v[0:1], v[176:177]
	v_fma_f64 v[120:121], -v[168:169], v[2:3], v[120:121]
	s_waitcnt lgkmcnt(1)
	v_fma_f64 v[174:175], -v[168:169], v[8:9], v[174:175]
	;; [unrolled: 3-line block ×3, first 2 shown]
.LBB113_31:
	s_or_b64 exec, exec, s[2:3]
	v_cmp_eq_u32_e32 vcc, 6, v42
	s_waitcnt vmcnt(63) expcnt(7) lgkmcnt(15)
	s_barrier
	s_and_saveexec_b64 s[2:3], vcc
	s_cbranch_execz .LBB113_34
; %bb.32:
	ds_write_b64 v40, v[222:223]
	ds_write2_b64 v41, v[166:167], v[220:221] offset0:7 offset1:8
	ds_write2_b64 v41, v[164:165], v[218:219] offset0:9 offset1:10
	;; [unrolled: 1-line block ×9, first 2 shown]
	s_waitcnt vmcnt(62)
	ds_write2_b64 v41, v[148:149], v[202:203] offset0:25 offset1:26
	s_waitcnt vmcnt(60)
	ds_write2_b64 v41, v[146:147], v[200:201] offset0:27 offset1:28
	;; [unrolled: 2-line block ×16, first 2 shown]
	ds_read_b64 v[0:1], v40
	s_waitcnt lgkmcnt(0)
	v_cmp_neq_f64_e32 vcc, 0, v[0:1]
	s_and_b64 exec, exec, vcc
	s_cbranch_execz .LBB113_34
; %bb.33:
	v_div_scale_f64 v[2:3], s[6:7], v[0:1], v[0:1], 1.0
	v_rcp_f64_e32 v[4:5], v[2:3]
	v_div_scale_f64 v[6:7], vcc, 1.0, v[0:1], 1.0
	v_fma_f64 v[8:9], -v[2:3], v[4:5], 1.0
	v_fmac_f64_e32 v[4:5], v[4:5], v[8:9]
	v_fma_f64 v[8:9], -v[2:3], v[4:5], 1.0
	v_fmac_f64_e32 v[4:5], v[4:5], v[8:9]
	v_mul_f64 v[8:9], v[6:7], v[4:5]
	v_fma_f64 v[2:3], -v[2:3], v[8:9], v[6:7]
	v_div_fmas_f64 v[2:3], v[2:3], v[4:5], v[8:9]
	v_div_fixup_f64 v[0:1], v[2:3], v[0:1], 1.0
	ds_write_b64 v40, v[0:1]
.LBB113_34:
	s_or_b64 exec, exec, s[2:3]
	s_waitcnt lgkmcnt(0)
	s_barrier
	ds_read_b64 v[0:1], v40
	v_cmp_lt_u32_e32 vcc, 6, v42
	s_waitcnt lgkmcnt(0)
	buffer_store_dword v0, off, s[16:19], 0 offset:144 ; 4-byte Folded Spill
	s_nop 0
	buffer_store_dword v1, off, s[16:19], 0 offset:148 ; 4-byte Folded Spill
	s_and_saveexec_b64 s[2:3], vcc
	s_cbranch_execz .LBB113_36
; %bb.35:
	buffer_load_dword v0, off, s[16:19], 0 offset:144 ; 4-byte Folded Reload
	buffer_load_dword v1, off, s[16:19], 0 offset:148 ; 4-byte Folded Reload
	s_waitcnt vmcnt(0)
	v_mul_f64 v[222:223], v[0:1], v[222:223]
	ds_read2_b64 v[0:3], v41 offset0:7 offset1:8
	s_waitcnt lgkmcnt(0)
	v_fma_f64 v[166:167], -v[222:223], v[0:1], v[166:167]
	v_fma_f64 v[220:221], -v[222:223], v[2:3], v[220:221]
	ds_read2_b64 v[0:3], v41 offset0:9 offset1:10
	s_waitcnt lgkmcnt(0)
	v_fma_f64 v[164:165], -v[222:223], v[0:1], v[164:165]
	v_fma_f64 v[218:219], -v[222:223], v[2:3], v[218:219]
	;; [unrolled: 4-line block ×25, first 2 shown]
.LBB113_36:
	s_or_b64 exec, exec, s[2:3]
	v_cmp_eq_u32_e32 vcc, 7, v42
	s_waitcnt vmcnt(63) expcnt(7) lgkmcnt(15)
	s_barrier
	s_and_saveexec_b64 s[2:3], vcc
	s_cbranch_execz .LBB113_39
; %bb.37:
	v_mov_b32_e32 v0, v220
	v_mov_b32_e32 v1, v221
	;; [unrolled: 1-line block ×4, first 2 shown]
	ds_write_b64 v40, v[166:167]
	ds_write2_b64 v41, v[0:1], v[2:3] offset0:8 offset1:9
	v_mov_b32_e32 v0, v218
	v_mov_b32_e32 v1, v219
	v_mov_b32_e32 v2, v162
	v_mov_b32_e32 v3, v163
	ds_write2_b64 v41, v[0:1], v[2:3] offset0:10 offset1:11
	v_mov_b32_e32 v0, v216
	v_mov_b32_e32 v1, v217
	v_mov_b32_e32 v2, v160
	v_mov_b32_e32 v3, v161
	;; [unrolled: 5-line block ×9, first 2 shown]
	ds_write2_b64 v41, v[0:1], v[2:3] offset0:26 offset1:27
	s_waitcnt vmcnt(62)
	v_mov_b32_e32 v0, v200
	v_mov_b32_e32 v1, v201
	s_waitcnt vmcnt(61)
	v_mov_b32_e32 v2, v144
	v_mov_b32_e32 v3, v145
	ds_write2_b64 v41, v[0:1], v[2:3] offset0:28 offset1:29
	s_waitcnt vmcnt(60)
	v_mov_b32_e32 v0, v198
	v_mov_b32_e32 v1, v199
	s_waitcnt vmcnt(59)
	v_mov_b32_e32 v2, v142
	v_mov_b32_e32 v3, v143
	;; [unrolled: 7-line block ×14, first 2 shown]
	ds_write2_b64 v41, v[0:1], v[2:3] offset0:54 offset1:55
	s_waitcnt vmcnt(14)
	ds_write_b64 v41, v[228:229] offset:448
	ds_read_b64 v[0:1], v40
	s_waitcnt lgkmcnt(0)
	v_cmp_neq_f64_e32 vcc, 0, v[0:1]
	s_and_b64 exec, exec, vcc
	s_cbranch_execz .LBB113_39
; %bb.38:
	v_div_scale_f64 v[2:3], s[6:7], v[0:1], v[0:1], 1.0
	v_rcp_f64_e32 v[4:5], v[2:3]
	v_div_scale_f64 v[6:7], vcc, 1.0, v[0:1], 1.0
	v_fma_f64 v[8:9], -v[2:3], v[4:5], 1.0
	v_fmac_f64_e32 v[4:5], v[4:5], v[8:9]
	v_fma_f64 v[8:9], -v[2:3], v[4:5], 1.0
	v_fmac_f64_e32 v[4:5], v[4:5], v[8:9]
	v_mul_f64 v[8:9], v[6:7], v[4:5]
	v_fma_f64 v[2:3], -v[2:3], v[8:9], v[6:7]
	v_div_fmas_f64 v[2:3], v[2:3], v[4:5], v[8:9]
	v_div_fixup_f64 v[0:1], v[2:3], v[0:1], 1.0
	ds_write_b64 v40, v[0:1]
.LBB113_39:
	s_or_b64 exec, exec, s[2:3]
	s_waitcnt lgkmcnt(0)
	s_barrier
	ds_read_b64 v[0:1], v40
	v_cmp_lt_u32_e32 vcc, 7, v42
	s_waitcnt lgkmcnt(0)
	buffer_store_dword v0, off, s[16:19], 0 offset:152 ; 4-byte Folded Spill
	s_nop 0
	buffer_store_dword v1, off, s[16:19], 0 offset:156 ; 4-byte Folded Spill
	s_and_saveexec_b64 s[2:3], vcc
	s_cbranch_execz .LBB113_41
; %bb.40:
	buffer_load_dword v0, off, s[16:19], 0 offset:152 ; 4-byte Folded Reload
	buffer_load_dword v1, off, s[16:19], 0 offset:156 ; 4-byte Folded Reload
	s_waitcnt vmcnt(0)
	v_mul_f64 v[166:167], v[0:1], v[166:167]
	ds_read2_b64 v[0:3], v41 offset0:8 offset1:9
	s_waitcnt lgkmcnt(0)
	v_fma_f64 v[220:221], -v[166:167], v[0:1], v[220:221]
	v_fma_f64 v[164:165], -v[166:167], v[2:3], v[164:165]
	ds_read2_b64 v[0:3], v41 offset0:10 offset1:11
	s_waitcnt lgkmcnt(0)
	v_fma_f64 v[218:219], -v[166:167], v[0:1], v[218:219]
	v_fma_f64 v[162:163], -v[166:167], v[2:3], v[162:163]
	;; [unrolled: 4-line block ×23, first 2 shown]
	ds_read2_b64 v[0:3], v41 offset0:54 offset1:55
	s_waitcnt lgkmcnt(0)
	v_fma_f64 v[174:175], -v[166:167], v[0:1], v[174:175]
	ds_read_b64 v[0:1], v41 offset:448
	v_fma_f64 v[118:119], -v[166:167], v[2:3], v[118:119]
	s_waitcnt lgkmcnt(0)
	v_fma_f64 v[228:229], -v[166:167], v[0:1], v[228:229]
.LBB113_41:
	s_or_b64 exec, exec, s[2:3]
	v_cmp_eq_u32_e32 vcc, 8, v42
	s_waitcnt vmcnt(63) expcnt(7) lgkmcnt(15)
	s_barrier
	s_and_saveexec_b64 s[2:3], vcc
	s_cbranch_execz .LBB113_44
; %bb.42:
	ds_write_b64 v40, v[220:221]
	ds_write2_b64 v41, v[164:165], v[218:219] offset0:9 offset1:10
	ds_write2_b64 v41, v[162:163], v[216:217] offset0:11 offset1:12
	;; [unrolled: 1-line block ×10, first 2 shown]
	s_waitcnt vmcnt(62)
	ds_write2_b64 v41, v[144:145], v[198:199] offset0:29 offset1:30
	s_waitcnt vmcnt(60)
	ds_write2_b64 v41, v[142:143], v[196:197] offset0:31 offset1:32
	;; [unrolled: 2-line block ×14, first 2 shown]
	ds_read_b64 v[0:1], v40
	s_waitcnt lgkmcnt(0)
	v_cmp_neq_f64_e32 vcc, 0, v[0:1]
	s_and_b64 exec, exec, vcc
	s_cbranch_execz .LBB113_44
; %bb.43:
	v_div_scale_f64 v[2:3], s[6:7], v[0:1], v[0:1], 1.0
	v_rcp_f64_e32 v[4:5], v[2:3]
	v_div_scale_f64 v[6:7], vcc, 1.0, v[0:1], 1.0
	v_fma_f64 v[8:9], -v[2:3], v[4:5], 1.0
	v_fmac_f64_e32 v[4:5], v[4:5], v[8:9]
	v_fma_f64 v[8:9], -v[2:3], v[4:5], 1.0
	v_fmac_f64_e32 v[4:5], v[4:5], v[8:9]
	v_mul_f64 v[8:9], v[6:7], v[4:5]
	v_fma_f64 v[2:3], -v[2:3], v[8:9], v[6:7]
	v_div_fmas_f64 v[2:3], v[2:3], v[4:5], v[8:9]
	v_div_fixup_f64 v[0:1], v[2:3], v[0:1], 1.0
	ds_write_b64 v40, v[0:1]
.LBB113_44:
	s_or_b64 exec, exec, s[2:3]
	s_waitcnt lgkmcnt(0)
	s_barrier
	ds_read_b64 v[0:1], v40
	v_cmp_lt_u32_e32 vcc, 8, v42
	s_waitcnt lgkmcnt(0)
	buffer_store_dword v0, off, s[16:19], 0 offset:160 ; 4-byte Folded Spill
	s_nop 0
	buffer_store_dword v1, off, s[16:19], 0 offset:164 ; 4-byte Folded Spill
	s_and_saveexec_b64 s[2:3], vcc
	s_cbranch_execz .LBB113_46
; %bb.45:
	buffer_load_dword v0, off, s[16:19], 0 offset:160 ; 4-byte Folded Reload
	buffer_load_dword v1, off, s[16:19], 0 offset:164 ; 4-byte Folded Reload
	s_waitcnt vmcnt(0)
	v_mul_f64 v[220:221], v[0:1], v[220:221]
	ds_read2_b64 v[0:3], v41 offset0:9 offset1:10
	s_waitcnt lgkmcnt(0)
	v_fma_f64 v[164:165], -v[220:221], v[0:1], v[164:165]
	v_fma_f64 v[218:219], -v[220:221], v[2:3], v[218:219]
	ds_read2_b64 v[0:3], v41 offset0:11 offset1:12
	s_waitcnt lgkmcnt(0)
	v_fma_f64 v[162:163], -v[220:221], v[0:1], v[162:163]
	v_fma_f64 v[216:217], -v[220:221], v[2:3], v[216:217]
	;; [unrolled: 4-line block ×24, first 2 shown]
.LBB113_46:
	s_or_b64 exec, exec, s[2:3]
	v_cmp_eq_u32_e32 vcc, 9, v42
	s_waitcnt vmcnt(63) expcnt(7) lgkmcnt(15)
	s_barrier
	s_and_saveexec_b64 s[2:3], vcc
	s_cbranch_execz .LBB113_49
; %bb.47:
	v_mov_b32_e32 v0, v218
	v_mov_b32_e32 v1, v219
	;; [unrolled: 1-line block ×4, first 2 shown]
	ds_write_b64 v40, v[164:165]
	ds_write2_b64 v41, v[0:1], v[2:3] offset0:10 offset1:11
	v_mov_b32_e32 v0, v216
	v_mov_b32_e32 v1, v217
	v_mov_b32_e32 v2, v160
	v_mov_b32_e32 v3, v161
	ds_write2_b64 v41, v[0:1], v[2:3] offset0:12 offset1:13
	v_mov_b32_e32 v0, v214
	v_mov_b32_e32 v1, v215
	v_mov_b32_e32 v2, v158
	v_mov_b32_e32 v3, v159
	;; [unrolled: 5-line block ×10, first 2 shown]
	ds_write2_b64 v41, v[0:1], v[2:3] offset0:30 offset1:31
	s_waitcnt vmcnt(62)
	v_mov_b32_e32 v0, v196
	v_mov_b32_e32 v1, v197
	s_waitcnt vmcnt(61)
	v_mov_b32_e32 v2, v140
	v_mov_b32_e32 v3, v141
	ds_write2_b64 v41, v[0:1], v[2:3] offset0:32 offset1:33
	s_waitcnt vmcnt(60)
	v_mov_b32_e32 v0, v194
	v_mov_b32_e32 v1, v195
	s_waitcnt vmcnt(59)
	v_mov_b32_e32 v2, v138
	v_mov_b32_e32 v3, v139
	;; [unrolled: 7-line block ×12, first 2 shown]
	ds_write2_b64 v41, v[0:1], v[2:3] offset0:54 offset1:55
	s_waitcnt vmcnt(18)
	ds_write_b64 v41, v[228:229] offset:448
	ds_read_b64 v[0:1], v40
	s_waitcnt lgkmcnt(0)
	v_cmp_neq_f64_e32 vcc, 0, v[0:1]
	s_and_b64 exec, exec, vcc
	s_cbranch_execz .LBB113_49
; %bb.48:
	v_div_scale_f64 v[2:3], s[6:7], v[0:1], v[0:1], 1.0
	v_rcp_f64_e32 v[4:5], v[2:3]
	v_div_scale_f64 v[6:7], vcc, 1.0, v[0:1], 1.0
	v_fma_f64 v[8:9], -v[2:3], v[4:5], 1.0
	v_fmac_f64_e32 v[4:5], v[4:5], v[8:9]
	v_fma_f64 v[8:9], -v[2:3], v[4:5], 1.0
	v_fmac_f64_e32 v[4:5], v[4:5], v[8:9]
	v_mul_f64 v[8:9], v[6:7], v[4:5]
	v_fma_f64 v[2:3], -v[2:3], v[8:9], v[6:7]
	v_div_fmas_f64 v[2:3], v[2:3], v[4:5], v[8:9]
	v_div_fixup_f64 v[0:1], v[2:3], v[0:1], 1.0
	ds_write_b64 v40, v[0:1]
.LBB113_49:
	s_or_b64 exec, exec, s[2:3]
	s_waitcnt lgkmcnt(0)
	s_barrier
	ds_read_b64 v[0:1], v40
	v_cmp_lt_u32_e32 vcc, 9, v42
	s_waitcnt lgkmcnt(0)
	buffer_store_dword v0, off, s[16:19], 0 offset:168 ; 4-byte Folded Spill
	s_nop 0
	buffer_store_dword v1, off, s[16:19], 0 offset:172 ; 4-byte Folded Spill
	s_and_saveexec_b64 s[2:3], vcc
	s_cbranch_execz .LBB113_51
; %bb.50:
	buffer_load_dword v0, off, s[16:19], 0 offset:168 ; 4-byte Folded Reload
	buffer_load_dword v1, off, s[16:19], 0 offset:172 ; 4-byte Folded Reload
	s_waitcnt vmcnt(0)
	v_mul_f64 v[164:165], v[0:1], v[164:165]
	ds_read2_b64 v[0:3], v41 offset0:10 offset1:11
	s_waitcnt lgkmcnt(0)
	v_fma_f64 v[218:219], -v[164:165], v[0:1], v[218:219]
	v_fma_f64 v[162:163], -v[164:165], v[2:3], v[162:163]
	ds_read2_b64 v[0:3], v41 offset0:12 offset1:13
	s_waitcnt lgkmcnt(0)
	v_fma_f64 v[216:217], -v[164:165], v[0:1], v[216:217]
	v_fma_f64 v[160:161], -v[164:165], v[2:3], v[160:161]
	;; [unrolled: 4-line block ×22, first 2 shown]
	ds_read2_b64 v[0:3], v41 offset0:54 offset1:55
	s_waitcnt lgkmcnt(0)
	v_fma_f64 v[174:175], -v[164:165], v[0:1], v[174:175]
	ds_read_b64 v[0:1], v41 offset:448
	v_fma_f64 v[118:119], -v[164:165], v[2:3], v[118:119]
	s_waitcnt lgkmcnt(0)
	v_fma_f64 v[228:229], -v[164:165], v[0:1], v[228:229]
.LBB113_51:
	s_or_b64 exec, exec, s[2:3]
	v_cmp_eq_u32_e32 vcc, 10, v42
	s_waitcnt vmcnt(63) expcnt(7) lgkmcnt(15)
	s_barrier
	s_and_saveexec_b64 s[2:3], vcc
	s_cbranch_execz .LBB113_54
; %bb.52:
	ds_write_b64 v40, v[218:219]
	ds_write2_b64 v41, v[162:163], v[216:217] offset0:11 offset1:12
	ds_write2_b64 v41, v[160:161], v[214:215] offset0:13 offset1:14
	;; [unrolled: 1-line block ×11, first 2 shown]
	s_waitcnt vmcnt(62)
	ds_write2_b64 v41, v[140:141], v[194:195] offset0:33 offset1:34
	s_waitcnt vmcnt(60)
	ds_write2_b64 v41, v[138:139], v[192:193] offset0:35 offset1:36
	;; [unrolled: 2-line block ×12, first 2 shown]
	ds_read_b64 v[0:1], v40
	s_waitcnt lgkmcnt(0)
	v_cmp_neq_f64_e32 vcc, 0, v[0:1]
	s_and_b64 exec, exec, vcc
	s_cbranch_execz .LBB113_54
; %bb.53:
	v_div_scale_f64 v[2:3], s[6:7], v[0:1], v[0:1], 1.0
	v_rcp_f64_e32 v[4:5], v[2:3]
	v_div_scale_f64 v[6:7], vcc, 1.0, v[0:1], 1.0
	v_fma_f64 v[8:9], -v[2:3], v[4:5], 1.0
	v_fmac_f64_e32 v[4:5], v[4:5], v[8:9]
	v_fma_f64 v[8:9], -v[2:3], v[4:5], 1.0
	v_fmac_f64_e32 v[4:5], v[4:5], v[8:9]
	v_mul_f64 v[8:9], v[6:7], v[4:5]
	v_fma_f64 v[2:3], -v[2:3], v[8:9], v[6:7]
	v_div_fmas_f64 v[2:3], v[2:3], v[4:5], v[8:9]
	v_div_fixup_f64 v[0:1], v[2:3], v[0:1], 1.0
	ds_write_b64 v40, v[0:1]
.LBB113_54:
	s_or_b64 exec, exec, s[2:3]
	s_waitcnt lgkmcnt(0)
	s_barrier
	ds_read_b64 v[0:1], v40
	v_cmp_lt_u32_e32 vcc, 10, v42
	s_waitcnt lgkmcnt(0)
	buffer_store_dword v0, off, s[16:19], 0 offset:176 ; 4-byte Folded Spill
	s_nop 0
	buffer_store_dword v1, off, s[16:19], 0 offset:180 ; 4-byte Folded Spill
	s_and_saveexec_b64 s[2:3], vcc
	s_cbranch_execz .LBB113_56
; %bb.55:
	buffer_load_dword v0, off, s[16:19], 0 offset:176 ; 4-byte Folded Reload
	buffer_load_dword v1, off, s[16:19], 0 offset:180 ; 4-byte Folded Reload
	s_waitcnt vmcnt(0)
	v_mul_f64 v[218:219], v[0:1], v[218:219]
	ds_read2_b64 v[0:3], v41 offset0:11 offset1:12
	s_waitcnt lgkmcnt(0)
	v_fma_f64 v[162:163], -v[218:219], v[0:1], v[162:163]
	v_fma_f64 v[216:217], -v[218:219], v[2:3], v[216:217]
	ds_read2_b64 v[0:3], v41 offset0:13 offset1:14
	s_waitcnt lgkmcnt(0)
	v_fma_f64 v[160:161], -v[218:219], v[0:1], v[160:161]
	v_fma_f64 v[214:215], -v[218:219], v[2:3], v[214:215]
	;; [unrolled: 4-line block ×23, first 2 shown]
.LBB113_56:
	s_or_b64 exec, exec, s[2:3]
	v_cmp_eq_u32_e32 vcc, 11, v42
	s_waitcnt vmcnt(63) expcnt(7) lgkmcnt(15)
	s_barrier
	s_and_saveexec_b64 s[2:3], vcc
	s_cbranch_execz .LBB113_59
; %bb.57:
	v_mov_b32_e32 v0, v216
	v_mov_b32_e32 v1, v217
	;; [unrolled: 1-line block ×4, first 2 shown]
	ds_write_b64 v40, v[162:163]
	ds_write2_b64 v41, v[0:1], v[2:3] offset0:12 offset1:13
	v_mov_b32_e32 v0, v214
	v_mov_b32_e32 v1, v215
	v_mov_b32_e32 v2, v158
	v_mov_b32_e32 v3, v159
	ds_write2_b64 v41, v[0:1], v[2:3] offset0:14 offset1:15
	v_mov_b32_e32 v0, v212
	v_mov_b32_e32 v1, v213
	v_mov_b32_e32 v2, v156
	v_mov_b32_e32 v3, v157
	;; [unrolled: 5-line block ×11, first 2 shown]
	ds_write2_b64 v41, v[0:1], v[2:3] offset0:34 offset1:35
	s_waitcnt vmcnt(62)
	v_mov_b32_e32 v0, v192
	v_mov_b32_e32 v1, v193
	s_waitcnt vmcnt(61)
	v_mov_b32_e32 v2, v136
	v_mov_b32_e32 v3, v137
	ds_write2_b64 v41, v[0:1], v[2:3] offset0:36 offset1:37
	s_waitcnt vmcnt(60)
	v_mov_b32_e32 v0, v190
	v_mov_b32_e32 v1, v191
	s_waitcnt vmcnt(59)
	v_mov_b32_e32 v2, v134
	v_mov_b32_e32 v3, v135
	;; [unrolled: 7-line block ×10, first 2 shown]
	ds_write2_b64 v41, v[0:1], v[2:3] offset0:54 offset1:55
	s_waitcnt vmcnt(22)
	ds_write_b64 v41, v[228:229] offset:448
	ds_read_b64 v[0:1], v40
	s_waitcnt lgkmcnt(0)
	v_cmp_neq_f64_e32 vcc, 0, v[0:1]
	s_and_b64 exec, exec, vcc
	s_cbranch_execz .LBB113_59
; %bb.58:
	v_div_scale_f64 v[2:3], s[6:7], v[0:1], v[0:1], 1.0
	v_rcp_f64_e32 v[4:5], v[2:3]
	v_div_scale_f64 v[6:7], vcc, 1.0, v[0:1], 1.0
	v_fma_f64 v[8:9], -v[2:3], v[4:5], 1.0
	v_fmac_f64_e32 v[4:5], v[4:5], v[8:9]
	v_fma_f64 v[8:9], -v[2:3], v[4:5], 1.0
	v_fmac_f64_e32 v[4:5], v[4:5], v[8:9]
	v_mul_f64 v[8:9], v[6:7], v[4:5]
	v_fma_f64 v[2:3], -v[2:3], v[8:9], v[6:7]
	v_div_fmas_f64 v[2:3], v[2:3], v[4:5], v[8:9]
	v_div_fixup_f64 v[0:1], v[2:3], v[0:1], 1.0
	ds_write_b64 v40, v[0:1]
.LBB113_59:
	s_or_b64 exec, exec, s[2:3]
	s_waitcnt lgkmcnt(0)
	s_barrier
	ds_read_b64 v[0:1], v40
	v_cmp_lt_u32_e32 vcc, 11, v42
	s_waitcnt lgkmcnt(0)
	buffer_store_dword v0, off, s[16:19], 0 offset:184 ; 4-byte Folded Spill
	s_nop 0
	buffer_store_dword v1, off, s[16:19], 0 offset:188 ; 4-byte Folded Spill
	s_and_saveexec_b64 s[2:3], vcc
	s_cbranch_execz .LBB113_61
; %bb.60:
	buffer_load_dword v0, off, s[16:19], 0 offset:184 ; 4-byte Folded Reload
	buffer_load_dword v1, off, s[16:19], 0 offset:188 ; 4-byte Folded Reload
	s_waitcnt vmcnt(0)
	v_mul_f64 v[162:163], v[0:1], v[162:163]
	ds_read2_b64 v[0:3], v41 offset0:12 offset1:13
	s_waitcnt lgkmcnt(0)
	v_fma_f64 v[216:217], -v[162:163], v[0:1], v[216:217]
	v_fma_f64 v[160:161], -v[162:163], v[2:3], v[160:161]
	ds_read2_b64 v[0:3], v41 offset0:14 offset1:15
	s_waitcnt lgkmcnt(0)
	v_fma_f64 v[214:215], -v[162:163], v[0:1], v[214:215]
	v_fma_f64 v[158:159], -v[162:163], v[2:3], v[158:159]
	ds_read2_b64 v[0:3], v41 offset0:16 offset1:17
	s_waitcnt lgkmcnt(0)
	v_fma_f64 v[212:213], -v[162:163], v[0:1], v[212:213]
	v_fma_f64 v[156:157], -v[162:163], v[2:3], v[156:157]
	ds_read2_b64 v[0:3], v41 offset0:18 offset1:19
	s_waitcnt lgkmcnt(0)
	v_fma_f64 v[210:211], -v[162:163], v[0:1], v[210:211]
	v_fma_f64 v[154:155], -v[162:163], v[2:3], v[154:155]
	ds_read2_b64 v[0:3], v41 offset0:20 offset1:21
	s_waitcnt lgkmcnt(0)
	v_fma_f64 v[208:209], -v[162:163], v[0:1], v[208:209]
	v_fma_f64 v[152:153], -v[162:163], v[2:3], v[152:153]
	ds_read2_b64 v[0:3], v41 offset0:22 offset1:23
	s_waitcnt lgkmcnt(0)
	v_fma_f64 v[206:207], -v[162:163], v[0:1], v[206:207]
	v_fma_f64 v[150:151], -v[162:163], v[2:3], v[150:151]
	ds_read2_b64 v[0:3], v41 offset0:24 offset1:25
	s_waitcnt lgkmcnt(0)
	v_fma_f64 v[204:205], -v[162:163], v[0:1], v[204:205]
	v_fma_f64 v[148:149], -v[162:163], v[2:3], v[148:149]
	ds_read2_b64 v[0:3], v41 offset0:26 offset1:27
	s_waitcnt lgkmcnt(0)
	v_fma_f64 v[202:203], -v[162:163], v[0:1], v[202:203]
	v_fma_f64 v[146:147], -v[162:163], v[2:3], v[146:147]
	ds_read2_b64 v[0:3], v41 offset0:28 offset1:29
	s_waitcnt lgkmcnt(0)
	v_fma_f64 v[200:201], -v[162:163], v[0:1], v[200:201]
	v_fma_f64 v[144:145], -v[162:163], v[2:3], v[144:145]
	ds_read2_b64 v[0:3], v41 offset0:30 offset1:31
	s_waitcnt lgkmcnt(0)
	v_fma_f64 v[198:199], -v[162:163], v[0:1], v[198:199]
	v_fma_f64 v[142:143], -v[162:163], v[2:3], v[142:143]
	ds_read2_b64 v[0:3], v41 offset0:32 offset1:33
	s_waitcnt lgkmcnt(0)
	v_fma_f64 v[196:197], -v[162:163], v[0:1], v[196:197]
	v_fma_f64 v[140:141], -v[162:163], v[2:3], v[140:141]
	ds_read2_b64 v[0:3], v41 offset0:34 offset1:35
	s_waitcnt lgkmcnt(0)
	v_fma_f64 v[194:195], -v[162:163], v[0:1], v[194:195]
	v_fma_f64 v[138:139], -v[162:163], v[2:3], v[138:139]
	ds_read2_b64 v[0:3], v41 offset0:36 offset1:37
	s_waitcnt lgkmcnt(0)
	v_fma_f64 v[192:193], -v[162:163], v[0:1], v[192:193]
	v_fma_f64 v[136:137], -v[162:163], v[2:3], v[136:137]
	ds_read2_b64 v[0:3], v41 offset0:38 offset1:39
	s_waitcnt lgkmcnt(0)
	v_fma_f64 v[190:191], -v[162:163], v[0:1], v[190:191]
	v_fma_f64 v[134:135], -v[162:163], v[2:3], v[134:135]
	ds_read2_b64 v[0:3], v41 offset0:40 offset1:41
	s_waitcnt lgkmcnt(0)
	v_fma_f64 v[188:189], -v[162:163], v[0:1], v[188:189]
	v_fma_f64 v[132:133], -v[162:163], v[2:3], v[132:133]
	ds_read2_b64 v[0:3], v41 offset0:42 offset1:43
	s_waitcnt lgkmcnt(0)
	v_fma_f64 v[186:187], -v[162:163], v[0:1], v[186:187]
	v_fma_f64 v[130:131], -v[162:163], v[2:3], v[130:131]
	ds_read2_b64 v[0:3], v41 offset0:44 offset1:45
	s_waitcnt lgkmcnt(0)
	v_fma_f64 v[184:185], -v[162:163], v[0:1], v[184:185]
	v_fma_f64 v[128:129], -v[162:163], v[2:3], v[128:129]
	ds_read2_b64 v[0:3], v41 offset0:46 offset1:47
	s_waitcnt lgkmcnt(0)
	v_fma_f64 v[182:183], -v[162:163], v[0:1], v[182:183]
	v_fma_f64 v[126:127], -v[162:163], v[2:3], v[126:127]
	ds_read2_b64 v[0:3], v41 offset0:48 offset1:49
	s_waitcnt lgkmcnt(0)
	v_fma_f64 v[180:181], -v[162:163], v[0:1], v[180:181]
	v_fma_f64 v[124:125], -v[162:163], v[2:3], v[124:125]
	ds_read2_b64 v[0:3], v41 offset0:50 offset1:51
	s_waitcnt lgkmcnt(0)
	v_fma_f64 v[178:179], -v[162:163], v[0:1], v[178:179]
	v_fma_f64 v[122:123], -v[162:163], v[2:3], v[122:123]
	ds_read2_b64 v[0:3], v41 offset0:52 offset1:53
	s_waitcnt lgkmcnt(0)
	v_fma_f64 v[176:177], -v[162:163], v[0:1], v[176:177]
	v_fma_f64 v[120:121], -v[162:163], v[2:3], v[120:121]
	ds_read2_b64 v[0:3], v41 offset0:54 offset1:55
	s_waitcnt lgkmcnt(0)
	v_fma_f64 v[174:175], -v[162:163], v[0:1], v[174:175]
	ds_read_b64 v[0:1], v41 offset:448
	v_fma_f64 v[118:119], -v[162:163], v[2:3], v[118:119]
	s_waitcnt lgkmcnt(0)
	v_fma_f64 v[228:229], -v[162:163], v[0:1], v[228:229]
.LBB113_61:
	s_or_b64 exec, exec, s[2:3]
	v_cmp_eq_u32_e32 vcc, 12, v42
	s_waitcnt vmcnt(63) expcnt(7) lgkmcnt(15)
	s_barrier
	s_and_saveexec_b64 s[2:3], vcc
	s_cbranch_execz .LBB113_64
; %bb.62:
	ds_write_b64 v40, v[216:217]
	ds_write2_b64 v41, v[160:161], v[214:215] offset0:13 offset1:14
	ds_write2_b64 v41, v[158:159], v[212:213] offset0:15 offset1:16
	;; [unrolled: 1-line block ×12, first 2 shown]
	s_waitcnt vmcnt(62)
	ds_write2_b64 v41, v[136:137], v[190:191] offset0:37 offset1:38
	s_waitcnt vmcnt(60)
	ds_write2_b64 v41, v[134:135], v[188:189] offset0:39 offset1:40
	;; [unrolled: 2-line block ×10, first 2 shown]
	ds_read_b64 v[0:1], v40
	s_waitcnt lgkmcnt(0)
	v_cmp_neq_f64_e32 vcc, 0, v[0:1]
	s_and_b64 exec, exec, vcc
	s_cbranch_execz .LBB113_64
; %bb.63:
	v_div_scale_f64 v[2:3], s[6:7], v[0:1], v[0:1], 1.0
	v_rcp_f64_e32 v[4:5], v[2:3]
	v_div_scale_f64 v[6:7], vcc, 1.0, v[0:1], 1.0
	v_fma_f64 v[8:9], -v[2:3], v[4:5], 1.0
	v_fmac_f64_e32 v[4:5], v[4:5], v[8:9]
	v_fma_f64 v[8:9], -v[2:3], v[4:5], 1.0
	v_fmac_f64_e32 v[4:5], v[4:5], v[8:9]
	v_mul_f64 v[8:9], v[6:7], v[4:5]
	v_fma_f64 v[2:3], -v[2:3], v[8:9], v[6:7]
	v_div_fmas_f64 v[2:3], v[2:3], v[4:5], v[8:9]
	v_div_fixup_f64 v[0:1], v[2:3], v[0:1], 1.0
	ds_write_b64 v40, v[0:1]
.LBB113_64:
	s_or_b64 exec, exec, s[2:3]
	s_waitcnt lgkmcnt(0)
	s_barrier
	ds_read_b64 v[0:1], v40
	v_cmp_lt_u32_e32 vcc, 12, v42
	s_waitcnt lgkmcnt(0)
	buffer_store_dword v0, off, s[16:19], 0 offset:192 ; 4-byte Folded Spill
	s_nop 0
	buffer_store_dword v1, off, s[16:19], 0 offset:196 ; 4-byte Folded Spill
	s_and_saveexec_b64 s[2:3], vcc
	s_cbranch_execz .LBB113_66
; %bb.65:
	buffer_load_dword v0, off, s[16:19], 0 offset:192 ; 4-byte Folded Reload
	buffer_load_dword v1, off, s[16:19], 0 offset:196 ; 4-byte Folded Reload
	s_waitcnt vmcnt(0)
	v_mul_f64 v[216:217], v[0:1], v[216:217]
	ds_read2_b64 v[0:3], v41 offset0:13 offset1:14
	s_waitcnt lgkmcnt(0)
	v_fma_f64 v[160:161], -v[216:217], v[0:1], v[160:161]
	v_fma_f64 v[214:215], -v[216:217], v[2:3], v[214:215]
	ds_read2_b64 v[0:3], v41 offset0:15 offset1:16
	s_waitcnt lgkmcnt(0)
	v_fma_f64 v[158:159], -v[216:217], v[0:1], v[158:159]
	v_fma_f64 v[212:213], -v[216:217], v[2:3], v[212:213]
	;; [unrolled: 4-line block ×22, first 2 shown]
.LBB113_66:
	s_or_b64 exec, exec, s[2:3]
	v_cmp_eq_u32_e32 vcc, 13, v42
	s_waitcnt vmcnt(63) expcnt(7) lgkmcnt(15)
	s_barrier
	s_and_saveexec_b64 s[2:3], vcc
	s_cbranch_execz .LBB113_69
; %bb.67:
	v_mov_b32_e32 v0, v214
	v_mov_b32_e32 v1, v215
	;; [unrolled: 1-line block ×4, first 2 shown]
	ds_write_b64 v40, v[160:161]
	ds_write2_b64 v41, v[0:1], v[2:3] offset0:14 offset1:15
	v_mov_b32_e32 v0, v212
	v_mov_b32_e32 v1, v213
	v_mov_b32_e32 v2, v156
	v_mov_b32_e32 v3, v157
	ds_write2_b64 v41, v[0:1], v[2:3] offset0:16 offset1:17
	v_mov_b32_e32 v0, v210
	v_mov_b32_e32 v1, v211
	v_mov_b32_e32 v2, v154
	v_mov_b32_e32 v3, v155
	;; [unrolled: 5-line block ×12, first 2 shown]
	ds_write2_b64 v41, v[0:1], v[2:3] offset0:38 offset1:39
	s_waitcnt vmcnt(62)
	v_mov_b32_e32 v0, v188
	v_mov_b32_e32 v1, v189
	s_waitcnt vmcnt(61)
	v_mov_b32_e32 v2, v132
	v_mov_b32_e32 v3, v133
	ds_write2_b64 v41, v[0:1], v[2:3] offset0:40 offset1:41
	s_waitcnt vmcnt(60)
	v_mov_b32_e32 v0, v186
	v_mov_b32_e32 v1, v187
	s_waitcnt vmcnt(59)
	v_mov_b32_e32 v2, v130
	v_mov_b32_e32 v3, v131
	;; [unrolled: 7-line block ×8, first 2 shown]
	ds_write2_b64 v41, v[0:1], v[2:3] offset0:54 offset1:55
	s_waitcnt vmcnt(26)
	ds_write_b64 v41, v[228:229] offset:448
	ds_read_b64 v[0:1], v40
	s_waitcnt lgkmcnt(0)
	v_cmp_neq_f64_e32 vcc, 0, v[0:1]
	s_and_b64 exec, exec, vcc
	s_cbranch_execz .LBB113_69
; %bb.68:
	v_div_scale_f64 v[2:3], s[6:7], v[0:1], v[0:1], 1.0
	v_rcp_f64_e32 v[4:5], v[2:3]
	v_div_scale_f64 v[6:7], vcc, 1.0, v[0:1], 1.0
	v_fma_f64 v[8:9], -v[2:3], v[4:5], 1.0
	v_fmac_f64_e32 v[4:5], v[4:5], v[8:9]
	v_fma_f64 v[8:9], -v[2:3], v[4:5], 1.0
	v_fmac_f64_e32 v[4:5], v[4:5], v[8:9]
	v_mul_f64 v[8:9], v[6:7], v[4:5]
	v_fma_f64 v[2:3], -v[2:3], v[8:9], v[6:7]
	v_div_fmas_f64 v[2:3], v[2:3], v[4:5], v[8:9]
	v_div_fixup_f64 v[0:1], v[2:3], v[0:1], 1.0
	ds_write_b64 v40, v[0:1]
.LBB113_69:
	s_or_b64 exec, exec, s[2:3]
	s_waitcnt lgkmcnt(0)
	s_barrier
	ds_read_b64 v[0:1], v40
	v_cmp_lt_u32_e32 vcc, 13, v42
	s_waitcnt lgkmcnt(0)
	buffer_store_dword v0, off, s[16:19], 0 offset:200 ; 4-byte Folded Spill
	s_nop 0
	buffer_store_dword v1, off, s[16:19], 0 offset:204 ; 4-byte Folded Spill
	s_and_saveexec_b64 s[2:3], vcc
	s_cbranch_execz .LBB113_71
; %bb.70:
	buffer_load_dword v0, off, s[16:19], 0 offset:200 ; 4-byte Folded Reload
	buffer_load_dword v1, off, s[16:19], 0 offset:204 ; 4-byte Folded Reload
	s_waitcnt vmcnt(0)
	v_mul_f64 v[160:161], v[0:1], v[160:161]
	ds_read2_b64 v[0:3], v41 offset0:14 offset1:15
	s_waitcnt lgkmcnt(0)
	v_fma_f64 v[214:215], -v[160:161], v[0:1], v[214:215]
	v_fma_f64 v[158:159], -v[160:161], v[2:3], v[158:159]
	ds_read2_b64 v[0:3], v41 offset0:16 offset1:17
	s_waitcnt lgkmcnt(0)
	v_fma_f64 v[212:213], -v[160:161], v[0:1], v[212:213]
	v_fma_f64 v[156:157], -v[160:161], v[2:3], v[156:157]
	;; [unrolled: 4-line block ×20, first 2 shown]
	ds_read2_b64 v[0:3], v41 offset0:54 offset1:55
	s_waitcnt lgkmcnt(0)
	v_fma_f64 v[174:175], -v[160:161], v[0:1], v[174:175]
	ds_read_b64 v[0:1], v41 offset:448
	v_fma_f64 v[118:119], -v[160:161], v[2:3], v[118:119]
	s_waitcnt lgkmcnt(0)
	v_fma_f64 v[228:229], -v[160:161], v[0:1], v[228:229]
.LBB113_71:
	s_or_b64 exec, exec, s[2:3]
	v_cmp_eq_u32_e32 vcc, 14, v42
	s_waitcnt vmcnt(63) expcnt(7) lgkmcnt(15)
	s_barrier
	s_and_saveexec_b64 s[2:3], vcc
	s_cbranch_execz .LBB113_74
; %bb.72:
	ds_write_b64 v40, v[214:215]
	ds_write2_b64 v41, v[158:159], v[212:213] offset0:15 offset1:16
	ds_write2_b64 v41, v[156:157], v[210:211] offset0:17 offset1:18
	;; [unrolled: 1-line block ×13, first 2 shown]
	s_waitcnt vmcnt(62)
	ds_write2_b64 v41, v[132:133], v[186:187] offset0:41 offset1:42
	s_waitcnt vmcnt(60)
	ds_write2_b64 v41, v[130:131], v[184:185] offset0:43 offset1:44
	;; [unrolled: 2-line block ×8, first 2 shown]
	ds_read_b64 v[0:1], v40
	s_waitcnt lgkmcnt(0)
	v_cmp_neq_f64_e32 vcc, 0, v[0:1]
	s_and_b64 exec, exec, vcc
	s_cbranch_execz .LBB113_74
; %bb.73:
	v_div_scale_f64 v[2:3], s[6:7], v[0:1], v[0:1], 1.0
	v_rcp_f64_e32 v[4:5], v[2:3]
	v_div_scale_f64 v[6:7], vcc, 1.0, v[0:1], 1.0
	v_fma_f64 v[8:9], -v[2:3], v[4:5], 1.0
	v_fmac_f64_e32 v[4:5], v[4:5], v[8:9]
	v_fma_f64 v[8:9], -v[2:3], v[4:5], 1.0
	v_fmac_f64_e32 v[4:5], v[4:5], v[8:9]
	v_mul_f64 v[8:9], v[6:7], v[4:5]
	v_fma_f64 v[2:3], -v[2:3], v[8:9], v[6:7]
	v_div_fmas_f64 v[2:3], v[2:3], v[4:5], v[8:9]
	v_div_fixup_f64 v[0:1], v[2:3], v[0:1], 1.0
	ds_write_b64 v40, v[0:1]
.LBB113_74:
	s_or_b64 exec, exec, s[2:3]
	s_waitcnt lgkmcnt(0)
	s_barrier
	ds_read_b64 v[0:1], v40
	v_cmp_lt_u32_e32 vcc, 14, v42
	s_waitcnt lgkmcnt(0)
	buffer_store_dword v0, off, s[16:19], 0 offset:208 ; 4-byte Folded Spill
	s_nop 0
	buffer_store_dword v1, off, s[16:19], 0 offset:212 ; 4-byte Folded Spill
	s_and_saveexec_b64 s[2:3], vcc
	s_cbranch_execz .LBB113_76
; %bb.75:
	buffer_load_dword v0, off, s[16:19], 0 offset:208 ; 4-byte Folded Reload
	buffer_load_dword v1, off, s[16:19], 0 offset:212 ; 4-byte Folded Reload
	s_waitcnt vmcnt(0)
	v_mul_f64 v[214:215], v[0:1], v[214:215]
	ds_read2_b64 v[0:3], v41 offset0:15 offset1:16
	s_waitcnt lgkmcnt(0)
	v_fma_f64 v[158:159], -v[214:215], v[0:1], v[158:159]
	v_fma_f64 v[212:213], -v[214:215], v[2:3], v[212:213]
	ds_read2_b64 v[0:3], v41 offset0:17 offset1:18
	s_waitcnt lgkmcnt(0)
	v_fma_f64 v[156:157], -v[214:215], v[0:1], v[156:157]
	v_fma_f64 v[210:211], -v[214:215], v[2:3], v[210:211]
	;; [unrolled: 4-line block ×21, first 2 shown]
.LBB113_76:
	s_or_b64 exec, exec, s[2:3]
	v_cmp_eq_u32_e32 vcc, 15, v42
	s_waitcnt vmcnt(63) expcnt(7) lgkmcnt(15)
	s_barrier
	s_and_saveexec_b64 s[2:3], vcc
	s_cbranch_execz .LBB113_79
; %bb.77:
	v_mov_b32_e32 v0, v212
	v_mov_b32_e32 v1, v213
	;; [unrolled: 1-line block ×4, first 2 shown]
	ds_write_b64 v40, v[158:159]
	ds_write2_b64 v41, v[0:1], v[2:3] offset0:16 offset1:17
	v_mov_b32_e32 v0, v210
	v_mov_b32_e32 v1, v211
	v_mov_b32_e32 v2, v154
	v_mov_b32_e32 v3, v155
	ds_write2_b64 v41, v[0:1], v[2:3] offset0:18 offset1:19
	v_mov_b32_e32 v0, v208
	v_mov_b32_e32 v1, v209
	v_mov_b32_e32 v2, v152
	v_mov_b32_e32 v3, v153
	;; [unrolled: 5-line block ×13, first 2 shown]
	ds_write2_b64 v41, v[0:1], v[2:3] offset0:42 offset1:43
	s_waitcnt vmcnt(62)
	v_mov_b32_e32 v0, v184
	v_mov_b32_e32 v1, v185
	s_waitcnt vmcnt(61)
	v_mov_b32_e32 v2, v128
	v_mov_b32_e32 v3, v129
	ds_write2_b64 v41, v[0:1], v[2:3] offset0:44 offset1:45
	s_waitcnt vmcnt(60)
	v_mov_b32_e32 v0, v182
	v_mov_b32_e32 v1, v183
	s_waitcnt vmcnt(57)
	v_mov_b32_e32 v2, v126
	v_mov_b32_e32 v3, v127
	;; [unrolled: 7-line block ×6, first 2 shown]
	ds_write2_b64 v41, v[0:1], v[2:3] offset0:54 offset1:55
	s_waitcnt vmcnt(30)
	ds_write_b64 v41, v[228:229] offset:448
	ds_read_b64 v[0:1], v40
	s_waitcnt lgkmcnt(0)
	v_cmp_neq_f64_e32 vcc, 0, v[0:1]
	s_and_b64 exec, exec, vcc
	s_cbranch_execz .LBB113_79
; %bb.78:
	v_div_scale_f64 v[2:3], s[6:7], v[0:1], v[0:1], 1.0
	v_rcp_f64_e32 v[4:5], v[2:3]
	v_div_scale_f64 v[6:7], vcc, 1.0, v[0:1], 1.0
	v_fma_f64 v[8:9], -v[2:3], v[4:5], 1.0
	v_fmac_f64_e32 v[4:5], v[4:5], v[8:9]
	v_fma_f64 v[8:9], -v[2:3], v[4:5], 1.0
	v_fmac_f64_e32 v[4:5], v[4:5], v[8:9]
	v_mul_f64 v[8:9], v[6:7], v[4:5]
	v_fma_f64 v[2:3], -v[2:3], v[8:9], v[6:7]
	v_div_fmas_f64 v[2:3], v[2:3], v[4:5], v[8:9]
	v_div_fixup_f64 v[0:1], v[2:3], v[0:1], 1.0
	ds_write_b64 v40, v[0:1]
.LBB113_79:
	s_or_b64 exec, exec, s[2:3]
	s_waitcnt lgkmcnt(0)
	s_barrier
	ds_read_b64 v[0:1], v40
	v_cmp_lt_u32_e32 vcc, 15, v42
	s_waitcnt lgkmcnt(0)
	buffer_store_dword v0, off, s[16:19], 0 offset:216 ; 4-byte Folded Spill
	s_nop 0
	buffer_store_dword v1, off, s[16:19], 0 offset:220 ; 4-byte Folded Spill
	s_and_saveexec_b64 s[2:3], vcc
	s_cbranch_execz .LBB113_81
; %bb.80:
	buffer_load_dword v0, off, s[16:19], 0 offset:216 ; 4-byte Folded Reload
	buffer_load_dword v1, off, s[16:19], 0 offset:220 ; 4-byte Folded Reload
	s_waitcnt vmcnt(0)
	v_mul_f64 v[158:159], v[0:1], v[158:159]
	ds_read2_b64 v[0:3], v41 offset0:16 offset1:17
	s_waitcnt lgkmcnt(0)
	v_fma_f64 v[212:213], -v[158:159], v[0:1], v[212:213]
	v_fma_f64 v[156:157], -v[158:159], v[2:3], v[156:157]
	ds_read2_b64 v[0:3], v41 offset0:18 offset1:19
	s_waitcnt lgkmcnt(0)
	v_fma_f64 v[210:211], -v[158:159], v[0:1], v[210:211]
	v_fma_f64 v[154:155], -v[158:159], v[2:3], v[154:155]
	;; [unrolled: 4-line block ×19, first 2 shown]
	ds_read2_b64 v[0:3], v41 offset0:54 offset1:55
	s_waitcnt lgkmcnt(0)
	v_fma_f64 v[174:175], -v[158:159], v[0:1], v[174:175]
	ds_read_b64 v[0:1], v41 offset:448
	v_fma_f64 v[118:119], -v[158:159], v[2:3], v[118:119]
	s_waitcnt lgkmcnt(0)
	v_fma_f64 v[228:229], -v[158:159], v[0:1], v[228:229]
.LBB113_81:
	s_or_b64 exec, exec, s[2:3]
	v_cmp_eq_u32_e32 vcc, 16, v42
	s_waitcnt vmcnt(63) expcnt(7) lgkmcnt(15)
	s_barrier
	s_and_saveexec_b64 s[2:3], vcc
	s_cbranch_execz .LBB113_84
; %bb.82:
	ds_write_b64 v40, v[212:213]
	ds_write2_b64 v41, v[156:157], v[210:211] offset0:17 offset1:18
	ds_write2_b64 v41, v[154:155], v[208:209] offset0:19 offset1:20
	;; [unrolled: 1-line block ×14, first 2 shown]
	s_waitcnt vmcnt(62)
	ds_write2_b64 v41, v[128:129], v[182:183] offset0:45 offset1:46
	s_waitcnt vmcnt(56)
	ds_write2_b64 v41, v[126:127], v[180:181] offset0:47 offset1:48
	;; [unrolled: 2-line block ×6, first 2 shown]
	ds_read_b64 v[0:1], v40
	s_waitcnt lgkmcnt(0)
	v_cmp_neq_f64_e32 vcc, 0, v[0:1]
	s_and_b64 exec, exec, vcc
	s_cbranch_execz .LBB113_84
; %bb.83:
	v_div_scale_f64 v[2:3], s[6:7], v[0:1], v[0:1], 1.0
	v_rcp_f64_e32 v[4:5], v[2:3]
	v_div_scale_f64 v[6:7], vcc, 1.0, v[0:1], 1.0
	v_fma_f64 v[8:9], -v[2:3], v[4:5], 1.0
	v_fmac_f64_e32 v[4:5], v[4:5], v[8:9]
	v_fma_f64 v[8:9], -v[2:3], v[4:5], 1.0
	v_fmac_f64_e32 v[4:5], v[4:5], v[8:9]
	v_mul_f64 v[8:9], v[6:7], v[4:5]
	v_fma_f64 v[2:3], -v[2:3], v[8:9], v[6:7]
	v_div_fmas_f64 v[2:3], v[2:3], v[4:5], v[8:9]
	v_div_fixup_f64 v[0:1], v[2:3], v[0:1], 1.0
	ds_write_b64 v40, v[0:1]
.LBB113_84:
	s_or_b64 exec, exec, s[2:3]
	s_waitcnt lgkmcnt(0)
	s_barrier
	ds_read_b64 v[0:1], v40
	v_cmp_lt_u32_e32 vcc, 16, v42
	s_waitcnt lgkmcnt(0)
	buffer_store_dword v0, off, s[16:19], 0 offset:224 ; 4-byte Folded Spill
	s_nop 0
	buffer_store_dword v1, off, s[16:19], 0 offset:228 ; 4-byte Folded Spill
	s_and_saveexec_b64 s[2:3], vcc
	s_cbranch_execz .LBB113_86
; %bb.85:
	buffer_load_dword v0, off, s[16:19], 0 offset:224 ; 4-byte Folded Reload
	buffer_load_dword v1, off, s[16:19], 0 offset:228 ; 4-byte Folded Reload
	s_waitcnt vmcnt(0)
	v_mul_f64 v[212:213], v[0:1], v[212:213]
	ds_read2_b64 v[0:3], v41 offset0:17 offset1:18
	s_waitcnt lgkmcnt(0)
	v_fma_f64 v[156:157], -v[212:213], v[0:1], v[156:157]
	v_fma_f64 v[210:211], -v[212:213], v[2:3], v[210:211]
	ds_read2_b64 v[0:3], v41 offset0:19 offset1:20
	s_waitcnt lgkmcnt(0)
	v_fma_f64 v[154:155], -v[212:213], v[0:1], v[154:155]
	v_fma_f64 v[208:209], -v[212:213], v[2:3], v[208:209]
	;; [unrolled: 4-line block ×20, first 2 shown]
.LBB113_86:
	s_or_b64 exec, exec, s[2:3]
	v_cmp_eq_u32_e32 vcc, 17, v42
	s_waitcnt vmcnt(63) expcnt(7) lgkmcnt(15)
	s_barrier
	s_and_saveexec_b64 s[2:3], vcc
	s_cbranch_execz .LBB113_89
; %bb.87:
	v_mov_b32_e32 v0, v210
	v_mov_b32_e32 v1, v211
	;; [unrolled: 1-line block ×4, first 2 shown]
	ds_write_b64 v40, v[156:157]
	ds_write2_b64 v41, v[0:1], v[2:3] offset0:18 offset1:19
	v_mov_b32_e32 v0, v208
	v_mov_b32_e32 v1, v209
	v_mov_b32_e32 v2, v152
	v_mov_b32_e32 v3, v153
	ds_write2_b64 v41, v[0:1], v[2:3] offset0:20 offset1:21
	v_mov_b32_e32 v0, v206
	v_mov_b32_e32 v1, v207
	v_mov_b32_e32 v2, v150
	v_mov_b32_e32 v3, v151
	;; [unrolled: 5-line block ×13, first 2 shown]
	ds_write2_b64 v41, v[0:1], v[2:3] offset0:44 offset1:45
	v_mov_b32_e32 v0, v182
	v_mov_b32_e32 v1, v183
	s_waitcnt vmcnt(61)
	v_mov_b32_e32 v2, v126
	v_mov_b32_e32 v3, v127
	ds_write2_b64 v41, v[0:1], v[2:3] offset0:46 offset1:47
	s_waitcnt vmcnt(58)
	v_mov_b32_e32 v0, v180
	v_mov_b32_e32 v1, v181
	s_waitcnt vmcnt(55)
	v_mov_b32_e32 v2, v124
	v_mov_b32_e32 v3, v125
	ds_write2_b64 v41, v[0:1], v[2:3] offset0:48 offset1:49
	s_waitcnt vmcnt(52)
	;; [unrolled: 7-line block ×5, first 2 shown]
	ds_write_b64 v41, v[228:229] offset:448
	ds_read_b64 v[0:1], v40
	s_waitcnt lgkmcnt(0)
	v_cmp_neq_f64_e32 vcc, 0, v[0:1]
	s_and_b64 exec, exec, vcc
	s_cbranch_execz .LBB113_89
; %bb.88:
	v_div_scale_f64 v[2:3], s[6:7], v[0:1], v[0:1], 1.0
	v_rcp_f64_e32 v[4:5], v[2:3]
	v_div_scale_f64 v[6:7], vcc, 1.0, v[0:1], 1.0
	v_fma_f64 v[8:9], -v[2:3], v[4:5], 1.0
	v_fmac_f64_e32 v[4:5], v[4:5], v[8:9]
	v_fma_f64 v[8:9], -v[2:3], v[4:5], 1.0
	v_fmac_f64_e32 v[4:5], v[4:5], v[8:9]
	v_mul_f64 v[8:9], v[6:7], v[4:5]
	v_fma_f64 v[2:3], -v[2:3], v[8:9], v[6:7]
	v_div_fmas_f64 v[2:3], v[2:3], v[4:5], v[8:9]
	v_div_fixup_f64 v[0:1], v[2:3], v[0:1], 1.0
	ds_write_b64 v40, v[0:1]
.LBB113_89:
	s_or_b64 exec, exec, s[2:3]
	s_waitcnt lgkmcnt(0)
	s_barrier
	ds_read_b64 v[0:1], v40
	v_cmp_lt_u32_e32 vcc, 17, v42
	s_waitcnt lgkmcnt(0)
	buffer_store_dword v0, off, s[16:19], 0 offset:232 ; 4-byte Folded Spill
	s_nop 0
	buffer_store_dword v1, off, s[16:19], 0 offset:236 ; 4-byte Folded Spill
	s_and_saveexec_b64 s[2:3], vcc
	s_cbranch_execz .LBB113_91
; %bb.90:
	buffer_load_dword v0, off, s[16:19], 0 offset:232 ; 4-byte Folded Reload
	buffer_load_dword v1, off, s[16:19], 0 offset:236 ; 4-byte Folded Reload
	s_waitcnt vmcnt(0)
	v_mul_f64 v[156:157], v[0:1], v[156:157]
	ds_read2_b64 v[0:3], v41 offset0:18 offset1:19
	s_waitcnt lgkmcnt(0)
	v_fma_f64 v[210:211], -v[156:157], v[0:1], v[210:211]
	v_fma_f64 v[154:155], -v[156:157], v[2:3], v[154:155]
	ds_read2_b64 v[0:3], v41 offset0:20 offset1:21
	s_waitcnt lgkmcnt(0)
	v_fma_f64 v[208:209], -v[156:157], v[0:1], v[208:209]
	v_fma_f64 v[152:153], -v[156:157], v[2:3], v[152:153]
	;; [unrolled: 4-line block ×18, first 2 shown]
	ds_read2_b64 v[0:3], v41 offset0:54 offset1:55
	s_waitcnt lgkmcnt(0)
	v_fma_f64 v[174:175], -v[156:157], v[0:1], v[174:175]
	ds_read_b64 v[0:1], v41 offset:448
	v_fma_f64 v[118:119], -v[156:157], v[2:3], v[118:119]
	s_waitcnt lgkmcnt(0)
	v_fma_f64 v[228:229], -v[156:157], v[0:1], v[228:229]
.LBB113_91:
	s_or_b64 exec, exec, s[2:3]
	v_cmp_eq_u32_e32 vcc, 18, v42
	s_waitcnt vmcnt(63) expcnt(7) lgkmcnt(15)
	s_barrier
	s_and_saveexec_b64 s[2:3], vcc
	s_cbranch_execz .LBB113_94
; %bb.92:
	ds_write_b64 v40, v[210:211]
	ds_write2_b64 v41, v[154:155], v[208:209] offset0:19 offset1:20
	ds_write2_b64 v41, v[152:153], v[206:207] offset0:21 offset1:22
	ds_write2_b64 v41, v[150:151], v[204:205] offset0:23 offset1:24
	ds_write2_b64 v41, v[148:149], v[202:203] offset0:25 offset1:26
	ds_write2_b64 v41, v[146:147], v[200:201] offset0:27 offset1:28
	ds_write2_b64 v41, v[144:145], v[198:199] offset0:29 offset1:30
	ds_write2_b64 v41, v[142:143], v[196:197] offset0:31 offset1:32
	ds_write2_b64 v41, v[140:141], v[194:195] offset0:33 offset1:34
	ds_write2_b64 v41, v[138:139], v[192:193] offset0:35 offset1:36
	ds_write2_b64 v41, v[136:137], v[190:191] offset0:37 offset1:38
	ds_write2_b64 v41, v[134:135], v[188:189] offset0:39 offset1:40
	ds_write2_b64 v41, v[132:133], v[186:187] offset0:41 offset1:42
	ds_write2_b64 v41, v[130:131], v[184:185] offset0:43 offset1:44
	ds_write2_b64 v41, v[128:129], v[182:183] offset0:45 offset1:46
	s_waitcnt vmcnt(60)
	ds_write2_b64 v41, v[126:127], v[180:181] offset0:47 offset1:48
	s_waitcnt vmcnt(54)
	ds_write2_b64 v41, v[124:125], v[178:179] offset0:49 offset1:50
	;; [unrolled: 2-line block ×5, first 2 shown]
	ds_read_b64 v[0:1], v40
	s_waitcnt lgkmcnt(0)
	v_cmp_neq_f64_e32 vcc, 0, v[0:1]
	s_and_b64 exec, exec, vcc
	s_cbranch_execz .LBB113_94
; %bb.93:
	v_div_scale_f64 v[2:3], s[6:7], v[0:1], v[0:1], 1.0
	v_rcp_f64_e32 v[4:5], v[2:3]
	v_div_scale_f64 v[6:7], vcc, 1.0, v[0:1], 1.0
	v_fma_f64 v[8:9], -v[2:3], v[4:5], 1.0
	v_fmac_f64_e32 v[4:5], v[4:5], v[8:9]
	v_fma_f64 v[8:9], -v[2:3], v[4:5], 1.0
	v_fmac_f64_e32 v[4:5], v[4:5], v[8:9]
	v_mul_f64 v[8:9], v[6:7], v[4:5]
	v_fma_f64 v[2:3], -v[2:3], v[8:9], v[6:7]
	v_div_fmas_f64 v[2:3], v[2:3], v[4:5], v[8:9]
	v_div_fixup_f64 v[0:1], v[2:3], v[0:1], 1.0
	ds_write_b64 v40, v[0:1]
.LBB113_94:
	s_or_b64 exec, exec, s[2:3]
	s_waitcnt lgkmcnt(0)
	s_barrier
	ds_read_b64 v[0:1], v40
	v_cmp_lt_u32_e32 vcc, 18, v42
	s_waitcnt lgkmcnt(0)
	buffer_store_dword v0, off, s[16:19], 0 offset:240 ; 4-byte Folded Spill
	s_nop 0
	buffer_store_dword v1, off, s[16:19], 0 offset:244 ; 4-byte Folded Spill
	s_and_saveexec_b64 s[2:3], vcc
	s_cbranch_execz .LBB113_96
; %bb.95:
	buffer_load_dword v0, off, s[16:19], 0 offset:240 ; 4-byte Folded Reload
	buffer_load_dword v1, off, s[16:19], 0 offset:244 ; 4-byte Folded Reload
	s_waitcnt vmcnt(0)
	v_mul_f64 v[210:211], v[0:1], v[210:211]
	ds_read2_b64 v[0:3], v41 offset0:19 offset1:20
	s_waitcnt lgkmcnt(0)
	v_fma_f64 v[154:155], -v[210:211], v[0:1], v[154:155]
	v_fma_f64 v[208:209], -v[210:211], v[2:3], v[208:209]
	ds_read2_b64 v[0:3], v41 offset0:21 offset1:22
	s_waitcnt lgkmcnt(0)
	v_fma_f64 v[152:153], -v[210:211], v[0:1], v[152:153]
	v_fma_f64 v[206:207], -v[210:211], v[2:3], v[206:207]
	;; [unrolled: 4-line block ×19, first 2 shown]
.LBB113_96:
	s_or_b64 exec, exec, s[2:3]
	v_cmp_eq_u32_e32 vcc, 19, v42
	s_waitcnt vmcnt(63) expcnt(7) lgkmcnt(15)
	s_barrier
	s_and_saveexec_b64 s[2:3], vcc
	s_cbranch_execz .LBB113_99
; %bb.97:
	v_mov_b32_e32 v0, v208
	v_mov_b32_e32 v1, v209
	;; [unrolled: 1-line block ×4, first 2 shown]
	ds_write_b64 v40, v[154:155]
	ds_write2_b64 v41, v[0:1], v[2:3] offset0:20 offset1:21
	v_mov_b32_e32 v0, v206
	v_mov_b32_e32 v1, v207
	v_mov_b32_e32 v2, v150
	v_mov_b32_e32 v3, v151
	ds_write2_b64 v41, v[0:1], v[2:3] offset0:22 offset1:23
	v_mov_b32_e32 v0, v204
	v_mov_b32_e32 v1, v205
	v_mov_b32_e32 v2, v148
	v_mov_b32_e32 v3, v149
	;; [unrolled: 5-line block ×13, first 2 shown]
	ds_write2_b64 v41, v[0:1], v[2:3] offset0:46 offset1:47
	s_waitcnt vmcnt(62)
	v_mov_b32_e32 v0, v180
	v_mov_b32_e32 v1, v181
	s_waitcnt vmcnt(59)
	v_mov_b32_e32 v2, v124
	v_mov_b32_e32 v3, v125
	ds_write2_b64 v41, v[0:1], v[2:3] offset0:48 offset1:49
	s_waitcnt vmcnt(56)
	v_mov_b32_e32 v0, v178
	v_mov_b32_e32 v1, v179
	s_waitcnt vmcnt(53)
	v_mov_b32_e32 v2, v122
	v_mov_b32_e32 v3, v123
	;; [unrolled: 7-line block ×4, first 2 shown]
	ds_write2_b64 v41, v[0:1], v[2:3] offset0:54 offset1:55
	s_waitcnt vmcnt(38)
	ds_write_b64 v41, v[228:229] offset:448
	ds_read_b64 v[0:1], v40
	s_waitcnt lgkmcnt(0)
	v_cmp_neq_f64_e32 vcc, 0, v[0:1]
	s_and_b64 exec, exec, vcc
	s_cbranch_execz .LBB113_99
; %bb.98:
	v_div_scale_f64 v[2:3], s[6:7], v[0:1], v[0:1], 1.0
	v_rcp_f64_e32 v[4:5], v[2:3]
	v_div_scale_f64 v[6:7], vcc, 1.0, v[0:1], 1.0
	v_fma_f64 v[8:9], -v[2:3], v[4:5], 1.0
	v_fmac_f64_e32 v[4:5], v[4:5], v[8:9]
	v_fma_f64 v[8:9], -v[2:3], v[4:5], 1.0
	v_fmac_f64_e32 v[4:5], v[4:5], v[8:9]
	v_mul_f64 v[8:9], v[6:7], v[4:5]
	v_fma_f64 v[2:3], -v[2:3], v[8:9], v[6:7]
	v_div_fmas_f64 v[2:3], v[2:3], v[4:5], v[8:9]
	v_div_fixup_f64 v[0:1], v[2:3], v[0:1], 1.0
	ds_write_b64 v40, v[0:1]
.LBB113_99:
	s_or_b64 exec, exec, s[2:3]
	s_waitcnt lgkmcnt(0)
	s_barrier
	ds_read_b64 v[0:1], v40
	v_cmp_lt_u32_e32 vcc, 19, v42
	s_waitcnt lgkmcnt(0)
	buffer_store_dword v0, off, s[16:19], 0 offset:248 ; 4-byte Folded Spill
	s_nop 0
	buffer_store_dword v1, off, s[16:19], 0 offset:252 ; 4-byte Folded Spill
	s_and_saveexec_b64 s[2:3], vcc
	s_cbranch_execz .LBB113_101
; %bb.100:
	buffer_load_dword v0, off, s[16:19], 0 offset:248 ; 4-byte Folded Reload
	buffer_load_dword v1, off, s[16:19], 0 offset:252 ; 4-byte Folded Reload
	s_waitcnt vmcnt(0)
	v_mul_f64 v[154:155], v[0:1], v[154:155]
	ds_read2_b64 v[0:3], v41 offset0:20 offset1:21
	s_waitcnt lgkmcnt(0)
	v_fma_f64 v[208:209], -v[154:155], v[0:1], v[208:209]
	v_fma_f64 v[152:153], -v[154:155], v[2:3], v[152:153]
	ds_read2_b64 v[0:3], v41 offset0:22 offset1:23
	s_waitcnt lgkmcnt(0)
	v_fma_f64 v[206:207], -v[154:155], v[0:1], v[206:207]
	v_fma_f64 v[150:151], -v[154:155], v[2:3], v[150:151]
	;; [unrolled: 4-line block ×17, first 2 shown]
	ds_read2_b64 v[0:3], v41 offset0:54 offset1:55
	s_waitcnt lgkmcnt(0)
	v_fma_f64 v[174:175], -v[154:155], v[0:1], v[174:175]
	ds_read_b64 v[0:1], v41 offset:448
	v_fma_f64 v[118:119], -v[154:155], v[2:3], v[118:119]
	s_waitcnt lgkmcnt(0)
	v_fma_f64 v[228:229], -v[154:155], v[0:1], v[228:229]
.LBB113_101:
	s_or_b64 exec, exec, s[2:3]
	v_cmp_eq_u32_e32 vcc, 20, v42
	s_waitcnt vmcnt(63) expcnt(7) lgkmcnt(15)
	s_barrier
	s_and_saveexec_b64 s[2:3], vcc
	s_cbranch_execz .LBB113_104
; %bb.102:
	ds_write_b64 v40, v[208:209]
	ds_write2_b64 v41, v[152:153], v[206:207] offset0:21 offset1:22
	ds_write2_b64 v41, v[150:151], v[204:205] offset0:23 offset1:24
	;; [unrolled: 1-line block ×14, first 2 shown]
	s_waitcnt vmcnt(58)
	ds_write2_b64 v41, v[124:125], v[178:179] offset0:49 offset1:50
	s_waitcnt vmcnt(52)
	ds_write2_b64 v41, v[122:123], v[176:177] offset0:51 offset1:52
	;; [unrolled: 2-line block ×4, first 2 shown]
	ds_read_b64 v[0:1], v40
	s_waitcnt lgkmcnt(0)
	v_cmp_neq_f64_e32 vcc, 0, v[0:1]
	s_and_b64 exec, exec, vcc
	s_cbranch_execz .LBB113_104
; %bb.103:
	v_div_scale_f64 v[2:3], s[6:7], v[0:1], v[0:1], 1.0
	v_rcp_f64_e32 v[4:5], v[2:3]
	v_div_scale_f64 v[6:7], vcc, 1.0, v[0:1], 1.0
	v_fma_f64 v[8:9], -v[2:3], v[4:5], 1.0
	v_fmac_f64_e32 v[4:5], v[4:5], v[8:9]
	v_fma_f64 v[8:9], -v[2:3], v[4:5], 1.0
	v_fmac_f64_e32 v[4:5], v[4:5], v[8:9]
	v_mul_f64 v[8:9], v[6:7], v[4:5]
	v_fma_f64 v[2:3], -v[2:3], v[8:9], v[6:7]
	v_div_fmas_f64 v[2:3], v[2:3], v[4:5], v[8:9]
	v_div_fixup_f64 v[0:1], v[2:3], v[0:1], 1.0
	ds_write_b64 v40, v[0:1]
.LBB113_104:
	s_or_b64 exec, exec, s[2:3]
	s_waitcnt lgkmcnt(0)
	s_barrier
	ds_read_b64 v[0:1], v40
	v_cmp_lt_u32_e32 vcc, 20, v42
	s_waitcnt lgkmcnt(0)
	buffer_store_dword v0, off, s[16:19], 0 offset:256 ; 4-byte Folded Spill
	s_nop 0
	buffer_store_dword v1, off, s[16:19], 0 offset:260 ; 4-byte Folded Spill
	s_and_saveexec_b64 s[2:3], vcc
	s_cbranch_execz .LBB113_106
; %bb.105:
	buffer_load_dword v0, off, s[16:19], 0 offset:256 ; 4-byte Folded Reload
	buffer_load_dword v1, off, s[16:19], 0 offset:260 ; 4-byte Folded Reload
	s_waitcnt vmcnt(0)
	v_mul_f64 v[208:209], v[0:1], v[208:209]
	ds_read2_b64 v[0:3], v41 offset0:21 offset1:22
	s_waitcnt lgkmcnt(0)
	v_fma_f64 v[152:153], -v[208:209], v[0:1], v[152:153]
	v_fma_f64 v[206:207], -v[208:209], v[2:3], v[206:207]
	ds_read2_b64 v[0:3], v41 offset0:23 offset1:24
	s_waitcnt lgkmcnt(0)
	v_fma_f64 v[150:151], -v[208:209], v[0:1], v[150:151]
	v_fma_f64 v[204:205], -v[208:209], v[2:3], v[204:205]
	;; [unrolled: 4-line block ×18, first 2 shown]
.LBB113_106:
	s_or_b64 exec, exec, s[2:3]
	v_cmp_eq_u32_e32 vcc, 21, v42
	s_waitcnt vmcnt(63) expcnt(7) lgkmcnt(15)
	s_barrier
	s_and_saveexec_b64 s[2:3], vcc
	s_cbranch_execz .LBB113_109
; %bb.107:
	v_mov_b32_e32 v0, v206
	v_mov_b32_e32 v1, v207
	;; [unrolled: 1-line block ×4, first 2 shown]
	ds_write_b64 v40, v[152:153]
	ds_write2_b64 v41, v[0:1], v[2:3] offset0:22 offset1:23
	v_mov_b32_e32 v0, v204
	v_mov_b32_e32 v1, v205
	v_mov_b32_e32 v2, v148
	v_mov_b32_e32 v3, v149
	ds_write2_b64 v41, v[0:1], v[2:3] offset0:24 offset1:25
	v_mov_b32_e32 v0, v202
	v_mov_b32_e32 v1, v203
	v_mov_b32_e32 v2, v146
	v_mov_b32_e32 v3, v147
	ds_write2_b64 v41, v[0:1], v[2:3] offset0:26 offset1:27
	v_mov_b32_e32 v0, v200
	v_mov_b32_e32 v1, v201
	v_mov_b32_e32 v2, v144
	v_mov_b32_e32 v3, v145
	ds_write2_b64 v41, v[0:1], v[2:3] offset0:28 offset1:29
	v_mov_b32_e32 v0, v198
	v_mov_b32_e32 v1, v199
	v_mov_b32_e32 v2, v142
	v_mov_b32_e32 v3, v143
	ds_write2_b64 v41, v[0:1], v[2:3] offset0:30 offset1:31
	v_mov_b32_e32 v0, v196
	v_mov_b32_e32 v1, v197
	v_mov_b32_e32 v2, v140
	v_mov_b32_e32 v3, v141
	ds_write2_b64 v41, v[0:1], v[2:3] offset0:32 offset1:33
	v_mov_b32_e32 v0, v194
	v_mov_b32_e32 v1, v195
	v_mov_b32_e32 v2, v138
	v_mov_b32_e32 v3, v139
	ds_write2_b64 v41, v[0:1], v[2:3] offset0:34 offset1:35
	v_mov_b32_e32 v0, v192
	v_mov_b32_e32 v1, v193
	v_mov_b32_e32 v2, v136
	v_mov_b32_e32 v3, v137
	ds_write2_b64 v41, v[0:1], v[2:3] offset0:36 offset1:37
	v_mov_b32_e32 v0, v190
	v_mov_b32_e32 v1, v191
	v_mov_b32_e32 v2, v134
	v_mov_b32_e32 v3, v135
	ds_write2_b64 v41, v[0:1], v[2:3] offset0:38 offset1:39
	v_mov_b32_e32 v0, v188
	v_mov_b32_e32 v1, v189
	v_mov_b32_e32 v2, v132
	v_mov_b32_e32 v3, v133
	ds_write2_b64 v41, v[0:1], v[2:3] offset0:40 offset1:41
	v_mov_b32_e32 v0, v186
	v_mov_b32_e32 v1, v187
	v_mov_b32_e32 v2, v130
	v_mov_b32_e32 v3, v131
	ds_write2_b64 v41, v[0:1], v[2:3] offset0:42 offset1:43
	v_mov_b32_e32 v0, v184
	v_mov_b32_e32 v1, v185
	v_mov_b32_e32 v2, v128
	v_mov_b32_e32 v3, v129
	ds_write2_b64 v41, v[0:1], v[2:3] offset0:44 offset1:45
	v_mov_b32_e32 v0, v182
	v_mov_b32_e32 v1, v183
	v_mov_b32_e32 v2, v126
	v_mov_b32_e32 v3, v127
	ds_write2_b64 v41, v[0:1], v[2:3] offset0:46 offset1:47
	v_mov_b32_e32 v0, v180
	v_mov_b32_e32 v1, v181
	v_mov_b32_e32 v2, v124
	v_mov_b32_e32 v3, v125
	ds_write2_b64 v41, v[0:1], v[2:3] offset0:48 offset1:49
	s_waitcnt vmcnt(60)
	v_mov_b32_e32 v0, v178
	v_mov_b32_e32 v1, v179
	s_waitcnt vmcnt(57)
	v_mov_b32_e32 v2, v122
	v_mov_b32_e32 v3, v123
	ds_write2_b64 v41, v[0:1], v[2:3] offset0:50 offset1:51
	s_waitcnt vmcnt(54)
	v_mov_b32_e32 v0, v176
	v_mov_b32_e32 v1, v177
	s_waitcnt vmcnt(51)
	v_mov_b32_e32 v2, v120
	v_mov_b32_e32 v3, v121
	;; [unrolled: 7-line block ×3, first 2 shown]
	ds_write2_b64 v41, v[0:1], v[2:3] offset0:54 offset1:55
	s_waitcnt vmcnt(42)
	ds_write_b64 v41, v[228:229] offset:448
	ds_read_b64 v[0:1], v40
	s_waitcnt lgkmcnt(0)
	v_cmp_neq_f64_e32 vcc, 0, v[0:1]
	s_and_b64 exec, exec, vcc
	s_cbranch_execz .LBB113_109
; %bb.108:
	v_div_scale_f64 v[2:3], s[6:7], v[0:1], v[0:1], 1.0
	v_rcp_f64_e32 v[4:5], v[2:3]
	v_div_scale_f64 v[6:7], vcc, 1.0, v[0:1], 1.0
	v_fma_f64 v[8:9], -v[2:3], v[4:5], 1.0
	v_fmac_f64_e32 v[4:5], v[4:5], v[8:9]
	v_fma_f64 v[8:9], -v[2:3], v[4:5], 1.0
	v_fmac_f64_e32 v[4:5], v[4:5], v[8:9]
	v_mul_f64 v[8:9], v[6:7], v[4:5]
	v_fma_f64 v[2:3], -v[2:3], v[8:9], v[6:7]
	v_div_fmas_f64 v[2:3], v[2:3], v[4:5], v[8:9]
	v_div_fixup_f64 v[0:1], v[2:3], v[0:1], 1.0
	ds_write_b64 v40, v[0:1]
.LBB113_109:
	s_or_b64 exec, exec, s[2:3]
	s_waitcnt lgkmcnt(0)
	s_barrier
	ds_read_b64 v[0:1], v40
	v_cmp_lt_u32_e32 vcc, 21, v42
	s_waitcnt lgkmcnt(0)
	buffer_store_dword v0, off, s[16:19], 0 offset:264 ; 4-byte Folded Spill
	s_nop 0
	buffer_store_dword v1, off, s[16:19], 0 offset:268 ; 4-byte Folded Spill
	s_and_saveexec_b64 s[2:3], vcc
	s_cbranch_execz .LBB113_111
; %bb.110:
	buffer_load_dword v0, off, s[16:19], 0 offset:264 ; 4-byte Folded Reload
	buffer_load_dword v1, off, s[16:19], 0 offset:268 ; 4-byte Folded Reload
	s_waitcnt vmcnt(0)
	v_mul_f64 v[152:153], v[0:1], v[152:153]
	ds_read2_b64 v[0:3], v41 offset0:22 offset1:23
	s_waitcnt lgkmcnt(0)
	v_fma_f64 v[206:207], -v[152:153], v[0:1], v[206:207]
	v_fma_f64 v[150:151], -v[152:153], v[2:3], v[150:151]
	ds_read2_b64 v[0:3], v41 offset0:24 offset1:25
	s_waitcnt lgkmcnt(0)
	v_fma_f64 v[204:205], -v[152:153], v[0:1], v[204:205]
	v_fma_f64 v[148:149], -v[152:153], v[2:3], v[148:149]
	;; [unrolled: 4-line block ×16, first 2 shown]
	ds_read2_b64 v[0:3], v41 offset0:54 offset1:55
	s_waitcnt lgkmcnt(0)
	v_fma_f64 v[174:175], -v[152:153], v[0:1], v[174:175]
	ds_read_b64 v[0:1], v41 offset:448
	v_fma_f64 v[118:119], -v[152:153], v[2:3], v[118:119]
	s_waitcnt lgkmcnt(0)
	v_fma_f64 v[228:229], -v[152:153], v[0:1], v[228:229]
.LBB113_111:
	s_or_b64 exec, exec, s[2:3]
	v_cmp_eq_u32_e32 vcc, 22, v42
	s_waitcnt vmcnt(63) expcnt(7) lgkmcnt(15)
	s_barrier
	s_and_saveexec_b64 s[2:3], vcc
	s_cbranch_execz .LBB113_114
; %bb.112:
	ds_write_b64 v40, v[206:207]
	ds_write2_b64 v41, v[150:151], v[204:205] offset0:23 offset1:24
	ds_write2_b64 v41, v[148:149], v[202:203] offset0:25 offset1:26
	;; [unrolled: 1-line block ×13, first 2 shown]
	s_waitcnt vmcnt(62)
	ds_write2_b64 v41, v[124:125], v[178:179] offset0:49 offset1:50
	s_waitcnt vmcnt(56)
	ds_write2_b64 v41, v[122:123], v[176:177] offset0:51 offset1:52
	;; [unrolled: 2-line block ×4, first 2 shown]
	ds_read_b64 v[0:1], v40
	s_waitcnt lgkmcnt(0)
	v_cmp_neq_f64_e32 vcc, 0, v[0:1]
	s_and_b64 exec, exec, vcc
	s_cbranch_execz .LBB113_114
; %bb.113:
	v_div_scale_f64 v[2:3], s[6:7], v[0:1], v[0:1], 1.0
	v_rcp_f64_e32 v[4:5], v[2:3]
	v_div_scale_f64 v[6:7], vcc, 1.0, v[0:1], 1.0
	v_fma_f64 v[8:9], -v[2:3], v[4:5], 1.0
	v_fmac_f64_e32 v[4:5], v[4:5], v[8:9]
	v_fma_f64 v[8:9], -v[2:3], v[4:5], 1.0
	v_fmac_f64_e32 v[4:5], v[4:5], v[8:9]
	v_mul_f64 v[8:9], v[6:7], v[4:5]
	v_fma_f64 v[2:3], -v[2:3], v[8:9], v[6:7]
	v_div_fmas_f64 v[2:3], v[2:3], v[4:5], v[8:9]
	v_div_fixup_f64 v[0:1], v[2:3], v[0:1], 1.0
	ds_write_b64 v40, v[0:1]
.LBB113_114:
	s_or_b64 exec, exec, s[2:3]
	s_waitcnt lgkmcnt(0)
	s_barrier
	ds_read_b64 v[0:1], v40
	v_cmp_lt_u32_e32 vcc, 22, v42
	s_waitcnt lgkmcnt(0)
	buffer_store_dword v0, off, s[16:19], 0 offset:272 ; 4-byte Folded Spill
	s_nop 0
	buffer_store_dword v1, off, s[16:19], 0 offset:276 ; 4-byte Folded Spill
	s_and_saveexec_b64 s[2:3], vcc
	s_cbranch_execz .LBB113_116
; %bb.115:
	buffer_load_dword v0, off, s[16:19], 0 offset:272 ; 4-byte Folded Reload
	buffer_load_dword v1, off, s[16:19], 0 offset:276 ; 4-byte Folded Reload
	s_waitcnt vmcnt(0)
	v_mul_f64 v[206:207], v[0:1], v[206:207]
	ds_read2_b64 v[0:3], v41 offset0:23 offset1:24
	s_waitcnt lgkmcnt(0)
	v_fma_f64 v[150:151], -v[206:207], v[0:1], v[150:151]
	v_fma_f64 v[204:205], -v[206:207], v[2:3], v[204:205]
	ds_read2_b64 v[0:3], v41 offset0:25 offset1:26
	s_waitcnt lgkmcnt(0)
	v_fma_f64 v[148:149], -v[206:207], v[0:1], v[148:149]
	v_fma_f64 v[202:203], -v[206:207], v[2:3], v[202:203]
	;; [unrolled: 4-line block ×17, first 2 shown]
.LBB113_116:
	s_or_b64 exec, exec, s[2:3]
	v_cmp_eq_u32_e32 vcc, 23, v42
	s_waitcnt vmcnt(63) expcnt(7) lgkmcnt(15)
	s_barrier
	s_and_saveexec_b64 s[2:3], vcc
	s_cbranch_execz .LBB113_119
; %bb.117:
	v_mov_b32_e32 v0, v204
	v_mov_b32_e32 v1, v205
	;; [unrolled: 1-line block ×4, first 2 shown]
	ds_write_b64 v40, v[150:151]
	ds_write2_b64 v41, v[0:1], v[2:3] offset0:24 offset1:25
	v_mov_b32_e32 v0, v202
	v_mov_b32_e32 v1, v203
	v_mov_b32_e32 v2, v146
	v_mov_b32_e32 v3, v147
	ds_write2_b64 v41, v[0:1], v[2:3] offset0:26 offset1:27
	v_mov_b32_e32 v0, v200
	v_mov_b32_e32 v1, v201
	v_mov_b32_e32 v2, v144
	v_mov_b32_e32 v3, v145
	;; [unrolled: 5-line block ×12, first 2 shown]
	ds_write2_b64 v41, v[0:1], v[2:3] offset0:48 offset1:49
	v_mov_b32_e32 v0, v178
	v_mov_b32_e32 v1, v179
	s_waitcnt vmcnt(61)
	v_mov_b32_e32 v2, v122
	v_mov_b32_e32 v3, v123
	ds_write2_b64 v41, v[0:1], v[2:3] offset0:50 offset1:51
	s_waitcnt vmcnt(58)
	v_mov_b32_e32 v0, v176
	v_mov_b32_e32 v1, v177
	s_waitcnt vmcnt(55)
	v_mov_b32_e32 v2, v120
	v_mov_b32_e32 v3, v121
	ds_write2_b64 v41, v[0:1], v[2:3] offset0:52 offset1:53
	s_waitcnt vmcnt(52)
	;; [unrolled: 7-line block ×3, first 2 shown]
	ds_write_b64 v41, v[228:229] offset:448
	ds_read_b64 v[0:1], v40
	s_waitcnt lgkmcnt(0)
	v_cmp_neq_f64_e32 vcc, 0, v[0:1]
	s_and_b64 exec, exec, vcc
	s_cbranch_execz .LBB113_119
; %bb.118:
	v_div_scale_f64 v[2:3], s[6:7], v[0:1], v[0:1], 1.0
	v_rcp_f64_e32 v[4:5], v[2:3]
	v_div_scale_f64 v[6:7], vcc, 1.0, v[0:1], 1.0
	v_fma_f64 v[8:9], -v[2:3], v[4:5], 1.0
	v_fmac_f64_e32 v[4:5], v[4:5], v[8:9]
	v_fma_f64 v[8:9], -v[2:3], v[4:5], 1.0
	v_fmac_f64_e32 v[4:5], v[4:5], v[8:9]
	v_mul_f64 v[8:9], v[6:7], v[4:5]
	v_fma_f64 v[2:3], -v[2:3], v[8:9], v[6:7]
	v_div_fmas_f64 v[2:3], v[2:3], v[4:5], v[8:9]
	v_div_fixup_f64 v[0:1], v[2:3], v[0:1], 1.0
	ds_write_b64 v40, v[0:1]
.LBB113_119:
	s_or_b64 exec, exec, s[2:3]
	s_waitcnt lgkmcnt(0)
	s_barrier
	ds_read_b64 v[0:1], v40
	v_cmp_lt_u32_e32 vcc, 23, v42
	s_waitcnt lgkmcnt(0)
	buffer_store_dword v0, off, s[16:19], 0 offset:280 ; 4-byte Folded Spill
	s_nop 0
	buffer_store_dword v1, off, s[16:19], 0 offset:284 ; 4-byte Folded Spill
	s_and_saveexec_b64 s[2:3], vcc
	s_cbranch_execz .LBB113_121
; %bb.120:
	buffer_load_dword v0, off, s[16:19], 0 offset:280 ; 4-byte Folded Reload
	buffer_load_dword v1, off, s[16:19], 0 offset:284 ; 4-byte Folded Reload
	s_waitcnt vmcnt(0)
	v_mul_f64 v[150:151], v[0:1], v[150:151]
	ds_read2_b64 v[0:3], v41 offset0:24 offset1:25
	s_waitcnt lgkmcnt(0)
	v_fma_f64 v[204:205], -v[150:151], v[0:1], v[204:205]
	v_fma_f64 v[148:149], -v[150:151], v[2:3], v[148:149]
	ds_read2_b64 v[0:3], v41 offset0:26 offset1:27
	s_waitcnt lgkmcnt(0)
	v_fma_f64 v[202:203], -v[150:151], v[0:1], v[202:203]
	v_fma_f64 v[146:147], -v[150:151], v[2:3], v[146:147]
	;; [unrolled: 4-line block ×15, first 2 shown]
	ds_read2_b64 v[0:3], v41 offset0:54 offset1:55
	s_waitcnt lgkmcnt(0)
	v_fma_f64 v[174:175], -v[150:151], v[0:1], v[174:175]
	ds_read_b64 v[0:1], v41 offset:448
	v_fma_f64 v[118:119], -v[150:151], v[2:3], v[118:119]
	s_waitcnt lgkmcnt(0)
	v_fma_f64 v[228:229], -v[150:151], v[0:1], v[228:229]
.LBB113_121:
	s_or_b64 exec, exec, s[2:3]
	v_cmp_eq_u32_e32 vcc, 24, v42
	s_waitcnt vmcnt(63) expcnt(7) lgkmcnt(15)
	s_barrier
	s_and_saveexec_b64 s[2:3], vcc
	s_cbranch_execz .LBB113_124
; %bb.122:
	ds_write_b64 v40, v[204:205]
	ds_write2_b64 v41, v[148:149], v[202:203] offset0:25 offset1:26
	ds_write2_b64 v41, v[146:147], v[200:201] offset0:27 offset1:28
	;; [unrolled: 1-line block ×13, first 2 shown]
	s_waitcnt vmcnt(60)
	ds_write2_b64 v41, v[122:123], v[176:177] offset0:51 offset1:52
	s_waitcnt vmcnt(54)
	ds_write2_b64 v41, v[120:121], v[174:175] offset0:53 offset1:54
	;; [unrolled: 2-line block ×3, first 2 shown]
	ds_read_b64 v[0:1], v40
	s_waitcnt lgkmcnt(0)
	v_cmp_neq_f64_e32 vcc, 0, v[0:1]
	s_and_b64 exec, exec, vcc
	s_cbranch_execz .LBB113_124
; %bb.123:
	v_div_scale_f64 v[2:3], s[6:7], v[0:1], v[0:1], 1.0
	v_rcp_f64_e32 v[4:5], v[2:3]
	v_div_scale_f64 v[6:7], vcc, 1.0, v[0:1], 1.0
	v_fma_f64 v[8:9], -v[2:3], v[4:5], 1.0
	v_fmac_f64_e32 v[4:5], v[4:5], v[8:9]
	v_fma_f64 v[8:9], -v[2:3], v[4:5], 1.0
	v_fmac_f64_e32 v[4:5], v[4:5], v[8:9]
	v_mul_f64 v[8:9], v[6:7], v[4:5]
	v_fma_f64 v[2:3], -v[2:3], v[8:9], v[6:7]
	v_div_fmas_f64 v[2:3], v[2:3], v[4:5], v[8:9]
	v_div_fixup_f64 v[0:1], v[2:3], v[0:1], 1.0
	ds_write_b64 v40, v[0:1]
.LBB113_124:
	s_or_b64 exec, exec, s[2:3]
	s_waitcnt lgkmcnt(0)
	s_barrier
	ds_read_b64 v[0:1], v40
	v_cmp_lt_u32_e32 vcc, 24, v42
	s_waitcnt lgkmcnt(0)
	buffer_store_dword v0, off, s[16:19], 0 offset:288 ; 4-byte Folded Spill
	s_nop 0
	buffer_store_dword v1, off, s[16:19], 0 offset:292 ; 4-byte Folded Spill
	s_and_saveexec_b64 s[2:3], vcc
	s_cbranch_execz .LBB113_126
; %bb.125:
	buffer_load_dword v0, off, s[16:19], 0 offset:288 ; 4-byte Folded Reload
	buffer_load_dword v1, off, s[16:19], 0 offset:292 ; 4-byte Folded Reload
	s_waitcnt vmcnt(0)
	v_mul_f64 v[204:205], v[0:1], v[204:205]
	ds_read2_b64 v[0:3], v41 offset0:25 offset1:26
	s_waitcnt lgkmcnt(0)
	v_fma_f64 v[148:149], -v[204:205], v[0:1], v[148:149]
	v_fma_f64 v[202:203], -v[204:205], v[2:3], v[202:203]
	ds_read2_b64 v[0:3], v41 offset0:27 offset1:28
	s_waitcnt lgkmcnt(0)
	v_fma_f64 v[146:147], -v[204:205], v[0:1], v[146:147]
	v_fma_f64 v[200:201], -v[204:205], v[2:3], v[200:201]
	;; [unrolled: 4-line block ×16, first 2 shown]
.LBB113_126:
	s_or_b64 exec, exec, s[2:3]
	v_cmp_eq_u32_e32 vcc, 25, v42
	s_waitcnt vmcnt(63) expcnt(7) lgkmcnt(15)
	s_barrier
	s_and_saveexec_b64 s[2:3], vcc
	s_cbranch_execz .LBB113_129
; %bb.127:
	v_mov_b32_e32 v0, v202
	v_mov_b32_e32 v1, v203
	;; [unrolled: 1-line block ×4, first 2 shown]
	ds_write_b64 v40, v[148:149]
	ds_write2_b64 v41, v[0:1], v[2:3] offset0:26 offset1:27
	v_mov_b32_e32 v0, v200
	v_mov_b32_e32 v1, v201
	v_mov_b32_e32 v2, v144
	v_mov_b32_e32 v3, v145
	ds_write2_b64 v41, v[0:1], v[2:3] offset0:28 offset1:29
	v_mov_b32_e32 v0, v198
	v_mov_b32_e32 v1, v199
	v_mov_b32_e32 v2, v142
	v_mov_b32_e32 v3, v143
	;; [unrolled: 5-line block ×12, first 2 shown]
	ds_write2_b64 v41, v[0:1], v[2:3] offset0:50 offset1:51
	s_waitcnt vmcnt(62)
	v_mov_b32_e32 v0, v176
	v_mov_b32_e32 v1, v177
	s_waitcnt vmcnt(59)
	v_mov_b32_e32 v2, v120
	v_mov_b32_e32 v3, v121
	ds_write2_b64 v41, v[0:1], v[2:3] offset0:52 offset1:53
	s_waitcnt vmcnt(56)
	v_mov_b32_e32 v0, v174
	v_mov_b32_e32 v1, v175
	s_waitcnt vmcnt(53)
	v_mov_b32_e32 v2, v118
	v_mov_b32_e32 v3, v119
	ds_write2_b64 v41, v[0:1], v[2:3] offset0:54 offset1:55
	s_waitcnt vmcnt(50)
	ds_write_b64 v41, v[228:229] offset:448
	ds_read_b64 v[0:1], v40
	s_waitcnt lgkmcnt(0)
	v_cmp_neq_f64_e32 vcc, 0, v[0:1]
	s_and_b64 exec, exec, vcc
	s_cbranch_execz .LBB113_129
; %bb.128:
	v_div_scale_f64 v[2:3], s[6:7], v[0:1], v[0:1], 1.0
	v_rcp_f64_e32 v[4:5], v[2:3]
	v_div_scale_f64 v[6:7], vcc, 1.0, v[0:1], 1.0
	v_fma_f64 v[8:9], -v[2:3], v[4:5], 1.0
	v_fmac_f64_e32 v[4:5], v[4:5], v[8:9]
	v_fma_f64 v[8:9], -v[2:3], v[4:5], 1.0
	v_fmac_f64_e32 v[4:5], v[4:5], v[8:9]
	v_mul_f64 v[8:9], v[6:7], v[4:5]
	v_fma_f64 v[2:3], -v[2:3], v[8:9], v[6:7]
	v_div_fmas_f64 v[2:3], v[2:3], v[4:5], v[8:9]
	v_div_fixup_f64 v[0:1], v[2:3], v[0:1], 1.0
	ds_write_b64 v40, v[0:1]
.LBB113_129:
	s_or_b64 exec, exec, s[2:3]
	s_waitcnt lgkmcnt(0)
	s_barrier
	ds_read_b64 v[0:1], v40
	v_cmp_lt_u32_e32 vcc, 25, v42
	s_waitcnt lgkmcnt(0)
	buffer_store_dword v0, off, s[16:19], 0 offset:296 ; 4-byte Folded Spill
	s_nop 0
	buffer_store_dword v1, off, s[16:19], 0 offset:300 ; 4-byte Folded Spill
	s_and_saveexec_b64 s[2:3], vcc
	s_cbranch_execz .LBB113_131
; %bb.130:
	buffer_load_dword v0, off, s[16:19], 0 offset:296 ; 4-byte Folded Reload
	buffer_load_dword v1, off, s[16:19], 0 offset:300 ; 4-byte Folded Reload
	s_waitcnt vmcnt(0)
	v_mul_f64 v[148:149], v[0:1], v[148:149]
	ds_read2_b64 v[0:3], v41 offset0:26 offset1:27
	s_waitcnt lgkmcnt(0)
	v_fma_f64 v[202:203], -v[148:149], v[0:1], v[202:203]
	v_fma_f64 v[146:147], -v[148:149], v[2:3], v[146:147]
	ds_read2_b64 v[0:3], v41 offset0:28 offset1:29
	s_waitcnt lgkmcnt(0)
	v_fma_f64 v[200:201], -v[148:149], v[0:1], v[200:201]
	v_fma_f64 v[144:145], -v[148:149], v[2:3], v[144:145]
	;; [unrolled: 4-line block ×14, first 2 shown]
	ds_read2_b64 v[0:3], v41 offset0:54 offset1:55
	s_waitcnt lgkmcnt(0)
	v_fma_f64 v[174:175], -v[148:149], v[0:1], v[174:175]
	ds_read_b64 v[0:1], v41 offset:448
	v_fma_f64 v[118:119], -v[148:149], v[2:3], v[118:119]
	s_waitcnt lgkmcnt(0)
	v_fma_f64 v[228:229], -v[148:149], v[0:1], v[228:229]
.LBB113_131:
	s_or_b64 exec, exec, s[2:3]
	v_cmp_eq_u32_e32 vcc, 26, v42
	s_waitcnt vmcnt(63) expcnt(7) lgkmcnt(15)
	s_barrier
	s_and_saveexec_b64 s[2:3], vcc
	s_cbranch_execz .LBB113_134
; %bb.132:
	ds_write_b64 v40, v[202:203]
	ds_write2_b64 v41, v[146:147], v[200:201] offset0:27 offset1:28
	ds_write2_b64 v41, v[144:145], v[198:199] offset0:29 offset1:30
	;; [unrolled: 1-line block ×13, first 2 shown]
	s_waitcnt vmcnt(58)
	ds_write2_b64 v41, v[120:121], v[174:175] offset0:53 offset1:54
	s_waitcnt vmcnt(52)
	ds_write2_b64 v41, v[118:119], v[228:229] offset0:55 offset1:56
	ds_read_b64 v[0:1], v40
	s_waitcnt lgkmcnt(0)
	v_cmp_neq_f64_e32 vcc, 0, v[0:1]
	s_and_b64 exec, exec, vcc
	s_cbranch_execz .LBB113_134
; %bb.133:
	v_div_scale_f64 v[2:3], s[6:7], v[0:1], v[0:1], 1.0
	v_rcp_f64_e32 v[4:5], v[2:3]
	v_div_scale_f64 v[6:7], vcc, 1.0, v[0:1], 1.0
	v_fma_f64 v[8:9], -v[2:3], v[4:5], 1.0
	v_fmac_f64_e32 v[4:5], v[4:5], v[8:9]
	v_fma_f64 v[8:9], -v[2:3], v[4:5], 1.0
	v_fmac_f64_e32 v[4:5], v[4:5], v[8:9]
	v_mul_f64 v[8:9], v[6:7], v[4:5]
	v_fma_f64 v[2:3], -v[2:3], v[8:9], v[6:7]
	v_div_fmas_f64 v[2:3], v[2:3], v[4:5], v[8:9]
	v_div_fixup_f64 v[0:1], v[2:3], v[0:1], 1.0
	ds_write_b64 v40, v[0:1]
.LBB113_134:
	s_or_b64 exec, exec, s[2:3]
	s_waitcnt lgkmcnt(0)
	s_barrier
	ds_read_b64 v[0:1], v40
	v_cmp_lt_u32_e32 vcc, 26, v42
	s_waitcnt lgkmcnt(0)
	buffer_store_dword v0, off, s[16:19], 0 offset:304 ; 4-byte Folded Spill
	s_nop 0
	buffer_store_dword v1, off, s[16:19], 0 offset:308 ; 4-byte Folded Spill
	s_and_saveexec_b64 s[2:3], vcc
	s_cbranch_execz .LBB113_136
; %bb.135:
	buffer_load_dword v0, off, s[16:19], 0 offset:304 ; 4-byte Folded Reload
	buffer_load_dword v1, off, s[16:19], 0 offset:308 ; 4-byte Folded Reload
	s_waitcnt vmcnt(0)
	v_mul_f64 v[202:203], v[0:1], v[202:203]
	ds_read2_b64 v[0:3], v41 offset0:27 offset1:28
	s_waitcnt lgkmcnt(0)
	v_fma_f64 v[146:147], -v[202:203], v[0:1], v[146:147]
	v_fma_f64 v[200:201], -v[202:203], v[2:3], v[200:201]
	ds_read2_b64 v[0:3], v41 offset0:29 offset1:30
	s_waitcnt lgkmcnt(0)
	v_fma_f64 v[144:145], -v[202:203], v[0:1], v[144:145]
	v_fma_f64 v[198:199], -v[202:203], v[2:3], v[198:199]
	;; [unrolled: 4-line block ×15, first 2 shown]
.LBB113_136:
	s_or_b64 exec, exec, s[2:3]
	v_cmp_eq_u32_e32 vcc, 27, v42
	s_waitcnt vmcnt(63) expcnt(7) lgkmcnt(15)
	s_barrier
	s_and_saveexec_b64 s[2:3], vcc
	s_cbranch_execz .LBB113_139
; %bb.137:
	v_mov_b32_e32 v0, v200
	v_mov_b32_e32 v1, v201
	;; [unrolled: 1-line block ×4, first 2 shown]
	ds_write_b64 v40, v[146:147]
	ds_write2_b64 v41, v[0:1], v[2:3] offset0:28 offset1:29
	v_mov_b32_e32 v0, v198
	v_mov_b32_e32 v1, v199
	v_mov_b32_e32 v2, v142
	v_mov_b32_e32 v3, v143
	ds_write2_b64 v41, v[0:1], v[2:3] offset0:30 offset1:31
	v_mov_b32_e32 v0, v196
	v_mov_b32_e32 v1, v197
	v_mov_b32_e32 v2, v140
	v_mov_b32_e32 v3, v141
	ds_write2_b64 v41, v[0:1], v[2:3] offset0:32 offset1:33
	v_mov_b32_e32 v0, v194
	v_mov_b32_e32 v1, v195
	v_mov_b32_e32 v2, v138
	v_mov_b32_e32 v3, v139
	ds_write2_b64 v41, v[0:1], v[2:3] offset0:34 offset1:35
	v_mov_b32_e32 v0, v192
	v_mov_b32_e32 v1, v193
	v_mov_b32_e32 v2, v136
	v_mov_b32_e32 v3, v137
	ds_write2_b64 v41, v[0:1], v[2:3] offset0:36 offset1:37
	v_mov_b32_e32 v0, v190
	v_mov_b32_e32 v1, v191
	v_mov_b32_e32 v2, v134
	v_mov_b32_e32 v3, v135
	ds_write2_b64 v41, v[0:1], v[2:3] offset0:38 offset1:39
	v_mov_b32_e32 v0, v188
	v_mov_b32_e32 v1, v189
	v_mov_b32_e32 v2, v132
	v_mov_b32_e32 v3, v133
	ds_write2_b64 v41, v[0:1], v[2:3] offset0:40 offset1:41
	v_mov_b32_e32 v0, v186
	v_mov_b32_e32 v1, v187
	v_mov_b32_e32 v2, v130
	v_mov_b32_e32 v3, v131
	ds_write2_b64 v41, v[0:1], v[2:3] offset0:42 offset1:43
	v_mov_b32_e32 v0, v184
	v_mov_b32_e32 v1, v185
	v_mov_b32_e32 v2, v128
	v_mov_b32_e32 v3, v129
	ds_write2_b64 v41, v[0:1], v[2:3] offset0:44 offset1:45
	v_mov_b32_e32 v0, v182
	v_mov_b32_e32 v1, v183
	v_mov_b32_e32 v2, v126
	v_mov_b32_e32 v3, v127
	ds_write2_b64 v41, v[0:1], v[2:3] offset0:46 offset1:47
	v_mov_b32_e32 v0, v180
	v_mov_b32_e32 v1, v181
	v_mov_b32_e32 v2, v124
	v_mov_b32_e32 v3, v125
	ds_write2_b64 v41, v[0:1], v[2:3] offset0:48 offset1:49
	v_mov_b32_e32 v0, v178
	v_mov_b32_e32 v1, v179
	v_mov_b32_e32 v2, v122
	v_mov_b32_e32 v3, v123
	ds_write2_b64 v41, v[0:1], v[2:3] offset0:50 offset1:51
	v_mov_b32_e32 v0, v176
	v_mov_b32_e32 v1, v177
	v_mov_b32_e32 v2, v120
	v_mov_b32_e32 v3, v121
	ds_write2_b64 v41, v[0:1], v[2:3] offset0:52 offset1:53
	s_waitcnt vmcnt(60)
	v_mov_b32_e32 v0, v174
	v_mov_b32_e32 v1, v175
	s_waitcnt vmcnt(57)
	v_mov_b32_e32 v2, v118
	v_mov_b32_e32 v3, v119
	ds_write2_b64 v41, v[0:1], v[2:3] offset0:54 offset1:55
	s_waitcnt vmcnt(54)
	ds_write_b64 v41, v[228:229] offset:448
	ds_read_b64 v[0:1], v40
	s_waitcnt lgkmcnt(0)
	v_cmp_neq_f64_e32 vcc, 0, v[0:1]
	s_and_b64 exec, exec, vcc
	s_cbranch_execz .LBB113_139
; %bb.138:
	v_div_scale_f64 v[2:3], s[6:7], v[0:1], v[0:1], 1.0
	v_rcp_f64_e32 v[4:5], v[2:3]
	v_div_scale_f64 v[6:7], vcc, 1.0, v[0:1], 1.0
	v_fma_f64 v[8:9], -v[2:3], v[4:5], 1.0
	v_fmac_f64_e32 v[4:5], v[4:5], v[8:9]
	v_fma_f64 v[8:9], -v[2:3], v[4:5], 1.0
	v_fmac_f64_e32 v[4:5], v[4:5], v[8:9]
	v_mul_f64 v[8:9], v[6:7], v[4:5]
	v_fma_f64 v[2:3], -v[2:3], v[8:9], v[6:7]
	v_div_fmas_f64 v[2:3], v[2:3], v[4:5], v[8:9]
	v_div_fixup_f64 v[0:1], v[2:3], v[0:1], 1.0
	ds_write_b64 v40, v[0:1]
.LBB113_139:
	s_or_b64 exec, exec, s[2:3]
	s_waitcnt lgkmcnt(0)
	s_barrier
	ds_read_b64 v[0:1], v40
	v_cmp_lt_u32_e32 vcc, 27, v42
	s_waitcnt lgkmcnt(0)
	buffer_store_dword v0, off, s[16:19], 0 offset:312 ; 4-byte Folded Spill
	s_nop 0
	buffer_store_dword v1, off, s[16:19], 0 offset:316 ; 4-byte Folded Spill
	s_and_saveexec_b64 s[2:3], vcc
	s_cbranch_execz .LBB113_141
; %bb.140:
	buffer_load_dword v0, off, s[16:19], 0 offset:312 ; 4-byte Folded Reload
	buffer_load_dword v1, off, s[16:19], 0 offset:316 ; 4-byte Folded Reload
	s_waitcnt vmcnt(0)
	v_mul_f64 v[146:147], v[0:1], v[146:147]
	ds_read2_b64 v[0:3], v41 offset0:28 offset1:29
	s_waitcnt lgkmcnt(0)
	v_fma_f64 v[200:201], -v[146:147], v[0:1], v[200:201]
	v_fma_f64 v[144:145], -v[146:147], v[2:3], v[144:145]
	ds_read2_b64 v[0:3], v41 offset0:30 offset1:31
	s_waitcnt lgkmcnt(0)
	v_fma_f64 v[198:199], -v[146:147], v[0:1], v[198:199]
	v_fma_f64 v[142:143], -v[146:147], v[2:3], v[142:143]
	;; [unrolled: 4-line block ×13, first 2 shown]
	ds_read2_b64 v[0:3], v41 offset0:54 offset1:55
	s_waitcnt lgkmcnt(0)
	v_fma_f64 v[174:175], -v[146:147], v[0:1], v[174:175]
	ds_read_b64 v[0:1], v41 offset:448
	v_fma_f64 v[118:119], -v[146:147], v[2:3], v[118:119]
	s_waitcnt lgkmcnt(0)
	v_fma_f64 v[228:229], -v[146:147], v[0:1], v[228:229]
.LBB113_141:
	s_or_b64 exec, exec, s[2:3]
	v_cmp_eq_u32_e32 vcc, 28, v42
	s_waitcnt vmcnt(63) expcnt(7) lgkmcnt(15)
	s_barrier
	s_and_saveexec_b64 s[2:3], vcc
	s_cbranch_execz .LBB113_144
; %bb.142:
	ds_write_b64 v40, v[200:201]
	ds_write2_b64 v41, v[144:145], v[198:199] offset0:29 offset1:30
	ds_write2_b64 v41, v[142:143], v[196:197] offset0:31 offset1:32
	;; [unrolled: 1-line block ×12, first 2 shown]
	s_waitcnt vmcnt(62)
	ds_write2_b64 v41, v[120:121], v[174:175] offset0:53 offset1:54
	s_waitcnt vmcnt(56)
	ds_write2_b64 v41, v[118:119], v[228:229] offset0:55 offset1:56
	ds_read_b64 v[0:1], v40
	s_waitcnt lgkmcnt(0)
	v_cmp_neq_f64_e32 vcc, 0, v[0:1]
	s_and_b64 exec, exec, vcc
	s_cbranch_execz .LBB113_144
; %bb.143:
	v_div_scale_f64 v[2:3], s[6:7], v[0:1], v[0:1], 1.0
	v_rcp_f64_e32 v[4:5], v[2:3]
	v_div_scale_f64 v[6:7], vcc, 1.0, v[0:1], 1.0
	v_fma_f64 v[8:9], -v[2:3], v[4:5], 1.0
	v_fmac_f64_e32 v[4:5], v[4:5], v[8:9]
	v_fma_f64 v[8:9], -v[2:3], v[4:5], 1.0
	v_fmac_f64_e32 v[4:5], v[4:5], v[8:9]
	v_mul_f64 v[8:9], v[6:7], v[4:5]
	v_fma_f64 v[2:3], -v[2:3], v[8:9], v[6:7]
	v_div_fmas_f64 v[2:3], v[2:3], v[4:5], v[8:9]
	v_div_fixup_f64 v[0:1], v[2:3], v[0:1], 1.0
	ds_write_b64 v40, v[0:1]
.LBB113_144:
	s_or_b64 exec, exec, s[2:3]
	s_waitcnt lgkmcnt(0)
	s_barrier
	ds_read_b64 v[0:1], v40
	v_cmp_lt_u32_e32 vcc, 28, v42
	s_waitcnt lgkmcnt(0)
	buffer_store_dword v0, off, s[16:19], 0 offset:320 ; 4-byte Folded Spill
	s_nop 0
	buffer_store_dword v1, off, s[16:19], 0 offset:324 ; 4-byte Folded Spill
	s_and_saveexec_b64 s[2:3], vcc
	s_cbranch_execz .LBB113_146
; %bb.145:
	buffer_load_dword v0, off, s[16:19], 0 offset:320 ; 4-byte Folded Reload
	buffer_load_dword v1, off, s[16:19], 0 offset:324 ; 4-byte Folded Reload
	s_waitcnt vmcnt(0)
	v_mul_f64 v[200:201], v[0:1], v[200:201]
	ds_read2_b64 v[0:3], v41 offset0:29 offset1:30
	s_waitcnt lgkmcnt(0)
	v_fma_f64 v[144:145], -v[200:201], v[0:1], v[144:145]
	v_fma_f64 v[198:199], -v[200:201], v[2:3], v[198:199]
	ds_read2_b64 v[0:3], v41 offset0:31 offset1:32
	s_waitcnt lgkmcnt(0)
	v_fma_f64 v[142:143], -v[200:201], v[0:1], v[142:143]
	v_fma_f64 v[196:197], -v[200:201], v[2:3], v[196:197]
	;; [unrolled: 4-line block ×14, first 2 shown]
.LBB113_146:
	s_or_b64 exec, exec, s[2:3]
	v_cmp_eq_u32_e32 vcc, 29, v42
	s_waitcnt vmcnt(63) expcnt(7) lgkmcnt(15)
	s_barrier
	s_and_saveexec_b64 s[2:3], vcc
	s_cbranch_execz .LBB113_149
; %bb.147:
	v_mov_b32_e32 v0, v198
	v_mov_b32_e32 v1, v199
	;; [unrolled: 1-line block ×4, first 2 shown]
	ds_write_b64 v40, v[144:145]
	ds_write2_b64 v41, v[0:1], v[2:3] offset0:30 offset1:31
	v_mov_b32_e32 v0, v196
	v_mov_b32_e32 v1, v197
	v_mov_b32_e32 v2, v140
	v_mov_b32_e32 v3, v141
	ds_write2_b64 v41, v[0:1], v[2:3] offset0:32 offset1:33
	v_mov_b32_e32 v0, v194
	v_mov_b32_e32 v1, v195
	v_mov_b32_e32 v2, v138
	v_mov_b32_e32 v3, v139
	;; [unrolled: 5-line block ×11, first 2 shown]
	ds_write2_b64 v41, v[0:1], v[2:3] offset0:52 offset1:53
	v_mov_b32_e32 v0, v174
	v_mov_b32_e32 v1, v175
	s_waitcnt vmcnt(61)
	v_mov_b32_e32 v2, v118
	v_mov_b32_e32 v3, v119
	ds_write2_b64 v41, v[0:1], v[2:3] offset0:54 offset1:55
	s_waitcnt vmcnt(58)
	ds_write_b64 v41, v[228:229] offset:448
	ds_read_b64 v[0:1], v40
	s_waitcnt lgkmcnt(0)
	v_cmp_neq_f64_e32 vcc, 0, v[0:1]
	s_and_b64 exec, exec, vcc
	s_cbranch_execz .LBB113_149
; %bb.148:
	v_div_scale_f64 v[2:3], s[6:7], v[0:1], v[0:1], 1.0
	v_rcp_f64_e32 v[4:5], v[2:3]
	v_div_scale_f64 v[6:7], vcc, 1.0, v[0:1], 1.0
	v_fma_f64 v[8:9], -v[2:3], v[4:5], 1.0
	v_fmac_f64_e32 v[4:5], v[4:5], v[8:9]
	v_fma_f64 v[8:9], -v[2:3], v[4:5], 1.0
	v_fmac_f64_e32 v[4:5], v[4:5], v[8:9]
	v_mul_f64 v[8:9], v[6:7], v[4:5]
	v_fma_f64 v[2:3], -v[2:3], v[8:9], v[6:7]
	v_div_fmas_f64 v[2:3], v[2:3], v[4:5], v[8:9]
	v_div_fixup_f64 v[0:1], v[2:3], v[0:1], 1.0
	ds_write_b64 v40, v[0:1]
.LBB113_149:
	s_or_b64 exec, exec, s[2:3]
	s_waitcnt lgkmcnt(0)
	s_barrier
	ds_read_b64 v[0:1], v40
	v_cmp_lt_u32_e32 vcc, 29, v42
	s_waitcnt lgkmcnt(0)
	buffer_store_dword v0, off, s[16:19], 0 offset:328 ; 4-byte Folded Spill
	s_nop 0
	buffer_store_dword v1, off, s[16:19], 0 offset:332 ; 4-byte Folded Spill
	s_and_saveexec_b64 s[2:3], vcc
	s_cbranch_execz .LBB113_151
; %bb.150:
	buffer_load_dword v0, off, s[16:19], 0 offset:328 ; 4-byte Folded Reload
	buffer_load_dword v1, off, s[16:19], 0 offset:332 ; 4-byte Folded Reload
	s_waitcnt vmcnt(0)
	v_mul_f64 v[144:145], v[0:1], v[144:145]
	ds_read2_b64 v[0:3], v41 offset0:30 offset1:31
	s_waitcnt lgkmcnt(0)
	v_fma_f64 v[198:199], -v[144:145], v[0:1], v[198:199]
	v_fma_f64 v[142:143], -v[144:145], v[2:3], v[142:143]
	ds_read2_b64 v[0:3], v41 offset0:32 offset1:33
	s_waitcnt lgkmcnt(0)
	v_fma_f64 v[196:197], -v[144:145], v[0:1], v[196:197]
	v_fma_f64 v[140:141], -v[144:145], v[2:3], v[140:141]
	;; [unrolled: 4-line block ×12, first 2 shown]
	ds_read2_b64 v[0:3], v41 offset0:54 offset1:55
	s_waitcnt lgkmcnt(0)
	v_fma_f64 v[174:175], -v[144:145], v[0:1], v[174:175]
	ds_read_b64 v[0:1], v41 offset:448
	v_fma_f64 v[118:119], -v[144:145], v[2:3], v[118:119]
	s_waitcnt lgkmcnt(0)
	v_fma_f64 v[228:229], -v[144:145], v[0:1], v[228:229]
.LBB113_151:
	s_or_b64 exec, exec, s[2:3]
	v_cmp_eq_u32_e32 vcc, 30, v42
	s_waitcnt vmcnt(63) expcnt(7) lgkmcnt(15)
	s_barrier
	s_and_saveexec_b64 s[2:3], vcc
	s_cbranch_execz .LBB113_154
; %bb.152:
	ds_write_b64 v40, v[198:199]
	ds_write2_b64 v41, v[142:143], v[196:197] offset0:31 offset1:32
	ds_write2_b64 v41, v[140:141], v[194:195] offset0:33 offset1:34
	;; [unrolled: 1-line block ×12, first 2 shown]
	s_waitcnt vmcnt(60)
	ds_write2_b64 v41, v[118:119], v[228:229] offset0:55 offset1:56
	ds_read_b64 v[0:1], v40
	s_waitcnt lgkmcnt(0)
	v_cmp_neq_f64_e32 vcc, 0, v[0:1]
	s_and_b64 exec, exec, vcc
	s_cbranch_execz .LBB113_154
; %bb.153:
	v_div_scale_f64 v[2:3], s[6:7], v[0:1], v[0:1], 1.0
	v_rcp_f64_e32 v[4:5], v[2:3]
	v_div_scale_f64 v[6:7], vcc, 1.0, v[0:1], 1.0
	v_fma_f64 v[8:9], -v[2:3], v[4:5], 1.0
	v_fmac_f64_e32 v[4:5], v[4:5], v[8:9]
	v_fma_f64 v[8:9], -v[2:3], v[4:5], 1.0
	v_fmac_f64_e32 v[4:5], v[4:5], v[8:9]
	v_mul_f64 v[8:9], v[6:7], v[4:5]
	v_fma_f64 v[2:3], -v[2:3], v[8:9], v[6:7]
	v_div_fmas_f64 v[2:3], v[2:3], v[4:5], v[8:9]
	v_div_fixup_f64 v[0:1], v[2:3], v[0:1], 1.0
	ds_write_b64 v40, v[0:1]
.LBB113_154:
	s_or_b64 exec, exec, s[2:3]
	s_waitcnt lgkmcnt(0)
	s_barrier
	ds_read_b64 v[0:1], v40
	v_cmp_lt_u32_e32 vcc, 30, v42
	s_and_saveexec_b64 s[2:3], vcc
	s_cbranch_execz .LBB113_156
; %bb.155:
	ds_read2_b64 v[4:7], v41 offset0:31 offset1:32
	s_waitcnt lgkmcnt(1)
	v_mul_f64 v[198:199], v[0:1], v[198:199]
	s_waitcnt lgkmcnt(0)
	v_fma_f64 v[142:143], -v[198:199], v[4:5], v[142:143]
	v_fma_f64 v[196:197], -v[198:199], v[6:7], v[196:197]
	ds_read2_b64 v[4:7], v41 offset0:33 offset1:34
	s_waitcnt lgkmcnt(0)
	v_fma_f64 v[140:141], -v[198:199], v[4:5], v[140:141]
	v_fma_f64 v[194:195], -v[198:199], v[6:7], v[194:195]
	ds_read2_b64 v[4:7], v41 offset0:35 offset1:36
	;; [unrolled: 4-line block ×12, first 2 shown]
	s_waitcnt lgkmcnt(0)
	v_fma_f64 v[118:119], -v[198:199], v[4:5], v[118:119]
	s_waitcnt vmcnt(60)
	v_fma_f64 v[228:229], -v[198:199], v[6:7], v[228:229]
.LBB113_156:
	s_or_b64 exec, exec, s[2:3]
	v_cmp_eq_u32_e32 vcc, 31, v42
	s_waitcnt lgkmcnt(0)
	buffer_store_dword v0, off, s[16:19], 0 offset:368 ; 4-byte Folded Spill
	s_nop 0
	buffer_store_dword v1, off, s[16:19], 0 offset:372 ; 4-byte Folded Spill
	s_waitcnt vmcnt(63) expcnt(7) lgkmcnt(15)
	s_barrier
	s_and_saveexec_b64 s[2:3], vcc
	s_cbranch_execz .LBB113_159
; %bb.157:
	v_mov_b32_e32 v0, v196
	v_mov_b32_e32 v1, v197
	;; [unrolled: 1-line block ×4, first 2 shown]
	ds_write_b64 v40, v[142:143]
	ds_write2_b64 v41, v[0:1], v[4:5] offset0:32 offset1:33
	v_mov_b32_e32 v0, v194
	v_mov_b32_e32 v1, v195
	v_mov_b32_e32 v4, v138
	v_mov_b32_e32 v5, v139
	ds_write2_b64 v41, v[0:1], v[4:5] offset0:34 offset1:35
	v_mov_b32_e32 v0, v192
	v_mov_b32_e32 v1, v193
	v_mov_b32_e32 v4, v136
	v_mov_b32_e32 v5, v137
	ds_write2_b64 v41, v[0:1], v[4:5] offset0:36 offset1:37
	v_mov_b32_e32 v0, v190
	v_mov_b32_e32 v1, v191
	v_mov_b32_e32 v4, v134
	v_mov_b32_e32 v5, v135
	ds_write2_b64 v41, v[0:1], v[4:5] offset0:38 offset1:39
	v_mov_b32_e32 v0, v188
	v_mov_b32_e32 v1, v189
	v_mov_b32_e32 v4, v132
	v_mov_b32_e32 v5, v133
	ds_write2_b64 v41, v[0:1], v[4:5] offset0:40 offset1:41
	v_mov_b32_e32 v0, v186
	v_mov_b32_e32 v1, v187
	v_mov_b32_e32 v4, v130
	v_mov_b32_e32 v5, v131
	ds_write2_b64 v41, v[0:1], v[4:5] offset0:42 offset1:43
	v_mov_b32_e32 v0, v184
	v_mov_b32_e32 v1, v185
	v_mov_b32_e32 v4, v128
	v_mov_b32_e32 v5, v129
	ds_write2_b64 v41, v[0:1], v[4:5] offset0:44 offset1:45
	v_mov_b32_e32 v0, v182
	v_mov_b32_e32 v1, v183
	v_mov_b32_e32 v4, v126
	v_mov_b32_e32 v5, v127
	ds_write2_b64 v41, v[0:1], v[4:5] offset0:46 offset1:47
	v_mov_b32_e32 v0, v180
	v_mov_b32_e32 v1, v181
	v_mov_b32_e32 v4, v124
	v_mov_b32_e32 v5, v125
	ds_write2_b64 v41, v[0:1], v[4:5] offset0:48 offset1:49
	v_mov_b32_e32 v0, v178
	v_mov_b32_e32 v1, v179
	v_mov_b32_e32 v4, v122
	v_mov_b32_e32 v5, v123
	ds_write2_b64 v41, v[0:1], v[4:5] offset0:50 offset1:51
	v_mov_b32_e32 v0, v176
	v_mov_b32_e32 v1, v177
	v_mov_b32_e32 v4, v120
	v_mov_b32_e32 v5, v121
	ds_write2_b64 v41, v[0:1], v[4:5] offset0:52 offset1:53
	v_mov_b32_e32 v0, v174
	v_mov_b32_e32 v1, v175
	v_mov_b32_e32 v4, v118
	v_mov_b32_e32 v5, v119
	ds_write2_b64 v41, v[0:1], v[4:5] offset0:54 offset1:55
	s_waitcnt vmcnt(62)
	ds_write_b64 v41, v[228:229] offset:448
	ds_read_b64 v[0:1], v40
	s_waitcnt lgkmcnt(0)
	v_cmp_neq_f64_e32 vcc, 0, v[0:1]
	s_and_b64 exec, exec, vcc
	s_cbranch_execz .LBB113_159
; %bb.158:
	v_div_scale_f64 v[4:5], s[6:7], v[0:1], v[0:1], 1.0
	v_rcp_f64_e32 v[6:7], v[4:5]
	v_div_scale_f64 v[8:9], vcc, 1.0, v[0:1], 1.0
	v_fma_f64 v[10:11], -v[4:5], v[6:7], 1.0
	v_fmac_f64_e32 v[6:7], v[6:7], v[10:11]
	v_fma_f64 v[10:11], -v[4:5], v[6:7], 1.0
	v_fmac_f64_e32 v[6:7], v[6:7], v[10:11]
	v_mul_f64 v[10:11], v[8:9], v[6:7]
	v_fma_f64 v[4:5], -v[4:5], v[10:11], v[8:9]
	v_div_fmas_f64 v[4:5], v[4:5], v[6:7], v[10:11]
	v_div_fixup_f64 v[0:1], v[4:5], v[0:1], 1.0
	ds_write_b64 v40, v[0:1]
.LBB113_159:
	s_or_b64 exec, exec, s[2:3]
	s_waitcnt lgkmcnt(0)
	s_barrier
	ds_read_b64 v[0:1], v40
	v_cmp_lt_u32_e32 vcc, 31, v42
	s_waitcnt lgkmcnt(0)
	buffer_store_dword v0, off, s[16:19], 0 offset:336 ; 4-byte Folded Spill
	s_nop 0
	buffer_store_dword v1, off, s[16:19], 0 offset:340 ; 4-byte Folded Spill
	s_and_saveexec_b64 s[2:3], vcc
	s_cbranch_execz .LBB113_161
; %bb.160:
	buffer_load_dword v0, off, s[16:19], 0 offset:336 ; 4-byte Folded Reload
	buffer_load_dword v1, off, s[16:19], 0 offset:340 ; 4-byte Folded Reload
	ds_read2_b64 v[4:7], v41 offset0:32 offset1:33
	s_waitcnt vmcnt(0)
	v_mul_f64 v[142:143], v[0:1], v[142:143]
	ds_read_b64 v[0:1], v41 offset:448
	s_waitcnt lgkmcnt(1)
	v_fma_f64 v[196:197], -v[142:143], v[4:5], v[196:197]
	v_fma_f64 v[140:141], -v[142:143], v[6:7], v[140:141]
	ds_read2_b64 v[4:7], v41 offset0:34 offset1:35
	s_waitcnt lgkmcnt(1)
	v_fma_f64 v[228:229], -v[142:143], v[0:1], v[228:229]
	s_waitcnt lgkmcnt(0)
	v_fma_f64 v[194:195], -v[142:143], v[4:5], v[194:195]
	v_fma_f64 v[138:139], -v[142:143], v[6:7], v[138:139]
	ds_read2_b64 v[4:7], v41 offset0:36 offset1:37
	s_waitcnt lgkmcnt(0)
	v_fma_f64 v[192:193], -v[142:143], v[4:5], v[192:193]
	v_fma_f64 v[136:137], -v[142:143], v[6:7], v[136:137]
	ds_read2_b64 v[4:7], v41 offset0:38 offset1:39
	;; [unrolled: 4-line block ×10, first 2 shown]
	s_waitcnt lgkmcnt(0)
	v_fma_f64 v[174:175], -v[142:143], v[4:5], v[174:175]
	v_fma_f64 v[118:119], -v[142:143], v[6:7], v[118:119]
.LBB113_161:
	s_or_b64 exec, exec, s[2:3]
	v_cmp_eq_u32_e32 vcc, 32, v42
	s_waitcnt vmcnt(63) expcnt(7) lgkmcnt(15)
	s_barrier
	s_and_saveexec_b64 s[2:3], vcc
	s_cbranch_execz .LBB113_164
; %bb.162:
	ds_write_b64 v40, v[196:197]
	ds_write2_b64 v41, v[140:141], v[194:195] offset0:33 offset1:34
	ds_write2_b64 v41, v[138:139], v[192:193] offset0:35 offset1:36
	ds_write2_b64 v41, v[136:137], v[190:191] offset0:37 offset1:38
	ds_write2_b64 v41, v[134:135], v[188:189] offset0:39 offset1:40
	ds_write2_b64 v41, v[132:133], v[186:187] offset0:41 offset1:42
	ds_write2_b64 v41, v[130:131], v[184:185] offset0:43 offset1:44
	ds_write2_b64 v41, v[128:129], v[182:183] offset0:45 offset1:46
	ds_write2_b64 v41, v[126:127], v[180:181] offset0:47 offset1:48
	ds_write2_b64 v41, v[124:125], v[178:179] offset0:49 offset1:50
	ds_write2_b64 v41, v[122:123], v[176:177] offset0:51 offset1:52
	ds_write2_b64 v41, v[120:121], v[174:175] offset0:53 offset1:54
	ds_write2_b64 v41, v[118:119], v[228:229] offset0:55 offset1:56
	ds_read_b64 v[0:1], v40
	s_waitcnt lgkmcnt(0)
	v_cmp_neq_f64_e32 vcc, 0, v[0:1]
	s_and_b64 exec, exec, vcc
	s_cbranch_execz .LBB113_164
; %bb.163:
	v_div_scale_f64 v[4:5], s[6:7], v[0:1], v[0:1], 1.0
	v_rcp_f64_e32 v[6:7], v[4:5]
	v_div_scale_f64 v[8:9], vcc, 1.0, v[0:1], 1.0
	v_fma_f64 v[10:11], -v[4:5], v[6:7], 1.0
	v_fmac_f64_e32 v[6:7], v[6:7], v[10:11]
	v_fma_f64 v[10:11], -v[4:5], v[6:7], 1.0
	v_fmac_f64_e32 v[6:7], v[6:7], v[10:11]
	v_mul_f64 v[10:11], v[8:9], v[6:7]
	v_fma_f64 v[4:5], -v[4:5], v[10:11], v[8:9]
	v_div_fmas_f64 v[4:5], v[4:5], v[6:7], v[10:11]
	v_div_fixup_f64 v[0:1], v[4:5], v[0:1], 1.0
	ds_write_b64 v40, v[0:1]
.LBB113_164:
	s_or_b64 exec, exec, s[2:3]
	s_waitcnt lgkmcnt(0)
	s_barrier
	ds_read_b64 v[0:1], v40
	v_cmp_lt_u32_e32 vcc, 32, v42
	s_and_saveexec_b64 s[2:3], vcc
	s_cbranch_execz .LBB113_166
; %bb.165:
	ds_read2_b64 v[4:7], v41 offset0:33 offset1:34
	s_waitcnt lgkmcnt(1)
	v_mul_f64 v[196:197], v[0:1], v[196:197]
	s_waitcnt lgkmcnt(0)
	v_fma_f64 v[140:141], -v[196:197], v[4:5], v[140:141]
	v_fma_f64 v[194:195], -v[196:197], v[6:7], v[194:195]
	ds_read2_b64 v[4:7], v41 offset0:35 offset1:36
	s_waitcnt lgkmcnt(0)
	v_fma_f64 v[138:139], -v[196:197], v[4:5], v[138:139]
	v_fma_f64 v[192:193], -v[196:197], v[6:7], v[192:193]
	ds_read2_b64 v[4:7], v41 offset0:37 offset1:38
	;; [unrolled: 4-line block ×11, first 2 shown]
	s_waitcnt lgkmcnt(0)
	v_fma_f64 v[118:119], -v[196:197], v[4:5], v[118:119]
	v_fma_f64 v[228:229], -v[196:197], v[6:7], v[228:229]
.LBB113_166:
	s_or_b64 exec, exec, s[2:3]
	v_cmp_eq_u32_e32 vcc, 33, v42
	s_waitcnt lgkmcnt(0)
	buffer_store_dword v0, off, s[16:19], 0 offset:376 ; 4-byte Folded Spill
	s_nop 0
	buffer_store_dword v1, off, s[16:19], 0 offset:380 ; 4-byte Folded Spill
	s_waitcnt vmcnt(63) expcnt(7) lgkmcnt(15)
	s_barrier
	s_and_saveexec_b64 s[2:3], vcc
	s_cbranch_execz .LBB113_169
; %bb.167:
	v_mov_b32_e32 v0, v194
	v_mov_b32_e32 v1, v195
	;; [unrolled: 1-line block ×4, first 2 shown]
	ds_write_b64 v40, v[140:141]
	ds_write2_b64 v41, v[0:1], v[4:5] offset0:34 offset1:35
	v_mov_b32_e32 v0, v192
	v_mov_b32_e32 v1, v193
	v_mov_b32_e32 v4, v136
	v_mov_b32_e32 v5, v137
	ds_write2_b64 v41, v[0:1], v[4:5] offset0:36 offset1:37
	v_mov_b32_e32 v0, v190
	v_mov_b32_e32 v1, v191
	v_mov_b32_e32 v4, v134
	v_mov_b32_e32 v5, v135
	;; [unrolled: 5-line block ×10, first 2 shown]
	ds_write2_b64 v41, v[0:1], v[4:5] offset0:54 offset1:55
	ds_write_b64 v41, v[228:229] offset:448
	ds_read_b64 v[0:1], v40
	s_waitcnt lgkmcnt(0)
	v_cmp_neq_f64_e32 vcc, 0, v[0:1]
	s_and_b64 exec, exec, vcc
	s_cbranch_execz .LBB113_169
; %bb.168:
	v_div_scale_f64 v[4:5], s[6:7], v[0:1], v[0:1], 1.0
	v_rcp_f64_e32 v[6:7], v[4:5]
	v_div_scale_f64 v[8:9], vcc, 1.0, v[0:1], 1.0
	v_fma_f64 v[10:11], -v[4:5], v[6:7], 1.0
	v_fmac_f64_e32 v[6:7], v[6:7], v[10:11]
	v_fma_f64 v[10:11], -v[4:5], v[6:7], 1.0
	v_fmac_f64_e32 v[6:7], v[6:7], v[10:11]
	v_mul_f64 v[10:11], v[8:9], v[6:7]
	v_fma_f64 v[4:5], -v[4:5], v[10:11], v[8:9]
	v_div_fmas_f64 v[4:5], v[4:5], v[6:7], v[10:11]
	v_div_fixup_f64 v[0:1], v[4:5], v[0:1], 1.0
	ds_write_b64 v40, v[0:1]
.LBB113_169:
	s_or_b64 exec, exec, s[2:3]
	s_waitcnt lgkmcnt(0)
	s_barrier
	ds_read_b64 v[0:1], v40
	v_cmp_lt_u32_e32 vcc, 33, v42
	s_waitcnt lgkmcnt(0)
	buffer_store_dword v0, off, s[16:19], 0 offset:344 ; 4-byte Folded Spill
	s_nop 0
	buffer_store_dword v1, off, s[16:19], 0 offset:348 ; 4-byte Folded Spill
	s_and_saveexec_b64 s[2:3], vcc
	s_cbranch_execz .LBB113_171
; %bb.170:
	buffer_load_dword v0, off, s[16:19], 0 offset:344 ; 4-byte Folded Reload
	buffer_load_dword v1, off, s[16:19], 0 offset:348 ; 4-byte Folded Reload
	ds_read2_b64 v[4:7], v41 offset0:34 offset1:35
	s_waitcnt vmcnt(0)
	v_mul_f64 v[140:141], v[0:1], v[140:141]
	ds_read_b64 v[0:1], v41 offset:448
	s_waitcnt lgkmcnt(1)
	v_fma_f64 v[194:195], -v[140:141], v[4:5], v[194:195]
	v_fma_f64 v[138:139], -v[140:141], v[6:7], v[138:139]
	ds_read2_b64 v[4:7], v41 offset0:36 offset1:37
	s_waitcnt lgkmcnt(1)
	v_fma_f64 v[228:229], -v[140:141], v[0:1], v[228:229]
	s_waitcnt lgkmcnt(0)
	v_fma_f64 v[192:193], -v[140:141], v[4:5], v[192:193]
	v_fma_f64 v[136:137], -v[140:141], v[6:7], v[136:137]
	ds_read2_b64 v[4:7], v41 offset0:38 offset1:39
	s_waitcnt lgkmcnt(0)
	v_fma_f64 v[190:191], -v[140:141], v[4:5], v[190:191]
	v_fma_f64 v[134:135], -v[140:141], v[6:7], v[134:135]
	ds_read2_b64 v[4:7], v41 offset0:40 offset1:41
	;; [unrolled: 4-line block ×9, first 2 shown]
	s_waitcnt lgkmcnt(0)
	v_fma_f64 v[174:175], -v[140:141], v[4:5], v[174:175]
	v_fma_f64 v[118:119], -v[140:141], v[6:7], v[118:119]
.LBB113_171:
	s_or_b64 exec, exec, s[2:3]
	v_cmp_eq_u32_e32 vcc, 34, v42
	s_waitcnt vmcnt(63) expcnt(7) lgkmcnt(15)
	s_barrier
	s_and_saveexec_b64 s[2:3], vcc
	s_cbranch_execz .LBB113_174
; %bb.172:
	ds_write_b64 v40, v[194:195]
	ds_write2_b64 v41, v[138:139], v[192:193] offset0:35 offset1:36
	ds_write2_b64 v41, v[136:137], v[190:191] offset0:37 offset1:38
	ds_write2_b64 v41, v[134:135], v[188:189] offset0:39 offset1:40
	ds_write2_b64 v41, v[132:133], v[186:187] offset0:41 offset1:42
	ds_write2_b64 v41, v[130:131], v[184:185] offset0:43 offset1:44
	ds_write2_b64 v41, v[128:129], v[182:183] offset0:45 offset1:46
	ds_write2_b64 v41, v[126:127], v[180:181] offset0:47 offset1:48
	ds_write2_b64 v41, v[124:125], v[178:179] offset0:49 offset1:50
	ds_write2_b64 v41, v[122:123], v[176:177] offset0:51 offset1:52
	ds_write2_b64 v41, v[120:121], v[174:175] offset0:53 offset1:54
	ds_write2_b64 v41, v[118:119], v[228:229] offset0:55 offset1:56
	ds_read_b64 v[0:1], v40
	s_waitcnt lgkmcnt(0)
	v_cmp_neq_f64_e32 vcc, 0, v[0:1]
	s_and_b64 exec, exec, vcc
	s_cbranch_execz .LBB113_174
; %bb.173:
	v_div_scale_f64 v[4:5], s[6:7], v[0:1], v[0:1], 1.0
	v_rcp_f64_e32 v[6:7], v[4:5]
	v_div_scale_f64 v[8:9], vcc, 1.0, v[0:1], 1.0
	v_fma_f64 v[10:11], -v[4:5], v[6:7], 1.0
	v_fmac_f64_e32 v[6:7], v[6:7], v[10:11]
	v_fma_f64 v[10:11], -v[4:5], v[6:7], 1.0
	v_fmac_f64_e32 v[6:7], v[6:7], v[10:11]
	v_mul_f64 v[10:11], v[8:9], v[6:7]
	v_fma_f64 v[4:5], -v[4:5], v[10:11], v[8:9]
	v_div_fmas_f64 v[4:5], v[4:5], v[6:7], v[10:11]
	v_div_fixup_f64 v[0:1], v[4:5], v[0:1], 1.0
	ds_write_b64 v40, v[0:1]
.LBB113_174:
	s_or_b64 exec, exec, s[2:3]
	s_waitcnt lgkmcnt(0)
	s_barrier
	ds_read_b64 v[0:1], v40
	v_cmp_lt_u32_e32 vcc, 34, v42
	s_and_saveexec_b64 s[2:3], vcc
	s_cbranch_execz .LBB113_176
; %bb.175:
	ds_read2_b64 v[4:7], v41 offset0:35 offset1:36
	s_waitcnt lgkmcnt(1)
	v_mul_f64 v[194:195], v[0:1], v[194:195]
	s_waitcnt lgkmcnt(0)
	v_fma_f64 v[138:139], -v[194:195], v[4:5], v[138:139]
	v_fma_f64 v[192:193], -v[194:195], v[6:7], v[192:193]
	ds_read2_b64 v[4:7], v41 offset0:37 offset1:38
	s_waitcnt lgkmcnt(0)
	v_fma_f64 v[136:137], -v[194:195], v[4:5], v[136:137]
	v_fma_f64 v[190:191], -v[194:195], v[6:7], v[190:191]
	ds_read2_b64 v[4:7], v41 offset0:39 offset1:40
	;; [unrolled: 4-line block ×10, first 2 shown]
	s_waitcnt lgkmcnt(0)
	v_fma_f64 v[118:119], -v[194:195], v[4:5], v[118:119]
	v_fma_f64 v[228:229], -v[194:195], v[6:7], v[228:229]
.LBB113_176:
	s_or_b64 exec, exec, s[2:3]
	v_cmp_eq_u32_e32 vcc, 35, v42
	s_waitcnt lgkmcnt(0)
	buffer_store_dword v0, off, s[16:19], 0 offset:384 ; 4-byte Folded Spill
	s_nop 0
	buffer_store_dword v1, off, s[16:19], 0 offset:388 ; 4-byte Folded Spill
	s_waitcnt vmcnt(63) expcnt(7) lgkmcnt(15)
	s_barrier
	s_and_saveexec_b64 s[2:3], vcc
	s_cbranch_execz .LBB113_179
; %bb.177:
	v_mov_b32_e32 v0, v192
	v_mov_b32_e32 v1, v193
	;; [unrolled: 1-line block ×4, first 2 shown]
	ds_write_b64 v40, v[138:139]
	ds_write2_b64 v41, v[0:1], v[4:5] offset0:36 offset1:37
	v_mov_b32_e32 v0, v190
	v_mov_b32_e32 v1, v191
	v_mov_b32_e32 v4, v134
	v_mov_b32_e32 v5, v135
	ds_write2_b64 v41, v[0:1], v[4:5] offset0:38 offset1:39
	v_mov_b32_e32 v0, v188
	v_mov_b32_e32 v1, v189
	v_mov_b32_e32 v4, v132
	v_mov_b32_e32 v5, v133
	;; [unrolled: 5-line block ×9, first 2 shown]
	ds_write2_b64 v41, v[0:1], v[4:5] offset0:54 offset1:55
	ds_write_b64 v41, v[228:229] offset:448
	ds_read_b64 v[0:1], v40
	s_waitcnt lgkmcnt(0)
	v_cmp_neq_f64_e32 vcc, 0, v[0:1]
	s_and_b64 exec, exec, vcc
	s_cbranch_execz .LBB113_179
; %bb.178:
	v_div_scale_f64 v[4:5], s[6:7], v[0:1], v[0:1], 1.0
	v_rcp_f64_e32 v[6:7], v[4:5]
	v_div_scale_f64 v[8:9], vcc, 1.0, v[0:1], 1.0
	v_fma_f64 v[10:11], -v[4:5], v[6:7], 1.0
	v_fmac_f64_e32 v[6:7], v[6:7], v[10:11]
	v_fma_f64 v[10:11], -v[4:5], v[6:7], 1.0
	v_fmac_f64_e32 v[6:7], v[6:7], v[10:11]
	v_mul_f64 v[10:11], v[8:9], v[6:7]
	v_fma_f64 v[4:5], -v[4:5], v[10:11], v[8:9]
	v_div_fmas_f64 v[4:5], v[4:5], v[6:7], v[10:11]
	v_div_fixup_f64 v[0:1], v[4:5], v[0:1], 1.0
	ds_write_b64 v40, v[0:1]
.LBB113_179:
	s_or_b64 exec, exec, s[2:3]
	s_waitcnt lgkmcnt(0)
	s_barrier
	ds_read_b64 v[0:1], v40
	v_cmp_lt_u32_e32 vcc, 35, v42
	s_waitcnt lgkmcnt(0)
	buffer_store_dword v0, off, s[16:19], 0 offset:352 ; 4-byte Folded Spill
	s_nop 0
	buffer_store_dword v1, off, s[16:19], 0 offset:356 ; 4-byte Folded Spill
	s_and_saveexec_b64 s[2:3], vcc
	s_cbranch_execz .LBB113_181
; %bb.180:
	buffer_load_dword v0, off, s[16:19], 0 offset:352 ; 4-byte Folded Reload
	buffer_load_dword v1, off, s[16:19], 0 offset:356 ; 4-byte Folded Reload
	ds_read2_b64 v[4:7], v41 offset0:36 offset1:37
	s_waitcnt vmcnt(0)
	v_mul_f64 v[138:139], v[0:1], v[138:139]
	ds_read_b64 v[0:1], v41 offset:448
	s_waitcnt lgkmcnt(1)
	v_fma_f64 v[192:193], -v[138:139], v[4:5], v[192:193]
	v_fma_f64 v[136:137], -v[138:139], v[6:7], v[136:137]
	ds_read2_b64 v[4:7], v41 offset0:38 offset1:39
	s_waitcnt lgkmcnt(1)
	v_fma_f64 v[228:229], -v[138:139], v[0:1], v[228:229]
	s_waitcnt lgkmcnt(0)
	v_fma_f64 v[190:191], -v[138:139], v[4:5], v[190:191]
	v_fma_f64 v[134:135], -v[138:139], v[6:7], v[134:135]
	ds_read2_b64 v[4:7], v41 offset0:40 offset1:41
	s_waitcnt lgkmcnt(0)
	v_fma_f64 v[188:189], -v[138:139], v[4:5], v[188:189]
	v_fma_f64 v[132:133], -v[138:139], v[6:7], v[132:133]
	ds_read2_b64 v[4:7], v41 offset0:42 offset1:43
	;; [unrolled: 4-line block ×8, first 2 shown]
	s_waitcnt lgkmcnt(0)
	v_fma_f64 v[174:175], -v[138:139], v[4:5], v[174:175]
	v_fma_f64 v[118:119], -v[138:139], v[6:7], v[118:119]
.LBB113_181:
	s_or_b64 exec, exec, s[2:3]
	v_cmp_eq_u32_e32 vcc, 36, v42
	s_waitcnt vmcnt(63) expcnt(7) lgkmcnt(15)
	s_barrier
	s_and_saveexec_b64 s[2:3], vcc
	s_cbranch_execz .LBB113_184
; %bb.182:
	ds_write_b64 v40, v[192:193]
	ds_write2_b64 v41, v[136:137], v[190:191] offset0:37 offset1:38
	ds_write2_b64 v41, v[134:135], v[188:189] offset0:39 offset1:40
	;; [unrolled: 1-line block ×10, first 2 shown]
	ds_read_b64 v[0:1], v40
	s_waitcnt lgkmcnt(0)
	v_cmp_neq_f64_e32 vcc, 0, v[0:1]
	s_and_b64 exec, exec, vcc
	s_cbranch_execz .LBB113_184
; %bb.183:
	v_div_scale_f64 v[4:5], s[6:7], v[0:1], v[0:1], 1.0
	v_rcp_f64_e32 v[6:7], v[4:5]
	v_div_scale_f64 v[8:9], vcc, 1.0, v[0:1], 1.0
	v_fma_f64 v[10:11], -v[4:5], v[6:7], 1.0
	v_fmac_f64_e32 v[6:7], v[6:7], v[10:11]
	v_fma_f64 v[10:11], -v[4:5], v[6:7], 1.0
	v_fmac_f64_e32 v[6:7], v[6:7], v[10:11]
	v_mul_f64 v[10:11], v[8:9], v[6:7]
	v_fma_f64 v[4:5], -v[4:5], v[10:11], v[8:9]
	v_div_fmas_f64 v[4:5], v[4:5], v[6:7], v[10:11]
	v_div_fixup_f64 v[0:1], v[4:5], v[0:1], 1.0
	ds_write_b64 v40, v[0:1]
.LBB113_184:
	s_or_b64 exec, exec, s[2:3]
	s_waitcnt lgkmcnt(0)
	s_barrier
	ds_read_b64 v[0:1], v40
	v_cmp_lt_u32_e32 vcc, 36, v42
	s_waitcnt lgkmcnt(0)
	buffer_store_dword v0, off, s[16:19], 0 offset:360 ; 4-byte Folded Spill
	s_nop 0
	buffer_store_dword v1, off, s[16:19], 0 offset:364 ; 4-byte Folded Spill
	s_and_saveexec_b64 s[2:3], vcc
	s_cbranch_execz .LBB113_186
; %bb.185:
	buffer_load_dword v0, off, s[16:19], 0 offset:360 ; 4-byte Folded Reload
	buffer_load_dword v1, off, s[16:19], 0 offset:364 ; 4-byte Folded Reload
	ds_read2_b64 v[4:7], v41 offset0:37 offset1:38
	s_waitcnt vmcnt(0)
	v_mul_f64 v[192:193], v[0:1], v[192:193]
	s_waitcnt lgkmcnt(0)
	v_fma_f64 v[136:137], -v[192:193], v[4:5], v[136:137]
	v_fma_f64 v[190:191], -v[192:193], v[6:7], v[190:191]
	ds_read2_b64 v[4:7], v41 offset0:39 offset1:40
	s_waitcnt lgkmcnt(0)
	v_fma_f64 v[134:135], -v[192:193], v[4:5], v[134:135]
	v_fma_f64 v[188:189], -v[192:193], v[6:7], v[188:189]
	ds_read2_b64 v[4:7], v41 offset0:41 offset1:42
	;; [unrolled: 4-line block ×9, first 2 shown]
	s_waitcnt lgkmcnt(0)
	v_fma_f64 v[118:119], -v[192:193], v[4:5], v[118:119]
	v_fma_f64 v[228:229], -v[192:193], v[6:7], v[228:229]
.LBB113_186:
	s_or_b64 exec, exec, s[2:3]
	v_cmp_eq_u32_e32 vcc, 37, v42
	s_waitcnt vmcnt(63) expcnt(7) lgkmcnt(15)
	s_barrier
	s_and_saveexec_b64 s[2:3], vcc
	s_cbranch_execz .LBB113_189
; %bb.187:
	v_mov_b32_e32 v4, v190
	v_mov_b32_e32 v5, v191
	;; [unrolled: 1-line block ×4, first 2 shown]
	ds_write_b64 v40, v[136:137]
	ds_write2_b64 v41, v[4:5], v[6:7] offset0:38 offset1:39
	v_mov_b32_e32 v4, v188
	v_mov_b32_e32 v5, v189
	v_mov_b32_e32 v6, v132
	v_mov_b32_e32 v7, v133
	ds_write2_b64 v41, v[4:5], v[6:7] offset0:40 offset1:41
	v_mov_b32_e32 v4, v186
	v_mov_b32_e32 v5, v187
	v_mov_b32_e32 v6, v130
	v_mov_b32_e32 v7, v131
	;; [unrolled: 5-line block ×8, first 2 shown]
	ds_write2_b64 v41, v[4:5], v[6:7] offset0:54 offset1:55
	ds_write_b64 v41, v[228:229] offset:448
	ds_read_b64 v[4:5], v40
	s_waitcnt lgkmcnt(0)
	v_cmp_neq_f64_e32 vcc, 0, v[4:5]
	s_and_b64 exec, exec, vcc
	s_cbranch_execz .LBB113_189
; %bb.188:
	v_div_scale_f64 v[6:7], s[6:7], v[4:5], v[4:5], 1.0
	v_rcp_f64_e32 v[8:9], v[6:7]
	v_div_scale_f64 v[10:11], vcc, 1.0, v[4:5], 1.0
	v_fma_f64 v[12:13], -v[6:7], v[8:9], 1.0
	v_fmac_f64_e32 v[8:9], v[8:9], v[12:13]
	v_fma_f64 v[12:13], -v[6:7], v[8:9], 1.0
	v_fmac_f64_e32 v[8:9], v[8:9], v[12:13]
	v_mul_f64 v[12:13], v[10:11], v[8:9]
	v_fma_f64 v[6:7], -v[6:7], v[12:13], v[10:11]
	v_div_fmas_f64 v[6:7], v[6:7], v[8:9], v[12:13]
	v_div_fixup_f64 v[4:5], v[6:7], v[4:5], 1.0
	ds_write_b64 v40, v[4:5]
.LBB113_189:
	s_or_b64 exec, exec, s[2:3]
	s_waitcnt lgkmcnt(0)
	s_barrier
	ds_read_b64 v[4:5], v40
	v_cmp_lt_u32_e32 vcc, 37, v42
	s_and_saveexec_b64 s[2:3], vcc
	s_cbranch_execz .LBB113_191
; %bb.190:
	ds_read2_b64 v[6:9], v41 offset0:38 offset1:39
	s_waitcnt lgkmcnt(1)
	v_mul_f64 v[136:137], v[4:5], v[136:137]
	s_waitcnt lgkmcnt(0)
	v_fma_f64 v[190:191], -v[136:137], v[6:7], v[190:191]
	v_fma_f64 v[134:135], -v[136:137], v[8:9], v[134:135]
	ds_read2_b64 v[6:9], v41 offset0:40 offset1:41
	s_waitcnt lgkmcnt(0)
	v_fma_f64 v[188:189], -v[136:137], v[6:7], v[188:189]
	v_fma_f64 v[132:133], -v[136:137], v[8:9], v[132:133]
	ds_read2_b64 v[6:9], v41 offset0:42 offset1:43
	;; [unrolled: 4-line block ×8, first 2 shown]
	s_waitcnt lgkmcnt(0)
	v_fma_f64 v[174:175], -v[136:137], v[6:7], v[174:175]
	ds_read_b64 v[6:7], v41 offset:448
	v_fma_f64 v[118:119], -v[136:137], v[8:9], v[118:119]
	s_waitcnt lgkmcnt(0)
	v_fma_f64 v[228:229], -v[136:137], v[6:7], v[228:229]
.LBB113_191:
	s_or_b64 exec, exec, s[2:3]
	v_cmp_eq_u32_e32 vcc, 38, v42
	s_waitcnt lgkmcnt(0)
	s_barrier
	s_and_saveexec_b64 s[2:3], vcc
	s_cbranch_execz .LBB113_194
; %bb.192:
	ds_write_b64 v40, v[190:191]
	ds_write2_b64 v41, v[134:135], v[188:189] offset0:39 offset1:40
	ds_write2_b64 v41, v[132:133], v[186:187] offset0:41 offset1:42
	;; [unrolled: 1-line block ×9, first 2 shown]
	ds_read_b64 v[6:7], v40
	s_waitcnt lgkmcnt(0)
	v_cmp_neq_f64_e32 vcc, 0, v[6:7]
	s_and_b64 exec, exec, vcc
	s_cbranch_execz .LBB113_194
; %bb.193:
	v_div_scale_f64 v[8:9], s[6:7], v[6:7], v[6:7], 1.0
	v_rcp_f64_e32 v[10:11], v[8:9]
	v_div_scale_f64 v[12:13], vcc, 1.0, v[6:7], 1.0
	v_fma_f64 v[14:15], -v[8:9], v[10:11], 1.0
	v_fmac_f64_e32 v[10:11], v[10:11], v[14:15]
	v_fma_f64 v[14:15], -v[8:9], v[10:11], 1.0
	v_fmac_f64_e32 v[10:11], v[10:11], v[14:15]
	v_mul_f64 v[14:15], v[12:13], v[10:11]
	v_fma_f64 v[8:9], -v[8:9], v[14:15], v[12:13]
	v_div_fmas_f64 v[8:9], v[8:9], v[10:11], v[14:15]
	v_div_fixup_f64 v[6:7], v[8:9], v[6:7], 1.0
	ds_write_b64 v40, v[6:7]
.LBB113_194:
	s_or_b64 exec, exec, s[2:3]
	s_waitcnt lgkmcnt(0)
	s_barrier
	ds_read_b64 v[6:7], v40
	v_cmp_lt_u32_e32 vcc, 38, v42
	s_and_saveexec_b64 s[2:3], vcc
	s_cbranch_execz .LBB113_196
; %bb.195:
	ds_read2_b64 v[8:11], v41 offset0:39 offset1:40
	s_waitcnt lgkmcnt(1)
	v_mul_f64 v[190:191], v[6:7], v[190:191]
	s_waitcnt lgkmcnt(0)
	v_fma_f64 v[134:135], -v[190:191], v[8:9], v[134:135]
	v_fma_f64 v[188:189], -v[190:191], v[10:11], v[188:189]
	ds_read2_b64 v[8:11], v41 offset0:41 offset1:42
	s_waitcnt lgkmcnt(0)
	v_fma_f64 v[132:133], -v[190:191], v[8:9], v[132:133]
	v_fma_f64 v[186:187], -v[190:191], v[10:11], v[186:187]
	ds_read2_b64 v[8:11], v41 offset0:43 offset1:44
	;; [unrolled: 4-line block ×8, first 2 shown]
	s_waitcnt lgkmcnt(0)
	v_fma_f64 v[118:119], -v[190:191], v[8:9], v[118:119]
	v_fma_f64 v[228:229], -v[190:191], v[10:11], v[228:229]
.LBB113_196:
	s_or_b64 exec, exec, s[2:3]
	v_cmp_eq_u32_e32 vcc, 39, v42
	s_waitcnt lgkmcnt(0)
	s_barrier
	s_and_saveexec_b64 s[2:3], vcc
	s_cbranch_execz .LBB113_199
; %bb.197:
	v_mov_b32_e32 v8, v188
	v_mov_b32_e32 v9, v189
	;; [unrolled: 1-line block ×4, first 2 shown]
	ds_write_b64 v40, v[134:135]
	ds_write2_b64 v41, v[8:9], v[10:11] offset0:40 offset1:41
	v_mov_b32_e32 v8, v186
	v_mov_b32_e32 v9, v187
	v_mov_b32_e32 v10, v130
	v_mov_b32_e32 v11, v131
	ds_write2_b64 v41, v[8:9], v[10:11] offset0:42 offset1:43
	v_mov_b32_e32 v8, v184
	v_mov_b32_e32 v9, v185
	v_mov_b32_e32 v10, v128
	v_mov_b32_e32 v11, v129
	;; [unrolled: 5-line block ×7, first 2 shown]
	ds_write2_b64 v41, v[8:9], v[10:11] offset0:54 offset1:55
	ds_write_b64 v41, v[228:229] offset:448
	ds_read_b64 v[8:9], v40
	s_waitcnt lgkmcnt(0)
	v_cmp_neq_f64_e32 vcc, 0, v[8:9]
	s_and_b64 exec, exec, vcc
	s_cbranch_execz .LBB113_199
; %bb.198:
	v_div_scale_f64 v[10:11], s[6:7], v[8:9], v[8:9], 1.0
	v_rcp_f64_e32 v[12:13], v[10:11]
	v_div_scale_f64 v[14:15], vcc, 1.0, v[8:9], 1.0
	v_fma_f64 v[16:17], -v[10:11], v[12:13], 1.0
	v_fmac_f64_e32 v[12:13], v[12:13], v[16:17]
	v_fma_f64 v[16:17], -v[10:11], v[12:13], 1.0
	v_fmac_f64_e32 v[12:13], v[12:13], v[16:17]
	v_mul_f64 v[16:17], v[14:15], v[12:13]
	v_fma_f64 v[10:11], -v[10:11], v[16:17], v[14:15]
	v_div_fmas_f64 v[10:11], v[10:11], v[12:13], v[16:17]
	v_div_fixup_f64 v[8:9], v[10:11], v[8:9], 1.0
	ds_write_b64 v40, v[8:9]
.LBB113_199:
	s_or_b64 exec, exec, s[2:3]
	s_waitcnt lgkmcnt(0)
	s_barrier
	ds_read_b64 v[8:9], v40
	v_cmp_lt_u32_e32 vcc, 39, v42
	s_and_saveexec_b64 s[2:3], vcc
	s_cbranch_execz .LBB113_201
; %bb.200:
	ds_read2_b64 v[10:13], v41 offset0:40 offset1:41
	s_waitcnt lgkmcnt(1)
	v_mul_f64 v[134:135], v[8:9], v[134:135]
	s_waitcnt lgkmcnt(0)
	v_fma_f64 v[188:189], -v[134:135], v[10:11], v[188:189]
	v_fma_f64 v[132:133], -v[134:135], v[12:13], v[132:133]
	ds_read2_b64 v[10:13], v41 offset0:42 offset1:43
	s_waitcnt lgkmcnt(0)
	v_fma_f64 v[186:187], -v[134:135], v[10:11], v[186:187]
	v_fma_f64 v[130:131], -v[134:135], v[12:13], v[130:131]
	ds_read2_b64 v[10:13], v41 offset0:44 offset1:45
	;; [unrolled: 4-line block ×7, first 2 shown]
	s_waitcnt lgkmcnt(0)
	v_fma_f64 v[174:175], -v[134:135], v[10:11], v[174:175]
	ds_read_b64 v[10:11], v41 offset:448
	v_fma_f64 v[118:119], -v[134:135], v[12:13], v[118:119]
	s_waitcnt lgkmcnt(0)
	v_fma_f64 v[228:229], -v[134:135], v[10:11], v[228:229]
.LBB113_201:
	s_or_b64 exec, exec, s[2:3]
	v_cmp_eq_u32_e32 vcc, 40, v42
	s_waitcnt lgkmcnt(0)
	s_barrier
	s_and_saveexec_b64 s[2:3], vcc
	s_cbranch_execz .LBB113_204
; %bb.202:
	ds_write_b64 v40, v[188:189]
	ds_write2_b64 v41, v[132:133], v[186:187] offset0:41 offset1:42
	ds_write2_b64 v41, v[130:131], v[184:185] offset0:43 offset1:44
	ds_write2_b64 v41, v[128:129], v[182:183] offset0:45 offset1:46
	ds_write2_b64 v41, v[126:127], v[180:181] offset0:47 offset1:48
	ds_write2_b64 v41, v[124:125], v[178:179] offset0:49 offset1:50
	ds_write2_b64 v41, v[122:123], v[176:177] offset0:51 offset1:52
	ds_write2_b64 v41, v[120:121], v[174:175] offset0:53 offset1:54
	ds_write2_b64 v41, v[118:119], v[228:229] offset0:55 offset1:56
	ds_read_b64 v[10:11], v40
	s_waitcnt lgkmcnt(0)
	v_cmp_neq_f64_e32 vcc, 0, v[10:11]
	s_and_b64 exec, exec, vcc
	s_cbranch_execz .LBB113_204
; %bb.203:
	v_div_scale_f64 v[12:13], s[6:7], v[10:11], v[10:11], 1.0
	v_rcp_f64_e32 v[14:15], v[12:13]
	v_div_scale_f64 v[16:17], vcc, 1.0, v[10:11], 1.0
	v_fma_f64 v[18:19], -v[12:13], v[14:15], 1.0
	v_fmac_f64_e32 v[14:15], v[14:15], v[18:19]
	v_fma_f64 v[18:19], -v[12:13], v[14:15], 1.0
	v_fmac_f64_e32 v[14:15], v[14:15], v[18:19]
	v_mul_f64 v[18:19], v[16:17], v[14:15]
	v_fma_f64 v[12:13], -v[12:13], v[18:19], v[16:17]
	v_div_fmas_f64 v[12:13], v[12:13], v[14:15], v[18:19]
	v_div_fixup_f64 v[10:11], v[12:13], v[10:11], 1.0
	ds_write_b64 v40, v[10:11]
.LBB113_204:
	s_or_b64 exec, exec, s[2:3]
	s_waitcnt lgkmcnt(0)
	s_barrier
	ds_read_b64 v[10:11], v40
	v_cmp_lt_u32_e32 vcc, 40, v42
	s_and_saveexec_b64 s[2:3], vcc
	s_cbranch_execz .LBB113_206
; %bb.205:
	ds_read2_b64 v[12:15], v41 offset0:41 offset1:42
	s_waitcnt lgkmcnt(1)
	v_mul_f64 v[188:189], v[10:11], v[188:189]
	s_waitcnt lgkmcnt(0)
	v_fma_f64 v[132:133], -v[188:189], v[12:13], v[132:133]
	v_fma_f64 v[186:187], -v[188:189], v[14:15], v[186:187]
	ds_read2_b64 v[12:15], v41 offset0:43 offset1:44
	s_waitcnt lgkmcnt(0)
	v_fma_f64 v[130:131], -v[188:189], v[12:13], v[130:131]
	v_fma_f64 v[184:185], -v[188:189], v[14:15], v[184:185]
	ds_read2_b64 v[12:15], v41 offset0:45 offset1:46
	;; [unrolled: 4-line block ×7, first 2 shown]
	s_waitcnt lgkmcnt(0)
	v_fma_f64 v[118:119], -v[188:189], v[12:13], v[118:119]
	v_fma_f64 v[228:229], -v[188:189], v[14:15], v[228:229]
.LBB113_206:
	s_or_b64 exec, exec, s[2:3]
	v_cmp_eq_u32_e32 vcc, 41, v42
	s_waitcnt lgkmcnt(0)
	s_barrier
	s_and_saveexec_b64 s[2:3], vcc
	s_cbranch_execz .LBB113_209
; %bb.207:
	v_mov_b32_e32 v12, v186
	v_mov_b32_e32 v13, v187
	;; [unrolled: 1-line block ×4, first 2 shown]
	ds_write_b64 v40, v[132:133]
	ds_write2_b64 v41, v[12:13], v[14:15] offset0:42 offset1:43
	v_mov_b32_e32 v12, v184
	v_mov_b32_e32 v13, v185
	v_mov_b32_e32 v14, v128
	v_mov_b32_e32 v15, v129
	ds_write2_b64 v41, v[12:13], v[14:15] offset0:44 offset1:45
	v_mov_b32_e32 v12, v182
	v_mov_b32_e32 v13, v183
	v_mov_b32_e32 v14, v126
	v_mov_b32_e32 v15, v127
	;; [unrolled: 5-line block ×6, first 2 shown]
	ds_write2_b64 v41, v[12:13], v[14:15] offset0:54 offset1:55
	ds_write_b64 v41, v[228:229] offset:448
	ds_read_b64 v[12:13], v40
	s_waitcnt lgkmcnt(0)
	v_cmp_neq_f64_e32 vcc, 0, v[12:13]
	s_and_b64 exec, exec, vcc
	s_cbranch_execz .LBB113_209
; %bb.208:
	v_div_scale_f64 v[14:15], s[6:7], v[12:13], v[12:13], 1.0
	v_rcp_f64_e32 v[16:17], v[14:15]
	v_div_scale_f64 v[18:19], vcc, 1.0, v[12:13], 1.0
	v_fma_f64 v[20:21], -v[14:15], v[16:17], 1.0
	v_fmac_f64_e32 v[16:17], v[16:17], v[20:21]
	v_fma_f64 v[20:21], -v[14:15], v[16:17], 1.0
	v_fmac_f64_e32 v[16:17], v[16:17], v[20:21]
	v_mul_f64 v[20:21], v[18:19], v[16:17]
	v_fma_f64 v[14:15], -v[14:15], v[20:21], v[18:19]
	v_div_fmas_f64 v[14:15], v[14:15], v[16:17], v[20:21]
	v_div_fixup_f64 v[12:13], v[14:15], v[12:13], 1.0
	ds_write_b64 v40, v[12:13]
.LBB113_209:
	s_or_b64 exec, exec, s[2:3]
	s_waitcnt lgkmcnt(0)
	s_barrier
	ds_read_b64 v[12:13], v40
	v_cmp_lt_u32_e32 vcc, 41, v42
	s_and_saveexec_b64 s[2:3], vcc
	s_cbranch_execz .LBB113_211
; %bb.210:
	ds_read2_b64 v[14:17], v41 offset0:42 offset1:43
	s_waitcnt lgkmcnt(1)
	v_mul_f64 v[132:133], v[12:13], v[132:133]
	s_waitcnt lgkmcnt(0)
	v_fma_f64 v[186:187], -v[132:133], v[14:15], v[186:187]
	v_fma_f64 v[130:131], -v[132:133], v[16:17], v[130:131]
	ds_read2_b64 v[14:17], v41 offset0:44 offset1:45
	s_waitcnt lgkmcnt(0)
	v_fma_f64 v[184:185], -v[132:133], v[14:15], v[184:185]
	v_fma_f64 v[128:129], -v[132:133], v[16:17], v[128:129]
	ds_read2_b64 v[14:17], v41 offset0:46 offset1:47
	;; [unrolled: 4-line block ×6, first 2 shown]
	s_waitcnt lgkmcnt(0)
	v_fma_f64 v[174:175], -v[132:133], v[14:15], v[174:175]
	ds_read_b64 v[14:15], v41 offset:448
	v_fma_f64 v[118:119], -v[132:133], v[16:17], v[118:119]
	s_waitcnt lgkmcnt(0)
	v_fma_f64 v[228:229], -v[132:133], v[14:15], v[228:229]
.LBB113_211:
	s_or_b64 exec, exec, s[2:3]
	v_cmp_eq_u32_e32 vcc, 42, v42
	s_waitcnt lgkmcnt(0)
	s_barrier
	s_and_saveexec_b64 s[2:3], vcc
	s_cbranch_execz .LBB113_214
; %bb.212:
	ds_write_b64 v40, v[186:187]
	ds_write2_b64 v41, v[130:131], v[184:185] offset0:43 offset1:44
	ds_write2_b64 v41, v[128:129], v[182:183] offset0:45 offset1:46
	;; [unrolled: 1-line block ×7, first 2 shown]
	ds_read_b64 v[14:15], v40
	s_waitcnt lgkmcnt(0)
	v_cmp_neq_f64_e32 vcc, 0, v[14:15]
	s_and_b64 exec, exec, vcc
	s_cbranch_execz .LBB113_214
; %bb.213:
	v_div_scale_f64 v[16:17], s[6:7], v[14:15], v[14:15], 1.0
	v_rcp_f64_e32 v[18:19], v[16:17]
	v_div_scale_f64 v[20:21], vcc, 1.0, v[14:15], 1.0
	v_fma_f64 v[22:23], -v[16:17], v[18:19], 1.0
	v_fmac_f64_e32 v[18:19], v[18:19], v[22:23]
	v_fma_f64 v[22:23], -v[16:17], v[18:19], 1.0
	v_fmac_f64_e32 v[18:19], v[18:19], v[22:23]
	v_mul_f64 v[22:23], v[20:21], v[18:19]
	v_fma_f64 v[16:17], -v[16:17], v[22:23], v[20:21]
	v_div_fmas_f64 v[16:17], v[16:17], v[18:19], v[22:23]
	v_div_fixup_f64 v[14:15], v[16:17], v[14:15], 1.0
	ds_write_b64 v40, v[14:15]
.LBB113_214:
	s_or_b64 exec, exec, s[2:3]
	s_waitcnt lgkmcnt(0)
	s_barrier
	ds_read_b64 v[14:15], v40
	v_cmp_lt_u32_e32 vcc, 42, v42
	s_and_saveexec_b64 s[2:3], vcc
	s_cbranch_execz .LBB113_216
; %bb.215:
	ds_read2_b64 v[16:19], v41 offset0:43 offset1:44
	s_waitcnt lgkmcnt(1)
	v_mul_f64 v[186:187], v[14:15], v[186:187]
	s_waitcnt lgkmcnt(0)
	v_fma_f64 v[130:131], -v[186:187], v[16:17], v[130:131]
	v_fma_f64 v[184:185], -v[186:187], v[18:19], v[184:185]
	ds_read2_b64 v[16:19], v41 offset0:45 offset1:46
	s_waitcnt lgkmcnt(0)
	v_fma_f64 v[128:129], -v[186:187], v[16:17], v[128:129]
	v_fma_f64 v[182:183], -v[186:187], v[18:19], v[182:183]
	ds_read2_b64 v[16:19], v41 offset0:47 offset1:48
	;; [unrolled: 4-line block ×6, first 2 shown]
	s_waitcnt lgkmcnt(0)
	v_fma_f64 v[118:119], -v[186:187], v[16:17], v[118:119]
	v_fma_f64 v[228:229], -v[186:187], v[18:19], v[228:229]
.LBB113_216:
	s_or_b64 exec, exec, s[2:3]
	v_cmp_eq_u32_e32 vcc, 43, v42
	s_waitcnt lgkmcnt(0)
	s_barrier
	s_and_saveexec_b64 s[2:3], vcc
	s_cbranch_execz .LBB113_219
; %bb.217:
	v_mov_b32_e32 v16, v184
	v_mov_b32_e32 v17, v185
	;; [unrolled: 1-line block ×4, first 2 shown]
	ds_write_b64 v40, v[130:131]
	ds_write2_b64 v41, v[16:17], v[18:19] offset0:44 offset1:45
	v_mov_b32_e32 v16, v182
	v_mov_b32_e32 v17, v183
	v_mov_b32_e32 v18, v126
	v_mov_b32_e32 v19, v127
	ds_write2_b64 v41, v[16:17], v[18:19] offset0:46 offset1:47
	v_mov_b32_e32 v16, v180
	v_mov_b32_e32 v17, v181
	v_mov_b32_e32 v18, v124
	v_mov_b32_e32 v19, v125
	;; [unrolled: 5-line block ×5, first 2 shown]
	ds_write2_b64 v41, v[16:17], v[18:19] offset0:54 offset1:55
	ds_write_b64 v41, v[228:229] offset:448
	ds_read_b64 v[16:17], v40
	s_waitcnt lgkmcnt(0)
	v_cmp_neq_f64_e32 vcc, 0, v[16:17]
	s_and_b64 exec, exec, vcc
	s_cbranch_execz .LBB113_219
; %bb.218:
	v_div_scale_f64 v[18:19], s[6:7], v[16:17], v[16:17], 1.0
	v_rcp_f64_e32 v[20:21], v[18:19]
	v_div_scale_f64 v[22:23], vcc, 1.0, v[16:17], 1.0
	v_fma_f64 v[24:25], -v[18:19], v[20:21], 1.0
	v_fmac_f64_e32 v[20:21], v[20:21], v[24:25]
	v_fma_f64 v[24:25], -v[18:19], v[20:21], 1.0
	v_fmac_f64_e32 v[20:21], v[20:21], v[24:25]
	v_mul_f64 v[24:25], v[22:23], v[20:21]
	v_fma_f64 v[18:19], -v[18:19], v[24:25], v[22:23]
	v_div_fmas_f64 v[18:19], v[18:19], v[20:21], v[24:25]
	v_div_fixup_f64 v[16:17], v[18:19], v[16:17], 1.0
	ds_write_b64 v40, v[16:17]
.LBB113_219:
	s_or_b64 exec, exec, s[2:3]
	s_waitcnt lgkmcnt(0)
	s_barrier
	ds_read_b64 v[16:17], v40
	v_cmp_lt_u32_e32 vcc, 43, v42
	s_and_saveexec_b64 s[2:3], vcc
	s_cbranch_execz .LBB113_221
; %bb.220:
	ds_read2_b64 v[18:21], v41 offset0:44 offset1:45
	s_waitcnt lgkmcnt(1)
	v_mul_f64 v[130:131], v[16:17], v[130:131]
	s_waitcnt lgkmcnt(0)
	v_fma_f64 v[184:185], -v[130:131], v[18:19], v[184:185]
	v_fma_f64 v[128:129], -v[130:131], v[20:21], v[128:129]
	ds_read2_b64 v[18:21], v41 offset0:46 offset1:47
	s_waitcnt lgkmcnt(0)
	v_fma_f64 v[182:183], -v[130:131], v[18:19], v[182:183]
	v_fma_f64 v[126:127], -v[130:131], v[20:21], v[126:127]
	ds_read2_b64 v[18:21], v41 offset0:48 offset1:49
	s_waitcnt lgkmcnt(0)
	v_fma_f64 v[180:181], -v[130:131], v[18:19], v[180:181]
	v_fma_f64 v[124:125], -v[130:131], v[20:21], v[124:125]
	ds_read2_b64 v[18:21], v41 offset0:50 offset1:51
	s_waitcnt lgkmcnt(0)
	v_fma_f64 v[178:179], -v[130:131], v[18:19], v[178:179]
	v_fma_f64 v[122:123], -v[130:131], v[20:21], v[122:123]
	ds_read2_b64 v[18:21], v41 offset0:52 offset1:53
	s_waitcnt lgkmcnt(0)
	v_fma_f64 v[176:177], -v[130:131], v[18:19], v[176:177]
	v_fma_f64 v[120:121], -v[130:131], v[20:21], v[120:121]
	ds_read2_b64 v[18:21], v41 offset0:54 offset1:55
	s_waitcnt lgkmcnt(0)
	v_fma_f64 v[174:175], -v[130:131], v[18:19], v[174:175]
	ds_read_b64 v[18:19], v41 offset:448
	v_fma_f64 v[118:119], -v[130:131], v[20:21], v[118:119]
	s_waitcnt lgkmcnt(0)
	v_fma_f64 v[228:229], -v[130:131], v[18:19], v[228:229]
.LBB113_221:
	s_or_b64 exec, exec, s[2:3]
	v_cmp_eq_u32_e32 vcc, 44, v42
	s_waitcnt lgkmcnt(0)
	s_barrier
	s_and_saveexec_b64 s[2:3], vcc
	s_cbranch_execz .LBB113_224
; %bb.222:
	ds_write_b64 v40, v[184:185]
	ds_write2_b64 v41, v[128:129], v[182:183] offset0:45 offset1:46
	ds_write2_b64 v41, v[126:127], v[180:181] offset0:47 offset1:48
	;; [unrolled: 1-line block ×6, first 2 shown]
	ds_read_b64 v[18:19], v40
	s_waitcnt lgkmcnt(0)
	v_cmp_neq_f64_e32 vcc, 0, v[18:19]
	s_and_b64 exec, exec, vcc
	s_cbranch_execz .LBB113_224
; %bb.223:
	v_div_scale_f64 v[20:21], s[6:7], v[18:19], v[18:19], 1.0
	v_rcp_f64_e32 v[22:23], v[20:21]
	v_div_scale_f64 v[24:25], vcc, 1.0, v[18:19], 1.0
	v_fma_f64 v[26:27], -v[20:21], v[22:23], 1.0
	v_fmac_f64_e32 v[22:23], v[22:23], v[26:27]
	v_fma_f64 v[26:27], -v[20:21], v[22:23], 1.0
	v_fmac_f64_e32 v[22:23], v[22:23], v[26:27]
	v_mul_f64 v[26:27], v[24:25], v[22:23]
	v_fma_f64 v[20:21], -v[20:21], v[26:27], v[24:25]
	v_div_fmas_f64 v[20:21], v[20:21], v[22:23], v[26:27]
	v_div_fixup_f64 v[18:19], v[20:21], v[18:19], 1.0
	ds_write_b64 v40, v[18:19]
.LBB113_224:
	s_or_b64 exec, exec, s[2:3]
	s_waitcnt lgkmcnt(0)
	s_barrier
	ds_read_b64 v[18:19], v40
	v_cmp_lt_u32_e32 vcc, 44, v42
	s_and_saveexec_b64 s[2:3], vcc
	s_cbranch_execz .LBB113_226
; %bb.225:
	ds_read2_b64 v[20:23], v41 offset0:45 offset1:46
	s_waitcnt lgkmcnt(1)
	v_mul_f64 v[184:185], v[18:19], v[184:185]
	s_waitcnt lgkmcnt(0)
	v_fma_f64 v[128:129], -v[184:185], v[20:21], v[128:129]
	v_fma_f64 v[182:183], -v[184:185], v[22:23], v[182:183]
	ds_read2_b64 v[20:23], v41 offset0:47 offset1:48
	s_waitcnt lgkmcnt(0)
	v_fma_f64 v[126:127], -v[184:185], v[20:21], v[126:127]
	v_fma_f64 v[180:181], -v[184:185], v[22:23], v[180:181]
	ds_read2_b64 v[20:23], v41 offset0:49 offset1:50
	s_waitcnt lgkmcnt(0)
	v_fma_f64 v[124:125], -v[184:185], v[20:21], v[124:125]
	v_fma_f64 v[178:179], -v[184:185], v[22:23], v[178:179]
	ds_read2_b64 v[20:23], v41 offset0:51 offset1:52
	s_waitcnt lgkmcnt(0)
	v_fma_f64 v[122:123], -v[184:185], v[20:21], v[122:123]
	v_fma_f64 v[176:177], -v[184:185], v[22:23], v[176:177]
	ds_read2_b64 v[20:23], v41 offset0:53 offset1:54
	s_waitcnt lgkmcnt(0)
	v_fma_f64 v[120:121], -v[184:185], v[20:21], v[120:121]
	v_fma_f64 v[174:175], -v[184:185], v[22:23], v[174:175]
	ds_read2_b64 v[20:23], v41 offset0:55 offset1:56
	s_waitcnt lgkmcnt(0)
	v_fma_f64 v[118:119], -v[184:185], v[20:21], v[118:119]
	v_fma_f64 v[228:229], -v[184:185], v[22:23], v[228:229]
.LBB113_226:
	s_or_b64 exec, exec, s[2:3]
	v_cmp_eq_u32_e32 vcc, 45, v42
	s_waitcnt lgkmcnt(0)
	s_barrier
	s_and_saveexec_b64 s[2:3], vcc
	s_cbranch_execz .LBB113_229
; %bb.227:
	v_mov_b32_e32 v20, v182
	v_mov_b32_e32 v21, v183
	;; [unrolled: 1-line block ×4, first 2 shown]
	ds_write_b64 v40, v[128:129]
	ds_write2_b64 v41, v[20:21], v[22:23] offset0:46 offset1:47
	v_mov_b32_e32 v20, v180
	v_mov_b32_e32 v21, v181
	v_mov_b32_e32 v22, v124
	v_mov_b32_e32 v23, v125
	ds_write2_b64 v41, v[20:21], v[22:23] offset0:48 offset1:49
	v_mov_b32_e32 v20, v178
	v_mov_b32_e32 v21, v179
	v_mov_b32_e32 v22, v122
	v_mov_b32_e32 v23, v123
	;; [unrolled: 5-line block ×4, first 2 shown]
	ds_write2_b64 v41, v[20:21], v[22:23] offset0:54 offset1:55
	ds_write_b64 v41, v[228:229] offset:448
	ds_read_b64 v[20:21], v40
	s_waitcnt lgkmcnt(0)
	v_cmp_neq_f64_e32 vcc, 0, v[20:21]
	s_and_b64 exec, exec, vcc
	s_cbranch_execz .LBB113_229
; %bb.228:
	v_div_scale_f64 v[22:23], s[6:7], v[20:21], v[20:21], 1.0
	v_rcp_f64_e32 v[24:25], v[22:23]
	v_div_scale_f64 v[26:27], vcc, 1.0, v[20:21], 1.0
	v_fma_f64 v[28:29], -v[22:23], v[24:25], 1.0
	v_fmac_f64_e32 v[24:25], v[24:25], v[28:29]
	v_fma_f64 v[28:29], -v[22:23], v[24:25], 1.0
	v_fmac_f64_e32 v[24:25], v[24:25], v[28:29]
	v_mul_f64 v[28:29], v[26:27], v[24:25]
	v_fma_f64 v[22:23], -v[22:23], v[28:29], v[26:27]
	v_div_fmas_f64 v[22:23], v[22:23], v[24:25], v[28:29]
	v_div_fixup_f64 v[20:21], v[22:23], v[20:21], 1.0
	ds_write_b64 v40, v[20:21]
.LBB113_229:
	s_or_b64 exec, exec, s[2:3]
	s_waitcnt lgkmcnt(0)
	s_barrier
	ds_read_b64 v[20:21], v40
	v_cmp_lt_u32_e32 vcc, 45, v42
	s_and_saveexec_b64 s[2:3], vcc
	s_cbranch_execz .LBB113_231
; %bb.230:
	ds_read2_b64 v[22:25], v41 offset0:46 offset1:47
	s_waitcnt lgkmcnt(1)
	v_mul_f64 v[128:129], v[20:21], v[128:129]
	s_waitcnt lgkmcnt(0)
	v_fma_f64 v[182:183], -v[128:129], v[22:23], v[182:183]
	v_fma_f64 v[126:127], -v[128:129], v[24:25], v[126:127]
	ds_read2_b64 v[22:25], v41 offset0:48 offset1:49
	s_waitcnt lgkmcnt(0)
	v_fma_f64 v[180:181], -v[128:129], v[22:23], v[180:181]
	v_fma_f64 v[124:125], -v[128:129], v[24:25], v[124:125]
	ds_read2_b64 v[22:25], v41 offset0:50 offset1:51
	;; [unrolled: 4-line block ×4, first 2 shown]
	s_waitcnt lgkmcnt(0)
	v_fma_f64 v[174:175], -v[128:129], v[22:23], v[174:175]
	ds_read_b64 v[22:23], v41 offset:448
	v_fma_f64 v[118:119], -v[128:129], v[24:25], v[118:119]
	s_waitcnt lgkmcnt(0)
	v_fma_f64 v[228:229], -v[128:129], v[22:23], v[228:229]
.LBB113_231:
	s_or_b64 exec, exec, s[2:3]
	v_cmp_eq_u32_e32 vcc, 46, v42
	s_waitcnt lgkmcnt(0)
	s_barrier
	s_and_saveexec_b64 s[2:3], vcc
	s_cbranch_execz .LBB113_234
; %bb.232:
	ds_write_b64 v40, v[182:183]
	ds_write2_b64 v41, v[126:127], v[180:181] offset0:47 offset1:48
	ds_write2_b64 v41, v[124:125], v[178:179] offset0:49 offset1:50
	;; [unrolled: 1-line block ×5, first 2 shown]
	ds_read_b64 v[22:23], v40
	s_waitcnt lgkmcnt(0)
	v_cmp_neq_f64_e32 vcc, 0, v[22:23]
	s_and_b64 exec, exec, vcc
	s_cbranch_execz .LBB113_234
; %bb.233:
	v_div_scale_f64 v[24:25], s[6:7], v[22:23], v[22:23], 1.0
	v_rcp_f64_e32 v[26:27], v[24:25]
	v_div_scale_f64 v[28:29], vcc, 1.0, v[22:23], 1.0
	v_fma_f64 v[30:31], -v[24:25], v[26:27], 1.0
	v_fmac_f64_e32 v[26:27], v[26:27], v[30:31]
	v_fma_f64 v[30:31], -v[24:25], v[26:27], 1.0
	v_fmac_f64_e32 v[26:27], v[26:27], v[30:31]
	v_mul_f64 v[30:31], v[28:29], v[26:27]
	v_fma_f64 v[24:25], -v[24:25], v[30:31], v[28:29]
	v_div_fmas_f64 v[24:25], v[24:25], v[26:27], v[30:31]
	v_div_fixup_f64 v[22:23], v[24:25], v[22:23], 1.0
	ds_write_b64 v40, v[22:23]
.LBB113_234:
	s_or_b64 exec, exec, s[2:3]
	s_waitcnt lgkmcnt(0)
	s_barrier
	ds_read_b64 v[22:23], v40
	v_cmp_lt_u32_e32 vcc, 46, v42
	s_and_saveexec_b64 s[2:3], vcc
	s_cbranch_execz .LBB113_236
; %bb.235:
	ds_read2_b64 v[24:27], v41 offset0:47 offset1:48
	s_waitcnt lgkmcnt(1)
	v_mul_f64 v[182:183], v[22:23], v[182:183]
	s_waitcnt lgkmcnt(0)
	v_fma_f64 v[126:127], -v[182:183], v[24:25], v[126:127]
	v_fma_f64 v[180:181], -v[182:183], v[26:27], v[180:181]
	ds_read2_b64 v[24:27], v41 offset0:49 offset1:50
	s_waitcnt lgkmcnt(0)
	v_fma_f64 v[124:125], -v[182:183], v[24:25], v[124:125]
	v_fma_f64 v[178:179], -v[182:183], v[26:27], v[178:179]
	ds_read2_b64 v[24:27], v41 offset0:51 offset1:52
	;; [unrolled: 4-line block ×4, first 2 shown]
	s_waitcnt lgkmcnt(0)
	v_fma_f64 v[118:119], -v[182:183], v[24:25], v[118:119]
	v_fma_f64 v[228:229], -v[182:183], v[26:27], v[228:229]
.LBB113_236:
	s_or_b64 exec, exec, s[2:3]
	v_cmp_eq_u32_e32 vcc, 47, v42
	s_waitcnt lgkmcnt(0)
	s_barrier
	s_and_saveexec_b64 s[2:3], vcc
	s_cbranch_execz .LBB113_239
; %bb.237:
	v_mov_b32_e32 v24, v180
	v_mov_b32_e32 v25, v181
	;; [unrolled: 1-line block ×4, first 2 shown]
	ds_write_b64 v40, v[126:127]
	ds_write2_b64 v41, v[24:25], v[26:27] offset0:48 offset1:49
	v_mov_b32_e32 v24, v178
	v_mov_b32_e32 v25, v179
	v_mov_b32_e32 v26, v122
	v_mov_b32_e32 v27, v123
	ds_write2_b64 v41, v[24:25], v[26:27] offset0:50 offset1:51
	v_mov_b32_e32 v24, v176
	v_mov_b32_e32 v25, v177
	v_mov_b32_e32 v26, v120
	v_mov_b32_e32 v27, v121
	;; [unrolled: 5-line block ×3, first 2 shown]
	ds_write2_b64 v41, v[24:25], v[26:27] offset0:54 offset1:55
	ds_write_b64 v41, v[228:229] offset:448
	ds_read_b64 v[24:25], v40
	s_waitcnt lgkmcnt(0)
	v_cmp_neq_f64_e32 vcc, 0, v[24:25]
	s_and_b64 exec, exec, vcc
	s_cbranch_execz .LBB113_239
; %bb.238:
	v_div_scale_f64 v[26:27], s[6:7], v[24:25], v[24:25], 1.0
	v_rcp_f64_e32 v[28:29], v[26:27]
	v_div_scale_f64 v[30:31], vcc, 1.0, v[24:25], 1.0
	v_fma_f64 v[32:33], -v[26:27], v[28:29], 1.0
	v_fmac_f64_e32 v[28:29], v[28:29], v[32:33]
	v_fma_f64 v[32:33], -v[26:27], v[28:29], 1.0
	v_fmac_f64_e32 v[28:29], v[28:29], v[32:33]
	v_mul_f64 v[32:33], v[30:31], v[28:29]
	v_fma_f64 v[26:27], -v[26:27], v[32:33], v[30:31]
	v_div_fmas_f64 v[26:27], v[26:27], v[28:29], v[32:33]
	v_div_fixup_f64 v[24:25], v[26:27], v[24:25], 1.0
	ds_write_b64 v40, v[24:25]
.LBB113_239:
	s_or_b64 exec, exec, s[2:3]
	s_waitcnt lgkmcnt(0)
	s_barrier
	ds_read_b64 v[24:25], v40
	v_cmp_lt_u32_e32 vcc, 47, v42
	s_and_saveexec_b64 s[2:3], vcc
	s_cbranch_execz .LBB113_241
; %bb.240:
	ds_read2_b64 v[26:29], v41 offset0:48 offset1:49
	s_waitcnt lgkmcnt(1)
	v_mul_f64 v[126:127], v[24:25], v[126:127]
	s_waitcnt lgkmcnt(0)
	v_fma_f64 v[180:181], -v[126:127], v[26:27], v[180:181]
	v_fma_f64 v[124:125], -v[126:127], v[28:29], v[124:125]
	ds_read2_b64 v[26:29], v41 offset0:50 offset1:51
	s_waitcnt lgkmcnt(0)
	v_fma_f64 v[178:179], -v[126:127], v[26:27], v[178:179]
	v_fma_f64 v[122:123], -v[126:127], v[28:29], v[122:123]
	ds_read2_b64 v[26:29], v41 offset0:52 offset1:53
	;; [unrolled: 4-line block ×3, first 2 shown]
	s_waitcnt lgkmcnt(0)
	v_fma_f64 v[174:175], -v[126:127], v[26:27], v[174:175]
	ds_read_b64 v[26:27], v41 offset:448
	v_fma_f64 v[118:119], -v[126:127], v[28:29], v[118:119]
	s_waitcnt lgkmcnt(0)
	v_fma_f64 v[228:229], -v[126:127], v[26:27], v[228:229]
.LBB113_241:
	s_or_b64 exec, exec, s[2:3]
	v_cmp_eq_u32_e32 vcc, 48, v42
	s_waitcnt lgkmcnt(0)
	s_barrier
	s_and_saveexec_b64 s[2:3], vcc
	s_cbranch_execz .LBB113_244
; %bb.242:
	ds_write_b64 v40, v[180:181]
	ds_write2_b64 v41, v[124:125], v[178:179] offset0:49 offset1:50
	ds_write2_b64 v41, v[122:123], v[176:177] offset0:51 offset1:52
	;; [unrolled: 1-line block ×4, first 2 shown]
	ds_read_b64 v[26:27], v40
	s_waitcnt lgkmcnt(0)
	v_cmp_neq_f64_e32 vcc, 0, v[26:27]
	s_and_b64 exec, exec, vcc
	s_cbranch_execz .LBB113_244
; %bb.243:
	v_div_scale_f64 v[28:29], s[6:7], v[26:27], v[26:27], 1.0
	v_rcp_f64_e32 v[30:31], v[28:29]
	v_div_scale_f64 v[32:33], vcc, 1.0, v[26:27], 1.0
	v_fma_f64 v[34:35], -v[28:29], v[30:31], 1.0
	v_fmac_f64_e32 v[30:31], v[30:31], v[34:35]
	v_fma_f64 v[34:35], -v[28:29], v[30:31], 1.0
	v_fmac_f64_e32 v[30:31], v[30:31], v[34:35]
	v_mul_f64 v[34:35], v[32:33], v[30:31]
	v_fma_f64 v[28:29], -v[28:29], v[34:35], v[32:33]
	v_div_fmas_f64 v[28:29], v[28:29], v[30:31], v[34:35]
	v_div_fixup_f64 v[26:27], v[28:29], v[26:27], 1.0
	ds_write_b64 v40, v[26:27]
.LBB113_244:
	s_or_b64 exec, exec, s[2:3]
	s_waitcnt lgkmcnt(0)
	s_barrier
	ds_read_b64 v[26:27], v40
	v_cmp_lt_u32_e32 vcc, 48, v42
	s_and_saveexec_b64 s[2:3], vcc
	s_cbranch_execz .LBB113_246
; %bb.245:
	ds_read2_b64 v[28:31], v41 offset0:49 offset1:50
	s_waitcnt lgkmcnt(1)
	v_mul_f64 v[180:181], v[26:27], v[180:181]
	s_waitcnt lgkmcnt(0)
	v_fma_f64 v[124:125], -v[180:181], v[28:29], v[124:125]
	v_fma_f64 v[178:179], -v[180:181], v[30:31], v[178:179]
	ds_read2_b64 v[28:31], v41 offset0:51 offset1:52
	s_waitcnt lgkmcnt(0)
	v_fma_f64 v[122:123], -v[180:181], v[28:29], v[122:123]
	v_fma_f64 v[176:177], -v[180:181], v[30:31], v[176:177]
	ds_read2_b64 v[28:31], v41 offset0:53 offset1:54
	;; [unrolled: 4-line block ×3, first 2 shown]
	s_waitcnt lgkmcnt(0)
	v_fma_f64 v[118:119], -v[180:181], v[28:29], v[118:119]
	v_fma_f64 v[228:229], -v[180:181], v[30:31], v[228:229]
.LBB113_246:
	s_or_b64 exec, exec, s[2:3]
	v_cmp_eq_u32_e32 vcc, 49, v42
	s_waitcnt lgkmcnt(0)
	s_barrier
	s_and_saveexec_b64 s[2:3], vcc
	s_cbranch_execz .LBB113_249
; %bb.247:
	v_mov_b32_e32 v28, v178
	v_mov_b32_e32 v29, v179
	;; [unrolled: 1-line block ×4, first 2 shown]
	ds_write_b64 v40, v[124:125]
	ds_write2_b64 v41, v[28:29], v[30:31] offset0:50 offset1:51
	v_mov_b32_e32 v28, v176
	v_mov_b32_e32 v29, v177
	;; [unrolled: 1-line block ×4, first 2 shown]
	ds_write2_b64 v41, v[28:29], v[30:31] offset0:52 offset1:53
	v_mov_b32_e32 v28, v174
	v_mov_b32_e32 v29, v175
	;; [unrolled: 1-line block ×4, first 2 shown]
	ds_write2_b64 v41, v[28:29], v[30:31] offset0:54 offset1:55
	ds_write_b64 v41, v[228:229] offset:448
	ds_read_b64 v[28:29], v40
	s_waitcnt lgkmcnt(0)
	v_cmp_neq_f64_e32 vcc, 0, v[28:29]
	s_and_b64 exec, exec, vcc
	s_cbranch_execz .LBB113_249
; %bb.248:
	v_div_scale_f64 v[30:31], s[6:7], v[28:29], v[28:29], 1.0
	v_rcp_f64_e32 v[32:33], v[30:31]
	v_div_scale_f64 v[34:35], vcc, 1.0, v[28:29], 1.0
	v_fma_f64 v[36:37], -v[30:31], v[32:33], 1.0
	v_fmac_f64_e32 v[32:33], v[32:33], v[36:37]
	v_fma_f64 v[36:37], -v[30:31], v[32:33], 1.0
	v_fmac_f64_e32 v[32:33], v[32:33], v[36:37]
	v_mul_f64 v[36:37], v[34:35], v[32:33]
	v_fma_f64 v[30:31], -v[30:31], v[36:37], v[34:35]
	v_div_fmas_f64 v[30:31], v[30:31], v[32:33], v[36:37]
	v_div_fixup_f64 v[28:29], v[30:31], v[28:29], 1.0
	ds_write_b64 v40, v[28:29]
.LBB113_249:
	s_or_b64 exec, exec, s[2:3]
	s_waitcnt lgkmcnt(0)
	s_barrier
	ds_read_b64 v[28:29], v40
	v_cmp_lt_u32_e32 vcc, 49, v42
	s_and_saveexec_b64 s[2:3], vcc
	s_cbranch_execz .LBB113_251
; %bb.250:
	ds_read2_b64 v[30:33], v41 offset0:50 offset1:51
	s_waitcnt lgkmcnt(1)
	v_mul_f64 v[124:125], v[28:29], v[124:125]
	s_waitcnt lgkmcnt(0)
	v_fma_f64 v[178:179], -v[124:125], v[30:31], v[178:179]
	v_fma_f64 v[122:123], -v[124:125], v[32:33], v[122:123]
	ds_read2_b64 v[30:33], v41 offset0:52 offset1:53
	s_waitcnt lgkmcnt(0)
	v_fma_f64 v[176:177], -v[124:125], v[30:31], v[176:177]
	v_fma_f64 v[120:121], -v[124:125], v[32:33], v[120:121]
	ds_read2_b64 v[30:33], v41 offset0:54 offset1:55
	s_waitcnt lgkmcnt(0)
	v_fma_f64 v[174:175], -v[124:125], v[30:31], v[174:175]
	ds_read_b64 v[30:31], v41 offset:448
	v_fma_f64 v[118:119], -v[124:125], v[32:33], v[118:119]
	s_waitcnt lgkmcnt(0)
	v_fma_f64 v[228:229], -v[124:125], v[30:31], v[228:229]
.LBB113_251:
	s_or_b64 exec, exec, s[2:3]
	v_cmp_eq_u32_e32 vcc, 50, v42
	s_waitcnt lgkmcnt(0)
	s_barrier
	s_and_saveexec_b64 s[2:3], vcc
	s_cbranch_execz .LBB113_254
; %bb.252:
	ds_write_b64 v40, v[178:179]
	ds_write2_b64 v41, v[122:123], v[176:177] offset0:51 offset1:52
	ds_write2_b64 v41, v[120:121], v[174:175] offset0:53 offset1:54
	;; [unrolled: 1-line block ×3, first 2 shown]
	ds_read_b64 v[30:31], v40
	s_waitcnt lgkmcnt(0)
	v_cmp_neq_f64_e32 vcc, 0, v[30:31]
	s_and_b64 exec, exec, vcc
	s_cbranch_execz .LBB113_254
; %bb.253:
	v_div_scale_f64 v[32:33], s[6:7], v[30:31], v[30:31], 1.0
	v_rcp_f64_e32 v[34:35], v[32:33]
	v_div_scale_f64 v[36:37], vcc, 1.0, v[30:31], 1.0
	v_fma_f64 v[38:39], -v[32:33], v[34:35], 1.0
	v_fmac_f64_e32 v[34:35], v[34:35], v[38:39]
	v_fma_f64 v[38:39], -v[32:33], v[34:35], 1.0
	v_fmac_f64_e32 v[34:35], v[34:35], v[38:39]
	v_mul_f64 v[38:39], v[36:37], v[34:35]
	v_fma_f64 v[32:33], -v[32:33], v[38:39], v[36:37]
	v_div_fmas_f64 v[32:33], v[32:33], v[34:35], v[38:39]
	v_div_fixup_f64 v[30:31], v[32:33], v[30:31], 1.0
	ds_write_b64 v40, v[30:31]
.LBB113_254:
	s_or_b64 exec, exec, s[2:3]
	s_waitcnt lgkmcnt(0)
	s_barrier
	ds_read_b64 v[30:31], v40
	v_cmp_lt_u32_e32 vcc, 50, v42
	s_and_saveexec_b64 s[2:3], vcc
	s_cbranch_execz .LBB113_256
; %bb.255:
	ds_read2_b64 v[32:35], v41 offset0:51 offset1:52
	s_waitcnt lgkmcnt(1)
	v_mul_f64 v[178:179], v[30:31], v[178:179]
	s_waitcnt lgkmcnt(0)
	v_fma_f64 v[122:123], -v[178:179], v[32:33], v[122:123]
	v_fma_f64 v[176:177], -v[178:179], v[34:35], v[176:177]
	ds_read2_b64 v[32:35], v41 offset0:53 offset1:54
	s_waitcnt lgkmcnt(0)
	v_fma_f64 v[120:121], -v[178:179], v[32:33], v[120:121]
	v_fma_f64 v[174:175], -v[178:179], v[34:35], v[174:175]
	ds_read2_b64 v[32:35], v41 offset0:55 offset1:56
	s_waitcnt lgkmcnt(0)
	v_fma_f64 v[118:119], -v[178:179], v[32:33], v[118:119]
	v_fma_f64 v[228:229], -v[178:179], v[34:35], v[228:229]
.LBB113_256:
	s_or_b64 exec, exec, s[2:3]
	v_cmp_eq_u32_e32 vcc, 51, v42
	s_waitcnt lgkmcnt(0)
	s_barrier
	s_and_saveexec_b64 s[2:3], vcc
	s_cbranch_execz .LBB113_259
; %bb.257:
	v_mov_b32_e32 v32, v176
	v_mov_b32_e32 v33, v177
	;; [unrolled: 1-line block ×4, first 2 shown]
	ds_write_b64 v40, v[122:123]
	ds_write2_b64 v41, v[32:33], v[34:35] offset0:52 offset1:53
	v_mov_b32_e32 v32, v174
	v_mov_b32_e32 v33, v175
	;; [unrolled: 1-line block ×4, first 2 shown]
	ds_write2_b64 v41, v[32:33], v[34:35] offset0:54 offset1:55
	ds_write_b64 v41, v[228:229] offset:448
	ds_read_b64 v[32:33], v40
	s_waitcnt lgkmcnt(0)
	v_cmp_neq_f64_e32 vcc, 0, v[32:33]
	s_and_b64 exec, exec, vcc
	s_cbranch_execz .LBB113_259
; %bb.258:
	v_div_scale_f64 v[34:35], s[6:7], v[32:33], v[32:33], 1.0
	v_rcp_f64_e32 v[36:37], v[34:35]
	v_div_scale_f64 v[38:39], vcc, 1.0, v[32:33], 1.0
	v_fma_f64 v[44:45], -v[34:35], v[36:37], 1.0
	v_fmac_f64_e32 v[36:37], v[36:37], v[44:45]
	v_fma_f64 v[44:45], -v[34:35], v[36:37], 1.0
	v_fmac_f64_e32 v[36:37], v[36:37], v[44:45]
	v_mul_f64 v[44:45], v[38:39], v[36:37]
	v_fma_f64 v[34:35], -v[34:35], v[44:45], v[38:39]
	v_div_fmas_f64 v[34:35], v[34:35], v[36:37], v[44:45]
	v_div_fixup_f64 v[32:33], v[34:35], v[32:33], 1.0
	ds_write_b64 v40, v[32:33]
.LBB113_259:
	s_or_b64 exec, exec, s[2:3]
	s_waitcnt lgkmcnt(0)
	s_barrier
	ds_read_b64 v[32:33], v40
	v_cmp_lt_u32_e32 vcc, 51, v42
	s_and_saveexec_b64 s[2:3], vcc
	s_cbranch_execz .LBB113_261
; %bb.260:
	ds_read2_b64 v[34:37], v41 offset0:52 offset1:53
	s_waitcnt lgkmcnt(1)
	v_mul_f64 v[122:123], v[32:33], v[122:123]
	s_waitcnt lgkmcnt(0)
	v_fma_f64 v[176:177], -v[122:123], v[34:35], v[176:177]
	v_fma_f64 v[120:121], -v[122:123], v[36:37], v[120:121]
	ds_read2_b64 v[34:37], v41 offset0:54 offset1:55
	s_waitcnt lgkmcnt(0)
	v_fma_f64 v[174:175], -v[122:123], v[34:35], v[174:175]
	ds_read_b64 v[34:35], v41 offset:448
	v_fma_f64 v[118:119], -v[122:123], v[36:37], v[118:119]
	s_waitcnt lgkmcnt(0)
	v_fma_f64 v[228:229], -v[122:123], v[34:35], v[228:229]
.LBB113_261:
	s_or_b64 exec, exec, s[2:3]
	v_cmp_eq_u32_e32 vcc, 52, v42
	s_waitcnt lgkmcnt(0)
	s_barrier
	s_and_saveexec_b64 s[2:3], vcc
	s_cbranch_execz .LBB113_264
; %bb.262:
	ds_write_b64 v40, v[176:177]
	ds_write2_b64 v41, v[120:121], v[174:175] offset0:53 offset1:54
	ds_write2_b64 v41, v[118:119], v[228:229] offset0:55 offset1:56
	ds_read_b64 v[34:35], v40
	s_waitcnt lgkmcnt(0)
	v_cmp_neq_f64_e32 vcc, 0, v[34:35]
	s_and_b64 exec, exec, vcc
	s_cbranch_execz .LBB113_264
; %bb.263:
	v_div_scale_f64 v[36:37], s[6:7], v[34:35], v[34:35], 1.0
	v_rcp_f64_e32 v[38:39], v[36:37]
	v_div_scale_f64 v[44:45], vcc, 1.0, v[34:35], 1.0
	v_fma_f64 v[46:47], -v[36:37], v[38:39], 1.0
	v_fmac_f64_e32 v[38:39], v[38:39], v[46:47]
	v_fma_f64 v[46:47], -v[36:37], v[38:39], 1.0
	v_fmac_f64_e32 v[38:39], v[38:39], v[46:47]
	v_mul_f64 v[46:47], v[44:45], v[38:39]
	v_fma_f64 v[36:37], -v[36:37], v[46:47], v[44:45]
	v_div_fmas_f64 v[36:37], v[36:37], v[38:39], v[46:47]
	v_div_fixup_f64 v[34:35], v[36:37], v[34:35], 1.0
	ds_write_b64 v40, v[34:35]
.LBB113_264:
	s_or_b64 exec, exec, s[2:3]
	s_waitcnt lgkmcnt(0)
	s_barrier
	ds_read_b64 v[248:249], v40
	v_cmp_lt_u32_e32 vcc, 52, v42
	s_and_saveexec_b64 s[2:3], vcc
	s_cbranch_execz .LBB113_266
; %bb.265:
	ds_read2_b64 v[34:37], v41 offset0:53 offset1:54
	s_waitcnt lgkmcnt(1)
	v_mul_f64 v[176:177], v[248:249], v[176:177]
	s_waitcnt lgkmcnt(0)
	v_fma_f64 v[120:121], -v[176:177], v[34:35], v[120:121]
	v_fma_f64 v[174:175], -v[176:177], v[36:37], v[174:175]
	ds_read2_b64 v[34:37], v41 offset0:55 offset1:56
	s_waitcnt lgkmcnt(0)
	v_fma_f64 v[118:119], -v[176:177], v[34:35], v[118:119]
	v_fma_f64 v[228:229], -v[176:177], v[36:37], v[228:229]
.LBB113_266:
	s_or_b64 exec, exec, s[2:3]
	v_cmp_eq_u32_e32 vcc, 53, v42
	s_waitcnt lgkmcnt(0)
	s_barrier
	s_and_saveexec_b64 s[2:3], vcc
	s_cbranch_execz .LBB113_269
; %bb.267:
	v_mov_b32_e32 v34, v174
	v_mov_b32_e32 v35, v175
	;; [unrolled: 1-line block ×4, first 2 shown]
	ds_write_b64 v40, v[120:121]
	ds_write2_b64 v41, v[34:35], v[36:37] offset0:54 offset1:55
	ds_write_b64 v41, v[228:229] offset:448
	ds_read_b64 v[34:35], v40
	s_waitcnt lgkmcnt(0)
	v_cmp_neq_f64_e32 vcc, 0, v[34:35]
	s_and_b64 exec, exec, vcc
	s_cbranch_execz .LBB113_269
; %bb.268:
	v_div_scale_f64 v[36:37], s[6:7], v[34:35], v[34:35], 1.0
	v_rcp_f64_e32 v[38:39], v[36:37]
	v_div_scale_f64 v[44:45], vcc, 1.0, v[34:35], 1.0
	v_fma_f64 v[46:47], -v[36:37], v[38:39], 1.0
	v_fmac_f64_e32 v[38:39], v[38:39], v[46:47]
	v_fma_f64 v[46:47], -v[36:37], v[38:39], 1.0
	v_fmac_f64_e32 v[38:39], v[38:39], v[46:47]
	v_mul_f64 v[46:47], v[44:45], v[38:39]
	v_fma_f64 v[36:37], -v[36:37], v[46:47], v[44:45]
	v_div_fmas_f64 v[36:37], v[36:37], v[38:39], v[46:47]
	v_div_fixup_f64 v[34:35], v[36:37], v[34:35], 1.0
	ds_write_b64 v40, v[34:35]
.LBB113_269:
	s_or_b64 exec, exec, s[2:3]
	s_waitcnt lgkmcnt(0)
	s_barrier
	ds_read_b64 v[34:35], v40
	v_cmp_lt_u32_e32 vcc, 53, v42
	s_and_saveexec_b64 s[2:3], vcc
	s_cbranch_execz .LBB113_271
; %bb.270:
	ds_read2_b64 v[36:39], v41 offset0:54 offset1:55
	s_waitcnt lgkmcnt(1)
	v_mul_f64 v[120:121], v[34:35], v[120:121]
	s_waitcnt lgkmcnt(0)
	v_fma_f64 v[174:175], -v[120:121], v[36:37], v[174:175]
	ds_read_b64 v[36:37], v41 offset:448
	v_fma_f64 v[118:119], -v[120:121], v[38:39], v[118:119]
	s_waitcnt lgkmcnt(0)
	v_fma_f64 v[228:229], -v[120:121], v[36:37], v[228:229]
.LBB113_271:
	s_or_b64 exec, exec, s[2:3]
	v_cmp_eq_u32_e32 vcc, 54, v42
	s_waitcnt lgkmcnt(0)
	s_barrier
	s_and_saveexec_b64 s[2:3], vcc
	s_cbranch_execz .LBB113_274
; %bb.272:
	ds_write_b64 v40, v[174:175]
	ds_write2_b64 v41, v[118:119], v[228:229] offset0:55 offset1:56
	ds_read_b64 v[36:37], v40
	s_waitcnt lgkmcnt(0)
	v_cmp_neq_f64_e32 vcc, 0, v[36:37]
	s_and_b64 exec, exec, vcc
	s_cbranch_execz .LBB113_274
; %bb.273:
	v_div_scale_f64 v[38:39], s[6:7], v[36:37], v[36:37], 1.0
	v_rcp_f64_e32 v[44:45], v[38:39]
	v_pk_mov_b32 v[2:3], v[48:49], v[48:49] op_sel:[0,1]
	v_div_scale_f64 v[46:47], vcc, 1.0, v[36:37], 1.0
	v_fma_f64 v[48:49], -v[38:39], v[44:45], 1.0
	v_fmac_f64_e32 v[44:45], v[44:45], v[48:49]
	v_fma_f64 v[48:49], -v[38:39], v[44:45], 1.0
	v_fmac_f64_e32 v[44:45], v[44:45], v[48:49]
	v_mul_f64 v[48:49], v[46:47], v[44:45]
	v_fma_f64 v[38:39], -v[38:39], v[48:49], v[46:47]
	v_div_fmas_f64 v[38:39], v[38:39], v[44:45], v[48:49]
	v_pk_mov_b32 v[48:49], v[2:3], v[2:3] op_sel:[0,1]
	v_div_fixup_f64 v[36:37], v[38:39], v[36:37], 1.0
	ds_write_b64 v40, v[36:37]
.LBB113_274:
	s_or_b64 exec, exec, s[2:3]
	s_waitcnt lgkmcnt(0)
	s_barrier
	ds_read_b64 v[36:37], v40
	v_cmp_lt_u32_e32 vcc, 54, v42
	s_and_saveexec_b64 s[2:3], vcc
	s_cbranch_execz .LBB113_276
; %bb.275:
	ds_read2_b64 v[44:47], v41 offset0:55 offset1:56
	s_waitcnt lgkmcnt(1)
	v_mul_f64 v[174:175], v[36:37], v[174:175]
	s_waitcnt lgkmcnt(0)
	v_fma_f64 v[118:119], -v[174:175], v[44:45], v[118:119]
	v_fma_f64 v[228:229], -v[174:175], v[46:47], v[228:229]
.LBB113_276:
	s_or_b64 exec, exec, s[2:3]
	v_cmp_eq_u32_e32 vcc, 55, v42
	s_waitcnt lgkmcnt(0)
	s_barrier
	s_and_saveexec_b64 s[2:3], vcc
	s_cbranch_execz .LBB113_279
; %bb.277:
	ds_write_b64 v40, v[118:119]
	ds_write_b64 v41, v[228:229] offset:448
	ds_read_b64 v[38:39], v40
	s_waitcnt lgkmcnt(0)
	v_cmp_neq_f64_e32 vcc, 0, v[38:39]
	s_and_b64 exec, exec, vcc
	s_cbranch_execz .LBB113_279
; %bb.278:
	v_div_scale_f64 v[44:45], s[6:7], v[38:39], v[38:39], 1.0
	v_rcp_f64_e32 v[46:47], v[44:45]
	v_pk_mov_b32 v[2:3], v[236:237], v[236:237] op_sel:[0,1]
	v_pk_mov_b32 v[236:237], v[234:235], v[234:235] op_sel:[0,1]
	;; [unrolled: 1-line block ×39, first 2 shown]
	v_fma_f64 v[50:51], -v[44:45], v[46:47], 1.0
	v_fmac_f64_e32 v[46:47], v[46:47], v[50:51]
	v_fma_f64 v[50:51], -v[44:45], v[46:47], 1.0
	v_pk_mov_b32 v[0:1], v[246:247], v[246:247] op_sel:[0,1]
	v_pk_mov_b32 v[246:247], v[244:245], v[244:245] op_sel:[0,1]
	;; [unrolled: 1-line block ×6, first 2 shown]
	v_div_scale_f64 v[48:49], vcc, 1.0, v[38:39], 1.0
	v_fmac_f64_e32 v[46:47], v[46:47], v[50:51]
	v_mul_f64 v[50:51], v[48:49], v[46:47]
	v_fma_f64 v[44:45], -v[44:45], v[50:51], v[48:49]
	s_nop 0
	v_div_fmas_f64 v[44:45], v[44:45], v[46:47], v[50:51]
	v_pk_mov_b32 v[48:49], v[238:239], v[238:239] op_sel:[0,1]
	v_pk_mov_b32 v[238:239], v[240:241], v[240:241] op_sel:[0,1]
	;; [unrolled: 1-line block ×45, first 2 shown]
	v_div_fixup_f64 v[38:39], v[44:45], v[38:39], 1.0
	ds_write_b64 v40, v[38:39]
.LBB113_279:
	s_or_b64 exec, exec, s[2:3]
	s_waitcnt lgkmcnt(0)
	s_barrier
	ds_read_b64 v[38:39], v40
	v_cmp_lt_u32_e32 vcc, 55, v42
	s_and_saveexec_b64 s[2:3], vcc
	s_cbranch_execz .LBB113_281
; %bb.280:
	ds_read_b64 v[44:45], v41 offset:448
	s_waitcnt lgkmcnt(1)
	v_mul_f64 v[118:119], v[38:39], v[118:119]
	s_waitcnt lgkmcnt(0)
	v_fma_f64 v[228:229], -v[118:119], v[44:45], v[228:229]
.LBB113_281:
	s_or_b64 exec, exec, s[2:3]
	v_cmp_eq_u32_e32 vcc, 56, v42
	s_waitcnt lgkmcnt(0)
	s_barrier
	s_and_saveexec_b64 s[2:3], vcc
	s_cbranch_execz .LBB113_284
; %bb.282:
	v_cmp_neq_f64_e32 vcc, 0, v[228:229]
	ds_write_b64 v40, v[228:229]
	s_and_b64 exec, exec, vcc
	s_cbranch_execz .LBB113_284
; %bb.283:
	v_div_scale_f64 v[44:45], s[6:7], v[228:229], v[228:229], 1.0
	v_rcp_f64_e32 v[46:47], v[44:45]
	v_pk_mov_b32 v[2:3], v[236:237], v[236:237] op_sel:[0,1]
	v_pk_mov_b32 v[236:237], v[234:235], v[234:235] op_sel:[0,1]
	;; [unrolled: 1-line block ×40, first 2 shown]
	v_fma_f64 v[50:51], -v[44:45], v[46:47], 1.0
	v_fmac_f64_e32 v[46:47], v[46:47], v[50:51]
	v_fma_f64 v[50:51], -v[44:45], v[46:47], 1.0
	v_pk_mov_b32 v[0:1], v[246:247], v[246:247] op_sel:[0,1]
	v_pk_mov_b32 v[246:247], v[244:245], v[244:245] op_sel:[0,1]
	;; [unrolled: 1-line block ×6, first 2 shown]
	v_div_scale_f64 v[48:49], vcc, 1.0, v[228:229], 1.0
	v_fmac_f64_e32 v[46:47], v[46:47], v[50:51]
	v_mul_f64 v[50:51], v[48:49], v[46:47]
	v_fma_f64 v[44:45], -v[44:45], v[50:51], v[48:49]
	s_nop 0
	v_div_fmas_f64 v[44:45], v[44:45], v[46:47], v[50:51]
	v_pk_mov_b32 v[48:49], v[238:239], v[238:239] op_sel:[0,1]
	v_pk_mov_b32 v[238:239], v[240:241], v[240:241] op_sel:[0,1]
	v_pk_mov_b32 v[240:241], v[242:243], v[242:243] op_sel:[0,1]
	v_pk_mov_b32 v[242:243], v[244:245], v[244:245] op_sel:[0,1]
	v_pk_mov_b32 v[244:245], v[246:247], v[246:247] op_sel:[0,1]
	v_pk_mov_b32 v[246:247], v[0:1], v[0:1] op_sel:[0,1]
	v_pk_mov_b32 v[50:51], v[52:53], v[52:53] op_sel:[0,1]
	v_pk_mov_b32 v[52:53], v[54:55], v[54:55] op_sel:[0,1]
	v_pk_mov_b32 v[54:55], v[56:57], v[56:57] op_sel:[0,1]
	v_pk_mov_b32 v[56:57], v[58:59], v[58:59] op_sel:[0,1]
	v_pk_mov_b32 v[58:59], v[60:61], v[60:61] op_sel:[0,1]
	v_pk_mov_b32 v[60:61], v[62:63], v[62:63] op_sel:[0,1]
	v_pk_mov_b32 v[62:63], v[64:65], v[64:65] op_sel:[0,1]
	v_pk_mov_b32 v[64:65], v[66:67], v[66:67] op_sel:[0,1]
	v_pk_mov_b32 v[66:67], v[68:69], v[68:69] op_sel:[0,1]
	v_pk_mov_b32 v[68:69], v[70:71], v[70:71] op_sel:[0,1]
	v_pk_mov_b32 v[70:71], v[72:73], v[72:73] op_sel:[0,1]
	v_pk_mov_b32 v[72:73], v[74:75], v[74:75] op_sel:[0,1]
	v_pk_mov_b32 v[74:75], v[76:77], v[76:77] op_sel:[0,1]
	v_pk_mov_b32 v[76:77], v[78:79], v[78:79] op_sel:[0,1]
	v_pk_mov_b32 v[78:79], v[80:81], v[80:81] op_sel:[0,1]
	v_pk_mov_b32 v[80:81], v[82:83], v[82:83] op_sel:[0,1]
	v_pk_mov_b32 v[82:83], v[84:85], v[84:85] op_sel:[0,1]
	v_pk_mov_b32 v[84:85], v[86:87], v[86:87] op_sel:[0,1]
	v_pk_mov_b32 v[86:87], v[88:89], v[88:89] op_sel:[0,1]
	v_pk_mov_b32 v[88:89], v[90:91], v[90:91] op_sel:[0,1]
	v_pk_mov_b32 v[90:91], v[92:93], v[92:93] op_sel:[0,1]
	v_pk_mov_b32 v[92:93], v[94:95], v[94:95] op_sel:[0,1]
	v_pk_mov_b32 v[94:95], v[96:97], v[96:97] op_sel:[0,1]
	v_pk_mov_b32 v[96:97], v[98:99], v[98:99] op_sel:[0,1]
	v_pk_mov_b32 v[98:99], v[100:101], v[100:101] op_sel:[0,1]
	v_pk_mov_b32 v[100:101], v[102:103], v[102:103] op_sel:[0,1]
	v_pk_mov_b32 v[102:103], v[104:105], v[104:105] op_sel:[0,1]
	v_pk_mov_b32 v[104:105], v[106:107], v[106:107] op_sel:[0,1]
	v_pk_mov_b32 v[106:107], v[108:109], v[108:109] op_sel:[0,1]
	v_pk_mov_b32 v[108:109], v[110:111], v[110:111] op_sel:[0,1]
	v_pk_mov_b32 v[110:111], v[114:115], v[114:115] op_sel:[0,1]
	v_pk_mov_b32 v[114:115], v[250:251], v[250:251] op_sel:[0,1]
	v_pk_mov_b32 v[250:251], v[252:253], v[252:253] op_sel:[0,1]
	v_pk_mov_b32 v[252:253], v[254:255], v[254:255] op_sel:[0,1]
	v_pk_mov_b32 v[254:255], v[230:231], v[230:231] op_sel:[0,1]
	v_pk_mov_b32 v[230:231], v[232:233], v[232:233] op_sel:[0,1]
	v_pk_mov_b32 v[232:233], v[112:113], v[112:113] op_sel:[0,1]
	v_pk_mov_b32 v[112:113], v[234:235], v[234:235] op_sel:[0,1]
	v_pk_mov_b32 v[234:235], v[236:237], v[236:237] op_sel:[0,1]
	v_pk_mov_b32 v[236:237], v[2:3], v[2:3] op_sel:[0,1]
	v_div_fixup_f64 v[44:45], v[44:45], v[228:229], 1.0
	ds_write_b64 v40, v[44:45]
.LBB113_284:
	s_or_b64 exec, exec, s[2:3]
	s_waitcnt lgkmcnt(0)
	s_barrier
	ds_read_b64 v[40:41], v40
	s_waitcnt lgkmcnt(0)
	s_barrier
	s_and_saveexec_b64 s[2:3], s[0:1]
	s_cbranch_execz .LBB113_287
; %bb.285:
	buffer_load_dword v0, off, s[16:19], 0 offset:96 ; 4-byte Folded Reload
	buffer_load_dword v1, off, s[16:19], 0 offset:100 ; 4-byte Folded Reload
	s_load_dwordx2 s[4:5], s[4:5], 0x28
	s_waitcnt lgkmcnt(0)
	v_mov_b32_e32 v3, s5
	s_waitcnt vmcnt(0)
	v_cmp_eq_f64_e32 vcc, 0, v[0:1]
	buffer_load_dword v0, off, s[16:19], 0 offset:104 ; 4-byte Folded Reload
	buffer_load_dword v1, off, s[16:19], 0 offset:108 ; 4-byte Folded Reload
	v_cndmask_b32_e64 v43, 0, 1, vcc
	s_waitcnt vmcnt(0)
	v_cmp_neq_f64_e64 s[0:1], 0, v[0:1]
	buffer_load_dword v0, off, s[16:19], 0 offset:112 ; 4-byte Folded Reload
	buffer_load_dword v1, off, s[16:19], 0 offset:116 ; 4-byte Folded Reload
	s_or_b64 vcc, s[0:1], vcc
	v_cndmask_b32_e32 v43, 2, v43, vcc
	v_cmp_eq_u32_e64 s[0:1], 0, v43
	s_waitcnt vmcnt(0)
	v_cmp_eq_f64_e32 vcc, 0, v[0:1]
	buffer_load_dword v0, off, s[16:19], 0 offset:120 ; 4-byte Folded Reload
	buffer_load_dword v1, off, s[16:19], 0 offset:124 ; 4-byte Folded Reload
	s_and_b64 s[0:1], vcc, s[0:1]
	v_cndmask_b32_e64 v43, v43, 3, s[0:1]
	v_cmp_eq_u32_e64 s[0:1], 0, v43
	s_waitcnt vmcnt(0)
	v_cmp_eq_f64_e32 vcc, 0, v[0:1]
	buffer_load_dword v0, off, s[16:19], 0 offset:128 ; 4-byte Folded Reload
	buffer_load_dword v1, off, s[16:19], 0 offset:132 ; 4-byte Folded Reload
	s_and_b64 s[0:1], vcc, s[0:1]
	v_cndmask_b32_e64 v43, v43, 4, s[0:1]
	;; [unrolled: 7-line block ×34, first 2 shown]
	v_cmp_eq_u32_e64 s[0:1], 0, v2
	s_waitcnt vmcnt(0)
	v_cmp_eq_f64_e32 vcc, 0, v[0:1]
	s_and_b64 s[0:1], vcc, s[0:1]
	v_lshlrev_b64 v[0:1], 2, v[50:51]
	v_cndmask_b32_e64 v2, v2, 37, s[0:1]
	v_add_co_u32_e64 v0, s[0:1], s4, v0
	v_addc_co_u32_e64 v1, s[0:1], v3, v1, s[0:1]
	global_load_dword v3, v[0:1], off
	v_cmp_eq_f64_e32 vcc, 0, v[4:5]
	v_cmp_eq_u32_e64 s[0:1], 0, v2
	s_and_b64 s[0:1], vcc, s[0:1]
	v_cndmask_b32_e64 v2, v2, 38, s[0:1]
	v_cmp_eq_f64_e32 vcc, 0, v[6:7]
	v_cmp_eq_u32_e64 s[0:1], 0, v2
	s_and_b64 s[0:1], vcc, s[0:1]
	v_cndmask_b32_e64 v2, v2, 39, s[0:1]
	;; [unrolled: 4-line block ×20, first 2 shown]
	s_waitcnt vmcnt(0)
	v_cmp_eq_u32_e32 vcc, 0, v3
	v_cmp_ne_u32_e64 s[0:1], 0, v2
	s_and_b64 s[0:1], vcc, s[0:1]
	s_and_b64 exec, exec, s[0:1]
	s_cbranch_execz .LBB113_287
; %bb.286:
	v_add_u32_e32 v2, s9, v2
	global_store_dword v[0:1], v2, off
.LBB113_287:
	s_or_b64 exec, exec, s[2:3]
	buffer_load_dword v2, off, s[16:19], 0 offset:80 ; 4-byte Folded Reload
	buffer_load_dword v3, off, s[16:19], 0 offset:84 ; 4-byte Folded Reload
	v_mul_f64 v[0:1], v[40:41], v[228:229]
	v_cmp_lt_u32_e32 vcc, 56, v42
	v_cndmask_b32_e32 v1, v229, v1, vcc
	v_cndmask_b32_e32 v0, v228, v0, vcc
	s_waitcnt vmcnt(0)
	global_store_dwordx2 v[2:3], v[116:117], off
	buffer_load_dword v2, off, s[16:19], 0 offset:88 ; 4-byte Folded Reload
	s_nop 0
	buffer_load_dword v3, off, s[16:19], 0 offset:92 ; 4-byte Folded Reload
	s_waitcnt vmcnt(0)
	global_store_dwordx2 v[2:3], v[172:173], off
	global_store_dwordx2 v[52:53], v[226:227], off
	;; [unrolled: 1-line block ×46, first 2 shown]
	buffer_load_dword v2, off, s[16:19], 0  ; 4-byte Folded Reload
	buffer_load_dword v3, off, s[16:19], 0 offset:4 ; 4-byte Folded Reload
	s_waitcnt vmcnt(0)
	global_store_dwordx2 v[2:3], v[126:127], off
	buffer_load_dword v2, off, s[16:19], 0 offset:8 ; 4-byte Folded Reload
	s_nop 0
	buffer_load_dword v3, off, s[16:19], 0 offset:12 ; 4-byte Folded Reload
	s_waitcnt vmcnt(0)
	global_store_dwordx2 v[2:3], v[180:181], off
	buffer_load_dword v2, off, s[16:19], 0 offset:16 ; 4-byte Folded Reload
	s_nop 0
	;; [unrolled: 5-line block ×9, first 2 shown]
	buffer_load_dword v3, off, s[16:19], 0 offset:76 ; 4-byte Folded Reload
	s_waitcnt vmcnt(0)
	global_store_dwordx2 v[2:3], v[0:1], off
.LBB113_288:
	s_endpgm
	.section	.rodata,"a",@progbits
	.p2align	6, 0x0
	.amdhsa_kernel _ZN9rocsolver6v33100L23getf2_npvt_small_kernelILi57EdiiPKPdEEvT1_T3_lS5_lPT2_S5_S5_
		.amdhsa_group_segment_fixed_size 0
		.amdhsa_private_segment_fixed_size 396
		.amdhsa_kernarg_size 312
		.amdhsa_user_sgpr_count 6
		.amdhsa_user_sgpr_private_segment_buffer 1
		.amdhsa_user_sgpr_dispatch_ptr 0
		.amdhsa_user_sgpr_queue_ptr 0
		.amdhsa_user_sgpr_kernarg_segment_ptr 1
		.amdhsa_user_sgpr_dispatch_id 0
		.amdhsa_user_sgpr_flat_scratch_init 0
		.amdhsa_user_sgpr_kernarg_preload_length 0
		.amdhsa_user_sgpr_kernarg_preload_offset 0
		.amdhsa_user_sgpr_private_segment_size 0
		.amdhsa_uses_dynamic_stack 0
		.amdhsa_system_sgpr_private_segment_wavefront_offset 1
		.amdhsa_system_sgpr_workgroup_id_x 1
		.amdhsa_system_sgpr_workgroup_id_y 1
		.amdhsa_system_sgpr_workgroup_id_z 0
		.amdhsa_system_sgpr_workgroup_info 0
		.amdhsa_system_vgpr_workitem_id 1
		.amdhsa_next_free_vgpr 256
		.amdhsa_next_free_sgpr 20
		.amdhsa_accum_offset 256
		.amdhsa_reserve_vcc 1
		.amdhsa_reserve_flat_scratch 0
		.amdhsa_float_round_mode_32 0
		.amdhsa_float_round_mode_16_64 0
		.amdhsa_float_denorm_mode_32 3
		.amdhsa_float_denorm_mode_16_64 3
		.amdhsa_dx10_clamp 1
		.amdhsa_ieee_mode 1
		.amdhsa_fp16_overflow 0
		.amdhsa_tg_split 0
		.amdhsa_exception_fp_ieee_invalid_op 0
		.amdhsa_exception_fp_denorm_src 0
		.amdhsa_exception_fp_ieee_div_zero 0
		.amdhsa_exception_fp_ieee_overflow 0
		.amdhsa_exception_fp_ieee_underflow 0
		.amdhsa_exception_fp_ieee_inexact 0
		.amdhsa_exception_int_div_zero 0
	.end_amdhsa_kernel
	.section	.text._ZN9rocsolver6v33100L23getf2_npvt_small_kernelILi57EdiiPKPdEEvT1_T3_lS5_lPT2_S5_S5_,"axG",@progbits,_ZN9rocsolver6v33100L23getf2_npvt_small_kernelILi57EdiiPKPdEEvT1_T3_lS5_lPT2_S5_S5_,comdat
.Lfunc_end113:
	.size	_ZN9rocsolver6v33100L23getf2_npvt_small_kernelILi57EdiiPKPdEEvT1_T3_lS5_lPT2_S5_S5_, .Lfunc_end113-_ZN9rocsolver6v33100L23getf2_npvt_small_kernelILi57EdiiPKPdEEvT1_T3_lS5_lPT2_S5_S5_
                                        ; -- End function
	.section	.AMDGPU.csdata,"",@progbits
; Kernel info:
; codeLenInByte = 55272
; NumSgprs: 24
; NumVgprs: 256
; NumAgprs: 0
; TotalNumVgprs: 256
; ScratchSize: 396
; MemoryBound: 0
; FloatMode: 240
; IeeeMode: 1
; LDSByteSize: 0 bytes/workgroup (compile time only)
; SGPRBlocks: 2
; VGPRBlocks: 31
; NumSGPRsForWavesPerEU: 24
; NumVGPRsForWavesPerEU: 256
; AccumOffset: 256
; Occupancy: 2
; WaveLimiterHint : 1
; COMPUTE_PGM_RSRC2:SCRATCH_EN: 1
; COMPUTE_PGM_RSRC2:USER_SGPR: 6
; COMPUTE_PGM_RSRC2:TRAP_HANDLER: 0
; COMPUTE_PGM_RSRC2:TGID_X_EN: 1
; COMPUTE_PGM_RSRC2:TGID_Y_EN: 1
; COMPUTE_PGM_RSRC2:TGID_Z_EN: 0
; COMPUTE_PGM_RSRC2:TIDIG_COMP_CNT: 1
; COMPUTE_PGM_RSRC3_GFX90A:ACCUM_OFFSET: 63
; COMPUTE_PGM_RSRC3_GFX90A:TG_SPLIT: 0
	.section	.text._ZN9rocsolver6v33100L18getf2_small_kernelILi58EdiiPKPdEEvT1_T3_lS5_lPS5_llPT2_S5_S5_S7_l,"axG",@progbits,_ZN9rocsolver6v33100L18getf2_small_kernelILi58EdiiPKPdEEvT1_T3_lS5_lPS5_llPT2_S5_S5_S7_l,comdat
	.globl	_ZN9rocsolver6v33100L18getf2_small_kernelILi58EdiiPKPdEEvT1_T3_lS5_lPS5_llPT2_S5_S5_S7_l ; -- Begin function _ZN9rocsolver6v33100L18getf2_small_kernelILi58EdiiPKPdEEvT1_T3_lS5_lPS5_llPT2_S5_S5_S7_l
	.p2align	8
	.type	_ZN9rocsolver6v33100L18getf2_small_kernelILi58EdiiPKPdEEvT1_T3_lS5_lPS5_llPT2_S5_S5_S7_l,@function
_ZN9rocsolver6v33100L18getf2_small_kernelILi58EdiiPKPdEEvT1_T3_lS5_lPS5_llPT2_S5_S5_S7_l: ; @_ZN9rocsolver6v33100L18getf2_small_kernelILi58EdiiPKPdEEvT1_T3_lS5_lPS5_llPT2_S5_S5_S7_l
; %bb.0:
	s_load_dword s0, s[4:5], 0x6c
	s_load_dwordx2 s[12:13], s[4:5], 0x48
	v_bfe_u32 v120, v0, 10, 10
	s_waitcnt lgkmcnt(0)
	s_lshr_b32 s0, s0, 16
	s_mul_i32 s7, s7, s0
	v_add_u32_e32 v2, s7, v120
	v_cmp_gt_i32_e32 vcc, s12, v2
	s_and_saveexec_b64 s[0:1], vcc
	s_cbranch_execz .LBB114_983
; %bb.1:
	s_load_dwordx4 s[0:3], s[4:5], 0x8
	s_load_dwordx4 s[8:11], s[4:5], 0x50
	v_ashrrev_i32_e32 v3, 31, v2
	v_lshlrev_b64 v[4:5], 3, v[2:3]
	s_waitcnt lgkmcnt(0)
	v_mov_b32_e32 v1, s1
	v_add_co_u32_e32 v4, vcc, s0, v4
	v_addc_co_u32_e32 v5, vcc, v1, v5, vcc
	global_load_dwordx2 v[6:7], v[4:5], off
	s_cmp_eq_u64 s[8:9], 0
	s_cselect_b64 s[6:7], -1, 0
	s_and_b64 vcc, exec, s[6:7]
	v_pk_mov_b32 v[4:5], 0, 0
	s_cbranch_vccnz .LBB114_3
; %bb.2:
	v_mul_lo_u32 v1, v3, s10
	v_mul_lo_u32 v8, v2, s11
	v_mad_u64_u32 v[4:5], s[0:1], v2, s10, 0
	v_add3_u32 v5, v5, v8, v1
	v_lshlrev_b64 v[4:5], 2, v[4:5]
	v_mov_b32_e32 v1, s9
	v_add_co_u32_e32 v4, vcc, s8, v4
	v_addc_co_u32_e32 v5, vcc, v1, v5, vcc
.LBB114_3:
	s_load_dword s8, s[4:5], 0x18
	s_load_dword s18, s[4:5], 0x0
	s_lshl_b64 s[0:1], s[2:3], 3
	v_and_b32_e32 v128, 0x3ff, v0
	v_mov_b32_e32 v1, s1
	s_waitcnt lgkmcnt(0)
	s_add_i32 s12, s8, s8
	s_waitcnt vmcnt(0)
	v_add_co_u32_e32 v126, vcc, s0, v6
	v_add_u32_e32 v6, s12, v128
	v_addc_co_u32_e32 v127, vcc, v7, v1, vcc
	v_ashrrev_i32_e32 v7, 31, v6
	v_lshlrev_b64 v[0:1], 3, v[6:7]
	v_add_u32_e32 v6, s8, v6
	v_add_co_u32_e32 v0, vcc, v126, v0
	v_ashrrev_i32_e32 v7, 31, v6
	v_addc_co_u32_e32 v1, vcc, v127, v1, vcc
	v_lshlrev_b64 v[8:9], 3, v[6:7]
	v_add_u32_e32 v10, s8, v6
	v_add_co_u32_e32 v8, vcc, v126, v8
	v_ashrrev_i32_e32 v11, 31, v10
	v_addc_co_u32_e32 v9, vcc, v127, v9, vcc
	;; [unrolled: 5-line block ×55, first 2 shown]
	v_lshlrev_b64 v[24:25], 3, v[24:25]
	v_add_co_u32_e32 v180, vcc, v126, v24
	v_addc_co_u32_e32 v181, vcc, v127, v25, vcc
	v_lshlrev_b32_e32 v121, 3, v128
	v_add_co_u32_e32 v24, vcc, v126, v121
	s_ashr_i32 s9, s8, 31
	v_addc_co_u32_e32 v25, vcc, 0, v127, vcc
	s_lshl_b64 s[10:11], s[8:9], 3
	v_mov_b32_e32 v61, s11
	v_add_co_u32_e32 v60, vcc, s10, v24
	v_addc_co_u32_e32 v61, vcc, v25, v61, vcc
	global_load_dwordx2 v[116:117], v[24:25], off
	global_load_dwordx2 v[114:115], v[60:61], off
	;; [unrolled: 1-line block ×29, first 2 shown]
	s_nop 0
	global_load_dwordx2 v[58:59], v[118:119], off
	global_load_dwordx2 v[56:57], v[122:123], off
	;; [unrolled: 1-line block ×29, first 2 shown]
	s_max_i32 s0, s18, 58
	v_mul_lo_u32 v122, s0, v120
	v_lshl_add_u32 v124, v122, 3, 0
	v_add_u32_e32 v120, v124, v121
	s_cmp_lt_i32 s18, 2
	v_lshlrev_b32_e32 v129, 3, v122
	v_mov_b32_e32 v122, 0
	s_waitcnt vmcnt(57)
	ds_write_b64 v120, v[116:117]
	s_waitcnt lgkmcnt(0)
	s_barrier
	ds_read_b64 v[120:121], v124
	s_cbranch_scc1 .LBB114_6
; %bb.4:
	v_add3_u32 v123, v129, 0, 8
	s_mov_b32 s0, 1
	v_mov_b32_e32 v122, 0
.LBB114_5:                              ; =>This Inner Loop Header: Depth=1
	ds_read_b64 v[130:131], v123
	v_mov_b32_e32 v125, s0
	s_add_i32 s0, s0, 1
	v_add_u32_e32 v123, 8, v123
	s_cmp_eq_u32 s18, s0
	s_waitcnt lgkmcnt(0)
	v_cmp_lt_f64_e64 vcc, |v[120:121]|, |v[130:131]|
	v_cndmask_b32_e32 v121, v121, v131, vcc
	v_cndmask_b32_e32 v120, v120, v130, vcc
	;; [unrolled: 1-line block ×3, first 2 shown]
	s_cbranch_scc0 .LBB114_5
.LBB114_6:
	v_cmp_ne_u32_e32 vcc, v128, v122
                                        ; implicit-def: $vgpr125
	s_and_saveexec_b64 s[0:1], vcc
	s_xor_b64 s[0:1], exec, s[0:1]
	s_cbranch_execz .LBB114_12
; %bb.7:
	v_cmp_eq_u32_e32 vcc, 0, v128
	s_and_saveexec_b64 s[2:3], vcc
	s_cbranch_execz .LBB114_11
; %bb.8:
	v_cmp_ne_u32_e32 vcc, 0, v122
	s_xor_b64 s[14:15], s[6:7], -1
	s_and_b64 s[16:17], s[14:15], vcc
	s_and_saveexec_b64 s[14:15], s[16:17]
	s_cbranch_execz .LBB114_10
; %bb.9:
	v_ashrrev_i32_e32 v123, 31, v122
	v_lshlrev_b64 v[130:131], 2, v[122:123]
	v_add_co_u32_e32 v130, vcc, v4, v130
	v_addc_co_u32_e32 v131, vcc, v5, v131, vcc
	flat_load_dword v123, v[130:131]
	flat_load_dword v125, v[4:5]
	s_waitcnt vmcnt(0) lgkmcnt(0)
	flat_store_dword v[4:5], v123
	flat_store_dword v[130:131], v125
.LBB114_10:
	s_or_b64 exec, exec, s[14:15]
	v_mov_b32_e32 v128, v122
.LBB114_11:
	s_or_b64 exec, exec, s[2:3]
	v_mov_b32_e32 v125, v128
                                        ; implicit-def: $vgpr128
.LBB114_12:
	s_or_saveexec_b64 s[0:1], s[0:1]
	v_mov_b32_e32 v123, v125
	s_xor_b64 exec, exec, s[0:1]
	s_cbranch_execz .LBB114_14
; %bb.13:
	v_mov_b32_e32 v125, 0
	v_mov_b32_e32 v123, v128
	s_waitcnt vmcnt(0)
	ds_write2_b64 v124, v[114:115], v[112:113] offset0:1 offset1:2
	ds_write2_b64 v124, v[110:111], v[108:109] offset0:3 offset1:4
	ds_write2_b64 v124, v[106:107], v[104:105] offset0:5 offset1:6
	ds_write2_b64 v124, v[102:103], v[100:101] offset0:7 offset1:8
	ds_write2_b64 v124, v[98:99], v[96:97] offset0:9 offset1:10
	ds_write2_b64 v124, v[94:95], v[92:93] offset0:11 offset1:12
	ds_write2_b64 v124, v[90:91], v[88:89] offset0:13 offset1:14
	ds_write2_b64 v124, v[86:87], v[84:85] offset0:15 offset1:16
	ds_write2_b64 v124, v[82:83], v[80:81] offset0:17 offset1:18
	ds_write2_b64 v124, v[78:79], v[76:77] offset0:19 offset1:20
	ds_write2_b64 v124, v[74:75], v[72:73] offset0:21 offset1:22
	ds_write2_b64 v124, v[70:71], v[68:69] offset0:23 offset1:24
	ds_write2_b64 v124, v[66:67], v[64:65] offset0:25 offset1:26
	ds_write2_b64 v124, v[62:63], v[60:61] offset0:27 offset1:28
	ds_write2_b64 v124, v[58:59], v[56:57] offset0:29 offset1:30
	ds_write2_b64 v124, v[54:55], v[52:53] offset0:31 offset1:32
	ds_write2_b64 v124, v[50:51], v[48:49] offset0:33 offset1:34
	ds_write2_b64 v124, v[46:47], v[44:45] offset0:35 offset1:36
	ds_write2_b64 v124, v[42:43], v[40:41] offset0:37 offset1:38
	ds_write2_b64 v124, v[38:39], v[36:37] offset0:39 offset1:40
	ds_write2_b64 v124, v[34:35], v[32:33] offset0:41 offset1:42
	ds_write2_b64 v124, v[30:31], v[28:29] offset0:43 offset1:44
	ds_write2_b64 v124, v[26:27], v[24:25] offset0:45 offset1:46
	ds_write2_b64 v124, v[22:23], v[20:21] offset0:47 offset1:48
	ds_write2_b64 v124, v[18:19], v[16:17] offset0:49 offset1:50
	ds_write2_b64 v124, v[14:15], v[12:13] offset0:51 offset1:52
	ds_write2_b64 v124, v[10:11], v[8:9] offset0:53 offset1:54
	ds_write2_b64 v124, v[6:7], v[0:1] offset0:55 offset1:56
	ds_write_b64 v124, v[118:119] offset:456
.LBB114_14:
	s_or_b64 exec, exec, s[0:1]
	s_waitcnt lgkmcnt(0)
	v_cmp_eq_f64_e64 s[0:1], 0, v[120:121]
	v_cmp_lt_i32_e32 vcc, 0, v125
	s_barrier
	s_and_saveexec_b64 s[2:3], vcc
	s_cbranch_execz .LBB114_16
; %bb.15:
	v_div_scale_f64 v[130:131], s[14:15], v[120:121], v[120:121], 1.0
	v_rcp_f64_e32 v[132:133], v[130:131]
	v_div_scale_f64 v[134:135], vcc, 1.0, v[120:121], 1.0
	ds_read2_b64 v[138:141], v124 offset0:5 offset1:6
	v_fma_f64 v[136:137], -v[130:131], v[132:133], 1.0
	v_fmac_f64_e32 v[132:133], v[132:133], v[136:137]
	v_fma_f64 v[136:137], -v[130:131], v[132:133], 1.0
	v_fmac_f64_e32 v[132:133], v[132:133], v[136:137]
	v_mul_f64 v[136:137], v[134:135], v[132:133]
	v_fma_f64 v[130:131], -v[130:131], v[136:137], v[134:135]
	v_div_fmas_f64 v[130:131], v[130:131], v[132:133], v[136:137]
	v_div_fixup_f64 v[134:135], v[130:131], v[120:121], 1.0
	ds_read2_b64 v[130:133], v124 offset0:1 offset1:2
	v_cndmask_b32_e64 v121, v135, v121, s[0:1]
	v_cndmask_b32_e64 v120, v134, v120, s[0:1]
	ds_read2_b64 v[134:137], v124 offset0:3 offset1:4
	v_mul_f64 v[116:117], v[120:121], v[116:117]
	s_waitcnt vmcnt(0) lgkmcnt(0)
	v_fma_f64 v[114:115], -v[116:117], v[130:131], v[114:115]
	v_fma_f64 v[112:113], -v[116:117], v[132:133], v[112:113]
	ds_read2_b64 v[130:133], v124 offset0:7 offset1:8
	v_fma_f64 v[110:111], -v[116:117], v[134:135], v[110:111]
	v_fma_f64 v[108:109], -v[116:117], v[136:137], v[108:109]
	;; [unrolled: 1-line block ×3, first 2 shown]
	ds_read2_b64 v[134:137], v124 offset0:9 offset1:10
	v_fma_f64 v[104:105], -v[116:117], v[140:141], v[104:105]
	ds_read2_b64 v[138:141], v124 offset0:11 offset1:12
	s_waitcnt lgkmcnt(2)
	v_fma_f64 v[102:103], -v[116:117], v[130:131], v[102:103]
	v_fma_f64 v[100:101], -v[116:117], v[132:133], v[100:101]
	ds_read2_b64 v[130:133], v124 offset0:13 offset1:14
	s_waitcnt lgkmcnt(2)
	v_fma_f64 v[98:99], -v[116:117], v[134:135], v[98:99]
	v_fma_f64 v[96:97], -v[116:117], v[136:137], v[96:97]
	ds_read2_b64 v[134:137], v124 offset0:15 offset1:16
	s_waitcnt lgkmcnt(2)
	v_fma_f64 v[94:95], -v[116:117], v[138:139], v[94:95]
	v_fma_f64 v[92:93], -v[116:117], v[140:141], v[92:93]
	s_waitcnt lgkmcnt(1)
	v_fma_f64 v[90:91], -v[116:117], v[130:131], v[90:91]
	ds_read2_b64 v[138:141], v124 offset0:17 offset1:18
	v_fma_f64 v[88:89], -v[116:117], v[132:133], v[88:89]
	ds_read2_b64 v[130:133], v124 offset0:19 offset1:20
	s_waitcnt lgkmcnt(2)
	v_fma_f64 v[86:87], -v[116:117], v[134:135], v[86:87]
	v_fma_f64 v[84:85], -v[116:117], v[136:137], v[84:85]
	s_waitcnt lgkmcnt(1)
	v_fma_f64 v[82:83], -v[116:117], v[138:139], v[82:83]
	ds_read2_b64 v[134:137], v124 offset0:21 offset1:22
	v_fma_f64 v[80:81], -v[116:117], v[140:141], v[80:81]
	ds_read2_b64 v[138:141], v124 offset0:23 offset1:24
	s_waitcnt lgkmcnt(2)
	v_fma_f64 v[78:79], -v[116:117], v[130:131], v[78:79]
	v_fma_f64 v[76:77], -v[116:117], v[132:133], v[76:77]
	ds_read2_b64 v[130:133], v124 offset0:25 offset1:26
	s_waitcnt lgkmcnt(2)
	v_fma_f64 v[74:75], -v[116:117], v[134:135], v[74:75]
	v_fma_f64 v[72:73], -v[116:117], v[136:137], v[72:73]
	ds_read2_b64 v[134:137], v124 offset0:27 offset1:28
	s_waitcnt lgkmcnt(2)
	v_fma_f64 v[70:71], -v[116:117], v[138:139], v[70:71]
	v_fma_f64 v[68:69], -v[116:117], v[140:141], v[68:69]
	s_waitcnt lgkmcnt(1)
	v_fma_f64 v[66:67], -v[116:117], v[130:131], v[66:67]
	ds_read2_b64 v[138:141], v124 offset0:29 offset1:30
	v_fma_f64 v[64:65], -v[116:117], v[132:133], v[64:65]
	ds_read2_b64 v[130:133], v124 offset0:31 offset1:32
	s_waitcnt lgkmcnt(2)
	v_fma_f64 v[62:63], -v[116:117], v[134:135], v[62:63]
	v_fma_f64 v[60:61], -v[116:117], v[136:137], v[60:61]
	s_waitcnt lgkmcnt(1)
	v_fma_f64 v[58:59], -v[116:117], v[138:139], v[58:59]
	;; [unrolled: 24-line block ×3, first 2 shown]
	ds_read2_b64 v[134:137], v124 offset0:45 offset1:46
	v_fma_f64 v[32:33], -v[116:117], v[140:141], v[32:33]
	ds_read2_b64 v[138:141], v124 offset0:47 offset1:48
	s_waitcnt lgkmcnt(2)
	v_fma_f64 v[30:31], -v[116:117], v[130:131], v[30:31]
	v_fma_f64 v[28:29], -v[116:117], v[132:133], v[28:29]
	ds_read2_b64 v[130:133], v124 offset0:49 offset1:50
	s_waitcnt lgkmcnt(2)
	v_fma_f64 v[26:27], -v[116:117], v[134:135], v[26:27]
	;; [unrolled: 4-line block ×3, first 2 shown]
	v_fma_f64 v[20:21], -v[116:117], v[140:141], v[20:21]
	s_waitcnt lgkmcnt(1)
	v_fma_f64 v[18:19], -v[116:117], v[130:131], v[18:19]
	v_fma_f64 v[16:17], -v[116:117], v[132:133], v[16:17]
	ds_read2_b64 v[130:133], v124 offset0:53 offset1:54
	ds_read2_b64 v[138:141], v124 offset0:55 offset1:56
	ds_read_b64 v[120:121], v124 offset:456
	s_waitcnt lgkmcnt(3)
	v_fma_f64 v[14:15], -v[116:117], v[134:135], v[14:15]
	v_fma_f64 v[12:13], -v[116:117], v[136:137], v[12:13]
	s_waitcnt lgkmcnt(2)
	v_fma_f64 v[10:11], -v[116:117], v[130:131], v[10:11]
	v_fma_f64 v[8:9], -v[116:117], v[132:133], v[8:9]
	;; [unrolled: 3-line block ×3, first 2 shown]
	s_waitcnt lgkmcnt(0)
	v_fma_f64 v[118:119], -v[116:117], v[120:121], v[118:119]
.LBB114_16:
	s_or_b64 exec, exec, s[2:3]
	v_lshl_add_u32 v120, v125, 3, v124
	s_barrier
	s_waitcnt vmcnt(0)
	ds_write_b64 v120, v[114:115]
	s_waitcnt lgkmcnt(0)
	s_barrier
	ds_read_b64 v[120:121], v124 offset:8
	s_cmp_lt_i32 s18, 3
	v_mov_b32_e32 v122, 1
	s_cbranch_scc1 .LBB114_19
; %bb.17:
	v_add3_u32 v128, v129, 0, 16
	s_mov_b32 s2, 2
	v_mov_b32_e32 v122, 1
.LBB114_18:                             ; =>This Inner Loop Header: Depth=1
	ds_read_b64 v[130:131], v128
	v_mov_b32_e32 v132, s2
	s_add_i32 s2, s2, 1
	v_add_u32_e32 v128, 8, v128
	s_cmp_lg_u32 s18, s2
	s_waitcnt lgkmcnt(0)
	v_cmp_lt_f64_e64 vcc, |v[120:121]|, |v[130:131]|
	v_cndmask_b32_e32 v121, v121, v131, vcc
	v_cndmask_b32_e32 v120, v120, v130, vcc
	v_cndmask_b32_e32 v122, v122, v132, vcc
	s_cbranch_scc1 .LBB114_18
.LBB114_19:
	v_cmp_ne_u32_e32 vcc, v125, v122
	s_and_saveexec_b64 s[2:3], vcc
	s_xor_b64 s[2:3], exec, s[2:3]
	s_cbranch_execz .LBB114_25
; %bb.20:
	v_cmp_eq_u32_e32 vcc, 1, v125
	s_and_saveexec_b64 s[14:15], vcc
	s_cbranch_execz .LBB114_24
; %bb.21:
	v_cmp_ne_u32_e32 vcc, 1, v122
	s_xor_b64 s[16:17], s[6:7], -1
	s_and_b64 s[20:21], s[16:17], vcc
	s_and_saveexec_b64 s[16:17], s[20:21]
	s_cbranch_execz .LBB114_23
; %bb.22:
	v_ashrrev_i32_e32 v123, 31, v122
	v_lshlrev_b64 v[130:131], 2, v[122:123]
	v_add_co_u32_e32 v130, vcc, v4, v130
	v_addc_co_u32_e32 v131, vcc, v5, v131, vcc
	flat_load_dword v123, v[130:131]
	flat_load_dword v125, v[4:5] offset:4
	s_waitcnt vmcnt(0) lgkmcnt(0)
	flat_store_dword v[4:5], v123 offset:4
	flat_store_dword v[130:131], v125
.LBB114_23:
	s_or_b64 exec, exec, s[16:17]
	v_mov_b32_e32 v123, v122
	v_mov_b32_e32 v125, v122
.LBB114_24:
	s_or_b64 exec, exec, s[14:15]
.LBB114_25:
	s_andn2_saveexec_b64 s[2:3], s[2:3]
	s_cbranch_execz .LBB114_27
; %bb.26:
	v_mov_b32_e32 v130, v112
	v_mov_b32_e32 v131, v113
	v_mov_b32_e32 v132, v110
	v_mov_b32_e32 v133, v111
	ds_write2_b64 v124, v[130:131], v[132:133] offset0:2 offset1:3
	v_mov_b32_e32 v130, v108
	v_mov_b32_e32 v131, v109
	v_mov_b32_e32 v132, v106
	v_mov_b32_e32 v133, v107
	ds_write2_b64 v124, v[130:131], v[132:133] offset0:4 offset1:5
	;; [unrolled: 5-line block ×27, first 2 shown]
	v_mov_b32_e32 v130, v0
	v_mov_b32_e32 v131, v1
	;; [unrolled: 1-line block ×3, first 2 shown]
	ds_write2_b64 v124, v[130:131], v[118:119] offset0:56 offset1:57
.LBB114_27:
	s_or_b64 exec, exec, s[2:3]
	s_waitcnt lgkmcnt(0)
	v_cmp_neq_f64_e64 s[2:3], 0, v[120:121]
	v_cmp_lt_i32_e32 vcc, 1, v125
	s_barrier
	s_and_saveexec_b64 s[14:15], vcc
	s_cbranch_execz .LBB114_29
; %bb.28:
	v_div_scale_f64 v[130:131], s[16:17], v[120:121], v[120:121], 1.0
	v_rcp_f64_e32 v[132:133], v[130:131]
	v_div_scale_f64 v[134:135], vcc, 1.0, v[120:121], 1.0
	ds_read2_b64 v[138:141], v124 offset0:6 offset1:7
	v_fma_f64 v[136:137], -v[130:131], v[132:133], 1.0
	v_fmac_f64_e32 v[132:133], v[132:133], v[136:137]
	v_fma_f64 v[136:137], -v[130:131], v[132:133], 1.0
	v_fmac_f64_e32 v[132:133], v[132:133], v[136:137]
	v_mul_f64 v[136:137], v[134:135], v[132:133]
	v_fma_f64 v[130:131], -v[130:131], v[136:137], v[134:135]
	v_div_fmas_f64 v[130:131], v[130:131], v[132:133], v[136:137]
	v_div_fixup_f64 v[134:135], v[130:131], v[120:121], 1.0
	ds_read2_b64 v[130:133], v124 offset0:2 offset1:3
	v_cndmask_b32_e64 v121, v121, v135, s[2:3]
	v_cndmask_b32_e64 v120, v120, v134, s[2:3]
	ds_read2_b64 v[134:137], v124 offset0:4 offset1:5
	v_mul_f64 v[114:115], v[120:121], v[114:115]
	s_waitcnt lgkmcnt(0)
	v_fma_f64 v[112:113], -v[114:115], v[130:131], v[112:113]
	v_fma_f64 v[110:111], -v[114:115], v[132:133], v[110:111]
	ds_read2_b64 v[130:133], v124 offset0:8 offset1:9
	v_fma_f64 v[108:109], -v[114:115], v[134:135], v[108:109]
	v_fma_f64 v[106:107], -v[114:115], v[136:137], v[106:107]
	;; [unrolled: 1-line block ×3, first 2 shown]
	ds_read2_b64 v[134:137], v124 offset0:10 offset1:11
	v_fma_f64 v[102:103], -v[114:115], v[140:141], v[102:103]
	ds_read2_b64 v[138:141], v124 offset0:12 offset1:13
	s_waitcnt lgkmcnt(0)
	v_fma_f64 v[100:101], -v[114:115], v[130:131], v[100:101]
	v_fma_f64 v[98:99], -v[114:115], v[132:133], v[98:99]
	ds_read2_b64 v[130:133], v124 offset0:14 offset1:15
	v_fma_f64 v[96:97], -v[114:115], v[134:135], v[96:97]
	v_fma_f64 v[94:95], -v[114:115], v[136:137], v[94:95]
	ds_read2_b64 v[134:137], v124 offset0:16 offset1:17
	v_fma_f64 v[92:93], -v[114:115], v[138:139], v[92:93]
	v_fma_f64 v[90:91], -v[114:115], v[140:141], v[90:91]
	s_waitcnt lgkmcnt(0)
	v_fma_f64 v[88:89], -v[114:115], v[130:131], v[88:89]
	ds_read2_b64 v[138:141], v124 offset0:18 offset1:19
	v_fma_f64 v[86:87], -v[114:115], v[132:133], v[86:87]
	ds_read2_b64 v[130:133], v124 offset0:20 offset1:21
	v_fma_f64 v[84:85], -v[114:115], v[134:135], v[84:85]
	v_fma_f64 v[82:83], -v[114:115], v[136:137], v[82:83]
	s_waitcnt lgkmcnt(0)
	v_fma_f64 v[80:81], -v[114:115], v[138:139], v[80:81]
	ds_read2_b64 v[134:137], v124 offset0:22 offset1:23
	v_fma_f64 v[78:79], -v[114:115], v[140:141], v[78:79]
	ds_read2_b64 v[138:141], v124 offset0:24 offset1:25
	v_fma_f64 v[76:77], -v[114:115], v[130:131], v[76:77]
	v_fma_f64 v[74:75], -v[114:115], v[132:133], v[74:75]
	ds_read2_b64 v[130:133], v124 offset0:26 offset1:27
	s_waitcnt lgkmcnt(0)
	v_fma_f64 v[72:73], -v[114:115], v[134:135], v[72:73]
	v_fma_f64 v[70:71], -v[114:115], v[136:137], v[70:71]
	ds_read2_b64 v[134:137], v124 offset0:28 offset1:29
	v_fma_f64 v[68:69], -v[114:115], v[138:139], v[68:69]
	v_fma_f64 v[66:67], -v[114:115], v[140:141], v[66:67]
	v_fma_f64 v[64:65], -v[114:115], v[130:131], v[64:65]
	ds_read2_b64 v[138:141], v124 offset0:30 offset1:31
	v_fma_f64 v[62:63], -v[114:115], v[132:133], v[62:63]
	ds_read2_b64 v[130:133], v124 offset0:32 offset1:33
	s_waitcnt lgkmcnt(0)
	v_fma_f64 v[60:61], -v[114:115], v[134:135], v[60:61]
	v_fma_f64 v[58:59], -v[114:115], v[136:137], v[58:59]
	v_fma_f64 v[56:57], -v[114:115], v[138:139], v[56:57]
	ds_read2_b64 v[134:137], v124 offset0:34 offset1:35
	v_fma_f64 v[54:55], -v[114:115], v[140:141], v[54:55]
	ds_read2_b64 v[138:141], v124 offset0:36 offset1:37
	v_fma_f64 v[52:53], -v[114:115], v[130:131], v[52:53]
	v_fma_f64 v[50:51], -v[114:115], v[132:133], v[50:51]
	ds_read2_b64 v[130:133], v124 offset0:38 offset1:39
	s_waitcnt lgkmcnt(0)
	v_fma_f64 v[48:49], -v[114:115], v[134:135], v[48:49]
	v_fma_f64 v[46:47], -v[114:115], v[136:137], v[46:47]
	ds_read2_b64 v[134:137], v124 offset0:40 offset1:41
	v_fma_f64 v[44:45], -v[114:115], v[138:139], v[44:45]
	v_fma_f64 v[42:43], -v[114:115], v[140:141], v[42:43]
	v_fma_f64 v[40:41], -v[114:115], v[130:131], v[40:41]
	ds_read2_b64 v[138:141], v124 offset0:42 offset1:43
	v_fma_f64 v[38:39], -v[114:115], v[132:133], v[38:39]
	ds_read2_b64 v[130:133], v124 offset0:44 offset1:45
	s_waitcnt lgkmcnt(0)
	v_fma_f64 v[36:37], -v[114:115], v[134:135], v[36:37]
	v_fma_f64 v[34:35], -v[114:115], v[136:137], v[34:35]
	;; [unrolled: 20-line block ×3, first 2 shown]
	v_fma_f64 v[8:9], -v[114:115], v[138:139], v[8:9]
	v_fma_f64 v[6:7], -v[114:115], v[140:141], v[6:7]
	;; [unrolled: 1-line block ×4, first 2 shown]
.LBB114_29:
	s_or_b64 exec, exec, s[14:15]
	v_lshl_add_u32 v120, v125, 3, v124
	s_barrier
	ds_write_b64 v120, v[112:113]
	s_waitcnt lgkmcnt(0)
	s_barrier
	ds_read_b64 v[120:121], v124 offset:16
	s_mov_b32 s9, 3
	s_cmp_lt_i32 s18, 4
	v_mov_b32_e32 v122, 2
	s_cbranch_scc1 .LBB114_32
; %bb.30:
	v_add3_u32 v128, v129, 0, 24
	v_mov_b32_e32 v122, 2
.LBB114_31:                             ; =>This Inner Loop Header: Depth=1
	ds_read_b64 v[130:131], v128
	v_mov_b32_e32 v132, s9
	s_add_i32 s9, s9, 1
	v_add_u32_e32 v128, 8, v128
	s_cmp_lg_u32 s18, s9
	s_waitcnt lgkmcnt(0)
	v_cmp_lt_f64_e64 vcc, |v[120:121]|, |v[130:131]|
	v_cndmask_b32_e32 v121, v121, v131, vcc
	v_cndmask_b32_e32 v120, v120, v130, vcc
	;; [unrolled: 1-line block ×3, first 2 shown]
	s_cbranch_scc1 .LBB114_31
.LBB114_32:
	v_cndmask_b32_e64 v128, 2, 1, s[0:1]
	v_cndmask_b32_e64 v130, 0, 1, s[0:1]
	v_cndmask_b32_e64 v128, v128, v130, s[2:3]
	s_waitcnt lgkmcnt(0)
	v_cmp_eq_f64_e32 vcc, 0, v[120:121]
	s_and_saveexec_b64 s[0:1], vcc
	s_xor_b64 s[0:1], exec, s[0:1]
; %bb.33:
	v_cmp_ne_u32_e32 vcc, 0, v128
	v_cndmask_b32_e32 v128, 3, v128, vcc
; %bb.34:
	s_andn2_saveexec_b64 s[0:1], s[0:1]
; %bb.35:
	v_div_scale_f64 v[130:131], s[2:3], v[120:121], v[120:121], 1.0
	v_rcp_f64_e32 v[132:133], v[130:131]
	v_div_scale_f64 v[134:135], vcc, 1.0, v[120:121], 1.0
	v_fma_f64 v[136:137], -v[130:131], v[132:133], 1.0
	v_fmac_f64_e32 v[132:133], v[132:133], v[136:137]
	v_fma_f64 v[136:137], -v[130:131], v[132:133], 1.0
	v_fmac_f64_e32 v[132:133], v[132:133], v[136:137]
	v_mul_f64 v[136:137], v[134:135], v[132:133]
	v_fma_f64 v[130:131], -v[130:131], v[136:137], v[134:135]
	v_div_fmas_f64 v[130:131], v[130:131], v[132:133], v[136:137]
	v_div_fixup_f64 v[120:121], v[130:131], v[120:121], 1.0
; %bb.36:
	s_or_b64 exec, exec, s[0:1]
	v_cmp_ne_u32_e32 vcc, v125, v122
	s_and_saveexec_b64 s[0:1], vcc
	s_xor_b64 s[0:1], exec, s[0:1]
	s_cbranch_execz .LBB114_42
; %bb.37:
	v_cmp_eq_u32_e32 vcc, 2, v125
	s_and_saveexec_b64 s[2:3], vcc
	s_cbranch_execz .LBB114_41
; %bb.38:
	v_cmp_ne_u32_e32 vcc, 2, v122
	s_xor_b64 s[14:15], s[6:7], -1
	s_and_b64 s[16:17], s[14:15], vcc
	s_and_saveexec_b64 s[14:15], s[16:17]
	s_cbranch_execz .LBB114_40
; %bb.39:
	v_ashrrev_i32_e32 v123, 31, v122
	v_lshlrev_b64 v[130:131], 2, v[122:123]
	v_add_co_u32_e32 v130, vcc, v4, v130
	v_addc_co_u32_e32 v131, vcc, v5, v131, vcc
	flat_load_dword v123, v[130:131]
	flat_load_dword v125, v[4:5] offset:8
	s_waitcnt vmcnt(0) lgkmcnt(0)
	flat_store_dword v[4:5], v123 offset:8
	flat_store_dword v[130:131], v125
.LBB114_40:
	s_or_b64 exec, exec, s[14:15]
	v_mov_b32_e32 v123, v122
	v_mov_b32_e32 v125, v122
.LBB114_41:
	s_or_b64 exec, exec, s[2:3]
.LBB114_42:
	s_andn2_saveexec_b64 s[0:1], s[0:1]
	s_cbranch_execz .LBB114_44
; %bb.43:
	v_mov_b32_e32 v125, 2
	ds_write2_b64 v124, v[110:111], v[108:109] offset0:3 offset1:4
	ds_write2_b64 v124, v[106:107], v[104:105] offset0:5 offset1:6
	;; [unrolled: 1-line block ×27, first 2 shown]
	ds_write_b64 v124, v[118:119] offset:456
.LBB114_44:
	s_or_b64 exec, exec, s[0:1]
	v_cmp_lt_i32_e32 vcc, 2, v125
	s_waitcnt lgkmcnt(0)
	s_barrier
	s_and_saveexec_b64 s[0:1], vcc
	s_cbranch_execz .LBB114_46
; %bb.45:
	ds_read2_b64 v[130:133], v124 offset0:3 offset1:4
	ds_read2_b64 v[134:137], v124 offset0:5 offset1:6
	;; [unrolled: 1-line block ×3, first 2 shown]
	v_mul_f64 v[112:113], v[120:121], v[112:113]
	ds_read_b64 v[120:121], v124 offset:456
	s_waitcnt lgkmcnt(0)
	v_fma_f64 v[110:111], -v[112:113], v[130:131], v[110:111]
	v_fma_f64 v[108:109], -v[112:113], v[132:133], v[108:109]
	ds_read2_b64 v[130:133], v124 offset0:9 offset1:10
	v_fma_f64 v[106:107], -v[112:113], v[134:135], v[106:107]
	v_fma_f64 v[104:105], -v[112:113], v[136:137], v[104:105]
	v_fma_f64 v[102:103], -v[112:113], v[138:139], v[102:103]
	ds_read2_b64 v[134:137], v124 offset0:11 offset1:12
	v_fma_f64 v[100:101], -v[112:113], v[140:141], v[100:101]
	ds_read2_b64 v[138:141], v124 offset0:13 offset1:14
	s_waitcnt lgkmcnt(0)
	v_fma_f64 v[98:99], -v[112:113], v[130:131], v[98:99]
	v_fma_f64 v[96:97], -v[112:113], v[132:133], v[96:97]
	v_fma_f64 v[94:95], -v[112:113], v[134:135], v[94:95]
	ds_read2_b64 v[130:133], v124 offset0:15 offset1:16
	v_fma_f64 v[92:93], -v[112:113], v[136:137], v[92:93]
	ds_read2_b64 v[134:137], v124 offset0:17 offset1:18
	v_fma_f64 v[90:91], -v[112:113], v[138:139], v[90:91]
	v_fma_f64 v[88:89], -v[112:113], v[140:141], v[88:89]
	ds_read2_b64 v[138:141], v124 offset0:19 offset1:20
	s_waitcnt lgkmcnt(0)
	v_fma_f64 v[86:87], -v[112:113], v[130:131], v[86:87]
	v_fma_f64 v[84:85], -v[112:113], v[132:133], v[84:85]
	ds_read2_b64 v[130:133], v124 offset0:21 offset1:22
	v_fma_f64 v[82:83], -v[112:113], v[134:135], v[82:83]
	v_fma_f64 v[80:81], -v[112:113], v[136:137], v[80:81]
	v_fma_f64 v[78:79], -v[112:113], v[138:139], v[78:79]
	ds_read2_b64 v[134:137], v124 offset0:23 offset1:24
	v_fma_f64 v[76:77], -v[112:113], v[140:141], v[76:77]
	ds_read2_b64 v[138:141], v124 offset0:25 offset1:26
	s_waitcnt lgkmcnt(0)
	v_fma_f64 v[74:75], -v[112:113], v[130:131], v[74:75]
	v_fma_f64 v[72:73], -v[112:113], v[132:133], v[72:73]
	v_fma_f64 v[70:71], -v[112:113], v[134:135], v[70:71]
	ds_read2_b64 v[130:133], v124 offset0:27 offset1:28
	v_fma_f64 v[68:69], -v[112:113], v[136:137], v[68:69]
	ds_read2_b64 v[134:137], v124 offset0:29 offset1:30
	v_fma_f64 v[66:67], -v[112:113], v[138:139], v[66:67]
	v_fma_f64 v[64:65], -v[112:113], v[140:141], v[64:65]
	ds_read2_b64 v[138:141], v124 offset0:31 offset1:32
	;; [unrolled: 20-line block ×4, first 2 shown]
	s_waitcnt lgkmcnt(0)
	v_fma_f64 v[14:15], -v[112:113], v[130:131], v[14:15]
	v_fma_f64 v[12:13], -v[112:113], v[132:133], v[12:13]
	;; [unrolled: 1-line block ×7, first 2 shown]
.LBB114_46:
	s_or_b64 exec, exec, s[0:1]
	v_lshl_add_u32 v120, v125, 3, v124
	s_barrier
	ds_write_b64 v120, v[110:111]
	s_waitcnt lgkmcnt(0)
	s_barrier
	ds_read_b64 v[120:121], v124 offset:24
	s_cmp_lt_i32 s18, 5
	v_mov_b32_e32 v122, 3
	s_cbranch_scc1 .LBB114_49
; %bb.47:
	v_add3_u32 v130, v129, 0, 32
	s_mov_b32 s0, 4
	v_mov_b32_e32 v122, 3
.LBB114_48:                             ; =>This Inner Loop Header: Depth=1
	ds_read_b64 v[132:133], v130
	v_mov_b32_e32 v131, s0
	s_add_i32 s0, s0, 1
	v_add_u32_e32 v130, 8, v130
	s_cmp_lg_u32 s18, s0
	s_waitcnt lgkmcnt(0)
	v_cmp_lt_f64_e64 vcc, |v[120:121]|, |v[132:133]|
	v_cndmask_b32_e32 v121, v121, v133, vcc
	v_cndmask_b32_e32 v120, v120, v132, vcc
	;; [unrolled: 1-line block ×3, first 2 shown]
	s_cbranch_scc1 .LBB114_48
.LBB114_49:
	s_waitcnt lgkmcnt(0)
	v_cmp_eq_f64_e32 vcc, 0, v[120:121]
	s_and_saveexec_b64 s[0:1], vcc
	s_xor_b64 s[0:1], exec, s[0:1]
; %bb.50:
	v_cmp_ne_u32_e32 vcc, 0, v128
	v_cndmask_b32_e32 v128, 4, v128, vcc
; %bb.51:
	s_andn2_saveexec_b64 s[0:1], s[0:1]
; %bb.52:
	v_div_scale_f64 v[130:131], s[2:3], v[120:121], v[120:121], 1.0
	v_rcp_f64_e32 v[132:133], v[130:131]
	v_div_scale_f64 v[134:135], vcc, 1.0, v[120:121], 1.0
	v_fma_f64 v[136:137], -v[130:131], v[132:133], 1.0
	v_fmac_f64_e32 v[132:133], v[132:133], v[136:137]
	v_fma_f64 v[136:137], -v[130:131], v[132:133], 1.0
	v_fmac_f64_e32 v[132:133], v[132:133], v[136:137]
	v_mul_f64 v[136:137], v[134:135], v[132:133]
	v_fma_f64 v[130:131], -v[130:131], v[136:137], v[134:135]
	v_div_fmas_f64 v[130:131], v[130:131], v[132:133], v[136:137]
	v_div_fixup_f64 v[120:121], v[130:131], v[120:121], 1.0
; %bb.53:
	s_or_b64 exec, exec, s[0:1]
	v_cmp_ne_u32_e32 vcc, v125, v122
	s_and_saveexec_b64 s[0:1], vcc
	s_xor_b64 s[0:1], exec, s[0:1]
	s_cbranch_execz .LBB114_59
; %bb.54:
	v_cmp_eq_u32_e32 vcc, 3, v125
	s_and_saveexec_b64 s[2:3], vcc
	s_cbranch_execz .LBB114_58
; %bb.55:
	v_cmp_ne_u32_e32 vcc, 3, v122
	s_xor_b64 s[14:15], s[6:7], -1
	s_and_b64 s[16:17], s[14:15], vcc
	s_and_saveexec_b64 s[14:15], s[16:17]
	s_cbranch_execz .LBB114_57
; %bb.56:
	v_ashrrev_i32_e32 v123, 31, v122
	v_lshlrev_b64 v[130:131], 2, v[122:123]
	v_add_co_u32_e32 v130, vcc, v4, v130
	v_addc_co_u32_e32 v131, vcc, v5, v131, vcc
	flat_load_dword v123, v[130:131]
	flat_load_dword v125, v[4:5] offset:12
	s_waitcnt vmcnt(0) lgkmcnt(0)
	flat_store_dword v[4:5], v123 offset:12
	flat_store_dword v[130:131], v125
.LBB114_57:
	s_or_b64 exec, exec, s[14:15]
	v_mov_b32_e32 v123, v122
	v_mov_b32_e32 v125, v122
.LBB114_58:
	s_or_b64 exec, exec, s[2:3]
.LBB114_59:
	s_andn2_saveexec_b64 s[0:1], s[0:1]
	s_cbranch_execz .LBB114_61
; %bb.60:
	v_mov_b32_e32 v130, v108
	v_mov_b32_e32 v131, v109
	v_mov_b32_e32 v132, v106
	v_mov_b32_e32 v133, v107
	ds_write2_b64 v124, v[130:131], v[132:133] offset0:4 offset1:5
	v_mov_b32_e32 v130, v104
	v_mov_b32_e32 v131, v105
	v_mov_b32_e32 v132, v102
	v_mov_b32_e32 v133, v103
	ds_write2_b64 v124, v[130:131], v[132:133] offset0:6 offset1:7
	;; [unrolled: 5-line block ×26, first 2 shown]
	v_mov_b32_e32 v130, v0
	v_mov_b32_e32 v131, v1
	;; [unrolled: 1-line block ×3, first 2 shown]
	ds_write2_b64 v124, v[130:131], v[118:119] offset0:56 offset1:57
.LBB114_61:
	s_or_b64 exec, exec, s[0:1]
	v_cmp_lt_i32_e32 vcc, 3, v125
	s_waitcnt lgkmcnt(0)
	s_barrier
	s_and_saveexec_b64 s[0:1], vcc
	s_cbranch_execz .LBB114_63
; %bb.62:
	ds_read2_b64 v[130:133], v124 offset0:4 offset1:5
	ds_read2_b64 v[134:137], v124 offset0:6 offset1:7
	;; [unrolled: 1-line block ×3, first 2 shown]
	v_mul_f64 v[110:111], v[120:121], v[110:111]
	s_waitcnt lgkmcnt(0)
	v_fma_f64 v[108:109], -v[110:111], v[130:131], v[108:109]
	v_fma_f64 v[106:107], -v[110:111], v[132:133], v[106:107]
	ds_read2_b64 v[130:133], v124 offset0:10 offset1:11
	v_fma_f64 v[104:105], -v[110:111], v[134:135], v[104:105]
	v_fma_f64 v[102:103], -v[110:111], v[136:137], v[102:103]
	v_fma_f64 v[100:101], -v[110:111], v[138:139], v[100:101]
	ds_read2_b64 v[134:137], v124 offset0:12 offset1:13
	v_fma_f64 v[98:99], -v[110:111], v[140:141], v[98:99]
	ds_read2_b64 v[138:141], v124 offset0:14 offset1:15
	s_waitcnt lgkmcnt(0)
	v_fma_f64 v[96:97], -v[110:111], v[130:131], v[96:97]
	v_fma_f64 v[94:95], -v[110:111], v[132:133], v[94:95]
	v_fma_f64 v[92:93], -v[110:111], v[134:135], v[92:93]
	ds_read2_b64 v[130:133], v124 offset0:16 offset1:17
	v_fma_f64 v[90:91], -v[110:111], v[136:137], v[90:91]
	ds_read2_b64 v[134:137], v124 offset0:18 offset1:19
	v_fma_f64 v[88:89], -v[110:111], v[138:139], v[88:89]
	v_fma_f64 v[86:87], -v[110:111], v[140:141], v[86:87]
	ds_read2_b64 v[138:141], v124 offset0:20 offset1:21
	s_waitcnt lgkmcnt(0)
	v_fma_f64 v[84:85], -v[110:111], v[130:131], v[84:85]
	v_fma_f64 v[82:83], -v[110:111], v[132:133], v[82:83]
	ds_read2_b64 v[130:133], v124 offset0:22 offset1:23
	v_fma_f64 v[80:81], -v[110:111], v[134:135], v[80:81]
	v_fma_f64 v[78:79], -v[110:111], v[136:137], v[78:79]
	v_fma_f64 v[76:77], -v[110:111], v[138:139], v[76:77]
	ds_read2_b64 v[134:137], v124 offset0:24 offset1:25
	v_fma_f64 v[74:75], -v[110:111], v[140:141], v[74:75]
	ds_read2_b64 v[138:141], v124 offset0:26 offset1:27
	s_waitcnt lgkmcnt(0)
	v_fma_f64 v[72:73], -v[110:111], v[130:131], v[72:73]
	v_fma_f64 v[70:71], -v[110:111], v[132:133], v[70:71]
	v_fma_f64 v[68:69], -v[110:111], v[134:135], v[68:69]
	ds_read2_b64 v[130:133], v124 offset0:28 offset1:29
	v_fma_f64 v[66:67], -v[110:111], v[136:137], v[66:67]
	ds_read2_b64 v[134:137], v124 offset0:30 offset1:31
	v_fma_f64 v[64:65], -v[110:111], v[138:139], v[64:65]
	v_fma_f64 v[62:63], -v[110:111], v[140:141], v[62:63]
	ds_read2_b64 v[138:141], v124 offset0:32 offset1:33
	;; [unrolled: 20-line block ×3, first 2 shown]
	s_waitcnt lgkmcnt(0)
	v_fma_f64 v[36:37], -v[110:111], v[130:131], v[36:37]
	v_fma_f64 v[34:35], -v[110:111], v[132:133], v[34:35]
	ds_read2_b64 v[130:133], v124 offset0:46 offset1:47
	v_fma_f64 v[32:33], -v[110:111], v[134:135], v[32:33]
	v_fma_f64 v[30:31], -v[110:111], v[136:137], v[30:31]
	v_fma_f64 v[28:29], -v[110:111], v[138:139], v[28:29]
	ds_read2_b64 v[134:137], v124 offset0:48 offset1:49
	v_fma_f64 v[26:27], -v[110:111], v[140:141], v[26:27]
	ds_read2_b64 v[138:141], v124 offset0:50 offset1:51
	s_waitcnt lgkmcnt(0)
	v_fma_f64 v[24:25], -v[110:111], v[130:131], v[24:25]
	v_fma_f64 v[22:23], -v[110:111], v[132:133], v[22:23]
	v_fma_f64 v[20:21], -v[110:111], v[134:135], v[20:21]
	v_fma_f64 v[18:19], -v[110:111], v[136:137], v[18:19]
	ds_read2_b64 v[130:133], v124 offset0:52 offset1:53
	ds_read2_b64 v[134:137], v124 offset0:54 offset1:55
	v_fma_f64 v[16:17], -v[110:111], v[138:139], v[16:17]
	v_fma_f64 v[14:15], -v[110:111], v[140:141], v[14:15]
	ds_read2_b64 v[138:141], v124 offset0:56 offset1:57
	s_waitcnt lgkmcnt(0)
	v_fma_f64 v[12:13], -v[110:111], v[130:131], v[12:13]
	v_fma_f64 v[10:11], -v[110:111], v[132:133], v[10:11]
	v_fma_f64 v[8:9], -v[110:111], v[134:135], v[8:9]
	v_fma_f64 v[6:7], -v[110:111], v[136:137], v[6:7]
	v_fma_f64 v[0:1], -v[110:111], v[138:139], v[0:1]
	v_fma_f64 v[118:119], -v[110:111], v[140:141], v[118:119]
.LBB114_63:
	s_or_b64 exec, exec, s[0:1]
	v_lshl_add_u32 v120, v125, 3, v124
	s_barrier
	ds_write_b64 v120, v[108:109]
	s_waitcnt lgkmcnt(0)
	s_barrier
	ds_read_b64 v[120:121], v124 offset:32
	s_cmp_lt_i32 s18, 6
	v_mov_b32_e32 v122, 4
	s_cbranch_scc1 .LBB114_66
; %bb.64:
	v_add3_u32 v130, v129, 0, 40
	s_mov_b32 s0, 5
	v_mov_b32_e32 v122, 4
.LBB114_65:                             ; =>This Inner Loop Header: Depth=1
	ds_read_b64 v[132:133], v130
	v_mov_b32_e32 v131, s0
	s_add_i32 s0, s0, 1
	v_add_u32_e32 v130, 8, v130
	s_cmp_lg_u32 s18, s0
	s_waitcnt lgkmcnt(0)
	v_cmp_lt_f64_e64 vcc, |v[120:121]|, |v[132:133]|
	v_cndmask_b32_e32 v121, v121, v133, vcc
	v_cndmask_b32_e32 v120, v120, v132, vcc
	;; [unrolled: 1-line block ×3, first 2 shown]
	s_cbranch_scc1 .LBB114_65
.LBB114_66:
	s_waitcnt lgkmcnt(0)
	v_cmp_eq_f64_e32 vcc, 0, v[120:121]
	s_and_saveexec_b64 s[0:1], vcc
	s_xor_b64 s[0:1], exec, s[0:1]
; %bb.67:
	v_cmp_ne_u32_e32 vcc, 0, v128
	v_cndmask_b32_e32 v128, 5, v128, vcc
; %bb.68:
	s_andn2_saveexec_b64 s[0:1], s[0:1]
; %bb.69:
	v_div_scale_f64 v[130:131], s[2:3], v[120:121], v[120:121], 1.0
	v_rcp_f64_e32 v[132:133], v[130:131]
	v_div_scale_f64 v[134:135], vcc, 1.0, v[120:121], 1.0
	v_fma_f64 v[136:137], -v[130:131], v[132:133], 1.0
	v_fmac_f64_e32 v[132:133], v[132:133], v[136:137]
	v_fma_f64 v[136:137], -v[130:131], v[132:133], 1.0
	v_fmac_f64_e32 v[132:133], v[132:133], v[136:137]
	v_mul_f64 v[136:137], v[134:135], v[132:133]
	v_fma_f64 v[130:131], -v[130:131], v[136:137], v[134:135]
	v_div_fmas_f64 v[130:131], v[130:131], v[132:133], v[136:137]
	v_div_fixup_f64 v[120:121], v[130:131], v[120:121], 1.0
; %bb.70:
	s_or_b64 exec, exec, s[0:1]
	v_cmp_ne_u32_e32 vcc, v125, v122
	s_and_saveexec_b64 s[0:1], vcc
	s_xor_b64 s[0:1], exec, s[0:1]
	s_cbranch_execz .LBB114_76
; %bb.71:
	v_cmp_eq_u32_e32 vcc, 4, v125
	s_and_saveexec_b64 s[2:3], vcc
	s_cbranch_execz .LBB114_75
; %bb.72:
	v_cmp_ne_u32_e32 vcc, 4, v122
	s_xor_b64 s[14:15], s[6:7], -1
	s_and_b64 s[16:17], s[14:15], vcc
	s_and_saveexec_b64 s[14:15], s[16:17]
	s_cbranch_execz .LBB114_74
; %bb.73:
	v_ashrrev_i32_e32 v123, 31, v122
	v_lshlrev_b64 v[130:131], 2, v[122:123]
	v_add_co_u32_e32 v130, vcc, v4, v130
	v_addc_co_u32_e32 v131, vcc, v5, v131, vcc
	flat_load_dword v123, v[130:131]
	flat_load_dword v125, v[4:5] offset:16
	s_waitcnt vmcnt(0) lgkmcnt(0)
	flat_store_dword v[4:5], v123 offset:16
	flat_store_dword v[130:131], v125
.LBB114_74:
	s_or_b64 exec, exec, s[14:15]
	v_mov_b32_e32 v123, v122
	v_mov_b32_e32 v125, v122
.LBB114_75:
	s_or_b64 exec, exec, s[2:3]
.LBB114_76:
	s_andn2_saveexec_b64 s[0:1], s[0:1]
	s_cbranch_execz .LBB114_78
; %bb.77:
	v_mov_b32_e32 v125, 4
	ds_write2_b64 v124, v[106:107], v[104:105] offset0:5 offset1:6
	ds_write2_b64 v124, v[102:103], v[100:101] offset0:7 offset1:8
	;; [unrolled: 1-line block ×26, first 2 shown]
	ds_write_b64 v124, v[118:119] offset:456
.LBB114_78:
	s_or_b64 exec, exec, s[0:1]
	v_cmp_lt_i32_e32 vcc, 4, v125
	s_waitcnt lgkmcnt(0)
	s_barrier
	s_and_saveexec_b64 s[0:1], vcc
	s_cbranch_execz .LBB114_80
; %bb.79:
	ds_read2_b64 v[130:133], v124 offset0:5 offset1:6
	ds_read2_b64 v[134:137], v124 offset0:7 offset1:8
	v_mul_f64 v[108:109], v[120:121], v[108:109]
	ds_read2_b64 v[138:141], v124 offset0:9 offset1:10
	ds_read_b64 v[120:121], v124 offset:456
	s_waitcnt lgkmcnt(0)
	v_fma_f64 v[106:107], -v[108:109], v[130:131], v[106:107]
	v_fma_f64 v[104:105], -v[108:109], v[132:133], v[104:105]
	ds_read2_b64 v[130:133], v124 offset0:11 offset1:12
	v_fma_f64 v[102:103], -v[108:109], v[134:135], v[102:103]
	v_fma_f64 v[100:101], -v[108:109], v[136:137], v[100:101]
	ds_read2_b64 v[134:137], v124 offset0:13 offset1:14
	;; [unrolled: 3-line block ×3, first 2 shown]
	s_waitcnt lgkmcnt(0)
	v_fma_f64 v[94:95], -v[108:109], v[130:131], v[94:95]
	v_fma_f64 v[92:93], -v[108:109], v[132:133], v[92:93]
	v_fma_f64 v[90:91], -v[108:109], v[134:135], v[90:91]
	ds_read2_b64 v[130:133], v124 offset0:17 offset1:18
	v_fma_f64 v[88:89], -v[108:109], v[136:137], v[88:89]
	ds_read2_b64 v[134:137], v124 offset0:19 offset1:20
	v_fma_f64 v[86:87], -v[108:109], v[138:139], v[86:87]
	v_fma_f64 v[84:85], -v[108:109], v[140:141], v[84:85]
	s_waitcnt lgkmcnt(0)
	v_fma_f64 v[82:83], -v[108:109], v[130:131], v[82:83]
	ds_read2_b64 v[138:141], v124 offset0:21 offset1:22
	v_fma_f64 v[80:81], -v[108:109], v[132:133], v[80:81]
	ds_read2_b64 v[130:133], v124 offset0:23 offset1:24
	v_fma_f64 v[78:79], -v[108:109], v[134:135], v[78:79]
	v_fma_f64 v[76:77], -v[108:109], v[136:137], v[76:77]
	ds_read2_b64 v[134:137], v124 offset0:25 offset1:26
	s_waitcnt lgkmcnt(0)
	v_fma_f64 v[74:75], -v[108:109], v[138:139], v[74:75]
	v_fma_f64 v[72:73], -v[108:109], v[140:141], v[72:73]
	ds_read2_b64 v[138:141], v124 offset0:27 offset1:28
	v_fma_f64 v[70:71], -v[108:109], v[130:131], v[70:71]
	v_fma_f64 v[68:69], -v[108:109], v[132:133], v[68:69]
	;; [unrolled: 1-line block ×3, first 2 shown]
	ds_read2_b64 v[130:133], v124 offset0:29 offset1:30
	v_fma_f64 v[64:65], -v[108:109], v[136:137], v[64:65]
	ds_read2_b64 v[134:137], v124 offset0:31 offset1:32
	s_waitcnt lgkmcnt(0)
	v_fma_f64 v[62:63], -v[108:109], v[138:139], v[62:63]
	v_fma_f64 v[60:61], -v[108:109], v[140:141], v[60:61]
	;; [unrolled: 1-line block ×3, first 2 shown]
	ds_read2_b64 v[138:141], v124 offset0:33 offset1:34
	v_fma_f64 v[56:57], -v[108:109], v[132:133], v[56:57]
	ds_read2_b64 v[130:133], v124 offset0:35 offset1:36
	v_fma_f64 v[54:55], -v[108:109], v[134:135], v[54:55]
	v_fma_f64 v[52:53], -v[108:109], v[136:137], v[52:53]
	ds_read2_b64 v[134:137], v124 offset0:37 offset1:38
	s_waitcnt lgkmcnt(0)
	v_fma_f64 v[50:51], -v[108:109], v[138:139], v[50:51]
	v_fma_f64 v[48:49], -v[108:109], v[140:141], v[48:49]
	ds_read2_b64 v[138:141], v124 offset0:39 offset1:40
	v_fma_f64 v[46:47], -v[108:109], v[130:131], v[46:47]
	v_fma_f64 v[44:45], -v[108:109], v[132:133], v[44:45]
	;; [unrolled: 1-line block ×3, first 2 shown]
	ds_read2_b64 v[130:133], v124 offset0:41 offset1:42
	v_fma_f64 v[40:41], -v[108:109], v[136:137], v[40:41]
	ds_read2_b64 v[134:137], v124 offset0:43 offset1:44
	s_waitcnt lgkmcnt(0)
	v_fma_f64 v[38:39], -v[108:109], v[138:139], v[38:39]
	v_fma_f64 v[36:37], -v[108:109], v[140:141], v[36:37]
	;; [unrolled: 1-line block ×3, first 2 shown]
	ds_read2_b64 v[138:141], v124 offset0:45 offset1:46
	v_fma_f64 v[32:33], -v[108:109], v[132:133], v[32:33]
	ds_read2_b64 v[130:133], v124 offset0:47 offset1:48
	v_fma_f64 v[30:31], -v[108:109], v[134:135], v[30:31]
	v_fma_f64 v[28:29], -v[108:109], v[136:137], v[28:29]
	ds_read2_b64 v[134:137], v124 offset0:49 offset1:50
	s_waitcnt lgkmcnt(0)
	v_fma_f64 v[26:27], -v[108:109], v[138:139], v[26:27]
	v_fma_f64 v[24:25], -v[108:109], v[140:141], v[24:25]
	ds_read2_b64 v[138:141], v124 offset0:51 offset1:52
	v_fma_f64 v[22:23], -v[108:109], v[130:131], v[22:23]
	v_fma_f64 v[20:21], -v[108:109], v[132:133], v[20:21]
	;; [unrolled: 1-line block ×4, first 2 shown]
	ds_read2_b64 v[130:133], v124 offset0:53 offset1:54
	ds_read2_b64 v[134:137], v124 offset0:55 offset1:56
	s_waitcnt lgkmcnt(0)
	v_fma_f64 v[14:15], -v[108:109], v[138:139], v[14:15]
	v_fma_f64 v[12:13], -v[108:109], v[140:141], v[12:13]
	;; [unrolled: 1-line block ×7, first 2 shown]
.LBB114_80:
	s_or_b64 exec, exec, s[0:1]
	v_lshl_add_u32 v120, v125, 3, v124
	s_barrier
	ds_write_b64 v120, v[106:107]
	s_waitcnt lgkmcnt(0)
	s_barrier
	ds_read_b64 v[120:121], v124 offset:40
	s_cmp_lt_i32 s18, 7
	v_mov_b32_e32 v122, 5
	s_cbranch_scc1 .LBB114_83
; %bb.81:
	v_add3_u32 v130, v129, 0, 48
	s_mov_b32 s0, 6
	v_mov_b32_e32 v122, 5
.LBB114_82:                             ; =>This Inner Loop Header: Depth=1
	ds_read_b64 v[132:133], v130
	v_mov_b32_e32 v131, s0
	s_add_i32 s0, s0, 1
	v_add_u32_e32 v130, 8, v130
	s_cmp_lg_u32 s18, s0
	s_waitcnt lgkmcnt(0)
	v_cmp_lt_f64_e64 vcc, |v[120:121]|, |v[132:133]|
	v_cndmask_b32_e32 v121, v121, v133, vcc
	v_cndmask_b32_e32 v120, v120, v132, vcc
	;; [unrolled: 1-line block ×3, first 2 shown]
	s_cbranch_scc1 .LBB114_82
.LBB114_83:
	s_waitcnt lgkmcnt(0)
	v_cmp_eq_f64_e32 vcc, 0, v[120:121]
	s_and_saveexec_b64 s[0:1], vcc
	s_xor_b64 s[0:1], exec, s[0:1]
; %bb.84:
	v_cmp_ne_u32_e32 vcc, 0, v128
	v_cndmask_b32_e32 v128, 6, v128, vcc
; %bb.85:
	s_andn2_saveexec_b64 s[0:1], s[0:1]
; %bb.86:
	v_div_scale_f64 v[130:131], s[2:3], v[120:121], v[120:121], 1.0
	v_rcp_f64_e32 v[132:133], v[130:131]
	v_div_scale_f64 v[134:135], vcc, 1.0, v[120:121], 1.0
	v_fma_f64 v[136:137], -v[130:131], v[132:133], 1.0
	v_fmac_f64_e32 v[132:133], v[132:133], v[136:137]
	v_fma_f64 v[136:137], -v[130:131], v[132:133], 1.0
	v_fmac_f64_e32 v[132:133], v[132:133], v[136:137]
	v_mul_f64 v[136:137], v[134:135], v[132:133]
	v_fma_f64 v[130:131], -v[130:131], v[136:137], v[134:135]
	v_div_fmas_f64 v[130:131], v[130:131], v[132:133], v[136:137]
	v_div_fixup_f64 v[120:121], v[130:131], v[120:121], 1.0
; %bb.87:
	s_or_b64 exec, exec, s[0:1]
	v_cmp_ne_u32_e32 vcc, v125, v122
	s_and_saveexec_b64 s[0:1], vcc
	s_xor_b64 s[0:1], exec, s[0:1]
	s_cbranch_execz .LBB114_93
; %bb.88:
	v_cmp_eq_u32_e32 vcc, 5, v125
	s_and_saveexec_b64 s[2:3], vcc
	s_cbranch_execz .LBB114_92
; %bb.89:
	v_cmp_ne_u32_e32 vcc, 5, v122
	s_xor_b64 s[14:15], s[6:7], -1
	s_and_b64 s[16:17], s[14:15], vcc
	s_and_saveexec_b64 s[14:15], s[16:17]
	s_cbranch_execz .LBB114_91
; %bb.90:
	v_ashrrev_i32_e32 v123, 31, v122
	v_lshlrev_b64 v[130:131], 2, v[122:123]
	v_add_co_u32_e32 v130, vcc, v4, v130
	v_addc_co_u32_e32 v131, vcc, v5, v131, vcc
	flat_load_dword v123, v[130:131]
	flat_load_dword v125, v[4:5] offset:20
	s_waitcnt vmcnt(0) lgkmcnt(0)
	flat_store_dword v[4:5], v123 offset:20
	flat_store_dword v[130:131], v125
.LBB114_91:
	s_or_b64 exec, exec, s[14:15]
	v_mov_b32_e32 v123, v122
	v_mov_b32_e32 v125, v122
.LBB114_92:
	s_or_b64 exec, exec, s[2:3]
.LBB114_93:
	s_andn2_saveexec_b64 s[0:1], s[0:1]
	s_cbranch_execz .LBB114_95
; %bb.94:
	v_mov_b32_e32 v130, v104
	v_mov_b32_e32 v131, v105
	v_mov_b32_e32 v132, v102
	v_mov_b32_e32 v133, v103
	ds_write2_b64 v124, v[130:131], v[132:133] offset0:6 offset1:7
	v_mov_b32_e32 v130, v100
	v_mov_b32_e32 v131, v101
	v_mov_b32_e32 v132, v98
	v_mov_b32_e32 v133, v99
	ds_write2_b64 v124, v[130:131], v[132:133] offset0:8 offset1:9
	;; [unrolled: 5-line block ×25, first 2 shown]
	v_mov_b32_e32 v130, v0
	v_mov_b32_e32 v131, v1
	;; [unrolled: 1-line block ×3, first 2 shown]
	ds_write2_b64 v124, v[130:131], v[118:119] offset0:56 offset1:57
.LBB114_95:
	s_or_b64 exec, exec, s[0:1]
	v_cmp_lt_i32_e32 vcc, 5, v125
	s_waitcnt lgkmcnt(0)
	s_barrier
	s_and_saveexec_b64 s[0:1], vcc
	s_cbranch_execz .LBB114_97
; %bb.96:
	ds_read2_b64 v[130:133], v124 offset0:6 offset1:7
	ds_read2_b64 v[134:137], v124 offset0:8 offset1:9
	v_mul_f64 v[106:107], v[120:121], v[106:107]
	ds_read2_b64 v[138:141], v124 offset0:10 offset1:11
	s_waitcnt lgkmcnt(0)
	v_fma_f64 v[104:105], -v[106:107], v[130:131], v[104:105]
	v_fma_f64 v[102:103], -v[106:107], v[132:133], v[102:103]
	ds_read2_b64 v[130:133], v124 offset0:12 offset1:13
	v_fma_f64 v[100:101], -v[106:107], v[134:135], v[100:101]
	v_fma_f64 v[98:99], -v[106:107], v[136:137], v[98:99]
	ds_read2_b64 v[134:137], v124 offset0:14 offset1:15
	;; [unrolled: 3-line block ×3, first 2 shown]
	s_waitcnt lgkmcnt(0)
	v_fma_f64 v[92:93], -v[106:107], v[130:131], v[92:93]
	v_fma_f64 v[90:91], -v[106:107], v[132:133], v[90:91]
	;; [unrolled: 1-line block ×3, first 2 shown]
	ds_read2_b64 v[130:133], v124 offset0:18 offset1:19
	v_fma_f64 v[86:87], -v[106:107], v[136:137], v[86:87]
	ds_read2_b64 v[134:137], v124 offset0:20 offset1:21
	v_fma_f64 v[84:85], -v[106:107], v[138:139], v[84:85]
	v_fma_f64 v[82:83], -v[106:107], v[140:141], v[82:83]
	s_waitcnt lgkmcnt(0)
	v_fma_f64 v[80:81], -v[106:107], v[130:131], v[80:81]
	ds_read2_b64 v[138:141], v124 offset0:22 offset1:23
	v_fma_f64 v[78:79], -v[106:107], v[132:133], v[78:79]
	ds_read2_b64 v[130:133], v124 offset0:24 offset1:25
	v_fma_f64 v[76:77], -v[106:107], v[134:135], v[76:77]
	v_fma_f64 v[74:75], -v[106:107], v[136:137], v[74:75]
	ds_read2_b64 v[134:137], v124 offset0:26 offset1:27
	s_waitcnt lgkmcnt(0)
	v_fma_f64 v[72:73], -v[106:107], v[138:139], v[72:73]
	v_fma_f64 v[70:71], -v[106:107], v[140:141], v[70:71]
	ds_read2_b64 v[138:141], v124 offset0:28 offset1:29
	v_fma_f64 v[68:69], -v[106:107], v[130:131], v[68:69]
	v_fma_f64 v[66:67], -v[106:107], v[132:133], v[66:67]
	;; [unrolled: 1-line block ×3, first 2 shown]
	ds_read2_b64 v[130:133], v124 offset0:30 offset1:31
	v_fma_f64 v[62:63], -v[106:107], v[136:137], v[62:63]
	ds_read2_b64 v[134:137], v124 offset0:32 offset1:33
	s_waitcnt lgkmcnt(0)
	v_fma_f64 v[60:61], -v[106:107], v[138:139], v[60:61]
	v_fma_f64 v[58:59], -v[106:107], v[140:141], v[58:59]
	;; [unrolled: 1-line block ×3, first 2 shown]
	ds_read2_b64 v[138:141], v124 offset0:34 offset1:35
	v_fma_f64 v[54:55], -v[106:107], v[132:133], v[54:55]
	ds_read2_b64 v[130:133], v124 offset0:36 offset1:37
	v_fma_f64 v[52:53], -v[106:107], v[134:135], v[52:53]
	v_fma_f64 v[50:51], -v[106:107], v[136:137], v[50:51]
	ds_read2_b64 v[134:137], v124 offset0:38 offset1:39
	s_waitcnt lgkmcnt(0)
	v_fma_f64 v[48:49], -v[106:107], v[138:139], v[48:49]
	v_fma_f64 v[46:47], -v[106:107], v[140:141], v[46:47]
	ds_read2_b64 v[138:141], v124 offset0:40 offset1:41
	v_fma_f64 v[44:45], -v[106:107], v[130:131], v[44:45]
	v_fma_f64 v[42:43], -v[106:107], v[132:133], v[42:43]
	;; [unrolled: 1-line block ×3, first 2 shown]
	ds_read2_b64 v[130:133], v124 offset0:42 offset1:43
	v_fma_f64 v[38:39], -v[106:107], v[136:137], v[38:39]
	ds_read2_b64 v[134:137], v124 offset0:44 offset1:45
	s_waitcnt lgkmcnt(0)
	v_fma_f64 v[36:37], -v[106:107], v[138:139], v[36:37]
	v_fma_f64 v[34:35], -v[106:107], v[140:141], v[34:35]
	;; [unrolled: 1-line block ×3, first 2 shown]
	ds_read2_b64 v[138:141], v124 offset0:46 offset1:47
	v_fma_f64 v[30:31], -v[106:107], v[132:133], v[30:31]
	ds_read2_b64 v[130:133], v124 offset0:48 offset1:49
	v_fma_f64 v[28:29], -v[106:107], v[134:135], v[28:29]
	v_fma_f64 v[26:27], -v[106:107], v[136:137], v[26:27]
	ds_read2_b64 v[134:137], v124 offset0:50 offset1:51
	s_waitcnt lgkmcnt(0)
	v_fma_f64 v[24:25], -v[106:107], v[138:139], v[24:25]
	v_fma_f64 v[22:23], -v[106:107], v[140:141], v[22:23]
	v_fma_f64 v[20:21], -v[106:107], v[130:131], v[20:21]
	v_fma_f64 v[18:19], -v[106:107], v[132:133], v[18:19]
	ds_read2_b64 v[130:133], v124 offset0:52 offset1:53
	v_fma_f64 v[16:17], -v[106:107], v[134:135], v[16:17]
	ds_read2_b64 v[138:141], v124 offset0:54 offset1:55
	v_fma_f64 v[14:15], -v[106:107], v[136:137], v[14:15]
	ds_read2_b64 v[134:137], v124 offset0:56 offset1:57
	s_waitcnt lgkmcnt(0)
	v_fma_f64 v[12:13], -v[106:107], v[130:131], v[12:13]
	v_fma_f64 v[10:11], -v[106:107], v[132:133], v[10:11]
	;; [unrolled: 1-line block ×6, first 2 shown]
.LBB114_97:
	s_or_b64 exec, exec, s[0:1]
	v_lshl_add_u32 v120, v125, 3, v124
	s_barrier
	ds_write_b64 v120, v[104:105]
	s_waitcnt lgkmcnt(0)
	s_barrier
	ds_read_b64 v[120:121], v124 offset:48
	s_cmp_lt_i32 s18, 8
	v_mov_b32_e32 v122, 6
	s_cbranch_scc1 .LBB114_100
; %bb.98:
	v_add3_u32 v130, v129, 0, 56
	s_mov_b32 s0, 7
	v_mov_b32_e32 v122, 6
.LBB114_99:                             ; =>This Inner Loop Header: Depth=1
	ds_read_b64 v[132:133], v130
	v_mov_b32_e32 v131, s0
	s_add_i32 s0, s0, 1
	v_add_u32_e32 v130, 8, v130
	s_cmp_lg_u32 s18, s0
	s_waitcnt lgkmcnt(0)
	v_cmp_lt_f64_e64 vcc, |v[120:121]|, |v[132:133]|
	v_cndmask_b32_e32 v121, v121, v133, vcc
	v_cndmask_b32_e32 v120, v120, v132, vcc
	;; [unrolled: 1-line block ×3, first 2 shown]
	s_cbranch_scc1 .LBB114_99
.LBB114_100:
	s_waitcnt lgkmcnt(0)
	v_cmp_eq_f64_e32 vcc, 0, v[120:121]
	s_and_saveexec_b64 s[0:1], vcc
	s_xor_b64 s[0:1], exec, s[0:1]
; %bb.101:
	v_cmp_ne_u32_e32 vcc, 0, v128
	v_cndmask_b32_e32 v128, 7, v128, vcc
; %bb.102:
	s_andn2_saveexec_b64 s[0:1], s[0:1]
; %bb.103:
	v_div_scale_f64 v[130:131], s[2:3], v[120:121], v[120:121], 1.0
	v_rcp_f64_e32 v[132:133], v[130:131]
	v_div_scale_f64 v[134:135], vcc, 1.0, v[120:121], 1.0
	v_fma_f64 v[136:137], -v[130:131], v[132:133], 1.0
	v_fmac_f64_e32 v[132:133], v[132:133], v[136:137]
	v_fma_f64 v[136:137], -v[130:131], v[132:133], 1.0
	v_fmac_f64_e32 v[132:133], v[132:133], v[136:137]
	v_mul_f64 v[136:137], v[134:135], v[132:133]
	v_fma_f64 v[130:131], -v[130:131], v[136:137], v[134:135]
	v_div_fmas_f64 v[130:131], v[130:131], v[132:133], v[136:137]
	v_div_fixup_f64 v[120:121], v[130:131], v[120:121], 1.0
; %bb.104:
	s_or_b64 exec, exec, s[0:1]
	v_cmp_ne_u32_e32 vcc, v125, v122
	s_and_saveexec_b64 s[0:1], vcc
	s_xor_b64 s[0:1], exec, s[0:1]
	s_cbranch_execz .LBB114_110
; %bb.105:
	v_cmp_eq_u32_e32 vcc, 6, v125
	s_and_saveexec_b64 s[2:3], vcc
	s_cbranch_execz .LBB114_109
; %bb.106:
	v_cmp_ne_u32_e32 vcc, 6, v122
	s_xor_b64 s[14:15], s[6:7], -1
	s_and_b64 s[16:17], s[14:15], vcc
	s_and_saveexec_b64 s[14:15], s[16:17]
	s_cbranch_execz .LBB114_108
; %bb.107:
	v_ashrrev_i32_e32 v123, 31, v122
	v_lshlrev_b64 v[130:131], 2, v[122:123]
	v_add_co_u32_e32 v130, vcc, v4, v130
	v_addc_co_u32_e32 v131, vcc, v5, v131, vcc
	flat_load_dword v123, v[130:131]
	flat_load_dword v125, v[4:5] offset:24
	s_waitcnt vmcnt(0) lgkmcnt(0)
	flat_store_dword v[4:5], v123 offset:24
	flat_store_dword v[130:131], v125
.LBB114_108:
	s_or_b64 exec, exec, s[14:15]
	v_mov_b32_e32 v123, v122
	v_mov_b32_e32 v125, v122
.LBB114_109:
	s_or_b64 exec, exec, s[2:3]
.LBB114_110:
	s_andn2_saveexec_b64 s[0:1], s[0:1]
	s_cbranch_execz .LBB114_112
; %bb.111:
	v_mov_b32_e32 v125, 6
	ds_write2_b64 v124, v[102:103], v[100:101] offset0:7 offset1:8
	ds_write2_b64 v124, v[98:99], v[96:97] offset0:9 offset1:10
	;; [unrolled: 1-line block ×25, first 2 shown]
	ds_write_b64 v124, v[118:119] offset:456
.LBB114_112:
	s_or_b64 exec, exec, s[0:1]
	v_cmp_lt_i32_e32 vcc, 6, v125
	s_waitcnt lgkmcnt(0)
	s_barrier
	s_and_saveexec_b64 s[0:1], vcc
	s_cbranch_execz .LBB114_114
; %bb.113:
	ds_read2_b64 v[130:133], v124 offset0:7 offset1:8
	ds_read2_b64 v[134:137], v124 offset0:9 offset1:10
	v_mul_f64 v[104:105], v[120:121], v[104:105]
	ds_read2_b64 v[138:141], v124 offset0:11 offset1:12
	ds_read_b64 v[120:121], v124 offset:456
	s_waitcnt lgkmcnt(0)
	v_fma_f64 v[102:103], -v[104:105], v[130:131], v[102:103]
	v_fma_f64 v[100:101], -v[104:105], v[132:133], v[100:101]
	ds_read2_b64 v[130:133], v124 offset0:13 offset1:14
	v_fma_f64 v[98:99], -v[104:105], v[134:135], v[98:99]
	v_fma_f64 v[96:97], -v[104:105], v[136:137], v[96:97]
	;; [unrolled: 1-line block ×3, first 2 shown]
	ds_read2_b64 v[134:137], v124 offset0:15 offset1:16
	v_fma_f64 v[92:93], -v[104:105], v[140:141], v[92:93]
	ds_read2_b64 v[138:141], v124 offset0:17 offset1:18
	s_waitcnt lgkmcnt(0)
	v_fma_f64 v[90:91], -v[104:105], v[130:131], v[90:91]
	v_fma_f64 v[88:89], -v[104:105], v[132:133], v[88:89]
	ds_read2_b64 v[130:133], v124 offset0:19 offset1:20
	v_fma_f64 v[86:87], -v[104:105], v[134:135], v[86:87]
	v_fma_f64 v[84:85], -v[104:105], v[136:137], v[84:85]
	ds_read2_b64 v[134:137], v124 offset0:21 offset1:22
	v_fma_f64 v[82:83], -v[104:105], v[138:139], v[82:83]
	v_fma_f64 v[80:81], -v[104:105], v[140:141], v[80:81]
	s_waitcnt lgkmcnt(0)
	v_fma_f64 v[78:79], -v[104:105], v[130:131], v[78:79]
	ds_read2_b64 v[138:141], v124 offset0:23 offset1:24
	v_fma_f64 v[76:77], -v[104:105], v[132:133], v[76:77]
	ds_read2_b64 v[130:133], v124 offset0:25 offset1:26
	v_fma_f64 v[74:75], -v[104:105], v[134:135], v[74:75]
	v_fma_f64 v[72:73], -v[104:105], v[136:137], v[72:73]
	s_waitcnt lgkmcnt(0)
	v_fma_f64 v[70:71], -v[104:105], v[138:139], v[70:71]
	ds_read2_b64 v[134:137], v124 offset0:27 offset1:28
	v_fma_f64 v[68:69], -v[104:105], v[140:141], v[68:69]
	ds_read2_b64 v[138:141], v124 offset0:29 offset1:30
	v_fma_f64 v[66:67], -v[104:105], v[130:131], v[66:67]
	v_fma_f64 v[64:65], -v[104:105], v[132:133], v[64:65]
	ds_read2_b64 v[130:133], v124 offset0:31 offset1:32
	s_waitcnt lgkmcnt(0)
	v_fma_f64 v[62:63], -v[104:105], v[134:135], v[62:63]
	v_fma_f64 v[60:61], -v[104:105], v[136:137], v[60:61]
	ds_read2_b64 v[134:137], v124 offset0:33 offset1:34
	v_fma_f64 v[58:59], -v[104:105], v[138:139], v[58:59]
	v_fma_f64 v[56:57], -v[104:105], v[140:141], v[56:57]
	;; [unrolled: 1-line block ×3, first 2 shown]
	ds_read2_b64 v[138:141], v124 offset0:35 offset1:36
	v_fma_f64 v[52:53], -v[104:105], v[132:133], v[52:53]
	ds_read2_b64 v[130:133], v124 offset0:37 offset1:38
	s_waitcnt lgkmcnt(0)
	v_fma_f64 v[50:51], -v[104:105], v[134:135], v[50:51]
	v_fma_f64 v[48:49], -v[104:105], v[136:137], v[48:49]
	;; [unrolled: 1-line block ×3, first 2 shown]
	ds_read2_b64 v[134:137], v124 offset0:39 offset1:40
	v_fma_f64 v[44:45], -v[104:105], v[140:141], v[44:45]
	ds_read2_b64 v[138:141], v124 offset0:41 offset1:42
	v_fma_f64 v[42:43], -v[104:105], v[130:131], v[42:43]
	v_fma_f64 v[40:41], -v[104:105], v[132:133], v[40:41]
	ds_read2_b64 v[130:133], v124 offset0:43 offset1:44
	s_waitcnt lgkmcnt(0)
	v_fma_f64 v[38:39], -v[104:105], v[134:135], v[38:39]
	v_fma_f64 v[36:37], -v[104:105], v[136:137], v[36:37]
	ds_read2_b64 v[134:137], v124 offset0:45 offset1:46
	v_fma_f64 v[34:35], -v[104:105], v[138:139], v[34:35]
	v_fma_f64 v[32:33], -v[104:105], v[140:141], v[32:33]
	;; [unrolled: 1-line block ×3, first 2 shown]
	ds_read2_b64 v[138:141], v124 offset0:47 offset1:48
	v_fma_f64 v[28:29], -v[104:105], v[132:133], v[28:29]
	ds_read2_b64 v[130:133], v124 offset0:49 offset1:50
	s_waitcnt lgkmcnt(0)
	v_fma_f64 v[26:27], -v[104:105], v[134:135], v[26:27]
	v_fma_f64 v[24:25], -v[104:105], v[136:137], v[24:25]
	;; [unrolled: 1-line block ×3, first 2 shown]
	ds_read2_b64 v[134:137], v124 offset0:51 offset1:52
	v_fma_f64 v[20:21], -v[104:105], v[140:141], v[20:21]
	v_fma_f64 v[18:19], -v[104:105], v[130:131], v[18:19]
	;; [unrolled: 1-line block ×3, first 2 shown]
	ds_read2_b64 v[130:133], v124 offset0:53 offset1:54
	ds_read2_b64 v[138:141], v124 offset0:55 offset1:56
	s_waitcnt lgkmcnt(0)
	v_fma_f64 v[14:15], -v[104:105], v[134:135], v[14:15]
	v_fma_f64 v[12:13], -v[104:105], v[136:137], v[12:13]
	;; [unrolled: 1-line block ×7, first 2 shown]
.LBB114_114:
	s_or_b64 exec, exec, s[0:1]
	v_lshl_add_u32 v120, v125, 3, v124
	s_barrier
	ds_write_b64 v120, v[102:103]
	s_waitcnt lgkmcnt(0)
	s_barrier
	ds_read_b64 v[120:121], v124 offset:56
	s_cmp_lt_i32 s18, 9
	v_mov_b32_e32 v122, 7
	s_cbranch_scc1 .LBB114_117
; %bb.115:
	v_add3_u32 v129, v129, 0, 64
	s_mov_b32 s0, 8
	v_mov_b32_e32 v122, 7
.LBB114_116:                            ; =>This Inner Loop Header: Depth=1
	ds_read_b64 v[130:131], v129
	v_mov_b32_e32 v132, s0
	s_add_i32 s0, s0, 1
	v_add_u32_e32 v129, 8, v129
	s_cmp_lg_u32 s18, s0
	s_waitcnt lgkmcnt(0)
	v_cmp_lt_f64_e64 vcc, |v[120:121]|, |v[130:131]|
	v_cndmask_b32_e32 v121, v121, v131, vcc
	v_cndmask_b32_e32 v120, v120, v130, vcc
	;; [unrolled: 1-line block ×3, first 2 shown]
	s_cbranch_scc1 .LBB114_116
.LBB114_117:
	s_waitcnt lgkmcnt(0)
	v_cmp_eq_f64_e32 vcc, 0, v[120:121]
	s_and_saveexec_b64 s[0:1], vcc
	s_xor_b64 s[0:1], exec, s[0:1]
; %bb.118:
	v_cmp_ne_u32_e32 vcc, 0, v128
	v_cndmask_b32_e32 v128, 8, v128, vcc
; %bb.119:
	s_andn2_saveexec_b64 s[0:1], s[0:1]
; %bb.120:
	v_div_scale_f64 v[130:131], s[2:3], v[120:121], v[120:121], 1.0
	v_rcp_f64_e32 v[132:133], v[130:131]
	v_div_scale_f64 v[134:135], vcc, 1.0, v[120:121], 1.0
	v_fma_f64 v[136:137], -v[130:131], v[132:133], 1.0
	v_fmac_f64_e32 v[132:133], v[132:133], v[136:137]
	v_fma_f64 v[136:137], -v[130:131], v[132:133], 1.0
	v_fmac_f64_e32 v[132:133], v[132:133], v[136:137]
	v_mul_f64 v[136:137], v[134:135], v[132:133]
	v_fma_f64 v[130:131], -v[130:131], v[136:137], v[134:135]
	v_div_fmas_f64 v[130:131], v[130:131], v[132:133], v[136:137]
	v_div_fixup_f64 v[120:121], v[130:131], v[120:121], 1.0
; %bb.121:
	s_or_b64 exec, exec, s[0:1]
	v_cmp_ne_u32_e32 vcc, v125, v122
	s_and_saveexec_b64 s[0:1], vcc
	s_xor_b64 s[0:1], exec, s[0:1]
	s_cbranch_execz .LBB114_127
; %bb.122:
	v_cmp_eq_u32_e32 vcc, 7, v125
	s_and_saveexec_b64 s[2:3], vcc
	s_cbranch_execz .LBB114_126
; %bb.123:
	v_cmp_ne_u32_e32 vcc, 7, v122
	s_xor_b64 s[14:15], s[6:7], -1
	s_and_b64 s[16:17], s[14:15], vcc
	s_and_saveexec_b64 s[14:15], s[16:17]
	s_cbranch_execz .LBB114_125
; %bb.124:
	v_ashrrev_i32_e32 v123, 31, v122
	v_lshlrev_b64 v[130:131], 2, v[122:123]
	v_add_co_u32_e32 v130, vcc, v4, v130
	v_addc_co_u32_e32 v131, vcc, v5, v131, vcc
	flat_load_dword v123, v[130:131]
	flat_load_dword v125, v[4:5] offset:28
	s_waitcnt vmcnt(0) lgkmcnt(0)
	flat_store_dword v[4:5], v123 offset:28
	flat_store_dword v[130:131], v125
.LBB114_125:
	s_or_b64 exec, exec, s[14:15]
	v_mov_b32_e32 v123, v122
	v_mov_b32_e32 v125, v122
.LBB114_126:
	s_or_b64 exec, exec, s[2:3]
.LBB114_127:
	s_andn2_saveexec_b64 s[0:1], s[0:1]
	s_cbranch_execz .LBB114_129
; %bb.128:
	v_mov_b32_e32 v130, v100
	v_mov_b32_e32 v131, v101
	v_mov_b32_e32 v132, v98
	v_mov_b32_e32 v133, v99
	ds_write2_b64 v124, v[130:131], v[132:133] offset0:8 offset1:9
	v_mov_b32_e32 v130, v96
	v_mov_b32_e32 v131, v97
	v_mov_b32_e32 v132, v94
	v_mov_b32_e32 v133, v95
	ds_write2_b64 v124, v[130:131], v[132:133] offset0:10 offset1:11
	;; [unrolled: 5-line block ×24, first 2 shown]
	v_mov_b32_e32 v130, v0
	v_mov_b32_e32 v131, v1
	;; [unrolled: 1-line block ×3, first 2 shown]
	ds_write2_b64 v124, v[130:131], v[118:119] offset0:56 offset1:57
.LBB114_129:
	s_or_b64 exec, exec, s[0:1]
	v_cmp_lt_i32_e32 vcc, 7, v125
	s_waitcnt lgkmcnt(0)
	s_barrier
	s_and_saveexec_b64 s[0:1], vcc
	s_cbranch_execz .LBB114_131
; %bb.130:
	ds_read2_b64 v[130:133], v124 offset0:8 offset1:9
	ds_read2_b64 v[134:137], v124 offset0:10 offset1:11
	v_mul_f64 v[102:103], v[120:121], v[102:103]
	ds_read2_b64 v[138:141], v124 offset0:12 offset1:13
	s_waitcnt lgkmcnt(0)
	v_fma_f64 v[100:101], -v[102:103], v[130:131], v[100:101]
	v_fma_f64 v[98:99], -v[102:103], v[132:133], v[98:99]
	ds_read2_b64 v[130:133], v124 offset0:14 offset1:15
	v_fma_f64 v[96:97], -v[102:103], v[134:135], v[96:97]
	v_fma_f64 v[94:95], -v[102:103], v[136:137], v[94:95]
	;; [unrolled: 1-line block ×3, first 2 shown]
	ds_read2_b64 v[134:137], v124 offset0:16 offset1:17
	v_fma_f64 v[90:91], -v[102:103], v[140:141], v[90:91]
	ds_read2_b64 v[138:141], v124 offset0:18 offset1:19
	s_waitcnt lgkmcnt(0)
	v_fma_f64 v[88:89], -v[102:103], v[130:131], v[88:89]
	v_fma_f64 v[86:87], -v[102:103], v[132:133], v[86:87]
	ds_read2_b64 v[130:133], v124 offset0:20 offset1:21
	v_fma_f64 v[84:85], -v[102:103], v[134:135], v[84:85]
	v_fma_f64 v[82:83], -v[102:103], v[136:137], v[82:83]
	ds_read2_b64 v[134:137], v124 offset0:22 offset1:23
	v_fma_f64 v[80:81], -v[102:103], v[138:139], v[80:81]
	v_fma_f64 v[78:79], -v[102:103], v[140:141], v[78:79]
	s_waitcnt lgkmcnt(0)
	v_fma_f64 v[76:77], -v[102:103], v[130:131], v[76:77]
	ds_read2_b64 v[138:141], v124 offset0:24 offset1:25
	v_fma_f64 v[74:75], -v[102:103], v[132:133], v[74:75]
	ds_read2_b64 v[130:133], v124 offset0:26 offset1:27
	v_fma_f64 v[72:73], -v[102:103], v[134:135], v[72:73]
	v_fma_f64 v[70:71], -v[102:103], v[136:137], v[70:71]
	s_waitcnt lgkmcnt(0)
	v_fma_f64 v[68:69], -v[102:103], v[138:139], v[68:69]
	ds_read2_b64 v[134:137], v124 offset0:28 offset1:29
	v_fma_f64 v[66:67], -v[102:103], v[140:141], v[66:67]
	ds_read2_b64 v[138:141], v124 offset0:30 offset1:31
	v_fma_f64 v[64:65], -v[102:103], v[130:131], v[64:65]
	v_fma_f64 v[62:63], -v[102:103], v[132:133], v[62:63]
	ds_read2_b64 v[130:133], v124 offset0:32 offset1:33
	s_waitcnt lgkmcnt(0)
	v_fma_f64 v[60:61], -v[102:103], v[134:135], v[60:61]
	v_fma_f64 v[58:59], -v[102:103], v[136:137], v[58:59]
	ds_read2_b64 v[134:137], v124 offset0:34 offset1:35
	v_fma_f64 v[56:57], -v[102:103], v[138:139], v[56:57]
	v_fma_f64 v[54:55], -v[102:103], v[140:141], v[54:55]
	;; [unrolled: 1-line block ×3, first 2 shown]
	ds_read2_b64 v[138:141], v124 offset0:36 offset1:37
	v_fma_f64 v[50:51], -v[102:103], v[132:133], v[50:51]
	ds_read2_b64 v[130:133], v124 offset0:38 offset1:39
	s_waitcnt lgkmcnt(0)
	v_fma_f64 v[48:49], -v[102:103], v[134:135], v[48:49]
	v_fma_f64 v[46:47], -v[102:103], v[136:137], v[46:47]
	;; [unrolled: 1-line block ×3, first 2 shown]
	ds_read2_b64 v[134:137], v124 offset0:40 offset1:41
	v_fma_f64 v[42:43], -v[102:103], v[140:141], v[42:43]
	ds_read2_b64 v[138:141], v124 offset0:42 offset1:43
	v_fma_f64 v[40:41], -v[102:103], v[130:131], v[40:41]
	v_fma_f64 v[38:39], -v[102:103], v[132:133], v[38:39]
	ds_read2_b64 v[130:133], v124 offset0:44 offset1:45
	s_waitcnt lgkmcnt(0)
	v_fma_f64 v[36:37], -v[102:103], v[134:135], v[36:37]
	v_fma_f64 v[34:35], -v[102:103], v[136:137], v[34:35]
	ds_read2_b64 v[134:137], v124 offset0:46 offset1:47
	v_fma_f64 v[32:33], -v[102:103], v[138:139], v[32:33]
	v_fma_f64 v[30:31], -v[102:103], v[140:141], v[30:31]
	;; [unrolled: 1-line block ×3, first 2 shown]
	ds_read2_b64 v[138:141], v124 offset0:48 offset1:49
	v_fma_f64 v[26:27], -v[102:103], v[132:133], v[26:27]
	ds_read2_b64 v[130:133], v124 offset0:50 offset1:51
	s_waitcnt lgkmcnt(0)
	v_fma_f64 v[24:25], -v[102:103], v[134:135], v[24:25]
	v_fma_f64 v[22:23], -v[102:103], v[136:137], v[22:23]
	;; [unrolled: 1-line block ×4, first 2 shown]
	ds_read2_b64 v[134:137], v124 offset0:52 offset1:53
	ds_read2_b64 v[138:141], v124 offset0:54 offset1:55
	v_fma_f64 v[16:17], -v[102:103], v[130:131], v[16:17]
	v_fma_f64 v[14:15], -v[102:103], v[132:133], v[14:15]
	ds_read2_b64 v[130:133], v124 offset0:56 offset1:57
	s_waitcnt lgkmcnt(0)
	v_fma_f64 v[12:13], -v[102:103], v[134:135], v[12:13]
	v_fma_f64 v[10:11], -v[102:103], v[136:137], v[10:11]
	v_fma_f64 v[8:9], -v[102:103], v[138:139], v[8:9]
	v_fma_f64 v[6:7], -v[102:103], v[140:141], v[6:7]
	v_fma_f64 v[0:1], -v[102:103], v[130:131], v[0:1]
	v_fma_f64 v[118:119], -v[102:103], v[132:133], v[118:119]
.LBB114_131:
	s_or_b64 exec, exec, s[0:1]
	v_lshl_add_u32 v120, v125, 3, v124
	s_barrier
	ds_write_b64 v120, v[100:101]
	s_waitcnt lgkmcnt(0)
	s_barrier
	ds_read_b64 v[120:121], v124 offset:64
	s_cmp_lt_i32 s18, 10
	v_mov_b32_e32 v122, 8
	s_cbranch_scc1 .LBB114_134
; %bb.132:
	v_add_u32_e32 v129, 0x48, v124
	s_mov_b32 s0, 9
	v_mov_b32_e32 v122, 8
.LBB114_133:                            ; =>This Inner Loop Header: Depth=1
	ds_read_b64 v[130:131], v129
	v_mov_b32_e32 v132, s0
	s_add_i32 s0, s0, 1
	v_add_u32_e32 v129, 8, v129
	s_cmp_lg_u32 s18, s0
	s_waitcnt lgkmcnt(0)
	v_cmp_lt_f64_e64 vcc, |v[120:121]|, |v[130:131]|
	v_cndmask_b32_e32 v121, v121, v131, vcc
	v_cndmask_b32_e32 v120, v120, v130, vcc
	;; [unrolled: 1-line block ×3, first 2 shown]
	s_cbranch_scc1 .LBB114_133
.LBB114_134:
	s_waitcnt lgkmcnt(0)
	v_cmp_eq_f64_e32 vcc, 0, v[120:121]
	s_and_saveexec_b64 s[0:1], vcc
	s_xor_b64 s[0:1], exec, s[0:1]
; %bb.135:
	v_cmp_ne_u32_e32 vcc, 0, v128
	v_cndmask_b32_e32 v128, 9, v128, vcc
; %bb.136:
	s_andn2_saveexec_b64 s[0:1], s[0:1]
; %bb.137:
	v_div_scale_f64 v[130:131], s[2:3], v[120:121], v[120:121], 1.0
	v_rcp_f64_e32 v[132:133], v[130:131]
	v_div_scale_f64 v[134:135], vcc, 1.0, v[120:121], 1.0
	v_fma_f64 v[136:137], -v[130:131], v[132:133], 1.0
	v_fmac_f64_e32 v[132:133], v[132:133], v[136:137]
	v_fma_f64 v[136:137], -v[130:131], v[132:133], 1.0
	v_fmac_f64_e32 v[132:133], v[132:133], v[136:137]
	v_mul_f64 v[136:137], v[134:135], v[132:133]
	v_fma_f64 v[130:131], -v[130:131], v[136:137], v[134:135]
	v_div_fmas_f64 v[130:131], v[130:131], v[132:133], v[136:137]
	v_div_fixup_f64 v[120:121], v[130:131], v[120:121], 1.0
; %bb.138:
	s_or_b64 exec, exec, s[0:1]
	v_cmp_ne_u32_e32 vcc, v125, v122
	s_and_saveexec_b64 s[0:1], vcc
	s_xor_b64 s[0:1], exec, s[0:1]
	s_cbranch_execz .LBB114_144
; %bb.139:
	v_cmp_eq_u32_e32 vcc, 8, v125
	s_and_saveexec_b64 s[2:3], vcc
	s_cbranch_execz .LBB114_143
; %bb.140:
	v_cmp_ne_u32_e32 vcc, 8, v122
	s_xor_b64 s[14:15], s[6:7], -1
	s_and_b64 s[16:17], s[14:15], vcc
	s_and_saveexec_b64 s[14:15], s[16:17]
	s_cbranch_execz .LBB114_142
; %bb.141:
	v_ashrrev_i32_e32 v123, 31, v122
	v_lshlrev_b64 v[130:131], 2, v[122:123]
	v_add_co_u32_e32 v130, vcc, v4, v130
	v_addc_co_u32_e32 v131, vcc, v5, v131, vcc
	flat_load_dword v123, v[130:131]
	flat_load_dword v125, v[4:5] offset:32
	s_waitcnt vmcnt(0) lgkmcnt(0)
	flat_store_dword v[4:5], v123 offset:32
	flat_store_dword v[130:131], v125
.LBB114_142:
	s_or_b64 exec, exec, s[14:15]
	v_mov_b32_e32 v123, v122
	v_mov_b32_e32 v125, v122
.LBB114_143:
	s_or_b64 exec, exec, s[2:3]
.LBB114_144:
	s_andn2_saveexec_b64 s[0:1], s[0:1]
	s_cbranch_execz .LBB114_146
; %bb.145:
	v_mov_b32_e32 v125, 8
	ds_write2_b64 v124, v[98:99], v[96:97] offset0:9 offset1:10
	ds_write2_b64 v124, v[94:95], v[92:93] offset0:11 offset1:12
	;; [unrolled: 1-line block ×24, first 2 shown]
	ds_write_b64 v124, v[118:119] offset:456
.LBB114_146:
	s_or_b64 exec, exec, s[0:1]
	v_cmp_lt_i32_e32 vcc, 8, v125
	s_waitcnt lgkmcnt(0)
	s_barrier
	s_and_saveexec_b64 s[0:1], vcc
	s_cbranch_execz .LBB114_148
; %bb.147:
	ds_read2_b64 v[130:133], v124 offset0:9 offset1:10
	ds_read2_b64 v[134:137], v124 offset0:11 offset1:12
	;; [unrolled: 1-line block ×3, first 2 shown]
	v_mul_f64 v[100:101], v[120:121], v[100:101]
	ds_read_b64 v[120:121], v124 offset:456
	s_waitcnt lgkmcnt(0)
	v_fma_f64 v[98:99], -v[100:101], v[130:131], v[98:99]
	v_fma_f64 v[96:97], -v[100:101], v[132:133], v[96:97]
	ds_read2_b64 v[130:133], v124 offset0:15 offset1:16
	v_fma_f64 v[94:95], -v[100:101], v[134:135], v[94:95]
	v_fma_f64 v[92:93], -v[100:101], v[136:137], v[92:93]
	v_fma_f64 v[90:91], -v[100:101], v[138:139], v[90:91]
	ds_read2_b64 v[134:137], v124 offset0:17 offset1:18
	v_fma_f64 v[88:89], -v[100:101], v[140:141], v[88:89]
	ds_read2_b64 v[138:141], v124 offset0:19 offset1:20
	s_waitcnt lgkmcnt(0)
	v_fma_f64 v[86:87], -v[100:101], v[130:131], v[86:87]
	v_fma_f64 v[84:85], -v[100:101], v[132:133], v[84:85]
	v_fma_f64 v[82:83], -v[100:101], v[134:135], v[82:83]
	ds_read2_b64 v[130:133], v124 offset0:21 offset1:22
	v_fma_f64 v[80:81], -v[100:101], v[136:137], v[80:81]
	ds_read2_b64 v[134:137], v124 offset0:23 offset1:24
	v_fma_f64 v[78:79], -v[100:101], v[138:139], v[78:79]
	v_fma_f64 v[76:77], -v[100:101], v[140:141], v[76:77]
	ds_read2_b64 v[138:141], v124 offset0:25 offset1:26
	s_waitcnt lgkmcnt(0)
	v_fma_f64 v[74:75], -v[100:101], v[130:131], v[74:75]
	v_fma_f64 v[72:73], -v[100:101], v[132:133], v[72:73]
	ds_read2_b64 v[130:133], v124 offset0:27 offset1:28
	v_fma_f64 v[70:71], -v[100:101], v[134:135], v[70:71]
	v_fma_f64 v[68:69], -v[100:101], v[136:137], v[68:69]
	v_fma_f64 v[66:67], -v[100:101], v[138:139], v[66:67]
	ds_read2_b64 v[134:137], v124 offset0:29 offset1:30
	v_fma_f64 v[64:65], -v[100:101], v[140:141], v[64:65]
	ds_read2_b64 v[138:141], v124 offset0:31 offset1:32
	s_waitcnt lgkmcnt(0)
	v_fma_f64 v[62:63], -v[100:101], v[130:131], v[62:63]
	v_fma_f64 v[60:61], -v[100:101], v[132:133], v[60:61]
	v_fma_f64 v[58:59], -v[100:101], v[134:135], v[58:59]
	ds_read2_b64 v[130:133], v124 offset0:33 offset1:34
	v_fma_f64 v[56:57], -v[100:101], v[136:137], v[56:57]
	ds_read2_b64 v[134:137], v124 offset0:35 offset1:36
	v_fma_f64 v[54:55], -v[100:101], v[138:139], v[54:55]
	v_fma_f64 v[52:53], -v[100:101], v[140:141], v[52:53]
	ds_read2_b64 v[138:141], v124 offset0:37 offset1:38
	;; [unrolled: 20-line block ×3, first 2 shown]
	s_waitcnt lgkmcnt(0)
	v_fma_f64 v[26:27], -v[100:101], v[130:131], v[26:27]
	v_fma_f64 v[24:25], -v[100:101], v[132:133], v[24:25]
	ds_read2_b64 v[130:133], v124 offset0:51 offset1:52
	v_fma_f64 v[22:23], -v[100:101], v[134:135], v[22:23]
	v_fma_f64 v[20:21], -v[100:101], v[136:137], v[20:21]
	;; [unrolled: 1-line block ×4, first 2 shown]
	ds_read2_b64 v[134:137], v124 offset0:53 offset1:54
	ds_read2_b64 v[138:141], v124 offset0:55 offset1:56
	s_waitcnt lgkmcnt(0)
	v_fma_f64 v[14:15], -v[100:101], v[130:131], v[14:15]
	v_fma_f64 v[12:13], -v[100:101], v[132:133], v[12:13]
	v_fma_f64 v[118:119], -v[100:101], v[120:121], v[118:119]
	v_fma_f64 v[10:11], -v[100:101], v[134:135], v[10:11]
	v_fma_f64 v[8:9], -v[100:101], v[136:137], v[8:9]
	v_fma_f64 v[6:7], -v[100:101], v[138:139], v[6:7]
	v_fma_f64 v[0:1], -v[100:101], v[140:141], v[0:1]
.LBB114_148:
	s_or_b64 exec, exec, s[0:1]
	v_lshl_add_u32 v120, v125, 3, v124
	s_barrier
	ds_write_b64 v120, v[98:99]
	s_waitcnt lgkmcnt(0)
	s_barrier
	ds_read_b64 v[120:121], v124 offset:72
	s_cmp_lt_i32 s18, 11
	v_mov_b32_e32 v122, 9
	s_cbranch_scc1 .LBB114_151
; %bb.149:
	v_add_u32_e32 v129, 0x50, v124
	s_mov_b32 s0, 10
	v_mov_b32_e32 v122, 9
.LBB114_150:                            ; =>This Inner Loop Header: Depth=1
	ds_read_b64 v[130:131], v129
	v_mov_b32_e32 v132, s0
	s_add_i32 s0, s0, 1
	v_add_u32_e32 v129, 8, v129
	s_cmp_lg_u32 s18, s0
	s_waitcnt lgkmcnt(0)
	v_cmp_lt_f64_e64 vcc, |v[120:121]|, |v[130:131]|
	v_cndmask_b32_e32 v121, v121, v131, vcc
	v_cndmask_b32_e32 v120, v120, v130, vcc
	;; [unrolled: 1-line block ×3, first 2 shown]
	s_cbranch_scc1 .LBB114_150
.LBB114_151:
	s_waitcnt lgkmcnt(0)
	v_cmp_eq_f64_e32 vcc, 0, v[120:121]
	s_and_saveexec_b64 s[0:1], vcc
	s_xor_b64 s[0:1], exec, s[0:1]
; %bb.152:
	v_cmp_ne_u32_e32 vcc, 0, v128
	v_cndmask_b32_e32 v128, 10, v128, vcc
; %bb.153:
	s_andn2_saveexec_b64 s[0:1], s[0:1]
; %bb.154:
	v_div_scale_f64 v[130:131], s[2:3], v[120:121], v[120:121], 1.0
	v_rcp_f64_e32 v[132:133], v[130:131]
	v_div_scale_f64 v[134:135], vcc, 1.0, v[120:121], 1.0
	v_fma_f64 v[136:137], -v[130:131], v[132:133], 1.0
	v_fmac_f64_e32 v[132:133], v[132:133], v[136:137]
	v_fma_f64 v[136:137], -v[130:131], v[132:133], 1.0
	v_fmac_f64_e32 v[132:133], v[132:133], v[136:137]
	v_mul_f64 v[136:137], v[134:135], v[132:133]
	v_fma_f64 v[130:131], -v[130:131], v[136:137], v[134:135]
	v_div_fmas_f64 v[130:131], v[130:131], v[132:133], v[136:137]
	v_div_fixup_f64 v[120:121], v[130:131], v[120:121], 1.0
; %bb.155:
	s_or_b64 exec, exec, s[0:1]
	v_cmp_ne_u32_e32 vcc, v125, v122
	s_and_saveexec_b64 s[0:1], vcc
	s_xor_b64 s[0:1], exec, s[0:1]
	s_cbranch_execz .LBB114_161
; %bb.156:
	v_cmp_eq_u32_e32 vcc, 9, v125
	s_and_saveexec_b64 s[2:3], vcc
	s_cbranch_execz .LBB114_160
; %bb.157:
	v_cmp_ne_u32_e32 vcc, 9, v122
	s_xor_b64 s[14:15], s[6:7], -1
	s_and_b64 s[16:17], s[14:15], vcc
	s_and_saveexec_b64 s[14:15], s[16:17]
	s_cbranch_execz .LBB114_159
; %bb.158:
	v_ashrrev_i32_e32 v123, 31, v122
	v_lshlrev_b64 v[130:131], 2, v[122:123]
	v_add_co_u32_e32 v130, vcc, v4, v130
	v_addc_co_u32_e32 v131, vcc, v5, v131, vcc
	flat_load_dword v123, v[130:131]
	flat_load_dword v125, v[4:5] offset:36
	s_waitcnt vmcnt(0) lgkmcnt(0)
	flat_store_dword v[4:5], v123 offset:36
	flat_store_dword v[130:131], v125
.LBB114_159:
	s_or_b64 exec, exec, s[14:15]
	v_mov_b32_e32 v123, v122
	v_mov_b32_e32 v125, v122
.LBB114_160:
	s_or_b64 exec, exec, s[2:3]
.LBB114_161:
	s_andn2_saveexec_b64 s[0:1], s[0:1]
	s_cbranch_execz .LBB114_163
; %bb.162:
	v_mov_b32_e32 v130, v96
	v_mov_b32_e32 v131, v97
	v_mov_b32_e32 v132, v94
	v_mov_b32_e32 v133, v95
	ds_write2_b64 v124, v[130:131], v[132:133] offset0:10 offset1:11
	v_mov_b32_e32 v130, v92
	v_mov_b32_e32 v131, v93
	v_mov_b32_e32 v132, v90
	v_mov_b32_e32 v133, v91
	ds_write2_b64 v124, v[130:131], v[132:133] offset0:12 offset1:13
	;; [unrolled: 5-line block ×23, first 2 shown]
	v_mov_b32_e32 v130, v0
	v_mov_b32_e32 v131, v1
	;; [unrolled: 1-line block ×3, first 2 shown]
	ds_write2_b64 v124, v[130:131], v[118:119] offset0:56 offset1:57
.LBB114_163:
	s_or_b64 exec, exec, s[0:1]
	v_cmp_lt_i32_e32 vcc, 9, v125
	s_waitcnt lgkmcnt(0)
	s_barrier
	s_and_saveexec_b64 s[0:1], vcc
	s_cbranch_execz .LBB114_165
; %bb.164:
	ds_read2_b64 v[130:133], v124 offset0:10 offset1:11
	ds_read2_b64 v[134:137], v124 offset0:12 offset1:13
	;; [unrolled: 1-line block ×3, first 2 shown]
	v_mul_f64 v[98:99], v[120:121], v[98:99]
	s_waitcnt lgkmcnt(0)
	v_fma_f64 v[96:97], -v[98:99], v[130:131], v[96:97]
	v_fma_f64 v[94:95], -v[98:99], v[132:133], v[94:95]
	ds_read2_b64 v[130:133], v124 offset0:16 offset1:17
	v_fma_f64 v[92:93], -v[98:99], v[134:135], v[92:93]
	v_fma_f64 v[90:91], -v[98:99], v[136:137], v[90:91]
	v_fma_f64 v[88:89], -v[98:99], v[138:139], v[88:89]
	ds_read2_b64 v[134:137], v124 offset0:18 offset1:19
	v_fma_f64 v[86:87], -v[98:99], v[140:141], v[86:87]
	ds_read2_b64 v[138:141], v124 offset0:20 offset1:21
	s_waitcnt lgkmcnt(0)
	v_fma_f64 v[84:85], -v[98:99], v[130:131], v[84:85]
	v_fma_f64 v[82:83], -v[98:99], v[132:133], v[82:83]
	v_fma_f64 v[80:81], -v[98:99], v[134:135], v[80:81]
	ds_read2_b64 v[130:133], v124 offset0:22 offset1:23
	v_fma_f64 v[78:79], -v[98:99], v[136:137], v[78:79]
	ds_read2_b64 v[134:137], v124 offset0:24 offset1:25
	v_fma_f64 v[76:77], -v[98:99], v[138:139], v[76:77]
	v_fma_f64 v[74:75], -v[98:99], v[140:141], v[74:75]
	ds_read2_b64 v[138:141], v124 offset0:26 offset1:27
	s_waitcnt lgkmcnt(0)
	v_fma_f64 v[72:73], -v[98:99], v[130:131], v[72:73]
	v_fma_f64 v[70:71], -v[98:99], v[132:133], v[70:71]
	ds_read2_b64 v[130:133], v124 offset0:28 offset1:29
	v_fma_f64 v[68:69], -v[98:99], v[134:135], v[68:69]
	v_fma_f64 v[66:67], -v[98:99], v[136:137], v[66:67]
	v_fma_f64 v[64:65], -v[98:99], v[138:139], v[64:65]
	ds_read2_b64 v[134:137], v124 offset0:30 offset1:31
	v_fma_f64 v[62:63], -v[98:99], v[140:141], v[62:63]
	ds_read2_b64 v[138:141], v124 offset0:32 offset1:33
	s_waitcnt lgkmcnt(0)
	v_fma_f64 v[60:61], -v[98:99], v[130:131], v[60:61]
	v_fma_f64 v[58:59], -v[98:99], v[132:133], v[58:59]
	v_fma_f64 v[56:57], -v[98:99], v[134:135], v[56:57]
	ds_read2_b64 v[130:133], v124 offset0:34 offset1:35
	v_fma_f64 v[54:55], -v[98:99], v[136:137], v[54:55]
	ds_read2_b64 v[134:137], v124 offset0:36 offset1:37
	v_fma_f64 v[52:53], -v[98:99], v[138:139], v[52:53]
	v_fma_f64 v[50:51], -v[98:99], v[140:141], v[50:51]
	ds_read2_b64 v[138:141], v124 offset0:38 offset1:39
	s_waitcnt lgkmcnt(0)
	v_fma_f64 v[48:49], -v[98:99], v[130:131], v[48:49]
	v_fma_f64 v[46:47], -v[98:99], v[132:133], v[46:47]
	ds_read2_b64 v[130:133], v124 offset0:40 offset1:41
	v_fma_f64 v[44:45], -v[98:99], v[134:135], v[44:45]
	v_fma_f64 v[42:43], -v[98:99], v[136:137], v[42:43]
	v_fma_f64 v[40:41], -v[98:99], v[138:139], v[40:41]
	ds_read2_b64 v[134:137], v124 offset0:42 offset1:43
	v_fma_f64 v[38:39], -v[98:99], v[140:141], v[38:39]
	ds_read2_b64 v[138:141], v124 offset0:44 offset1:45
	s_waitcnt lgkmcnt(0)
	v_fma_f64 v[36:37], -v[98:99], v[130:131], v[36:37]
	v_fma_f64 v[34:35], -v[98:99], v[132:133], v[34:35]
	v_fma_f64 v[32:33], -v[98:99], v[134:135], v[32:33]
	ds_read2_b64 v[130:133], v124 offset0:46 offset1:47
	v_fma_f64 v[30:31], -v[98:99], v[136:137], v[30:31]
	ds_read2_b64 v[134:137], v124 offset0:48 offset1:49
	v_fma_f64 v[28:29], -v[98:99], v[138:139], v[28:29]
	v_fma_f64 v[26:27], -v[98:99], v[140:141], v[26:27]
	ds_read2_b64 v[138:141], v124 offset0:50 offset1:51
	s_waitcnt lgkmcnt(0)
	v_fma_f64 v[24:25], -v[98:99], v[130:131], v[24:25]
	v_fma_f64 v[22:23], -v[98:99], v[132:133], v[22:23]
	ds_read2_b64 v[130:133], v124 offset0:52 offset1:53
	v_fma_f64 v[20:21], -v[98:99], v[134:135], v[20:21]
	v_fma_f64 v[18:19], -v[98:99], v[136:137], v[18:19]
	;; [unrolled: 1-line block ×3, first 2 shown]
	ds_read2_b64 v[134:137], v124 offset0:54 offset1:55
	v_fma_f64 v[14:15], -v[98:99], v[140:141], v[14:15]
	ds_read2_b64 v[138:141], v124 offset0:56 offset1:57
	s_waitcnt lgkmcnt(0)
	v_fma_f64 v[12:13], -v[98:99], v[130:131], v[12:13]
	v_fma_f64 v[10:11], -v[98:99], v[132:133], v[10:11]
	;; [unrolled: 1-line block ×6, first 2 shown]
.LBB114_165:
	s_or_b64 exec, exec, s[0:1]
	v_lshl_add_u32 v120, v125, 3, v124
	s_barrier
	ds_write_b64 v120, v[96:97]
	s_waitcnt lgkmcnt(0)
	s_barrier
	ds_read_b64 v[120:121], v124 offset:80
	s_cmp_lt_i32 s18, 12
	v_mov_b32_e32 v122, 10
	s_cbranch_scc1 .LBB114_168
; %bb.166:
	v_add_u32_e32 v129, 0x58, v124
	s_mov_b32 s0, 11
	v_mov_b32_e32 v122, 10
.LBB114_167:                            ; =>This Inner Loop Header: Depth=1
	ds_read_b64 v[130:131], v129
	v_mov_b32_e32 v132, s0
	s_add_i32 s0, s0, 1
	v_add_u32_e32 v129, 8, v129
	s_cmp_lg_u32 s18, s0
	s_waitcnt lgkmcnt(0)
	v_cmp_lt_f64_e64 vcc, |v[120:121]|, |v[130:131]|
	v_cndmask_b32_e32 v121, v121, v131, vcc
	v_cndmask_b32_e32 v120, v120, v130, vcc
	;; [unrolled: 1-line block ×3, first 2 shown]
	s_cbranch_scc1 .LBB114_167
.LBB114_168:
	s_waitcnt lgkmcnt(0)
	v_cmp_eq_f64_e32 vcc, 0, v[120:121]
	s_and_saveexec_b64 s[0:1], vcc
	s_xor_b64 s[0:1], exec, s[0:1]
; %bb.169:
	v_cmp_ne_u32_e32 vcc, 0, v128
	v_cndmask_b32_e32 v128, 11, v128, vcc
; %bb.170:
	s_andn2_saveexec_b64 s[0:1], s[0:1]
; %bb.171:
	v_div_scale_f64 v[130:131], s[2:3], v[120:121], v[120:121], 1.0
	v_rcp_f64_e32 v[132:133], v[130:131]
	v_div_scale_f64 v[134:135], vcc, 1.0, v[120:121], 1.0
	v_fma_f64 v[136:137], -v[130:131], v[132:133], 1.0
	v_fmac_f64_e32 v[132:133], v[132:133], v[136:137]
	v_fma_f64 v[136:137], -v[130:131], v[132:133], 1.0
	v_fmac_f64_e32 v[132:133], v[132:133], v[136:137]
	v_mul_f64 v[136:137], v[134:135], v[132:133]
	v_fma_f64 v[130:131], -v[130:131], v[136:137], v[134:135]
	v_div_fmas_f64 v[130:131], v[130:131], v[132:133], v[136:137]
	v_div_fixup_f64 v[120:121], v[130:131], v[120:121], 1.0
; %bb.172:
	s_or_b64 exec, exec, s[0:1]
	v_cmp_ne_u32_e32 vcc, v125, v122
	s_and_saveexec_b64 s[0:1], vcc
	s_xor_b64 s[0:1], exec, s[0:1]
	s_cbranch_execz .LBB114_178
; %bb.173:
	v_cmp_eq_u32_e32 vcc, 10, v125
	s_and_saveexec_b64 s[2:3], vcc
	s_cbranch_execz .LBB114_177
; %bb.174:
	v_cmp_ne_u32_e32 vcc, 10, v122
	s_xor_b64 s[14:15], s[6:7], -1
	s_and_b64 s[16:17], s[14:15], vcc
	s_and_saveexec_b64 s[14:15], s[16:17]
	s_cbranch_execz .LBB114_176
; %bb.175:
	v_ashrrev_i32_e32 v123, 31, v122
	v_lshlrev_b64 v[130:131], 2, v[122:123]
	v_add_co_u32_e32 v130, vcc, v4, v130
	v_addc_co_u32_e32 v131, vcc, v5, v131, vcc
	flat_load_dword v123, v[130:131]
	flat_load_dword v125, v[4:5] offset:40
	s_waitcnt vmcnt(0) lgkmcnt(0)
	flat_store_dword v[4:5], v123 offset:40
	flat_store_dword v[130:131], v125
.LBB114_176:
	s_or_b64 exec, exec, s[14:15]
	v_mov_b32_e32 v123, v122
	v_mov_b32_e32 v125, v122
.LBB114_177:
	s_or_b64 exec, exec, s[2:3]
.LBB114_178:
	s_andn2_saveexec_b64 s[0:1], s[0:1]
	s_cbranch_execz .LBB114_180
; %bb.179:
	v_mov_b32_e32 v125, 10
	ds_write2_b64 v124, v[94:95], v[92:93] offset0:11 offset1:12
	ds_write2_b64 v124, v[90:91], v[88:89] offset0:13 offset1:14
	;; [unrolled: 1-line block ×23, first 2 shown]
	ds_write_b64 v124, v[118:119] offset:456
.LBB114_180:
	s_or_b64 exec, exec, s[0:1]
	v_cmp_lt_i32_e32 vcc, 10, v125
	s_waitcnt lgkmcnt(0)
	s_barrier
	s_and_saveexec_b64 s[0:1], vcc
	s_cbranch_execz .LBB114_182
; %bb.181:
	ds_read2_b64 v[130:133], v124 offset0:11 offset1:12
	ds_read2_b64 v[134:137], v124 offset0:13 offset1:14
	v_mul_f64 v[96:97], v[120:121], v[96:97]
	ds_read2_b64 v[138:141], v124 offset0:15 offset1:16
	ds_read_b64 v[120:121], v124 offset:456
	s_waitcnt lgkmcnt(0)
	v_fma_f64 v[94:95], -v[96:97], v[130:131], v[94:95]
	v_fma_f64 v[92:93], -v[96:97], v[132:133], v[92:93]
	ds_read2_b64 v[130:133], v124 offset0:17 offset1:18
	v_fma_f64 v[90:91], -v[96:97], v[134:135], v[90:91]
	v_fma_f64 v[88:89], -v[96:97], v[136:137], v[88:89]
	ds_read2_b64 v[134:137], v124 offset0:19 offset1:20
	;; [unrolled: 3-line block ×3, first 2 shown]
	s_waitcnt lgkmcnt(0)
	v_fma_f64 v[82:83], -v[96:97], v[130:131], v[82:83]
	v_fma_f64 v[80:81], -v[96:97], v[132:133], v[80:81]
	;; [unrolled: 1-line block ×3, first 2 shown]
	ds_read2_b64 v[130:133], v124 offset0:23 offset1:24
	v_fma_f64 v[76:77], -v[96:97], v[136:137], v[76:77]
	ds_read2_b64 v[134:137], v124 offset0:25 offset1:26
	v_fma_f64 v[74:75], -v[96:97], v[138:139], v[74:75]
	v_fma_f64 v[72:73], -v[96:97], v[140:141], v[72:73]
	s_waitcnt lgkmcnt(0)
	v_fma_f64 v[70:71], -v[96:97], v[130:131], v[70:71]
	ds_read2_b64 v[138:141], v124 offset0:27 offset1:28
	v_fma_f64 v[68:69], -v[96:97], v[132:133], v[68:69]
	ds_read2_b64 v[130:133], v124 offset0:29 offset1:30
	v_fma_f64 v[66:67], -v[96:97], v[134:135], v[66:67]
	v_fma_f64 v[64:65], -v[96:97], v[136:137], v[64:65]
	ds_read2_b64 v[134:137], v124 offset0:31 offset1:32
	s_waitcnt lgkmcnt(0)
	v_fma_f64 v[62:63], -v[96:97], v[138:139], v[62:63]
	v_fma_f64 v[60:61], -v[96:97], v[140:141], v[60:61]
	ds_read2_b64 v[138:141], v124 offset0:33 offset1:34
	v_fma_f64 v[58:59], -v[96:97], v[130:131], v[58:59]
	v_fma_f64 v[56:57], -v[96:97], v[132:133], v[56:57]
	;; [unrolled: 1-line block ×3, first 2 shown]
	ds_read2_b64 v[130:133], v124 offset0:35 offset1:36
	v_fma_f64 v[52:53], -v[96:97], v[136:137], v[52:53]
	ds_read2_b64 v[134:137], v124 offset0:37 offset1:38
	s_waitcnt lgkmcnt(0)
	v_fma_f64 v[50:51], -v[96:97], v[138:139], v[50:51]
	v_fma_f64 v[48:49], -v[96:97], v[140:141], v[48:49]
	;; [unrolled: 1-line block ×3, first 2 shown]
	ds_read2_b64 v[138:141], v124 offset0:39 offset1:40
	v_fma_f64 v[44:45], -v[96:97], v[132:133], v[44:45]
	ds_read2_b64 v[130:133], v124 offset0:41 offset1:42
	v_fma_f64 v[42:43], -v[96:97], v[134:135], v[42:43]
	v_fma_f64 v[40:41], -v[96:97], v[136:137], v[40:41]
	ds_read2_b64 v[134:137], v124 offset0:43 offset1:44
	s_waitcnt lgkmcnt(0)
	v_fma_f64 v[38:39], -v[96:97], v[138:139], v[38:39]
	v_fma_f64 v[36:37], -v[96:97], v[140:141], v[36:37]
	ds_read2_b64 v[138:141], v124 offset0:45 offset1:46
	v_fma_f64 v[34:35], -v[96:97], v[130:131], v[34:35]
	v_fma_f64 v[32:33], -v[96:97], v[132:133], v[32:33]
	;; [unrolled: 1-line block ×3, first 2 shown]
	ds_read2_b64 v[130:133], v124 offset0:47 offset1:48
	v_fma_f64 v[28:29], -v[96:97], v[136:137], v[28:29]
	ds_read2_b64 v[134:137], v124 offset0:49 offset1:50
	s_waitcnt lgkmcnt(0)
	v_fma_f64 v[26:27], -v[96:97], v[138:139], v[26:27]
	v_fma_f64 v[24:25], -v[96:97], v[140:141], v[24:25]
	;; [unrolled: 1-line block ×3, first 2 shown]
	ds_read2_b64 v[138:141], v124 offset0:51 offset1:52
	v_fma_f64 v[20:21], -v[96:97], v[132:133], v[20:21]
	ds_read2_b64 v[130:133], v124 offset0:53 offset1:54
	v_fma_f64 v[18:19], -v[96:97], v[134:135], v[18:19]
	v_fma_f64 v[16:17], -v[96:97], v[136:137], v[16:17]
	ds_read2_b64 v[134:137], v124 offset0:55 offset1:56
	s_waitcnt lgkmcnt(0)
	v_fma_f64 v[14:15], -v[96:97], v[138:139], v[14:15]
	v_fma_f64 v[12:13], -v[96:97], v[140:141], v[12:13]
	v_fma_f64 v[10:11], -v[96:97], v[130:131], v[10:11]
	v_fma_f64 v[8:9], -v[96:97], v[132:133], v[8:9]
	v_fma_f64 v[6:7], -v[96:97], v[134:135], v[6:7]
	v_fma_f64 v[0:1], -v[96:97], v[136:137], v[0:1]
	v_fma_f64 v[118:119], -v[96:97], v[120:121], v[118:119]
.LBB114_182:
	s_or_b64 exec, exec, s[0:1]
	v_lshl_add_u32 v120, v125, 3, v124
	s_barrier
	ds_write_b64 v120, v[94:95]
	s_waitcnt lgkmcnt(0)
	s_barrier
	ds_read_b64 v[120:121], v124 offset:88
	s_cmp_lt_i32 s18, 13
	v_mov_b32_e32 v122, 11
	s_cbranch_scc1 .LBB114_185
; %bb.183:
	v_add_u32_e32 v129, 0x60, v124
	s_mov_b32 s0, 12
	v_mov_b32_e32 v122, 11
.LBB114_184:                            ; =>This Inner Loop Header: Depth=1
	ds_read_b64 v[130:131], v129
	v_mov_b32_e32 v132, s0
	s_add_i32 s0, s0, 1
	v_add_u32_e32 v129, 8, v129
	s_cmp_lg_u32 s18, s0
	s_waitcnt lgkmcnt(0)
	v_cmp_lt_f64_e64 vcc, |v[120:121]|, |v[130:131]|
	v_cndmask_b32_e32 v121, v121, v131, vcc
	v_cndmask_b32_e32 v120, v120, v130, vcc
	;; [unrolled: 1-line block ×3, first 2 shown]
	s_cbranch_scc1 .LBB114_184
.LBB114_185:
	s_waitcnt lgkmcnt(0)
	v_cmp_eq_f64_e32 vcc, 0, v[120:121]
	s_and_saveexec_b64 s[0:1], vcc
	s_xor_b64 s[0:1], exec, s[0:1]
; %bb.186:
	v_cmp_ne_u32_e32 vcc, 0, v128
	v_cndmask_b32_e32 v128, 12, v128, vcc
; %bb.187:
	s_andn2_saveexec_b64 s[0:1], s[0:1]
; %bb.188:
	v_div_scale_f64 v[130:131], s[2:3], v[120:121], v[120:121], 1.0
	v_rcp_f64_e32 v[132:133], v[130:131]
	v_div_scale_f64 v[134:135], vcc, 1.0, v[120:121], 1.0
	v_fma_f64 v[136:137], -v[130:131], v[132:133], 1.0
	v_fmac_f64_e32 v[132:133], v[132:133], v[136:137]
	v_fma_f64 v[136:137], -v[130:131], v[132:133], 1.0
	v_fmac_f64_e32 v[132:133], v[132:133], v[136:137]
	v_mul_f64 v[136:137], v[134:135], v[132:133]
	v_fma_f64 v[130:131], -v[130:131], v[136:137], v[134:135]
	v_div_fmas_f64 v[130:131], v[130:131], v[132:133], v[136:137]
	v_div_fixup_f64 v[120:121], v[130:131], v[120:121], 1.0
; %bb.189:
	s_or_b64 exec, exec, s[0:1]
	v_cmp_ne_u32_e32 vcc, v125, v122
	s_and_saveexec_b64 s[0:1], vcc
	s_xor_b64 s[0:1], exec, s[0:1]
	s_cbranch_execz .LBB114_195
; %bb.190:
	v_cmp_eq_u32_e32 vcc, 11, v125
	s_and_saveexec_b64 s[2:3], vcc
	s_cbranch_execz .LBB114_194
; %bb.191:
	v_cmp_ne_u32_e32 vcc, 11, v122
	s_xor_b64 s[14:15], s[6:7], -1
	s_and_b64 s[16:17], s[14:15], vcc
	s_and_saveexec_b64 s[14:15], s[16:17]
	s_cbranch_execz .LBB114_193
; %bb.192:
	v_ashrrev_i32_e32 v123, 31, v122
	v_lshlrev_b64 v[130:131], 2, v[122:123]
	v_add_co_u32_e32 v130, vcc, v4, v130
	v_addc_co_u32_e32 v131, vcc, v5, v131, vcc
	flat_load_dword v123, v[130:131]
	flat_load_dword v125, v[4:5] offset:44
	s_waitcnt vmcnt(0) lgkmcnt(0)
	flat_store_dword v[4:5], v123 offset:44
	flat_store_dword v[130:131], v125
.LBB114_193:
	s_or_b64 exec, exec, s[14:15]
	v_mov_b32_e32 v123, v122
	v_mov_b32_e32 v125, v122
.LBB114_194:
	s_or_b64 exec, exec, s[2:3]
.LBB114_195:
	s_andn2_saveexec_b64 s[0:1], s[0:1]
	s_cbranch_execz .LBB114_197
; %bb.196:
	v_mov_b32_e32 v130, v92
	v_mov_b32_e32 v131, v93
	v_mov_b32_e32 v132, v90
	v_mov_b32_e32 v133, v91
	ds_write2_b64 v124, v[130:131], v[132:133] offset0:12 offset1:13
	v_mov_b32_e32 v130, v88
	v_mov_b32_e32 v131, v89
	v_mov_b32_e32 v132, v86
	v_mov_b32_e32 v133, v87
	ds_write2_b64 v124, v[130:131], v[132:133] offset0:14 offset1:15
	;; [unrolled: 5-line block ×22, first 2 shown]
	v_mov_b32_e32 v130, v0
	v_mov_b32_e32 v131, v1
	;; [unrolled: 1-line block ×3, first 2 shown]
	ds_write2_b64 v124, v[130:131], v[118:119] offset0:56 offset1:57
.LBB114_197:
	s_or_b64 exec, exec, s[0:1]
	v_cmp_lt_i32_e32 vcc, 11, v125
	s_waitcnt lgkmcnt(0)
	s_barrier
	s_and_saveexec_b64 s[0:1], vcc
	s_cbranch_execz .LBB114_199
; %bb.198:
	ds_read2_b64 v[130:133], v124 offset0:12 offset1:13
	ds_read2_b64 v[134:137], v124 offset0:14 offset1:15
	v_mul_f64 v[94:95], v[120:121], v[94:95]
	ds_read2_b64 v[138:141], v124 offset0:16 offset1:17
	s_waitcnt lgkmcnt(0)
	v_fma_f64 v[92:93], -v[94:95], v[130:131], v[92:93]
	v_fma_f64 v[90:91], -v[94:95], v[132:133], v[90:91]
	ds_read2_b64 v[130:133], v124 offset0:18 offset1:19
	v_fma_f64 v[88:89], -v[94:95], v[134:135], v[88:89]
	v_fma_f64 v[86:87], -v[94:95], v[136:137], v[86:87]
	ds_read2_b64 v[134:137], v124 offset0:20 offset1:21
	;; [unrolled: 3-line block ×3, first 2 shown]
	s_waitcnt lgkmcnt(0)
	v_fma_f64 v[80:81], -v[94:95], v[130:131], v[80:81]
	v_fma_f64 v[78:79], -v[94:95], v[132:133], v[78:79]
	v_fma_f64 v[76:77], -v[94:95], v[134:135], v[76:77]
	ds_read2_b64 v[130:133], v124 offset0:24 offset1:25
	v_fma_f64 v[74:75], -v[94:95], v[136:137], v[74:75]
	ds_read2_b64 v[134:137], v124 offset0:26 offset1:27
	v_fma_f64 v[72:73], -v[94:95], v[138:139], v[72:73]
	v_fma_f64 v[70:71], -v[94:95], v[140:141], v[70:71]
	s_waitcnt lgkmcnt(0)
	v_fma_f64 v[68:69], -v[94:95], v[130:131], v[68:69]
	ds_read2_b64 v[138:141], v124 offset0:28 offset1:29
	v_fma_f64 v[66:67], -v[94:95], v[132:133], v[66:67]
	ds_read2_b64 v[130:133], v124 offset0:30 offset1:31
	v_fma_f64 v[64:65], -v[94:95], v[134:135], v[64:65]
	v_fma_f64 v[62:63], -v[94:95], v[136:137], v[62:63]
	ds_read2_b64 v[134:137], v124 offset0:32 offset1:33
	s_waitcnt lgkmcnt(0)
	v_fma_f64 v[60:61], -v[94:95], v[138:139], v[60:61]
	v_fma_f64 v[58:59], -v[94:95], v[140:141], v[58:59]
	ds_read2_b64 v[138:141], v124 offset0:34 offset1:35
	v_fma_f64 v[56:57], -v[94:95], v[130:131], v[56:57]
	v_fma_f64 v[54:55], -v[94:95], v[132:133], v[54:55]
	;; [unrolled: 1-line block ×3, first 2 shown]
	ds_read2_b64 v[130:133], v124 offset0:36 offset1:37
	v_fma_f64 v[50:51], -v[94:95], v[136:137], v[50:51]
	ds_read2_b64 v[134:137], v124 offset0:38 offset1:39
	s_waitcnt lgkmcnt(0)
	v_fma_f64 v[48:49], -v[94:95], v[138:139], v[48:49]
	v_fma_f64 v[46:47], -v[94:95], v[140:141], v[46:47]
	;; [unrolled: 1-line block ×3, first 2 shown]
	ds_read2_b64 v[138:141], v124 offset0:40 offset1:41
	v_fma_f64 v[42:43], -v[94:95], v[132:133], v[42:43]
	ds_read2_b64 v[130:133], v124 offset0:42 offset1:43
	v_fma_f64 v[40:41], -v[94:95], v[134:135], v[40:41]
	v_fma_f64 v[38:39], -v[94:95], v[136:137], v[38:39]
	ds_read2_b64 v[134:137], v124 offset0:44 offset1:45
	s_waitcnt lgkmcnt(0)
	v_fma_f64 v[36:37], -v[94:95], v[138:139], v[36:37]
	v_fma_f64 v[34:35], -v[94:95], v[140:141], v[34:35]
	ds_read2_b64 v[138:141], v124 offset0:46 offset1:47
	v_fma_f64 v[32:33], -v[94:95], v[130:131], v[32:33]
	v_fma_f64 v[30:31], -v[94:95], v[132:133], v[30:31]
	;; [unrolled: 1-line block ×3, first 2 shown]
	ds_read2_b64 v[130:133], v124 offset0:48 offset1:49
	v_fma_f64 v[26:27], -v[94:95], v[136:137], v[26:27]
	ds_read2_b64 v[134:137], v124 offset0:50 offset1:51
	s_waitcnt lgkmcnt(0)
	v_fma_f64 v[24:25], -v[94:95], v[138:139], v[24:25]
	v_fma_f64 v[22:23], -v[94:95], v[140:141], v[22:23]
	;; [unrolled: 1-line block ×4, first 2 shown]
	ds_read2_b64 v[130:133], v124 offset0:52 offset1:53
	ds_read2_b64 v[138:141], v124 offset0:54 offset1:55
	v_fma_f64 v[16:17], -v[94:95], v[134:135], v[16:17]
	v_fma_f64 v[14:15], -v[94:95], v[136:137], v[14:15]
	ds_read2_b64 v[134:137], v124 offset0:56 offset1:57
	s_waitcnt lgkmcnt(0)
	v_fma_f64 v[12:13], -v[94:95], v[130:131], v[12:13]
	v_fma_f64 v[10:11], -v[94:95], v[132:133], v[10:11]
	;; [unrolled: 1-line block ×6, first 2 shown]
.LBB114_199:
	s_or_b64 exec, exec, s[0:1]
	v_lshl_add_u32 v120, v125, 3, v124
	s_barrier
	ds_write_b64 v120, v[92:93]
	s_waitcnt lgkmcnt(0)
	s_barrier
	ds_read_b64 v[120:121], v124 offset:96
	s_cmp_lt_i32 s18, 14
	v_mov_b32_e32 v122, 12
	s_cbranch_scc1 .LBB114_202
; %bb.200:
	v_add_u32_e32 v129, 0x68, v124
	s_mov_b32 s0, 13
	v_mov_b32_e32 v122, 12
.LBB114_201:                            ; =>This Inner Loop Header: Depth=1
	ds_read_b64 v[130:131], v129
	v_mov_b32_e32 v132, s0
	s_add_i32 s0, s0, 1
	v_add_u32_e32 v129, 8, v129
	s_cmp_lg_u32 s18, s0
	s_waitcnt lgkmcnt(0)
	v_cmp_lt_f64_e64 vcc, |v[120:121]|, |v[130:131]|
	v_cndmask_b32_e32 v121, v121, v131, vcc
	v_cndmask_b32_e32 v120, v120, v130, vcc
	;; [unrolled: 1-line block ×3, first 2 shown]
	s_cbranch_scc1 .LBB114_201
.LBB114_202:
	s_waitcnt lgkmcnt(0)
	v_cmp_eq_f64_e32 vcc, 0, v[120:121]
	s_and_saveexec_b64 s[0:1], vcc
	s_xor_b64 s[0:1], exec, s[0:1]
; %bb.203:
	v_cmp_ne_u32_e32 vcc, 0, v128
	v_cndmask_b32_e32 v128, 13, v128, vcc
; %bb.204:
	s_andn2_saveexec_b64 s[0:1], s[0:1]
; %bb.205:
	v_div_scale_f64 v[130:131], s[2:3], v[120:121], v[120:121], 1.0
	v_rcp_f64_e32 v[132:133], v[130:131]
	v_div_scale_f64 v[134:135], vcc, 1.0, v[120:121], 1.0
	v_fma_f64 v[136:137], -v[130:131], v[132:133], 1.0
	v_fmac_f64_e32 v[132:133], v[132:133], v[136:137]
	v_fma_f64 v[136:137], -v[130:131], v[132:133], 1.0
	v_fmac_f64_e32 v[132:133], v[132:133], v[136:137]
	v_mul_f64 v[136:137], v[134:135], v[132:133]
	v_fma_f64 v[130:131], -v[130:131], v[136:137], v[134:135]
	v_div_fmas_f64 v[130:131], v[130:131], v[132:133], v[136:137]
	v_div_fixup_f64 v[120:121], v[130:131], v[120:121], 1.0
; %bb.206:
	s_or_b64 exec, exec, s[0:1]
	v_cmp_ne_u32_e32 vcc, v125, v122
	s_and_saveexec_b64 s[0:1], vcc
	s_xor_b64 s[0:1], exec, s[0:1]
	s_cbranch_execz .LBB114_212
; %bb.207:
	v_cmp_eq_u32_e32 vcc, 12, v125
	s_and_saveexec_b64 s[2:3], vcc
	s_cbranch_execz .LBB114_211
; %bb.208:
	v_cmp_ne_u32_e32 vcc, 12, v122
	s_xor_b64 s[14:15], s[6:7], -1
	s_and_b64 s[16:17], s[14:15], vcc
	s_and_saveexec_b64 s[14:15], s[16:17]
	s_cbranch_execz .LBB114_210
; %bb.209:
	v_ashrrev_i32_e32 v123, 31, v122
	v_lshlrev_b64 v[130:131], 2, v[122:123]
	v_add_co_u32_e32 v130, vcc, v4, v130
	v_addc_co_u32_e32 v131, vcc, v5, v131, vcc
	flat_load_dword v123, v[130:131]
	flat_load_dword v125, v[4:5] offset:48
	s_waitcnt vmcnt(0) lgkmcnt(0)
	flat_store_dword v[4:5], v123 offset:48
	flat_store_dword v[130:131], v125
.LBB114_210:
	s_or_b64 exec, exec, s[14:15]
	v_mov_b32_e32 v123, v122
	v_mov_b32_e32 v125, v122
.LBB114_211:
	s_or_b64 exec, exec, s[2:3]
.LBB114_212:
	s_andn2_saveexec_b64 s[0:1], s[0:1]
	s_cbranch_execz .LBB114_214
; %bb.213:
	v_mov_b32_e32 v125, 12
	ds_write2_b64 v124, v[90:91], v[88:89] offset0:13 offset1:14
	ds_write2_b64 v124, v[86:87], v[84:85] offset0:15 offset1:16
	ds_write2_b64 v124, v[82:83], v[80:81] offset0:17 offset1:18
	ds_write2_b64 v124, v[78:79], v[76:77] offset0:19 offset1:20
	ds_write2_b64 v124, v[74:75], v[72:73] offset0:21 offset1:22
	ds_write2_b64 v124, v[70:71], v[68:69] offset0:23 offset1:24
	ds_write2_b64 v124, v[66:67], v[64:65] offset0:25 offset1:26
	ds_write2_b64 v124, v[62:63], v[60:61] offset0:27 offset1:28
	ds_write2_b64 v124, v[58:59], v[56:57] offset0:29 offset1:30
	ds_write2_b64 v124, v[54:55], v[52:53] offset0:31 offset1:32
	ds_write2_b64 v124, v[50:51], v[48:49] offset0:33 offset1:34
	ds_write2_b64 v124, v[46:47], v[44:45] offset0:35 offset1:36
	ds_write2_b64 v124, v[42:43], v[40:41] offset0:37 offset1:38
	ds_write2_b64 v124, v[38:39], v[36:37] offset0:39 offset1:40
	ds_write2_b64 v124, v[34:35], v[32:33] offset0:41 offset1:42
	ds_write2_b64 v124, v[30:31], v[28:29] offset0:43 offset1:44
	ds_write2_b64 v124, v[26:27], v[24:25] offset0:45 offset1:46
	ds_write2_b64 v124, v[22:23], v[20:21] offset0:47 offset1:48
	ds_write2_b64 v124, v[18:19], v[16:17] offset0:49 offset1:50
	ds_write2_b64 v124, v[14:15], v[12:13] offset0:51 offset1:52
	ds_write2_b64 v124, v[10:11], v[8:9] offset0:53 offset1:54
	ds_write2_b64 v124, v[6:7], v[0:1] offset0:55 offset1:56
	ds_write_b64 v124, v[118:119] offset:456
.LBB114_214:
	s_or_b64 exec, exec, s[0:1]
	v_cmp_lt_i32_e32 vcc, 12, v125
	s_waitcnt lgkmcnt(0)
	s_barrier
	s_and_saveexec_b64 s[0:1], vcc
	s_cbranch_execz .LBB114_216
; %bb.215:
	ds_read2_b64 v[130:133], v124 offset0:13 offset1:14
	ds_read2_b64 v[134:137], v124 offset0:15 offset1:16
	v_mul_f64 v[92:93], v[120:121], v[92:93]
	ds_read2_b64 v[138:141], v124 offset0:17 offset1:18
	ds_read_b64 v[120:121], v124 offset:456
	s_waitcnt lgkmcnt(0)
	v_fma_f64 v[90:91], -v[92:93], v[130:131], v[90:91]
	v_fma_f64 v[88:89], -v[92:93], v[132:133], v[88:89]
	ds_read2_b64 v[130:133], v124 offset0:19 offset1:20
	v_fma_f64 v[86:87], -v[92:93], v[134:135], v[86:87]
	v_fma_f64 v[84:85], -v[92:93], v[136:137], v[84:85]
	;; [unrolled: 1-line block ×3, first 2 shown]
	ds_read2_b64 v[134:137], v124 offset0:21 offset1:22
	v_fma_f64 v[80:81], -v[92:93], v[140:141], v[80:81]
	ds_read2_b64 v[138:141], v124 offset0:23 offset1:24
	s_waitcnt lgkmcnt(0)
	v_fma_f64 v[78:79], -v[92:93], v[130:131], v[78:79]
	v_fma_f64 v[76:77], -v[92:93], v[132:133], v[76:77]
	ds_read2_b64 v[130:133], v124 offset0:25 offset1:26
	v_fma_f64 v[74:75], -v[92:93], v[134:135], v[74:75]
	v_fma_f64 v[72:73], -v[92:93], v[136:137], v[72:73]
	ds_read2_b64 v[134:137], v124 offset0:27 offset1:28
	v_fma_f64 v[70:71], -v[92:93], v[138:139], v[70:71]
	v_fma_f64 v[68:69], -v[92:93], v[140:141], v[68:69]
	s_waitcnt lgkmcnt(0)
	v_fma_f64 v[66:67], -v[92:93], v[130:131], v[66:67]
	ds_read2_b64 v[138:141], v124 offset0:29 offset1:30
	v_fma_f64 v[64:65], -v[92:93], v[132:133], v[64:65]
	ds_read2_b64 v[130:133], v124 offset0:31 offset1:32
	v_fma_f64 v[62:63], -v[92:93], v[134:135], v[62:63]
	v_fma_f64 v[60:61], -v[92:93], v[136:137], v[60:61]
	s_waitcnt lgkmcnt(0)
	v_fma_f64 v[58:59], -v[92:93], v[138:139], v[58:59]
	ds_read2_b64 v[134:137], v124 offset0:33 offset1:34
	v_fma_f64 v[56:57], -v[92:93], v[140:141], v[56:57]
	ds_read2_b64 v[138:141], v124 offset0:35 offset1:36
	v_fma_f64 v[54:55], -v[92:93], v[130:131], v[54:55]
	v_fma_f64 v[52:53], -v[92:93], v[132:133], v[52:53]
	ds_read2_b64 v[130:133], v124 offset0:37 offset1:38
	s_waitcnt lgkmcnt(0)
	v_fma_f64 v[50:51], -v[92:93], v[134:135], v[50:51]
	v_fma_f64 v[48:49], -v[92:93], v[136:137], v[48:49]
	ds_read2_b64 v[134:137], v124 offset0:39 offset1:40
	v_fma_f64 v[46:47], -v[92:93], v[138:139], v[46:47]
	v_fma_f64 v[44:45], -v[92:93], v[140:141], v[44:45]
	;; [unrolled: 1-line block ×3, first 2 shown]
	ds_read2_b64 v[138:141], v124 offset0:41 offset1:42
	v_fma_f64 v[40:41], -v[92:93], v[132:133], v[40:41]
	ds_read2_b64 v[130:133], v124 offset0:43 offset1:44
	s_waitcnt lgkmcnt(0)
	v_fma_f64 v[38:39], -v[92:93], v[134:135], v[38:39]
	v_fma_f64 v[36:37], -v[92:93], v[136:137], v[36:37]
	;; [unrolled: 1-line block ×3, first 2 shown]
	ds_read2_b64 v[134:137], v124 offset0:45 offset1:46
	v_fma_f64 v[32:33], -v[92:93], v[140:141], v[32:33]
	ds_read2_b64 v[138:141], v124 offset0:47 offset1:48
	v_fma_f64 v[30:31], -v[92:93], v[130:131], v[30:31]
	v_fma_f64 v[28:29], -v[92:93], v[132:133], v[28:29]
	ds_read2_b64 v[130:133], v124 offset0:49 offset1:50
	s_waitcnt lgkmcnt(0)
	v_fma_f64 v[26:27], -v[92:93], v[134:135], v[26:27]
	v_fma_f64 v[24:25], -v[92:93], v[136:137], v[24:25]
	ds_read2_b64 v[134:137], v124 offset0:51 offset1:52
	v_fma_f64 v[22:23], -v[92:93], v[138:139], v[22:23]
	v_fma_f64 v[20:21], -v[92:93], v[140:141], v[20:21]
	;; [unrolled: 1-line block ×4, first 2 shown]
	ds_read2_b64 v[130:133], v124 offset0:53 offset1:54
	ds_read2_b64 v[138:141], v124 offset0:55 offset1:56
	s_waitcnt lgkmcnt(0)
	v_fma_f64 v[14:15], -v[92:93], v[134:135], v[14:15]
	v_fma_f64 v[12:13], -v[92:93], v[136:137], v[12:13]
	;; [unrolled: 1-line block ×7, first 2 shown]
.LBB114_216:
	s_or_b64 exec, exec, s[0:1]
	v_lshl_add_u32 v120, v125, 3, v124
	s_barrier
	ds_write_b64 v120, v[90:91]
	s_waitcnt lgkmcnt(0)
	s_barrier
	ds_read_b64 v[120:121], v124 offset:104
	s_cmp_lt_i32 s18, 15
	v_mov_b32_e32 v122, 13
	s_cbranch_scc1 .LBB114_219
; %bb.217:
	v_add_u32_e32 v129, 0x70, v124
	s_mov_b32 s0, 14
	v_mov_b32_e32 v122, 13
.LBB114_218:                            ; =>This Inner Loop Header: Depth=1
	ds_read_b64 v[130:131], v129
	v_mov_b32_e32 v132, s0
	s_add_i32 s0, s0, 1
	v_add_u32_e32 v129, 8, v129
	s_cmp_lg_u32 s18, s0
	s_waitcnt lgkmcnt(0)
	v_cmp_lt_f64_e64 vcc, |v[120:121]|, |v[130:131]|
	v_cndmask_b32_e32 v121, v121, v131, vcc
	v_cndmask_b32_e32 v120, v120, v130, vcc
	;; [unrolled: 1-line block ×3, first 2 shown]
	s_cbranch_scc1 .LBB114_218
.LBB114_219:
	s_waitcnt lgkmcnt(0)
	v_cmp_eq_f64_e32 vcc, 0, v[120:121]
	s_and_saveexec_b64 s[0:1], vcc
	s_xor_b64 s[0:1], exec, s[0:1]
; %bb.220:
	v_cmp_ne_u32_e32 vcc, 0, v128
	v_cndmask_b32_e32 v128, 14, v128, vcc
; %bb.221:
	s_andn2_saveexec_b64 s[0:1], s[0:1]
; %bb.222:
	v_div_scale_f64 v[130:131], s[2:3], v[120:121], v[120:121], 1.0
	v_rcp_f64_e32 v[132:133], v[130:131]
	v_div_scale_f64 v[134:135], vcc, 1.0, v[120:121], 1.0
	v_fma_f64 v[136:137], -v[130:131], v[132:133], 1.0
	v_fmac_f64_e32 v[132:133], v[132:133], v[136:137]
	v_fma_f64 v[136:137], -v[130:131], v[132:133], 1.0
	v_fmac_f64_e32 v[132:133], v[132:133], v[136:137]
	v_mul_f64 v[136:137], v[134:135], v[132:133]
	v_fma_f64 v[130:131], -v[130:131], v[136:137], v[134:135]
	v_div_fmas_f64 v[130:131], v[130:131], v[132:133], v[136:137]
	v_div_fixup_f64 v[120:121], v[130:131], v[120:121], 1.0
; %bb.223:
	s_or_b64 exec, exec, s[0:1]
	v_cmp_ne_u32_e32 vcc, v125, v122
	s_and_saveexec_b64 s[0:1], vcc
	s_xor_b64 s[0:1], exec, s[0:1]
	s_cbranch_execz .LBB114_229
; %bb.224:
	v_cmp_eq_u32_e32 vcc, 13, v125
	s_and_saveexec_b64 s[2:3], vcc
	s_cbranch_execz .LBB114_228
; %bb.225:
	v_cmp_ne_u32_e32 vcc, 13, v122
	s_xor_b64 s[14:15], s[6:7], -1
	s_and_b64 s[16:17], s[14:15], vcc
	s_and_saveexec_b64 s[14:15], s[16:17]
	s_cbranch_execz .LBB114_227
; %bb.226:
	v_ashrrev_i32_e32 v123, 31, v122
	v_lshlrev_b64 v[130:131], 2, v[122:123]
	v_add_co_u32_e32 v130, vcc, v4, v130
	v_addc_co_u32_e32 v131, vcc, v5, v131, vcc
	flat_load_dword v123, v[130:131]
	flat_load_dword v125, v[4:5] offset:52
	s_waitcnt vmcnt(0) lgkmcnt(0)
	flat_store_dword v[4:5], v123 offset:52
	flat_store_dword v[130:131], v125
.LBB114_227:
	s_or_b64 exec, exec, s[14:15]
	v_mov_b32_e32 v123, v122
	v_mov_b32_e32 v125, v122
.LBB114_228:
	s_or_b64 exec, exec, s[2:3]
.LBB114_229:
	s_andn2_saveexec_b64 s[0:1], s[0:1]
	s_cbranch_execz .LBB114_231
; %bb.230:
	v_mov_b32_e32 v130, v88
	v_mov_b32_e32 v131, v89
	v_mov_b32_e32 v132, v86
	v_mov_b32_e32 v133, v87
	ds_write2_b64 v124, v[130:131], v[132:133] offset0:14 offset1:15
	v_mov_b32_e32 v130, v84
	v_mov_b32_e32 v131, v85
	v_mov_b32_e32 v132, v82
	v_mov_b32_e32 v133, v83
	ds_write2_b64 v124, v[130:131], v[132:133] offset0:16 offset1:17
	;; [unrolled: 5-line block ×21, first 2 shown]
	v_mov_b32_e32 v130, v0
	v_mov_b32_e32 v131, v1
	;; [unrolled: 1-line block ×3, first 2 shown]
	ds_write2_b64 v124, v[130:131], v[118:119] offset0:56 offset1:57
.LBB114_231:
	s_or_b64 exec, exec, s[0:1]
	v_cmp_lt_i32_e32 vcc, 13, v125
	s_waitcnt lgkmcnt(0)
	s_barrier
	s_and_saveexec_b64 s[0:1], vcc
	s_cbranch_execz .LBB114_233
; %bb.232:
	ds_read2_b64 v[130:133], v124 offset0:14 offset1:15
	ds_read2_b64 v[134:137], v124 offset0:16 offset1:17
	v_mul_f64 v[90:91], v[120:121], v[90:91]
	ds_read2_b64 v[138:141], v124 offset0:18 offset1:19
	s_waitcnt lgkmcnt(0)
	v_fma_f64 v[88:89], -v[90:91], v[130:131], v[88:89]
	v_fma_f64 v[86:87], -v[90:91], v[132:133], v[86:87]
	ds_read2_b64 v[130:133], v124 offset0:20 offset1:21
	v_fma_f64 v[84:85], -v[90:91], v[134:135], v[84:85]
	v_fma_f64 v[82:83], -v[90:91], v[136:137], v[82:83]
	;; [unrolled: 1-line block ×3, first 2 shown]
	ds_read2_b64 v[134:137], v124 offset0:22 offset1:23
	v_fma_f64 v[78:79], -v[90:91], v[140:141], v[78:79]
	ds_read2_b64 v[138:141], v124 offset0:24 offset1:25
	s_waitcnt lgkmcnt(0)
	v_fma_f64 v[76:77], -v[90:91], v[130:131], v[76:77]
	v_fma_f64 v[74:75], -v[90:91], v[132:133], v[74:75]
	ds_read2_b64 v[130:133], v124 offset0:26 offset1:27
	v_fma_f64 v[72:73], -v[90:91], v[134:135], v[72:73]
	v_fma_f64 v[70:71], -v[90:91], v[136:137], v[70:71]
	ds_read2_b64 v[134:137], v124 offset0:28 offset1:29
	v_fma_f64 v[68:69], -v[90:91], v[138:139], v[68:69]
	v_fma_f64 v[66:67], -v[90:91], v[140:141], v[66:67]
	s_waitcnt lgkmcnt(0)
	v_fma_f64 v[64:65], -v[90:91], v[130:131], v[64:65]
	ds_read2_b64 v[138:141], v124 offset0:30 offset1:31
	v_fma_f64 v[62:63], -v[90:91], v[132:133], v[62:63]
	ds_read2_b64 v[130:133], v124 offset0:32 offset1:33
	v_fma_f64 v[60:61], -v[90:91], v[134:135], v[60:61]
	v_fma_f64 v[58:59], -v[90:91], v[136:137], v[58:59]
	s_waitcnt lgkmcnt(0)
	v_fma_f64 v[56:57], -v[90:91], v[138:139], v[56:57]
	ds_read2_b64 v[134:137], v124 offset0:34 offset1:35
	v_fma_f64 v[54:55], -v[90:91], v[140:141], v[54:55]
	ds_read2_b64 v[138:141], v124 offset0:36 offset1:37
	v_fma_f64 v[52:53], -v[90:91], v[130:131], v[52:53]
	v_fma_f64 v[50:51], -v[90:91], v[132:133], v[50:51]
	ds_read2_b64 v[130:133], v124 offset0:38 offset1:39
	s_waitcnt lgkmcnt(0)
	v_fma_f64 v[48:49], -v[90:91], v[134:135], v[48:49]
	v_fma_f64 v[46:47], -v[90:91], v[136:137], v[46:47]
	ds_read2_b64 v[134:137], v124 offset0:40 offset1:41
	v_fma_f64 v[44:45], -v[90:91], v[138:139], v[44:45]
	v_fma_f64 v[42:43], -v[90:91], v[140:141], v[42:43]
	;; [unrolled: 1-line block ×3, first 2 shown]
	ds_read2_b64 v[138:141], v124 offset0:42 offset1:43
	v_fma_f64 v[38:39], -v[90:91], v[132:133], v[38:39]
	ds_read2_b64 v[130:133], v124 offset0:44 offset1:45
	s_waitcnt lgkmcnt(0)
	v_fma_f64 v[36:37], -v[90:91], v[134:135], v[36:37]
	v_fma_f64 v[34:35], -v[90:91], v[136:137], v[34:35]
	;; [unrolled: 1-line block ×3, first 2 shown]
	ds_read2_b64 v[134:137], v124 offset0:46 offset1:47
	v_fma_f64 v[30:31], -v[90:91], v[140:141], v[30:31]
	ds_read2_b64 v[138:141], v124 offset0:48 offset1:49
	v_fma_f64 v[28:29], -v[90:91], v[130:131], v[28:29]
	v_fma_f64 v[26:27], -v[90:91], v[132:133], v[26:27]
	ds_read2_b64 v[130:133], v124 offset0:50 offset1:51
	s_waitcnt lgkmcnt(0)
	v_fma_f64 v[24:25], -v[90:91], v[134:135], v[24:25]
	v_fma_f64 v[22:23], -v[90:91], v[136:137], v[22:23]
	ds_read2_b64 v[134:137], v124 offset0:52 offset1:53
	v_fma_f64 v[20:21], -v[90:91], v[138:139], v[20:21]
	v_fma_f64 v[18:19], -v[90:91], v[140:141], v[18:19]
	v_fma_f64 v[16:17], -v[90:91], v[130:131], v[16:17]
	ds_read2_b64 v[138:141], v124 offset0:54 offset1:55
	v_fma_f64 v[14:15], -v[90:91], v[132:133], v[14:15]
	ds_read2_b64 v[130:133], v124 offset0:56 offset1:57
	s_waitcnt lgkmcnt(0)
	v_fma_f64 v[12:13], -v[90:91], v[134:135], v[12:13]
	v_fma_f64 v[10:11], -v[90:91], v[136:137], v[10:11]
	;; [unrolled: 1-line block ×6, first 2 shown]
.LBB114_233:
	s_or_b64 exec, exec, s[0:1]
	v_lshl_add_u32 v120, v125, 3, v124
	s_barrier
	ds_write_b64 v120, v[88:89]
	s_waitcnt lgkmcnt(0)
	s_barrier
	ds_read_b64 v[120:121], v124 offset:112
	s_cmp_lt_i32 s18, 16
	v_mov_b32_e32 v122, 14
	s_cbranch_scc1 .LBB114_236
; %bb.234:
	v_add_u32_e32 v129, 0x78, v124
	s_mov_b32 s0, 15
	v_mov_b32_e32 v122, 14
.LBB114_235:                            ; =>This Inner Loop Header: Depth=1
	ds_read_b64 v[130:131], v129
	v_mov_b32_e32 v132, s0
	s_add_i32 s0, s0, 1
	v_add_u32_e32 v129, 8, v129
	s_cmp_lg_u32 s18, s0
	s_waitcnt lgkmcnt(0)
	v_cmp_lt_f64_e64 vcc, |v[120:121]|, |v[130:131]|
	v_cndmask_b32_e32 v121, v121, v131, vcc
	v_cndmask_b32_e32 v120, v120, v130, vcc
	;; [unrolled: 1-line block ×3, first 2 shown]
	s_cbranch_scc1 .LBB114_235
.LBB114_236:
	s_waitcnt lgkmcnt(0)
	v_cmp_eq_f64_e32 vcc, 0, v[120:121]
	s_and_saveexec_b64 s[0:1], vcc
	s_xor_b64 s[0:1], exec, s[0:1]
; %bb.237:
	v_cmp_ne_u32_e32 vcc, 0, v128
	v_cndmask_b32_e32 v128, 15, v128, vcc
; %bb.238:
	s_andn2_saveexec_b64 s[0:1], s[0:1]
; %bb.239:
	v_div_scale_f64 v[130:131], s[2:3], v[120:121], v[120:121], 1.0
	v_rcp_f64_e32 v[132:133], v[130:131]
	v_div_scale_f64 v[134:135], vcc, 1.0, v[120:121], 1.0
	v_fma_f64 v[136:137], -v[130:131], v[132:133], 1.0
	v_fmac_f64_e32 v[132:133], v[132:133], v[136:137]
	v_fma_f64 v[136:137], -v[130:131], v[132:133], 1.0
	v_fmac_f64_e32 v[132:133], v[132:133], v[136:137]
	v_mul_f64 v[136:137], v[134:135], v[132:133]
	v_fma_f64 v[130:131], -v[130:131], v[136:137], v[134:135]
	v_div_fmas_f64 v[130:131], v[130:131], v[132:133], v[136:137]
	v_div_fixup_f64 v[120:121], v[130:131], v[120:121], 1.0
; %bb.240:
	s_or_b64 exec, exec, s[0:1]
	v_cmp_ne_u32_e32 vcc, v125, v122
	s_and_saveexec_b64 s[0:1], vcc
	s_xor_b64 s[0:1], exec, s[0:1]
	s_cbranch_execz .LBB114_246
; %bb.241:
	v_cmp_eq_u32_e32 vcc, 14, v125
	s_and_saveexec_b64 s[2:3], vcc
	s_cbranch_execz .LBB114_245
; %bb.242:
	v_cmp_ne_u32_e32 vcc, 14, v122
	s_xor_b64 s[14:15], s[6:7], -1
	s_and_b64 s[16:17], s[14:15], vcc
	s_and_saveexec_b64 s[14:15], s[16:17]
	s_cbranch_execz .LBB114_244
; %bb.243:
	v_ashrrev_i32_e32 v123, 31, v122
	v_lshlrev_b64 v[130:131], 2, v[122:123]
	v_add_co_u32_e32 v130, vcc, v4, v130
	v_addc_co_u32_e32 v131, vcc, v5, v131, vcc
	flat_load_dword v123, v[130:131]
	flat_load_dword v125, v[4:5] offset:56
	s_waitcnt vmcnt(0) lgkmcnt(0)
	flat_store_dword v[4:5], v123 offset:56
	flat_store_dword v[130:131], v125
.LBB114_244:
	s_or_b64 exec, exec, s[14:15]
	v_mov_b32_e32 v123, v122
	v_mov_b32_e32 v125, v122
.LBB114_245:
	s_or_b64 exec, exec, s[2:3]
.LBB114_246:
	s_andn2_saveexec_b64 s[0:1], s[0:1]
	s_cbranch_execz .LBB114_248
; %bb.247:
	v_mov_b32_e32 v125, 14
	ds_write2_b64 v124, v[86:87], v[84:85] offset0:15 offset1:16
	ds_write2_b64 v124, v[82:83], v[80:81] offset0:17 offset1:18
	;; [unrolled: 1-line block ×21, first 2 shown]
	ds_write_b64 v124, v[118:119] offset:456
.LBB114_248:
	s_or_b64 exec, exec, s[0:1]
	v_cmp_lt_i32_e32 vcc, 14, v125
	s_waitcnt lgkmcnt(0)
	s_barrier
	s_and_saveexec_b64 s[0:1], vcc
	s_cbranch_execz .LBB114_250
; %bb.249:
	ds_read2_b64 v[130:133], v124 offset0:15 offset1:16
	ds_read2_b64 v[134:137], v124 offset0:17 offset1:18
	;; [unrolled: 1-line block ×3, first 2 shown]
	v_mul_f64 v[88:89], v[120:121], v[88:89]
	ds_read_b64 v[120:121], v124 offset:456
	s_waitcnt lgkmcnt(0)
	v_fma_f64 v[86:87], -v[88:89], v[130:131], v[86:87]
	v_fma_f64 v[84:85], -v[88:89], v[132:133], v[84:85]
	ds_read2_b64 v[130:133], v124 offset0:21 offset1:22
	v_fma_f64 v[82:83], -v[88:89], v[134:135], v[82:83]
	v_fma_f64 v[80:81], -v[88:89], v[136:137], v[80:81]
	v_fma_f64 v[78:79], -v[88:89], v[138:139], v[78:79]
	ds_read2_b64 v[134:137], v124 offset0:23 offset1:24
	v_fma_f64 v[76:77], -v[88:89], v[140:141], v[76:77]
	ds_read2_b64 v[138:141], v124 offset0:25 offset1:26
	s_waitcnt lgkmcnt(0)
	v_fma_f64 v[74:75], -v[88:89], v[130:131], v[74:75]
	v_fma_f64 v[72:73], -v[88:89], v[132:133], v[72:73]
	v_fma_f64 v[70:71], -v[88:89], v[134:135], v[70:71]
	ds_read2_b64 v[130:133], v124 offset0:27 offset1:28
	v_fma_f64 v[68:69], -v[88:89], v[136:137], v[68:69]
	ds_read2_b64 v[134:137], v124 offset0:29 offset1:30
	v_fma_f64 v[66:67], -v[88:89], v[138:139], v[66:67]
	v_fma_f64 v[64:65], -v[88:89], v[140:141], v[64:65]
	ds_read2_b64 v[138:141], v124 offset0:31 offset1:32
	s_waitcnt lgkmcnt(0)
	v_fma_f64 v[62:63], -v[88:89], v[130:131], v[62:63]
	v_fma_f64 v[60:61], -v[88:89], v[132:133], v[60:61]
	ds_read2_b64 v[130:133], v124 offset0:33 offset1:34
	v_fma_f64 v[58:59], -v[88:89], v[134:135], v[58:59]
	v_fma_f64 v[56:57], -v[88:89], v[136:137], v[56:57]
	v_fma_f64 v[54:55], -v[88:89], v[138:139], v[54:55]
	ds_read2_b64 v[134:137], v124 offset0:35 offset1:36
	v_fma_f64 v[52:53], -v[88:89], v[140:141], v[52:53]
	ds_read2_b64 v[138:141], v124 offset0:37 offset1:38
	s_waitcnt lgkmcnt(0)
	v_fma_f64 v[50:51], -v[88:89], v[130:131], v[50:51]
	v_fma_f64 v[48:49], -v[88:89], v[132:133], v[48:49]
	v_fma_f64 v[46:47], -v[88:89], v[134:135], v[46:47]
	ds_read2_b64 v[130:133], v124 offset0:39 offset1:40
	v_fma_f64 v[44:45], -v[88:89], v[136:137], v[44:45]
	ds_read2_b64 v[134:137], v124 offset0:41 offset1:42
	v_fma_f64 v[42:43], -v[88:89], v[138:139], v[42:43]
	v_fma_f64 v[40:41], -v[88:89], v[140:141], v[40:41]
	ds_read2_b64 v[138:141], v124 offset0:43 offset1:44
	;; [unrolled: 20-line block ×3, first 2 shown]
	s_waitcnt lgkmcnt(0)
	v_fma_f64 v[14:15], -v[88:89], v[130:131], v[14:15]
	v_fma_f64 v[12:13], -v[88:89], v[132:133], v[12:13]
	;; [unrolled: 1-line block ×7, first 2 shown]
.LBB114_250:
	s_or_b64 exec, exec, s[0:1]
	v_lshl_add_u32 v120, v125, 3, v124
	s_barrier
	ds_write_b64 v120, v[86:87]
	s_waitcnt lgkmcnt(0)
	s_barrier
	ds_read_b64 v[120:121], v124 offset:120
	s_cmp_lt_i32 s18, 17
	v_mov_b32_e32 v122, 15
	s_cbranch_scc1 .LBB114_253
; %bb.251:
	v_add_u32_e32 v129, 0x80, v124
	s_mov_b32 s0, 16
	v_mov_b32_e32 v122, 15
.LBB114_252:                            ; =>This Inner Loop Header: Depth=1
	ds_read_b64 v[130:131], v129
	v_mov_b32_e32 v132, s0
	s_add_i32 s0, s0, 1
	v_add_u32_e32 v129, 8, v129
	s_cmp_lg_u32 s18, s0
	s_waitcnt lgkmcnt(0)
	v_cmp_lt_f64_e64 vcc, |v[120:121]|, |v[130:131]|
	v_cndmask_b32_e32 v121, v121, v131, vcc
	v_cndmask_b32_e32 v120, v120, v130, vcc
	;; [unrolled: 1-line block ×3, first 2 shown]
	s_cbranch_scc1 .LBB114_252
.LBB114_253:
	s_waitcnt lgkmcnt(0)
	v_cmp_eq_f64_e32 vcc, 0, v[120:121]
	s_and_saveexec_b64 s[0:1], vcc
	s_xor_b64 s[0:1], exec, s[0:1]
; %bb.254:
	v_cmp_ne_u32_e32 vcc, 0, v128
	v_cndmask_b32_e32 v128, 16, v128, vcc
; %bb.255:
	s_andn2_saveexec_b64 s[0:1], s[0:1]
; %bb.256:
	v_div_scale_f64 v[130:131], s[2:3], v[120:121], v[120:121], 1.0
	v_rcp_f64_e32 v[132:133], v[130:131]
	v_div_scale_f64 v[134:135], vcc, 1.0, v[120:121], 1.0
	v_fma_f64 v[136:137], -v[130:131], v[132:133], 1.0
	v_fmac_f64_e32 v[132:133], v[132:133], v[136:137]
	v_fma_f64 v[136:137], -v[130:131], v[132:133], 1.0
	v_fmac_f64_e32 v[132:133], v[132:133], v[136:137]
	v_mul_f64 v[136:137], v[134:135], v[132:133]
	v_fma_f64 v[130:131], -v[130:131], v[136:137], v[134:135]
	v_div_fmas_f64 v[130:131], v[130:131], v[132:133], v[136:137]
	v_div_fixup_f64 v[120:121], v[130:131], v[120:121], 1.0
; %bb.257:
	s_or_b64 exec, exec, s[0:1]
	v_cmp_ne_u32_e32 vcc, v125, v122
	s_and_saveexec_b64 s[0:1], vcc
	s_xor_b64 s[0:1], exec, s[0:1]
	s_cbranch_execz .LBB114_263
; %bb.258:
	v_cmp_eq_u32_e32 vcc, 15, v125
	s_and_saveexec_b64 s[2:3], vcc
	s_cbranch_execz .LBB114_262
; %bb.259:
	v_cmp_ne_u32_e32 vcc, 15, v122
	s_xor_b64 s[14:15], s[6:7], -1
	s_and_b64 s[16:17], s[14:15], vcc
	s_and_saveexec_b64 s[14:15], s[16:17]
	s_cbranch_execz .LBB114_261
; %bb.260:
	v_ashrrev_i32_e32 v123, 31, v122
	v_lshlrev_b64 v[130:131], 2, v[122:123]
	v_add_co_u32_e32 v130, vcc, v4, v130
	v_addc_co_u32_e32 v131, vcc, v5, v131, vcc
	flat_load_dword v123, v[130:131]
	flat_load_dword v125, v[4:5] offset:60
	s_waitcnt vmcnt(0) lgkmcnt(0)
	flat_store_dword v[4:5], v123 offset:60
	flat_store_dword v[130:131], v125
.LBB114_261:
	s_or_b64 exec, exec, s[14:15]
	v_mov_b32_e32 v123, v122
	v_mov_b32_e32 v125, v122
.LBB114_262:
	s_or_b64 exec, exec, s[2:3]
.LBB114_263:
	s_andn2_saveexec_b64 s[0:1], s[0:1]
	s_cbranch_execz .LBB114_265
; %bb.264:
	v_mov_b32_e32 v130, v84
	v_mov_b32_e32 v131, v85
	v_mov_b32_e32 v132, v82
	v_mov_b32_e32 v133, v83
	ds_write2_b64 v124, v[130:131], v[132:133] offset0:16 offset1:17
	v_mov_b32_e32 v130, v80
	v_mov_b32_e32 v131, v81
	v_mov_b32_e32 v132, v78
	v_mov_b32_e32 v133, v79
	ds_write2_b64 v124, v[130:131], v[132:133] offset0:18 offset1:19
	;; [unrolled: 5-line block ×20, first 2 shown]
	v_mov_b32_e32 v130, v0
	v_mov_b32_e32 v131, v1
	;; [unrolled: 1-line block ×3, first 2 shown]
	ds_write2_b64 v124, v[130:131], v[118:119] offset0:56 offset1:57
.LBB114_265:
	s_or_b64 exec, exec, s[0:1]
	v_cmp_lt_i32_e32 vcc, 15, v125
	s_waitcnt lgkmcnt(0)
	s_barrier
	s_and_saveexec_b64 s[0:1], vcc
	s_cbranch_execz .LBB114_267
; %bb.266:
	ds_read2_b64 v[130:133], v124 offset0:16 offset1:17
	ds_read2_b64 v[134:137], v124 offset0:18 offset1:19
	;; [unrolled: 1-line block ×3, first 2 shown]
	v_mul_f64 v[86:87], v[120:121], v[86:87]
	s_waitcnt lgkmcnt(0)
	v_fma_f64 v[84:85], -v[86:87], v[130:131], v[84:85]
	v_fma_f64 v[82:83], -v[86:87], v[132:133], v[82:83]
	ds_read2_b64 v[130:133], v124 offset0:22 offset1:23
	v_fma_f64 v[80:81], -v[86:87], v[134:135], v[80:81]
	v_fma_f64 v[78:79], -v[86:87], v[136:137], v[78:79]
	;; [unrolled: 1-line block ×3, first 2 shown]
	ds_read2_b64 v[134:137], v124 offset0:24 offset1:25
	v_fma_f64 v[74:75], -v[86:87], v[140:141], v[74:75]
	ds_read2_b64 v[138:141], v124 offset0:26 offset1:27
	s_waitcnt lgkmcnt(0)
	v_fma_f64 v[72:73], -v[86:87], v[130:131], v[72:73]
	v_fma_f64 v[70:71], -v[86:87], v[132:133], v[70:71]
	;; [unrolled: 1-line block ×3, first 2 shown]
	ds_read2_b64 v[130:133], v124 offset0:28 offset1:29
	v_fma_f64 v[66:67], -v[86:87], v[136:137], v[66:67]
	ds_read2_b64 v[134:137], v124 offset0:30 offset1:31
	v_fma_f64 v[64:65], -v[86:87], v[138:139], v[64:65]
	v_fma_f64 v[62:63], -v[86:87], v[140:141], v[62:63]
	ds_read2_b64 v[138:141], v124 offset0:32 offset1:33
	s_waitcnt lgkmcnt(0)
	v_fma_f64 v[60:61], -v[86:87], v[130:131], v[60:61]
	v_fma_f64 v[58:59], -v[86:87], v[132:133], v[58:59]
	ds_read2_b64 v[130:133], v124 offset0:34 offset1:35
	v_fma_f64 v[56:57], -v[86:87], v[134:135], v[56:57]
	v_fma_f64 v[54:55], -v[86:87], v[136:137], v[54:55]
	;; [unrolled: 1-line block ×3, first 2 shown]
	ds_read2_b64 v[134:137], v124 offset0:36 offset1:37
	v_fma_f64 v[50:51], -v[86:87], v[140:141], v[50:51]
	ds_read2_b64 v[138:141], v124 offset0:38 offset1:39
	s_waitcnt lgkmcnt(0)
	v_fma_f64 v[48:49], -v[86:87], v[130:131], v[48:49]
	v_fma_f64 v[46:47], -v[86:87], v[132:133], v[46:47]
	;; [unrolled: 1-line block ×3, first 2 shown]
	ds_read2_b64 v[130:133], v124 offset0:40 offset1:41
	v_fma_f64 v[42:43], -v[86:87], v[136:137], v[42:43]
	ds_read2_b64 v[134:137], v124 offset0:42 offset1:43
	v_fma_f64 v[40:41], -v[86:87], v[138:139], v[40:41]
	v_fma_f64 v[38:39], -v[86:87], v[140:141], v[38:39]
	ds_read2_b64 v[138:141], v124 offset0:44 offset1:45
	s_waitcnt lgkmcnt(0)
	v_fma_f64 v[36:37], -v[86:87], v[130:131], v[36:37]
	v_fma_f64 v[34:35], -v[86:87], v[132:133], v[34:35]
	ds_read2_b64 v[130:133], v124 offset0:46 offset1:47
	v_fma_f64 v[32:33], -v[86:87], v[134:135], v[32:33]
	v_fma_f64 v[30:31], -v[86:87], v[136:137], v[30:31]
	;; [unrolled: 1-line block ×3, first 2 shown]
	ds_read2_b64 v[134:137], v124 offset0:48 offset1:49
	v_fma_f64 v[26:27], -v[86:87], v[140:141], v[26:27]
	ds_read2_b64 v[138:141], v124 offset0:50 offset1:51
	s_waitcnt lgkmcnt(0)
	v_fma_f64 v[24:25], -v[86:87], v[130:131], v[24:25]
	v_fma_f64 v[22:23], -v[86:87], v[132:133], v[22:23]
	;; [unrolled: 1-line block ×4, first 2 shown]
	ds_read2_b64 v[130:133], v124 offset0:52 offset1:53
	ds_read2_b64 v[134:137], v124 offset0:54 offset1:55
	v_fma_f64 v[16:17], -v[86:87], v[138:139], v[16:17]
	v_fma_f64 v[14:15], -v[86:87], v[140:141], v[14:15]
	ds_read2_b64 v[138:141], v124 offset0:56 offset1:57
	s_waitcnt lgkmcnt(0)
	v_fma_f64 v[12:13], -v[86:87], v[130:131], v[12:13]
	v_fma_f64 v[10:11], -v[86:87], v[132:133], v[10:11]
	v_fma_f64 v[8:9], -v[86:87], v[134:135], v[8:9]
	v_fma_f64 v[6:7], -v[86:87], v[136:137], v[6:7]
	v_fma_f64 v[0:1], -v[86:87], v[138:139], v[0:1]
	v_fma_f64 v[118:119], -v[86:87], v[140:141], v[118:119]
.LBB114_267:
	s_or_b64 exec, exec, s[0:1]
	v_lshl_add_u32 v120, v125, 3, v124
	s_barrier
	ds_write_b64 v120, v[84:85]
	s_waitcnt lgkmcnt(0)
	s_barrier
	ds_read_b64 v[120:121], v124 offset:128
	s_cmp_lt_i32 s18, 18
	v_mov_b32_e32 v122, 16
	s_cbranch_scc1 .LBB114_270
; %bb.268:
	v_add_u32_e32 v129, 0x88, v124
	s_mov_b32 s0, 17
	v_mov_b32_e32 v122, 16
.LBB114_269:                            ; =>This Inner Loop Header: Depth=1
	ds_read_b64 v[130:131], v129
	v_mov_b32_e32 v132, s0
	s_add_i32 s0, s0, 1
	v_add_u32_e32 v129, 8, v129
	s_cmp_lg_u32 s18, s0
	s_waitcnt lgkmcnt(0)
	v_cmp_lt_f64_e64 vcc, |v[120:121]|, |v[130:131]|
	v_cndmask_b32_e32 v121, v121, v131, vcc
	v_cndmask_b32_e32 v120, v120, v130, vcc
	;; [unrolled: 1-line block ×3, first 2 shown]
	s_cbranch_scc1 .LBB114_269
.LBB114_270:
	s_waitcnt lgkmcnt(0)
	v_cmp_eq_f64_e32 vcc, 0, v[120:121]
	s_and_saveexec_b64 s[0:1], vcc
	s_xor_b64 s[0:1], exec, s[0:1]
; %bb.271:
	v_cmp_ne_u32_e32 vcc, 0, v128
	v_cndmask_b32_e32 v128, 17, v128, vcc
; %bb.272:
	s_andn2_saveexec_b64 s[0:1], s[0:1]
; %bb.273:
	v_div_scale_f64 v[130:131], s[2:3], v[120:121], v[120:121], 1.0
	v_rcp_f64_e32 v[132:133], v[130:131]
	v_div_scale_f64 v[134:135], vcc, 1.0, v[120:121], 1.0
	v_fma_f64 v[136:137], -v[130:131], v[132:133], 1.0
	v_fmac_f64_e32 v[132:133], v[132:133], v[136:137]
	v_fma_f64 v[136:137], -v[130:131], v[132:133], 1.0
	v_fmac_f64_e32 v[132:133], v[132:133], v[136:137]
	v_mul_f64 v[136:137], v[134:135], v[132:133]
	v_fma_f64 v[130:131], -v[130:131], v[136:137], v[134:135]
	v_div_fmas_f64 v[130:131], v[130:131], v[132:133], v[136:137]
	v_div_fixup_f64 v[120:121], v[130:131], v[120:121], 1.0
; %bb.274:
	s_or_b64 exec, exec, s[0:1]
	v_cmp_ne_u32_e32 vcc, v125, v122
	s_and_saveexec_b64 s[0:1], vcc
	s_xor_b64 s[0:1], exec, s[0:1]
	s_cbranch_execz .LBB114_280
; %bb.275:
	v_cmp_eq_u32_e32 vcc, 16, v125
	s_and_saveexec_b64 s[2:3], vcc
	s_cbranch_execz .LBB114_279
; %bb.276:
	v_cmp_ne_u32_e32 vcc, 16, v122
	s_xor_b64 s[14:15], s[6:7], -1
	s_and_b64 s[16:17], s[14:15], vcc
	s_and_saveexec_b64 s[14:15], s[16:17]
	s_cbranch_execz .LBB114_278
; %bb.277:
	v_ashrrev_i32_e32 v123, 31, v122
	v_lshlrev_b64 v[130:131], 2, v[122:123]
	v_add_co_u32_e32 v130, vcc, v4, v130
	v_addc_co_u32_e32 v131, vcc, v5, v131, vcc
	flat_load_dword v123, v[130:131]
	flat_load_dword v125, v[4:5] offset:64
	s_waitcnt vmcnt(0) lgkmcnt(0)
	flat_store_dword v[4:5], v123 offset:64
	flat_store_dword v[130:131], v125
.LBB114_278:
	s_or_b64 exec, exec, s[14:15]
	v_mov_b32_e32 v123, v122
	v_mov_b32_e32 v125, v122
.LBB114_279:
	s_or_b64 exec, exec, s[2:3]
.LBB114_280:
	s_andn2_saveexec_b64 s[0:1], s[0:1]
	s_cbranch_execz .LBB114_282
; %bb.281:
	v_mov_b32_e32 v125, 16
	ds_write2_b64 v124, v[82:83], v[80:81] offset0:17 offset1:18
	ds_write2_b64 v124, v[78:79], v[76:77] offset0:19 offset1:20
	;; [unrolled: 1-line block ×20, first 2 shown]
	ds_write_b64 v124, v[118:119] offset:456
.LBB114_282:
	s_or_b64 exec, exec, s[0:1]
	v_cmp_lt_i32_e32 vcc, 16, v125
	s_waitcnt lgkmcnt(0)
	s_barrier
	s_and_saveexec_b64 s[0:1], vcc
	s_cbranch_execz .LBB114_284
; %bb.283:
	ds_read2_b64 v[130:133], v124 offset0:17 offset1:18
	ds_read2_b64 v[134:137], v124 offset0:19 offset1:20
	v_mul_f64 v[84:85], v[120:121], v[84:85]
	ds_read2_b64 v[138:141], v124 offset0:21 offset1:22
	ds_read_b64 v[120:121], v124 offset:456
	s_waitcnt lgkmcnt(0)
	v_fma_f64 v[82:83], -v[84:85], v[130:131], v[82:83]
	v_fma_f64 v[80:81], -v[84:85], v[132:133], v[80:81]
	ds_read2_b64 v[130:133], v124 offset0:23 offset1:24
	v_fma_f64 v[78:79], -v[84:85], v[134:135], v[78:79]
	v_fma_f64 v[76:77], -v[84:85], v[136:137], v[76:77]
	ds_read2_b64 v[134:137], v124 offset0:25 offset1:26
	;; [unrolled: 3-line block ×3, first 2 shown]
	s_waitcnt lgkmcnt(0)
	v_fma_f64 v[70:71], -v[84:85], v[130:131], v[70:71]
	v_fma_f64 v[68:69], -v[84:85], v[132:133], v[68:69]
	;; [unrolled: 1-line block ×3, first 2 shown]
	ds_read2_b64 v[130:133], v124 offset0:29 offset1:30
	v_fma_f64 v[64:65], -v[84:85], v[136:137], v[64:65]
	ds_read2_b64 v[134:137], v124 offset0:31 offset1:32
	v_fma_f64 v[62:63], -v[84:85], v[138:139], v[62:63]
	v_fma_f64 v[60:61], -v[84:85], v[140:141], v[60:61]
	s_waitcnt lgkmcnt(0)
	v_fma_f64 v[58:59], -v[84:85], v[130:131], v[58:59]
	ds_read2_b64 v[138:141], v124 offset0:33 offset1:34
	v_fma_f64 v[56:57], -v[84:85], v[132:133], v[56:57]
	ds_read2_b64 v[130:133], v124 offset0:35 offset1:36
	v_fma_f64 v[54:55], -v[84:85], v[134:135], v[54:55]
	v_fma_f64 v[52:53], -v[84:85], v[136:137], v[52:53]
	ds_read2_b64 v[134:137], v124 offset0:37 offset1:38
	s_waitcnt lgkmcnt(0)
	v_fma_f64 v[50:51], -v[84:85], v[138:139], v[50:51]
	v_fma_f64 v[48:49], -v[84:85], v[140:141], v[48:49]
	ds_read2_b64 v[138:141], v124 offset0:39 offset1:40
	v_fma_f64 v[46:47], -v[84:85], v[130:131], v[46:47]
	v_fma_f64 v[44:45], -v[84:85], v[132:133], v[44:45]
	;; [unrolled: 1-line block ×3, first 2 shown]
	ds_read2_b64 v[130:133], v124 offset0:41 offset1:42
	v_fma_f64 v[40:41], -v[84:85], v[136:137], v[40:41]
	ds_read2_b64 v[134:137], v124 offset0:43 offset1:44
	s_waitcnt lgkmcnt(0)
	v_fma_f64 v[38:39], -v[84:85], v[138:139], v[38:39]
	v_fma_f64 v[36:37], -v[84:85], v[140:141], v[36:37]
	;; [unrolled: 1-line block ×3, first 2 shown]
	ds_read2_b64 v[138:141], v124 offset0:45 offset1:46
	v_fma_f64 v[32:33], -v[84:85], v[132:133], v[32:33]
	ds_read2_b64 v[130:133], v124 offset0:47 offset1:48
	v_fma_f64 v[30:31], -v[84:85], v[134:135], v[30:31]
	v_fma_f64 v[28:29], -v[84:85], v[136:137], v[28:29]
	ds_read2_b64 v[134:137], v124 offset0:49 offset1:50
	s_waitcnt lgkmcnt(0)
	v_fma_f64 v[26:27], -v[84:85], v[138:139], v[26:27]
	v_fma_f64 v[24:25], -v[84:85], v[140:141], v[24:25]
	ds_read2_b64 v[138:141], v124 offset0:51 offset1:52
	v_fma_f64 v[22:23], -v[84:85], v[130:131], v[22:23]
	v_fma_f64 v[20:21], -v[84:85], v[132:133], v[20:21]
	;; [unrolled: 1-line block ×4, first 2 shown]
	ds_read2_b64 v[130:133], v124 offset0:53 offset1:54
	ds_read2_b64 v[134:137], v124 offset0:55 offset1:56
	s_waitcnt lgkmcnt(0)
	v_fma_f64 v[14:15], -v[84:85], v[138:139], v[14:15]
	v_fma_f64 v[12:13], -v[84:85], v[140:141], v[12:13]
	;; [unrolled: 1-line block ×7, first 2 shown]
.LBB114_284:
	s_or_b64 exec, exec, s[0:1]
	v_lshl_add_u32 v120, v125, 3, v124
	s_barrier
	ds_write_b64 v120, v[82:83]
	s_waitcnt lgkmcnt(0)
	s_barrier
	ds_read_b64 v[120:121], v124 offset:136
	s_cmp_lt_i32 s18, 19
	v_mov_b32_e32 v122, 17
	s_cbranch_scc1 .LBB114_287
; %bb.285:
	v_add_u32_e32 v129, 0x90, v124
	s_mov_b32 s0, 18
	v_mov_b32_e32 v122, 17
.LBB114_286:                            ; =>This Inner Loop Header: Depth=1
	ds_read_b64 v[130:131], v129
	v_mov_b32_e32 v132, s0
	s_add_i32 s0, s0, 1
	v_add_u32_e32 v129, 8, v129
	s_cmp_lg_u32 s18, s0
	s_waitcnt lgkmcnt(0)
	v_cmp_lt_f64_e64 vcc, |v[120:121]|, |v[130:131]|
	v_cndmask_b32_e32 v121, v121, v131, vcc
	v_cndmask_b32_e32 v120, v120, v130, vcc
	;; [unrolled: 1-line block ×3, first 2 shown]
	s_cbranch_scc1 .LBB114_286
.LBB114_287:
	s_waitcnt lgkmcnt(0)
	v_cmp_eq_f64_e32 vcc, 0, v[120:121]
	s_and_saveexec_b64 s[0:1], vcc
	s_xor_b64 s[0:1], exec, s[0:1]
; %bb.288:
	v_cmp_ne_u32_e32 vcc, 0, v128
	v_cndmask_b32_e32 v128, 18, v128, vcc
; %bb.289:
	s_andn2_saveexec_b64 s[0:1], s[0:1]
; %bb.290:
	v_div_scale_f64 v[130:131], s[2:3], v[120:121], v[120:121], 1.0
	v_rcp_f64_e32 v[132:133], v[130:131]
	v_div_scale_f64 v[134:135], vcc, 1.0, v[120:121], 1.0
	v_fma_f64 v[136:137], -v[130:131], v[132:133], 1.0
	v_fmac_f64_e32 v[132:133], v[132:133], v[136:137]
	v_fma_f64 v[136:137], -v[130:131], v[132:133], 1.0
	v_fmac_f64_e32 v[132:133], v[132:133], v[136:137]
	v_mul_f64 v[136:137], v[134:135], v[132:133]
	v_fma_f64 v[130:131], -v[130:131], v[136:137], v[134:135]
	v_div_fmas_f64 v[130:131], v[130:131], v[132:133], v[136:137]
	v_div_fixup_f64 v[120:121], v[130:131], v[120:121], 1.0
; %bb.291:
	s_or_b64 exec, exec, s[0:1]
	v_cmp_ne_u32_e32 vcc, v125, v122
	s_and_saveexec_b64 s[0:1], vcc
	s_xor_b64 s[0:1], exec, s[0:1]
	s_cbranch_execz .LBB114_297
; %bb.292:
	v_cmp_eq_u32_e32 vcc, 17, v125
	s_and_saveexec_b64 s[2:3], vcc
	s_cbranch_execz .LBB114_296
; %bb.293:
	v_cmp_ne_u32_e32 vcc, 17, v122
	s_xor_b64 s[14:15], s[6:7], -1
	s_and_b64 s[16:17], s[14:15], vcc
	s_and_saveexec_b64 s[14:15], s[16:17]
	s_cbranch_execz .LBB114_295
; %bb.294:
	v_ashrrev_i32_e32 v123, 31, v122
	v_lshlrev_b64 v[130:131], 2, v[122:123]
	v_add_co_u32_e32 v130, vcc, v4, v130
	v_addc_co_u32_e32 v131, vcc, v5, v131, vcc
	flat_load_dword v123, v[130:131]
	flat_load_dword v125, v[4:5] offset:68
	s_waitcnt vmcnt(0) lgkmcnt(0)
	flat_store_dword v[4:5], v123 offset:68
	flat_store_dword v[130:131], v125
.LBB114_295:
	s_or_b64 exec, exec, s[14:15]
	v_mov_b32_e32 v123, v122
	v_mov_b32_e32 v125, v122
.LBB114_296:
	s_or_b64 exec, exec, s[2:3]
.LBB114_297:
	s_andn2_saveexec_b64 s[0:1], s[0:1]
	s_cbranch_execz .LBB114_299
; %bb.298:
	v_mov_b32_e32 v130, v80
	v_mov_b32_e32 v131, v81
	v_mov_b32_e32 v132, v78
	v_mov_b32_e32 v133, v79
	ds_write2_b64 v124, v[130:131], v[132:133] offset0:18 offset1:19
	v_mov_b32_e32 v130, v76
	v_mov_b32_e32 v131, v77
	v_mov_b32_e32 v132, v74
	v_mov_b32_e32 v133, v75
	ds_write2_b64 v124, v[130:131], v[132:133] offset0:20 offset1:21
	;; [unrolled: 5-line block ×19, first 2 shown]
	v_mov_b32_e32 v130, v0
	v_mov_b32_e32 v131, v1
	;; [unrolled: 1-line block ×3, first 2 shown]
	ds_write2_b64 v124, v[130:131], v[118:119] offset0:56 offset1:57
.LBB114_299:
	s_or_b64 exec, exec, s[0:1]
	v_cmp_lt_i32_e32 vcc, 17, v125
	s_waitcnt lgkmcnt(0)
	s_barrier
	s_and_saveexec_b64 s[0:1], vcc
	s_cbranch_execz .LBB114_301
; %bb.300:
	ds_read2_b64 v[130:133], v124 offset0:18 offset1:19
	ds_read2_b64 v[134:137], v124 offset0:20 offset1:21
	v_mul_f64 v[82:83], v[120:121], v[82:83]
	ds_read2_b64 v[138:141], v124 offset0:22 offset1:23
	s_waitcnt lgkmcnt(0)
	v_fma_f64 v[80:81], -v[82:83], v[130:131], v[80:81]
	v_fma_f64 v[78:79], -v[82:83], v[132:133], v[78:79]
	ds_read2_b64 v[130:133], v124 offset0:24 offset1:25
	v_fma_f64 v[76:77], -v[82:83], v[134:135], v[76:77]
	v_fma_f64 v[74:75], -v[82:83], v[136:137], v[74:75]
	ds_read2_b64 v[134:137], v124 offset0:26 offset1:27
	;; [unrolled: 3-line block ×3, first 2 shown]
	s_waitcnt lgkmcnt(0)
	v_fma_f64 v[68:69], -v[82:83], v[130:131], v[68:69]
	v_fma_f64 v[66:67], -v[82:83], v[132:133], v[66:67]
	;; [unrolled: 1-line block ×3, first 2 shown]
	ds_read2_b64 v[130:133], v124 offset0:30 offset1:31
	v_fma_f64 v[62:63], -v[82:83], v[136:137], v[62:63]
	ds_read2_b64 v[134:137], v124 offset0:32 offset1:33
	v_fma_f64 v[60:61], -v[82:83], v[138:139], v[60:61]
	v_fma_f64 v[58:59], -v[82:83], v[140:141], v[58:59]
	s_waitcnt lgkmcnt(0)
	v_fma_f64 v[56:57], -v[82:83], v[130:131], v[56:57]
	ds_read2_b64 v[138:141], v124 offset0:34 offset1:35
	v_fma_f64 v[54:55], -v[82:83], v[132:133], v[54:55]
	ds_read2_b64 v[130:133], v124 offset0:36 offset1:37
	v_fma_f64 v[52:53], -v[82:83], v[134:135], v[52:53]
	v_fma_f64 v[50:51], -v[82:83], v[136:137], v[50:51]
	ds_read2_b64 v[134:137], v124 offset0:38 offset1:39
	s_waitcnt lgkmcnt(0)
	v_fma_f64 v[48:49], -v[82:83], v[138:139], v[48:49]
	v_fma_f64 v[46:47], -v[82:83], v[140:141], v[46:47]
	ds_read2_b64 v[138:141], v124 offset0:40 offset1:41
	v_fma_f64 v[44:45], -v[82:83], v[130:131], v[44:45]
	v_fma_f64 v[42:43], -v[82:83], v[132:133], v[42:43]
	;; [unrolled: 1-line block ×3, first 2 shown]
	ds_read2_b64 v[130:133], v124 offset0:42 offset1:43
	v_fma_f64 v[38:39], -v[82:83], v[136:137], v[38:39]
	ds_read2_b64 v[134:137], v124 offset0:44 offset1:45
	s_waitcnt lgkmcnt(0)
	v_fma_f64 v[36:37], -v[82:83], v[138:139], v[36:37]
	v_fma_f64 v[34:35], -v[82:83], v[140:141], v[34:35]
	;; [unrolled: 1-line block ×3, first 2 shown]
	ds_read2_b64 v[138:141], v124 offset0:46 offset1:47
	v_fma_f64 v[30:31], -v[82:83], v[132:133], v[30:31]
	ds_read2_b64 v[130:133], v124 offset0:48 offset1:49
	v_fma_f64 v[28:29], -v[82:83], v[134:135], v[28:29]
	v_fma_f64 v[26:27], -v[82:83], v[136:137], v[26:27]
	ds_read2_b64 v[134:137], v124 offset0:50 offset1:51
	s_waitcnt lgkmcnt(0)
	v_fma_f64 v[24:25], -v[82:83], v[138:139], v[24:25]
	v_fma_f64 v[22:23], -v[82:83], v[140:141], v[22:23]
	;; [unrolled: 1-line block ×4, first 2 shown]
	ds_read2_b64 v[130:133], v124 offset0:52 offset1:53
	v_fma_f64 v[16:17], -v[82:83], v[134:135], v[16:17]
	ds_read2_b64 v[138:141], v124 offset0:54 offset1:55
	v_fma_f64 v[14:15], -v[82:83], v[136:137], v[14:15]
	ds_read2_b64 v[134:137], v124 offset0:56 offset1:57
	s_waitcnt lgkmcnt(0)
	v_fma_f64 v[12:13], -v[82:83], v[130:131], v[12:13]
	v_fma_f64 v[10:11], -v[82:83], v[132:133], v[10:11]
	v_fma_f64 v[8:9], -v[82:83], v[138:139], v[8:9]
	v_fma_f64 v[6:7], -v[82:83], v[140:141], v[6:7]
	v_fma_f64 v[0:1], -v[82:83], v[134:135], v[0:1]
	v_fma_f64 v[118:119], -v[82:83], v[136:137], v[118:119]
.LBB114_301:
	s_or_b64 exec, exec, s[0:1]
	v_lshl_add_u32 v120, v125, 3, v124
	s_barrier
	ds_write_b64 v120, v[80:81]
	s_waitcnt lgkmcnt(0)
	s_barrier
	ds_read_b64 v[120:121], v124 offset:144
	s_cmp_lt_i32 s18, 20
	v_mov_b32_e32 v122, 18
	s_cbranch_scc1 .LBB114_304
; %bb.302:
	v_add_u32_e32 v129, 0x98, v124
	s_mov_b32 s0, 19
	v_mov_b32_e32 v122, 18
.LBB114_303:                            ; =>This Inner Loop Header: Depth=1
	ds_read_b64 v[130:131], v129
	v_mov_b32_e32 v132, s0
	s_add_i32 s0, s0, 1
	v_add_u32_e32 v129, 8, v129
	s_cmp_lg_u32 s18, s0
	s_waitcnt lgkmcnt(0)
	v_cmp_lt_f64_e64 vcc, |v[120:121]|, |v[130:131]|
	v_cndmask_b32_e32 v121, v121, v131, vcc
	v_cndmask_b32_e32 v120, v120, v130, vcc
	;; [unrolled: 1-line block ×3, first 2 shown]
	s_cbranch_scc1 .LBB114_303
.LBB114_304:
	s_waitcnt lgkmcnt(0)
	v_cmp_eq_f64_e32 vcc, 0, v[120:121]
	s_and_saveexec_b64 s[0:1], vcc
	s_xor_b64 s[0:1], exec, s[0:1]
; %bb.305:
	v_cmp_ne_u32_e32 vcc, 0, v128
	v_cndmask_b32_e32 v128, 19, v128, vcc
; %bb.306:
	s_andn2_saveexec_b64 s[0:1], s[0:1]
; %bb.307:
	v_div_scale_f64 v[130:131], s[2:3], v[120:121], v[120:121], 1.0
	v_rcp_f64_e32 v[132:133], v[130:131]
	v_div_scale_f64 v[134:135], vcc, 1.0, v[120:121], 1.0
	v_fma_f64 v[136:137], -v[130:131], v[132:133], 1.0
	v_fmac_f64_e32 v[132:133], v[132:133], v[136:137]
	v_fma_f64 v[136:137], -v[130:131], v[132:133], 1.0
	v_fmac_f64_e32 v[132:133], v[132:133], v[136:137]
	v_mul_f64 v[136:137], v[134:135], v[132:133]
	v_fma_f64 v[130:131], -v[130:131], v[136:137], v[134:135]
	v_div_fmas_f64 v[130:131], v[130:131], v[132:133], v[136:137]
	v_div_fixup_f64 v[120:121], v[130:131], v[120:121], 1.0
; %bb.308:
	s_or_b64 exec, exec, s[0:1]
	v_cmp_ne_u32_e32 vcc, v125, v122
	s_and_saveexec_b64 s[0:1], vcc
	s_xor_b64 s[0:1], exec, s[0:1]
	s_cbranch_execz .LBB114_314
; %bb.309:
	v_cmp_eq_u32_e32 vcc, 18, v125
	s_and_saveexec_b64 s[2:3], vcc
	s_cbranch_execz .LBB114_313
; %bb.310:
	v_cmp_ne_u32_e32 vcc, 18, v122
	s_xor_b64 s[14:15], s[6:7], -1
	s_and_b64 s[16:17], s[14:15], vcc
	s_and_saveexec_b64 s[14:15], s[16:17]
	s_cbranch_execz .LBB114_312
; %bb.311:
	v_ashrrev_i32_e32 v123, 31, v122
	v_lshlrev_b64 v[130:131], 2, v[122:123]
	v_add_co_u32_e32 v130, vcc, v4, v130
	v_addc_co_u32_e32 v131, vcc, v5, v131, vcc
	flat_load_dword v123, v[130:131]
	flat_load_dword v125, v[4:5] offset:72
	s_waitcnt vmcnt(0) lgkmcnt(0)
	flat_store_dword v[4:5], v123 offset:72
	flat_store_dword v[130:131], v125
.LBB114_312:
	s_or_b64 exec, exec, s[14:15]
	v_mov_b32_e32 v123, v122
	v_mov_b32_e32 v125, v122
.LBB114_313:
	s_or_b64 exec, exec, s[2:3]
.LBB114_314:
	s_andn2_saveexec_b64 s[0:1], s[0:1]
	s_cbranch_execz .LBB114_316
; %bb.315:
	v_mov_b32_e32 v125, 18
	ds_write2_b64 v124, v[78:79], v[76:77] offset0:19 offset1:20
	ds_write2_b64 v124, v[74:75], v[72:73] offset0:21 offset1:22
	;; [unrolled: 1-line block ×19, first 2 shown]
	ds_write_b64 v124, v[118:119] offset:456
.LBB114_316:
	s_or_b64 exec, exec, s[0:1]
	v_cmp_lt_i32_e32 vcc, 18, v125
	s_waitcnt lgkmcnt(0)
	s_barrier
	s_and_saveexec_b64 s[0:1], vcc
	s_cbranch_execz .LBB114_318
; %bb.317:
	ds_read2_b64 v[130:133], v124 offset0:19 offset1:20
	ds_read2_b64 v[134:137], v124 offset0:21 offset1:22
	v_mul_f64 v[80:81], v[120:121], v[80:81]
	ds_read2_b64 v[138:141], v124 offset0:23 offset1:24
	ds_read_b64 v[120:121], v124 offset:456
	s_waitcnt lgkmcnt(0)
	v_fma_f64 v[78:79], -v[80:81], v[130:131], v[78:79]
	v_fma_f64 v[76:77], -v[80:81], v[132:133], v[76:77]
	ds_read2_b64 v[130:133], v124 offset0:25 offset1:26
	v_fma_f64 v[74:75], -v[80:81], v[134:135], v[74:75]
	v_fma_f64 v[72:73], -v[80:81], v[136:137], v[72:73]
	v_fma_f64 v[70:71], -v[80:81], v[138:139], v[70:71]
	ds_read2_b64 v[134:137], v124 offset0:27 offset1:28
	v_fma_f64 v[68:69], -v[80:81], v[140:141], v[68:69]
	ds_read2_b64 v[138:141], v124 offset0:29 offset1:30
	s_waitcnt lgkmcnt(0)
	v_fma_f64 v[66:67], -v[80:81], v[130:131], v[66:67]
	v_fma_f64 v[64:65], -v[80:81], v[132:133], v[64:65]
	ds_read2_b64 v[130:133], v124 offset0:31 offset1:32
	v_fma_f64 v[62:63], -v[80:81], v[134:135], v[62:63]
	v_fma_f64 v[60:61], -v[80:81], v[136:137], v[60:61]
	ds_read2_b64 v[134:137], v124 offset0:33 offset1:34
	v_fma_f64 v[58:59], -v[80:81], v[138:139], v[58:59]
	v_fma_f64 v[56:57], -v[80:81], v[140:141], v[56:57]
	s_waitcnt lgkmcnt(0)
	v_fma_f64 v[54:55], -v[80:81], v[130:131], v[54:55]
	ds_read2_b64 v[138:141], v124 offset0:35 offset1:36
	v_fma_f64 v[52:53], -v[80:81], v[132:133], v[52:53]
	ds_read2_b64 v[130:133], v124 offset0:37 offset1:38
	v_fma_f64 v[50:51], -v[80:81], v[134:135], v[50:51]
	v_fma_f64 v[48:49], -v[80:81], v[136:137], v[48:49]
	s_waitcnt lgkmcnt(0)
	v_fma_f64 v[46:47], -v[80:81], v[138:139], v[46:47]
	ds_read2_b64 v[134:137], v124 offset0:39 offset1:40
	v_fma_f64 v[44:45], -v[80:81], v[140:141], v[44:45]
	ds_read2_b64 v[138:141], v124 offset0:41 offset1:42
	v_fma_f64 v[42:43], -v[80:81], v[130:131], v[42:43]
	v_fma_f64 v[40:41], -v[80:81], v[132:133], v[40:41]
	ds_read2_b64 v[130:133], v124 offset0:43 offset1:44
	s_waitcnt lgkmcnt(0)
	v_fma_f64 v[38:39], -v[80:81], v[134:135], v[38:39]
	v_fma_f64 v[36:37], -v[80:81], v[136:137], v[36:37]
	ds_read2_b64 v[134:137], v124 offset0:45 offset1:46
	v_fma_f64 v[34:35], -v[80:81], v[138:139], v[34:35]
	v_fma_f64 v[32:33], -v[80:81], v[140:141], v[32:33]
	;; [unrolled: 1-line block ×3, first 2 shown]
	ds_read2_b64 v[138:141], v124 offset0:47 offset1:48
	v_fma_f64 v[28:29], -v[80:81], v[132:133], v[28:29]
	ds_read2_b64 v[130:133], v124 offset0:49 offset1:50
	s_waitcnt lgkmcnt(0)
	v_fma_f64 v[26:27], -v[80:81], v[134:135], v[26:27]
	v_fma_f64 v[24:25], -v[80:81], v[136:137], v[24:25]
	;; [unrolled: 1-line block ×3, first 2 shown]
	ds_read2_b64 v[134:137], v124 offset0:51 offset1:52
	v_fma_f64 v[20:21], -v[80:81], v[140:141], v[20:21]
	v_fma_f64 v[18:19], -v[80:81], v[130:131], v[18:19]
	;; [unrolled: 1-line block ×3, first 2 shown]
	ds_read2_b64 v[130:133], v124 offset0:53 offset1:54
	ds_read2_b64 v[138:141], v124 offset0:55 offset1:56
	s_waitcnt lgkmcnt(0)
	v_fma_f64 v[14:15], -v[80:81], v[134:135], v[14:15]
	v_fma_f64 v[12:13], -v[80:81], v[136:137], v[12:13]
	;; [unrolled: 1-line block ×7, first 2 shown]
.LBB114_318:
	s_or_b64 exec, exec, s[0:1]
	v_lshl_add_u32 v120, v125, 3, v124
	s_barrier
	ds_write_b64 v120, v[78:79]
	s_waitcnt lgkmcnt(0)
	s_barrier
	ds_read_b64 v[120:121], v124 offset:152
	s_cmp_lt_i32 s18, 21
	v_mov_b32_e32 v122, 19
	s_cbranch_scc1 .LBB114_321
; %bb.319:
	v_add_u32_e32 v129, 0xa0, v124
	s_mov_b32 s0, 20
	v_mov_b32_e32 v122, 19
.LBB114_320:                            ; =>This Inner Loop Header: Depth=1
	ds_read_b64 v[130:131], v129
	v_mov_b32_e32 v132, s0
	s_add_i32 s0, s0, 1
	v_add_u32_e32 v129, 8, v129
	s_cmp_lg_u32 s18, s0
	s_waitcnt lgkmcnt(0)
	v_cmp_lt_f64_e64 vcc, |v[120:121]|, |v[130:131]|
	v_cndmask_b32_e32 v121, v121, v131, vcc
	v_cndmask_b32_e32 v120, v120, v130, vcc
	;; [unrolled: 1-line block ×3, first 2 shown]
	s_cbranch_scc1 .LBB114_320
.LBB114_321:
	s_waitcnt lgkmcnt(0)
	v_cmp_eq_f64_e32 vcc, 0, v[120:121]
	s_and_saveexec_b64 s[0:1], vcc
	s_xor_b64 s[0:1], exec, s[0:1]
; %bb.322:
	v_cmp_ne_u32_e32 vcc, 0, v128
	v_cndmask_b32_e32 v128, 20, v128, vcc
; %bb.323:
	s_andn2_saveexec_b64 s[0:1], s[0:1]
; %bb.324:
	v_div_scale_f64 v[130:131], s[2:3], v[120:121], v[120:121], 1.0
	v_rcp_f64_e32 v[132:133], v[130:131]
	v_div_scale_f64 v[134:135], vcc, 1.0, v[120:121], 1.0
	v_fma_f64 v[136:137], -v[130:131], v[132:133], 1.0
	v_fmac_f64_e32 v[132:133], v[132:133], v[136:137]
	v_fma_f64 v[136:137], -v[130:131], v[132:133], 1.0
	v_fmac_f64_e32 v[132:133], v[132:133], v[136:137]
	v_mul_f64 v[136:137], v[134:135], v[132:133]
	v_fma_f64 v[130:131], -v[130:131], v[136:137], v[134:135]
	v_div_fmas_f64 v[130:131], v[130:131], v[132:133], v[136:137]
	v_div_fixup_f64 v[120:121], v[130:131], v[120:121], 1.0
; %bb.325:
	s_or_b64 exec, exec, s[0:1]
	v_cmp_ne_u32_e32 vcc, v125, v122
	s_and_saveexec_b64 s[0:1], vcc
	s_xor_b64 s[0:1], exec, s[0:1]
	s_cbranch_execz .LBB114_331
; %bb.326:
	v_cmp_eq_u32_e32 vcc, 19, v125
	s_and_saveexec_b64 s[2:3], vcc
	s_cbranch_execz .LBB114_330
; %bb.327:
	v_cmp_ne_u32_e32 vcc, 19, v122
	s_xor_b64 s[14:15], s[6:7], -1
	s_and_b64 s[16:17], s[14:15], vcc
	s_and_saveexec_b64 s[14:15], s[16:17]
	s_cbranch_execz .LBB114_329
; %bb.328:
	v_ashrrev_i32_e32 v123, 31, v122
	v_lshlrev_b64 v[130:131], 2, v[122:123]
	v_add_co_u32_e32 v130, vcc, v4, v130
	v_addc_co_u32_e32 v131, vcc, v5, v131, vcc
	flat_load_dword v123, v[130:131]
	flat_load_dword v125, v[4:5] offset:76
	s_waitcnt vmcnt(0) lgkmcnt(0)
	flat_store_dword v[4:5], v123 offset:76
	flat_store_dword v[130:131], v125
.LBB114_329:
	s_or_b64 exec, exec, s[14:15]
	v_mov_b32_e32 v123, v122
	v_mov_b32_e32 v125, v122
.LBB114_330:
	s_or_b64 exec, exec, s[2:3]
.LBB114_331:
	s_andn2_saveexec_b64 s[0:1], s[0:1]
	s_cbranch_execz .LBB114_333
; %bb.332:
	v_mov_b32_e32 v130, v76
	v_mov_b32_e32 v131, v77
	v_mov_b32_e32 v132, v74
	v_mov_b32_e32 v133, v75
	ds_write2_b64 v124, v[130:131], v[132:133] offset0:20 offset1:21
	v_mov_b32_e32 v130, v72
	v_mov_b32_e32 v131, v73
	v_mov_b32_e32 v132, v70
	v_mov_b32_e32 v133, v71
	ds_write2_b64 v124, v[130:131], v[132:133] offset0:22 offset1:23
	;; [unrolled: 5-line block ×18, first 2 shown]
	v_mov_b32_e32 v130, v0
	v_mov_b32_e32 v131, v1
	;; [unrolled: 1-line block ×3, first 2 shown]
	ds_write2_b64 v124, v[130:131], v[118:119] offset0:56 offset1:57
.LBB114_333:
	s_or_b64 exec, exec, s[0:1]
	v_cmp_lt_i32_e32 vcc, 19, v125
	s_waitcnt lgkmcnt(0)
	s_barrier
	s_and_saveexec_b64 s[0:1], vcc
	s_cbranch_execz .LBB114_335
; %bb.334:
	ds_read2_b64 v[130:133], v124 offset0:20 offset1:21
	ds_read2_b64 v[134:137], v124 offset0:22 offset1:23
	v_mul_f64 v[78:79], v[120:121], v[78:79]
	ds_read2_b64 v[138:141], v124 offset0:24 offset1:25
	s_waitcnt lgkmcnt(0)
	v_fma_f64 v[76:77], -v[78:79], v[130:131], v[76:77]
	v_fma_f64 v[74:75], -v[78:79], v[132:133], v[74:75]
	ds_read2_b64 v[130:133], v124 offset0:26 offset1:27
	v_fma_f64 v[72:73], -v[78:79], v[134:135], v[72:73]
	v_fma_f64 v[70:71], -v[78:79], v[136:137], v[70:71]
	;; [unrolled: 1-line block ×3, first 2 shown]
	ds_read2_b64 v[134:137], v124 offset0:28 offset1:29
	v_fma_f64 v[66:67], -v[78:79], v[140:141], v[66:67]
	ds_read2_b64 v[138:141], v124 offset0:30 offset1:31
	s_waitcnt lgkmcnt(0)
	v_fma_f64 v[64:65], -v[78:79], v[130:131], v[64:65]
	v_fma_f64 v[62:63], -v[78:79], v[132:133], v[62:63]
	ds_read2_b64 v[130:133], v124 offset0:32 offset1:33
	v_fma_f64 v[60:61], -v[78:79], v[134:135], v[60:61]
	v_fma_f64 v[58:59], -v[78:79], v[136:137], v[58:59]
	ds_read2_b64 v[134:137], v124 offset0:34 offset1:35
	v_fma_f64 v[56:57], -v[78:79], v[138:139], v[56:57]
	v_fma_f64 v[54:55], -v[78:79], v[140:141], v[54:55]
	s_waitcnt lgkmcnt(0)
	v_fma_f64 v[52:53], -v[78:79], v[130:131], v[52:53]
	ds_read2_b64 v[138:141], v124 offset0:36 offset1:37
	v_fma_f64 v[50:51], -v[78:79], v[132:133], v[50:51]
	ds_read2_b64 v[130:133], v124 offset0:38 offset1:39
	v_fma_f64 v[48:49], -v[78:79], v[134:135], v[48:49]
	v_fma_f64 v[46:47], -v[78:79], v[136:137], v[46:47]
	s_waitcnt lgkmcnt(0)
	v_fma_f64 v[44:45], -v[78:79], v[138:139], v[44:45]
	ds_read2_b64 v[134:137], v124 offset0:40 offset1:41
	v_fma_f64 v[42:43], -v[78:79], v[140:141], v[42:43]
	ds_read2_b64 v[138:141], v124 offset0:42 offset1:43
	v_fma_f64 v[40:41], -v[78:79], v[130:131], v[40:41]
	v_fma_f64 v[38:39], -v[78:79], v[132:133], v[38:39]
	ds_read2_b64 v[130:133], v124 offset0:44 offset1:45
	s_waitcnt lgkmcnt(0)
	v_fma_f64 v[36:37], -v[78:79], v[134:135], v[36:37]
	v_fma_f64 v[34:35], -v[78:79], v[136:137], v[34:35]
	ds_read2_b64 v[134:137], v124 offset0:46 offset1:47
	v_fma_f64 v[32:33], -v[78:79], v[138:139], v[32:33]
	v_fma_f64 v[30:31], -v[78:79], v[140:141], v[30:31]
	;; [unrolled: 1-line block ×3, first 2 shown]
	ds_read2_b64 v[138:141], v124 offset0:48 offset1:49
	v_fma_f64 v[26:27], -v[78:79], v[132:133], v[26:27]
	ds_read2_b64 v[130:133], v124 offset0:50 offset1:51
	s_waitcnt lgkmcnt(0)
	v_fma_f64 v[24:25], -v[78:79], v[134:135], v[24:25]
	v_fma_f64 v[22:23], -v[78:79], v[136:137], v[22:23]
	;; [unrolled: 1-line block ×4, first 2 shown]
	ds_read2_b64 v[134:137], v124 offset0:52 offset1:53
	ds_read2_b64 v[138:141], v124 offset0:54 offset1:55
	v_fma_f64 v[16:17], -v[78:79], v[130:131], v[16:17]
	v_fma_f64 v[14:15], -v[78:79], v[132:133], v[14:15]
	ds_read2_b64 v[130:133], v124 offset0:56 offset1:57
	s_waitcnt lgkmcnt(0)
	v_fma_f64 v[12:13], -v[78:79], v[134:135], v[12:13]
	v_fma_f64 v[10:11], -v[78:79], v[136:137], v[10:11]
	;; [unrolled: 1-line block ×6, first 2 shown]
.LBB114_335:
	s_or_b64 exec, exec, s[0:1]
	v_lshl_add_u32 v120, v125, 3, v124
	s_barrier
	ds_write_b64 v120, v[76:77]
	s_waitcnt lgkmcnt(0)
	s_barrier
	ds_read_b64 v[120:121], v124 offset:160
	s_cmp_lt_i32 s18, 22
	v_mov_b32_e32 v122, 20
	s_cbranch_scc1 .LBB114_338
; %bb.336:
	v_add_u32_e32 v129, 0xa8, v124
	s_mov_b32 s0, 21
	v_mov_b32_e32 v122, 20
.LBB114_337:                            ; =>This Inner Loop Header: Depth=1
	ds_read_b64 v[130:131], v129
	v_mov_b32_e32 v132, s0
	s_add_i32 s0, s0, 1
	v_add_u32_e32 v129, 8, v129
	s_cmp_lg_u32 s18, s0
	s_waitcnt lgkmcnt(0)
	v_cmp_lt_f64_e64 vcc, |v[120:121]|, |v[130:131]|
	v_cndmask_b32_e32 v121, v121, v131, vcc
	v_cndmask_b32_e32 v120, v120, v130, vcc
	;; [unrolled: 1-line block ×3, first 2 shown]
	s_cbranch_scc1 .LBB114_337
.LBB114_338:
	s_waitcnt lgkmcnt(0)
	v_cmp_eq_f64_e32 vcc, 0, v[120:121]
	s_and_saveexec_b64 s[0:1], vcc
	s_xor_b64 s[0:1], exec, s[0:1]
; %bb.339:
	v_cmp_ne_u32_e32 vcc, 0, v128
	v_cndmask_b32_e32 v128, 21, v128, vcc
; %bb.340:
	s_andn2_saveexec_b64 s[0:1], s[0:1]
; %bb.341:
	v_div_scale_f64 v[130:131], s[2:3], v[120:121], v[120:121], 1.0
	v_rcp_f64_e32 v[132:133], v[130:131]
	v_div_scale_f64 v[134:135], vcc, 1.0, v[120:121], 1.0
	v_fma_f64 v[136:137], -v[130:131], v[132:133], 1.0
	v_fmac_f64_e32 v[132:133], v[132:133], v[136:137]
	v_fma_f64 v[136:137], -v[130:131], v[132:133], 1.0
	v_fmac_f64_e32 v[132:133], v[132:133], v[136:137]
	v_mul_f64 v[136:137], v[134:135], v[132:133]
	v_fma_f64 v[130:131], -v[130:131], v[136:137], v[134:135]
	v_div_fmas_f64 v[130:131], v[130:131], v[132:133], v[136:137]
	v_div_fixup_f64 v[120:121], v[130:131], v[120:121], 1.0
; %bb.342:
	s_or_b64 exec, exec, s[0:1]
	v_cmp_ne_u32_e32 vcc, v125, v122
	s_and_saveexec_b64 s[0:1], vcc
	s_xor_b64 s[0:1], exec, s[0:1]
	s_cbranch_execz .LBB114_348
; %bb.343:
	v_cmp_eq_u32_e32 vcc, 20, v125
	s_and_saveexec_b64 s[2:3], vcc
	s_cbranch_execz .LBB114_347
; %bb.344:
	v_cmp_ne_u32_e32 vcc, 20, v122
	s_xor_b64 s[14:15], s[6:7], -1
	s_and_b64 s[16:17], s[14:15], vcc
	s_and_saveexec_b64 s[14:15], s[16:17]
	s_cbranch_execz .LBB114_346
; %bb.345:
	v_ashrrev_i32_e32 v123, 31, v122
	v_lshlrev_b64 v[130:131], 2, v[122:123]
	v_add_co_u32_e32 v130, vcc, v4, v130
	v_addc_co_u32_e32 v131, vcc, v5, v131, vcc
	flat_load_dword v123, v[130:131]
	flat_load_dword v125, v[4:5] offset:80
	s_waitcnt vmcnt(0) lgkmcnt(0)
	flat_store_dword v[4:5], v123 offset:80
	flat_store_dword v[130:131], v125
.LBB114_346:
	s_or_b64 exec, exec, s[14:15]
	v_mov_b32_e32 v123, v122
	v_mov_b32_e32 v125, v122
.LBB114_347:
	s_or_b64 exec, exec, s[2:3]
.LBB114_348:
	s_andn2_saveexec_b64 s[0:1], s[0:1]
	s_cbranch_execz .LBB114_350
; %bb.349:
	v_mov_b32_e32 v125, 20
	ds_write2_b64 v124, v[74:75], v[72:73] offset0:21 offset1:22
	ds_write2_b64 v124, v[70:71], v[68:69] offset0:23 offset1:24
	;; [unrolled: 1-line block ×18, first 2 shown]
	ds_write_b64 v124, v[118:119] offset:456
.LBB114_350:
	s_or_b64 exec, exec, s[0:1]
	v_cmp_lt_i32_e32 vcc, 20, v125
	s_waitcnt lgkmcnt(0)
	s_barrier
	s_and_saveexec_b64 s[0:1], vcc
	s_cbranch_execz .LBB114_352
; %bb.351:
	ds_read2_b64 v[130:133], v124 offset0:21 offset1:22
	ds_read2_b64 v[134:137], v124 offset0:23 offset1:24
	;; [unrolled: 1-line block ×3, first 2 shown]
	v_mul_f64 v[76:77], v[120:121], v[76:77]
	ds_read_b64 v[120:121], v124 offset:456
	s_waitcnt lgkmcnt(0)
	v_fma_f64 v[74:75], -v[76:77], v[130:131], v[74:75]
	v_fma_f64 v[72:73], -v[76:77], v[132:133], v[72:73]
	ds_read2_b64 v[130:133], v124 offset0:27 offset1:28
	v_fma_f64 v[70:71], -v[76:77], v[134:135], v[70:71]
	v_fma_f64 v[68:69], -v[76:77], v[136:137], v[68:69]
	;; [unrolled: 1-line block ×3, first 2 shown]
	ds_read2_b64 v[134:137], v124 offset0:29 offset1:30
	v_fma_f64 v[64:65], -v[76:77], v[140:141], v[64:65]
	ds_read2_b64 v[138:141], v124 offset0:31 offset1:32
	s_waitcnt lgkmcnt(0)
	v_fma_f64 v[62:63], -v[76:77], v[130:131], v[62:63]
	v_fma_f64 v[60:61], -v[76:77], v[132:133], v[60:61]
	;; [unrolled: 1-line block ×3, first 2 shown]
	ds_read2_b64 v[130:133], v124 offset0:33 offset1:34
	v_fma_f64 v[56:57], -v[76:77], v[136:137], v[56:57]
	ds_read2_b64 v[134:137], v124 offset0:35 offset1:36
	v_fma_f64 v[54:55], -v[76:77], v[138:139], v[54:55]
	v_fma_f64 v[52:53], -v[76:77], v[140:141], v[52:53]
	ds_read2_b64 v[138:141], v124 offset0:37 offset1:38
	s_waitcnt lgkmcnt(0)
	v_fma_f64 v[50:51], -v[76:77], v[130:131], v[50:51]
	v_fma_f64 v[48:49], -v[76:77], v[132:133], v[48:49]
	ds_read2_b64 v[130:133], v124 offset0:39 offset1:40
	v_fma_f64 v[46:47], -v[76:77], v[134:135], v[46:47]
	v_fma_f64 v[44:45], -v[76:77], v[136:137], v[44:45]
	;; [unrolled: 1-line block ×3, first 2 shown]
	ds_read2_b64 v[134:137], v124 offset0:41 offset1:42
	v_fma_f64 v[40:41], -v[76:77], v[140:141], v[40:41]
	ds_read2_b64 v[138:141], v124 offset0:43 offset1:44
	s_waitcnt lgkmcnt(0)
	v_fma_f64 v[38:39], -v[76:77], v[130:131], v[38:39]
	v_fma_f64 v[36:37], -v[76:77], v[132:133], v[36:37]
	;; [unrolled: 1-line block ×3, first 2 shown]
	ds_read2_b64 v[130:133], v124 offset0:45 offset1:46
	v_fma_f64 v[32:33], -v[76:77], v[136:137], v[32:33]
	ds_read2_b64 v[134:137], v124 offset0:47 offset1:48
	v_fma_f64 v[30:31], -v[76:77], v[138:139], v[30:31]
	v_fma_f64 v[28:29], -v[76:77], v[140:141], v[28:29]
	ds_read2_b64 v[138:141], v124 offset0:49 offset1:50
	s_waitcnt lgkmcnt(0)
	v_fma_f64 v[26:27], -v[76:77], v[130:131], v[26:27]
	v_fma_f64 v[24:25], -v[76:77], v[132:133], v[24:25]
	ds_read2_b64 v[130:133], v124 offset0:51 offset1:52
	v_fma_f64 v[22:23], -v[76:77], v[134:135], v[22:23]
	v_fma_f64 v[20:21], -v[76:77], v[136:137], v[20:21]
	;; [unrolled: 1-line block ×4, first 2 shown]
	ds_read2_b64 v[134:137], v124 offset0:53 offset1:54
	ds_read2_b64 v[138:141], v124 offset0:55 offset1:56
	s_waitcnt lgkmcnt(0)
	v_fma_f64 v[14:15], -v[76:77], v[130:131], v[14:15]
	v_fma_f64 v[12:13], -v[76:77], v[132:133], v[12:13]
	;; [unrolled: 1-line block ×7, first 2 shown]
.LBB114_352:
	s_or_b64 exec, exec, s[0:1]
	v_lshl_add_u32 v120, v125, 3, v124
	s_barrier
	ds_write_b64 v120, v[74:75]
	s_waitcnt lgkmcnt(0)
	s_barrier
	ds_read_b64 v[120:121], v124 offset:168
	s_cmp_lt_i32 s18, 23
	v_mov_b32_e32 v122, 21
	s_cbranch_scc1 .LBB114_355
; %bb.353:
	v_add_u32_e32 v129, 0xb0, v124
	s_mov_b32 s0, 22
	v_mov_b32_e32 v122, 21
.LBB114_354:                            ; =>This Inner Loop Header: Depth=1
	ds_read_b64 v[130:131], v129
	v_mov_b32_e32 v132, s0
	s_add_i32 s0, s0, 1
	v_add_u32_e32 v129, 8, v129
	s_cmp_lg_u32 s18, s0
	s_waitcnt lgkmcnt(0)
	v_cmp_lt_f64_e64 vcc, |v[120:121]|, |v[130:131]|
	v_cndmask_b32_e32 v121, v121, v131, vcc
	v_cndmask_b32_e32 v120, v120, v130, vcc
	;; [unrolled: 1-line block ×3, first 2 shown]
	s_cbranch_scc1 .LBB114_354
.LBB114_355:
	s_waitcnt lgkmcnt(0)
	v_cmp_eq_f64_e32 vcc, 0, v[120:121]
	s_and_saveexec_b64 s[0:1], vcc
	s_xor_b64 s[0:1], exec, s[0:1]
; %bb.356:
	v_cmp_ne_u32_e32 vcc, 0, v128
	v_cndmask_b32_e32 v128, 22, v128, vcc
; %bb.357:
	s_andn2_saveexec_b64 s[0:1], s[0:1]
; %bb.358:
	v_div_scale_f64 v[130:131], s[2:3], v[120:121], v[120:121], 1.0
	v_rcp_f64_e32 v[132:133], v[130:131]
	v_div_scale_f64 v[134:135], vcc, 1.0, v[120:121], 1.0
	v_fma_f64 v[136:137], -v[130:131], v[132:133], 1.0
	v_fmac_f64_e32 v[132:133], v[132:133], v[136:137]
	v_fma_f64 v[136:137], -v[130:131], v[132:133], 1.0
	v_fmac_f64_e32 v[132:133], v[132:133], v[136:137]
	v_mul_f64 v[136:137], v[134:135], v[132:133]
	v_fma_f64 v[130:131], -v[130:131], v[136:137], v[134:135]
	v_div_fmas_f64 v[130:131], v[130:131], v[132:133], v[136:137]
	v_div_fixup_f64 v[120:121], v[130:131], v[120:121], 1.0
; %bb.359:
	s_or_b64 exec, exec, s[0:1]
	v_cmp_ne_u32_e32 vcc, v125, v122
	s_and_saveexec_b64 s[0:1], vcc
	s_xor_b64 s[0:1], exec, s[0:1]
	s_cbranch_execz .LBB114_365
; %bb.360:
	v_cmp_eq_u32_e32 vcc, 21, v125
	s_and_saveexec_b64 s[2:3], vcc
	s_cbranch_execz .LBB114_364
; %bb.361:
	v_cmp_ne_u32_e32 vcc, 21, v122
	s_xor_b64 s[14:15], s[6:7], -1
	s_and_b64 s[16:17], s[14:15], vcc
	s_and_saveexec_b64 s[14:15], s[16:17]
	s_cbranch_execz .LBB114_363
; %bb.362:
	v_ashrrev_i32_e32 v123, 31, v122
	v_lshlrev_b64 v[130:131], 2, v[122:123]
	v_add_co_u32_e32 v130, vcc, v4, v130
	v_addc_co_u32_e32 v131, vcc, v5, v131, vcc
	flat_load_dword v123, v[130:131]
	flat_load_dword v125, v[4:5] offset:84
	s_waitcnt vmcnt(0) lgkmcnt(0)
	flat_store_dword v[4:5], v123 offset:84
	flat_store_dword v[130:131], v125
.LBB114_363:
	s_or_b64 exec, exec, s[14:15]
	v_mov_b32_e32 v123, v122
	v_mov_b32_e32 v125, v122
.LBB114_364:
	s_or_b64 exec, exec, s[2:3]
.LBB114_365:
	s_andn2_saveexec_b64 s[0:1], s[0:1]
	s_cbranch_execz .LBB114_367
; %bb.366:
	v_mov_b32_e32 v130, v72
	v_mov_b32_e32 v131, v73
	v_mov_b32_e32 v132, v70
	v_mov_b32_e32 v133, v71
	ds_write2_b64 v124, v[130:131], v[132:133] offset0:22 offset1:23
	v_mov_b32_e32 v130, v68
	v_mov_b32_e32 v131, v69
	v_mov_b32_e32 v132, v66
	v_mov_b32_e32 v133, v67
	ds_write2_b64 v124, v[130:131], v[132:133] offset0:24 offset1:25
	;; [unrolled: 5-line block ×17, first 2 shown]
	v_mov_b32_e32 v130, v0
	v_mov_b32_e32 v131, v1
	;; [unrolled: 1-line block ×3, first 2 shown]
	ds_write2_b64 v124, v[130:131], v[118:119] offset0:56 offset1:57
.LBB114_367:
	s_or_b64 exec, exec, s[0:1]
	v_cmp_lt_i32_e32 vcc, 21, v125
	s_waitcnt lgkmcnt(0)
	s_barrier
	s_and_saveexec_b64 s[0:1], vcc
	s_cbranch_execz .LBB114_369
; %bb.368:
	ds_read2_b64 v[130:133], v124 offset0:22 offset1:23
	ds_read2_b64 v[134:137], v124 offset0:24 offset1:25
	;; [unrolled: 1-line block ×3, first 2 shown]
	v_mul_f64 v[74:75], v[120:121], v[74:75]
	s_waitcnt lgkmcnt(0)
	v_fma_f64 v[72:73], -v[74:75], v[130:131], v[72:73]
	v_fma_f64 v[70:71], -v[74:75], v[132:133], v[70:71]
	ds_read2_b64 v[130:133], v124 offset0:28 offset1:29
	v_fma_f64 v[68:69], -v[74:75], v[134:135], v[68:69]
	v_fma_f64 v[66:67], -v[74:75], v[136:137], v[66:67]
	;; [unrolled: 1-line block ×3, first 2 shown]
	ds_read2_b64 v[134:137], v124 offset0:30 offset1:31
	v_fma_f64 v[62:63], -v[74:75], v[140:141], v[62:63]
	ds_read2_b64 v[138:141], v124 offset0:32 offset1:33
	s_waitcnt lgkmcnt(0)
	v_fma_f64 v[60:61], -v[74:75], v[130:131], v[60:61]
	v_fma_f64 v[58:59], -v[74:75], v[132:133], v[58:59]
	;; [unrolled: 1-line block ×3, first 2 shown]
	ds_read2_b64 v[130:133], v124 offset0:34 offset1:35
	v_fma_f64 v[54:55], -v[74:75], v[136:137], v[54:55]
	ds_read2_b64 v[134:137], v124 offset0:36 offset1:37
	v_fma_f64 v[52:53], -v[74:75], v[138:139], v[52:53]
	v_fma_f64 v[50:51], -v[74:75], v[140:141], v[50:51]
	ds_read2_b64 v[138:141], v124 offset0:38 offset1:39
	s_waitcnt lgkmcnt(0)
	v_fma_f64 v[48:49], -v[74:75], v[130:131], v[48:49]
	v_fma_f64 v[46:47], -v[74:75], v[132:133], v[46:47]
	ds_read2_b64 v[130:133], v124 offset0:40 offset1:41
	v_fma_f64 v[44:45], -v[74:75], v[134:135], v[44:45]
	v_fma_f64 v[42:43], -v[74:75], v[136:137], v[42:43]
	;; [unrolled: 1-line block ×3, first 2 shown]
	ds_read2_b64 v[134:137], v124 offset0:42 offset1:43
	v_fma_f64 v[38:39], -v[74:75], v[140:141], v[38:39]
	ds_read2_b64 v[138:141], v124 offset0:44 offset1:45
	s_waitcnt lgkmcnt(0)
	v_fma_f64 v[36:37], -v[74:75], v[130:131], v[36:37]
	v_fma_f64 v[34:35], -v[74:75], v[132:133], v[34:35]
	;; [unrolled: 1-line block ×3, first 2 shown]
	ds_read2_b64 v[130:133], v124 offset0:46 offset1:47
	v_fma_f64 v[30:31], -v[74:75], v[136:137], v[30:31]
	ds_read2_b64 v[134:137], v124 offset0:48 offset1:49
	v_fma_f64 v[28:29], -v[74:75], v[138:139], v[28:29]
	v_fma_f64 v[26:27], -v[74:75], v[140:141], v[26:27]
	ds_read2_b64 v[138:141], v124 offset0:50 offset1:51
	s_waitcnt lgkmcnt(0)
	v_fma_f64 v[24:25], -v[74:75], v[130:131], v[24:25]
	v_fma_f64 v[22:23], -v[74:75], v[132:133], v[22:23]
	ds_read2_b64 v[130:133], v124 offset0:52 offset1:53
	v_fma_f64 v[20:21], -v[74:75], v[134:135], v[20:21]
	v_fma_f64 v[18:19], -v[74:75], v[136:137], v[18:19]
	;; [unrolled: 1-line block ×3, first 2 shown]
	ds_read2_b64 v[134:137], v124 offset0:54 offset1:55
	v_fma_f64 v[14:15], -v[74:75], v[140:141], v[14:15]
	ds_read2_b64 v[138:141], v124 offset0:56 offset1:57
	s_waitcnt lgkmcnt(0)
	v_fma_f64 v[12:13], -v[74:75], v[130:131], v[12:13]
	v_fma_f64 v[10:11], -v[74:75], v[132:133], v[10:11]
	;; [unrolled: 1-line block ×6, first 2 shown]
.LBB114_369:
	s_or_b64 exec, exec, s[0:1]
	v_lshl_add_u32 v120, v125, 3, v124
	s_barrier
	ds_write_b64 v120, v[72:73]
	s_waitcnt lgkmcnt(0)
	s_barrier
	ds_read_b64 v[120:121], v124 offset:176
	s_cmp_lt_i32 s18, 24
	v_mov_b32_e32 v122, 22
	s_cbranch_scc1 .LBB114_372
; %bb.370:
	v_add_u32_e32 v129, 0xb8, v124
	s_mov_b32 s0, 23
	v_mov_b32_e32 v122, 22
.LBB114_371:                            ; =>This Inner Loop Header: Depth=1
	ds_read_b64 v[130:131], v129
	v_mov_b32_e32 v132, s0
	s_add_i32 s0, s0, 1
	v_add_u32_e32 v129, 8, v129
	s_cmp_lg_u32 s18, s0
	s_waitcnt lgkmcnt(0)
	v_cmp_lt_f64_e64 vcc, |v[120:121]|, |v[130:131]|
	v_cndmask_b32_e32 v121, v121, v131, vcc
	v_cndmask_b32_e32 v120, v120, v130, vcc
	;; [unrolled: 1-line block ×3, first 2 shown]
	s_cbranch_scc1 .LBB114_371
.LBB114_372:
	s_waitcnt lgkmcnt(0)
	v_cmp_eq_f64_e32 vcc, 0, v[120:121]
	s_and_saveexec_b64 s[0:1], vcc
	s_xor_b64 s[0:1], exec, s[0:1]
; %bb.373:
	v_cmp_ne_u32_e32 vcc, 0, v128
	v_cndmask_b32_e32 v128, 23, v128, vcc
; %bb.374:
	s_andn2_saveexec_b64 s[0:1], s[0:1]
; %bb.375:
	v_div_scale_f64 v[130:131], s[2:3], v[120:121], v[120:121], 1.0
	v_rcp_f64_e32 v[132:133], v[130:131]
	v_div_scale_f64 v[134:135], vcc, 1.0, v[120:121], 1.0
	v_fma_f64 v[136:137], -v[130:131], v[132:133], 1.0
	v_fmac_f64_e32 v[132:133], v[132:133], v[136:137]
	v_fma_f64 v[136:137], -v[130:131], v[132:133], 1.0
	v_fmac_f64_e32 v[132:133], v[132:133], v[136:137]
	v_mul_f64 v[136:137], v[134:135], v[132:133]
	v_fma_f64 v[130:131], -v[130:131], v[136:137], v[134:135]
	v_div_fmas_f64 v[130:131], v[130:131], v[132:133], v[136:137]
	v_div_fixup_f64 v[120:121], v[130:131], v[120:121], 1.0
; %bb.376:
	s_or_b64 exec, exec, s[0:1]
	v_cmp_ne_u32_e32 vcc, v125, v122
	s_and_saveexec_b64 s[0:1], vcc
	s_xor_b64 s[0:1], exec, s[0:1]
	s_cbranch_execz .LBB114_382
; %bb.377:
	v_cmp_eq_u32_e32 vcc, 22, v125
	s_and_saveexec_b64 s[2:3], vcc
	s_cbranch_execz .LBB114_381
; %bb.378:
	v_cmp_ne_u32_e32 vcc, 22, v122
	s_xor_b64 s[14:15], s[6:7], -1
	s_and_b64 s[16:17], s[14:15], vcc
	s_and_saveexec_b64 s[14:15], s[16:17]
	s_cbranch_execz .LBB114_380
; %bb.379:
	v_ashrrev_i32_e32 v123, 31, v122
	v_lshlrev_b64 v[130:131], 2, v[122:123]
	v_add_co_u32_e32 v130, vcc, v4, v130
	v_addc_co_u32_e32 v131, vcc, v5, v131, vcc
	flat_load_dword v123, v[130:131]
	flat_load_dword v125, v[4:5] offset:88
	s_waitcnt vmcnt(0) lgkmcnt(0)
	flat_store_dword v[4:5], v123 offset:88
	flat_store_dword v[130:131], v125
.LBB114_380:
	s_or_b64 exec, exec, s[14:15]
	v_mov_b32_e32 v123, v122
	v_mov_b32_e32 v125, v122
.LBB114_381:
	s_or_b64 exec, exec, s[2:3]
.LBB114_382:
	s_andn2_saveexec_b64 s[0:1], s[0:1]
	s_cbranch_execz .LBB114_384
; %bb.383:
	v_mov_b32_e32 v125, 22
	ds_write2_b64 v124, v[70:71], v[68:69] offset0:23 offset1:24
	ds_write2_b64 v124, v[66:67], v[64:65] offset0:25 offset1:26
	;; [unrolled: 1-line block ×17, first 2 shown]
	ds_write_b64 v124, v[118:119] offset:456
.LBB114_384:
	s_or_b64 exec, exec, s[0:1]
	v_cmp_lt_i32_e32 vcc, 22, v125
	s_waitcnt lgkmcnt(0)
	s_barrier
	s_and_saveexec_b64 s[0:1], vcc
	s_cbranch_execz .LBB114_386
; %bb.385:
	ds_read2_b64 v[130:133], v124 offset0:23 offset1:24
	ds_read2_b64 v[134:137], v124 offset0:25 offset1:26
	v_mul_f64 v[72:73], v[120:121], v[72:73]
	ds_read2_b64 v[138:141], v124 offset0:27 offset1:28
	ds_read_b64 v[120:121], v124 offset:456
	s_waitcnt lgkmcnt(0)
	v_fma_f64 v[70:71], -v[72:73], v[130:131], v[70:71]
	v_fma_f64 v[68:69], -v[72:73], v[132:133], v[68:69]
	ds_read2_b64 v[130:133], v124 offset0:29 offset1:30
	v_fma_f64 v[66:67], -v[72:73], v[134:135], v[66:67]
	v_fma_f64 v[64:65], -v[72:73], v[136:137], v[64:65]
	ds_read2_b64 v[134:137], v124 offset0:31 offset1:32
	;; [unrolled: 3-line block ×3, first 2 shown]
	s_waitcnt lgkmcnt(0)
	v_fma_f64 v[58:59], -v[72:73], v[130:131], v[58:59]
	v_fma_f64 v[56:57], -v[72:73], v[132:133], v[56:57]
	;; [unrolled: 1-line block ×3, first 2 shown]
	ds_read2_b64 v[130:133], v124 offset0:35 offset1:36
	v_fma_f64 v[52:53], -v[72:73], v[136:137], v[52:53]
	ds_read2_b64 v[134:137], v124 offset0:37 offset1:38
	v_fma_f64 v[50:51], -v[72:73], v[138:139], v[50:51]
	v_fma_f64 v[48:49], -v[72:73], v[140:141], v[48:49]
	s_waitcnt lgkmcnt(0)
	v_fma_f64 v[46:47], -v[72:73], v[130:131], v[46:47]
	ds_read2_b64 v[138:141], v124 offset0:39 offset1:40
	v_fma_f64 v[44:45], -v[72:73], v[132:133], v[44:45]
	ds_read2_b64 v[130:133], v124 offset0:41 offset1:42
	v_fma_f64 v[42:43], -v[72:73], v[134:135], v[42:43]
	v_fma_f64 v[40:41], -v[72:73], v[136:137], v[40:41]
	ds_read2_b64 v[134:137], v124 offset0:43 offset1:44
	s_waitcnt lgkmcnt(0)
	v_fma_f64 v[38:39], -v[72:73], v[138:139], v[38:39]
	v_fma_f64 v[36:37], -v[72:73], v[140:141], v[36:37]
	ds_read2_b64 v[138:141], v124 offset0:45 offset1:46
	v_fma_f64 v[34:35], -v[72:73], v[130:131], v[34:35]
	v_fma_f64 v[32:33], -v[72:73], v[132:133], v[32:33]
	;; [unrolled: 1-line block ×3, first 2 shown]
	ds_read2_b64 v[130:133], v124 offset0:47 offset1:48
	v_fma_f64 v[28:29], -v[72:73], v[136:137], v[28:29]
	ds_read2_b64 v[134:137], v124 offset0:49 offset1:50
	s_waitcnt lgkmcnt(0)
	v_fma_f64 v[26:27], -v[72:73], v[138:139], v[26:27]
	v_fma_f64 v[24:25], -v[72:73], v[140:141], v[24:25]
	v_fma_f64 v[22:23], -v[72:73], v[130:131], v[22:23]
	ds_read2_b64 v[138:141], v124 offset0:51 offset1:52
	v_fma_f64 v[20:21], -v[72:73], v[132:133], v[20:21]
	ds_read2_b64 v[130:133], v124 offset0:53 offset1:54
	v_fma_f64 v[18:19], -v[72:73], v[134:135], v[18:19]
	v_fma_f64 v[16:17], -v[72:73], v[136:137], v[16:17]
	ds_read2_b64 v[134:137], v124 offset0:55 offset1:56
	s_waitcnt lgkmcnt(0)
	v_fma_f64 v[14:15], -v[72:73], v[138:139], v[14:15]
	v_fma_f64 v[12:13], -v[72:73], v[140:141], v[12:13]
	;; [unrolled: 1-line block ×7, first 2 shown]
.LBB114_386:
	s_or_b64 exec, exec, s[0:1]
	v_lshl_add_u32 v120, v125, 3, v124
	s_barrier
	ds_write_b64 v120, v[70:71]
	s_waitcnt lgkmcnt(0)
	s_barrier
	ds_read_b64 v[120:121], v124 offset:184
	s_cmp_lt_i32 s18, 25
	v_mov_b32_e32 v122, 23
	s_cbranch_scc1 .LBB114_389
; %bb.387:
	v_add_u32_e32 v129, 0xc0, v124
	s_mov_b32 s0, 24
	v_mov_b32_e32 v122, 23
.LBB114_388:                            ; =>This Inner Loop Header: Depth=1
	ds_read_b64 v[130:131], v129
	v_mov_b32_e32 v132, s0
	s_add_i32 s0, s0, 1
	v_add_u32_e32 v129, 8, v129
	s_cmp_lg_u32 s18, s0
	s_waitcnt lgkmcnt(0)
	v_cmp_lt_f64_e64 vcc, |v[120:121]|, |v[130:131]|
	v_cndmask_b32_e32 v121, v121, v131, vcc
	v_cndmask_b32_e32 v120, v120, v130, vcc
	;; [unrolled: 1-line block ×3, first 2 shown]
	s_cbranch_scc1 .LBB114_388
.LBB114_389:
	s_waitcnt lgkmcnt(0)
	v_cmp_eq_f64_e32 vcc, 0, v[120:121]
	s_and_saveexec_b64 s[0:1], vcc
	s_xor_b64 s[0:1], exec, s[0:1]
; %bb.390:
	v_cmp_ne_u32_e32 vcc, 0, v128
	v_cndmask_b32_e32 v128, 24, v128, vcc
; %bb.391:
	s_andn2_saveexec_b64 s[0:1], s[0:1]
; %bb.392:
	v_div_scale_f64 v[130:131], s[2:3], v[120:121], v[120:121], 1.0
	v_rcp_f64_e32 v[132:133], v[130:131]
	v_div_scale_f64 v[134:135], vcc, 1.0, v[120:121], 1.0
	v_fma_f64 v[136:137], -v[130:131], v[132:133], 1.0
	v_fmac_f64_e32 v[132:133], v[132:133], v[136:137]
	v_fma_f64 v[136:137], -v[130:131], v[132:133], 1.0
	v_fmac_f64_e32 v[132:133], v[132:133], v[136:137]
	v_mul_f64 v[136:137], v[134:135], v[132:133]
	v_fma_f64 v[130:131], -v[130:131], v[136:137], v[134:135]
	v_div_fmas_f64 v[130:131], v[130:131], v[132:133], v[136:137]
	v_div_fixup_f64 v[120:121], v[130:131], v[120:121], 1.0
; %bb.393:
	s_or_b64 exec, exec, s[0:1]
	v_cmp_ne_u32_e32 vcc, v125, v122
	s_and_saveexec_b64 s[0:1], vcc
	s_xor_b64 s[0:1], exec, s[0:1]
	s_cbranch_execz .LBB114_399
; %bb.394:
	v_cmp_eq_u32_e32 vcc, 23, v125
	s_and_saveexec_b64 s[2:3], vcc
	s_cbranch_execz .LBB114_398
; %bb.395:
	v_cmp_ne_u32_e32 vcc, 23, v122
	s_xor_b64 s[14:15], s[6:7], -1
	s_and_b64 s[16:17], s[14:15], vcc
	s_and_saveexec_b64 s[14:15], s[16:17]
	s_cbranch_execz .LBB114_397
; %bb.396:
	v_ashrrev_i32_e32 v123, 31, v122
	v_lshlrev_b64 v[130:131], 2, v[122:123]
	v_add_co_u32_e32 v130, vcc, v4, v130
	v_addc_co_u32_e32 v131, vcc, v5, v131, vcc
	flat_load_dword v123, v[130:131]
	flat_load_dword v125, v[4:5] offset:92
	s_waitcnt vmcnt(0) lgkmcnt(0)
	flat_store_dword v[4:5], v123 offset:92
	flat_store_dword v[130:131], v125
.LBB114_397:
	s_or_b64 exec, exec, s[14:15]
	v_mov_b32_e32 v123, v122
	v_mov_b32_e32 v125, v122
.LBB114_398:
	s_or_b64 exec, exec, s[2:3]
.LBB114_399:
	s_andn2_saveexec_b64 s[0:1], s[0:1]
	s_cbranch_execz .LBB114_401
; %bb.400:
	v_mov_b32_e32 v130, v68
	v_mov_b32_e32 v131, v69
	v_mov_b32_e32 v132, v66
	v_mov_b32_e32 v133, v67
	ds_write2_b64 v124, v[130:131], v[132:133] offset0:24 offset1:25
	v_mov_b32_e32 v130, v64
	v_mov_b32_e32 v131, v65
	v_mov_b32_e32 v132, v62
	v_mov_b32_e32 v133, v63
	ds_write2_b64 v124, v[130:131], v[132:133] offset0:26 offset1:27
	;; [unrolled: 5-line block ×16, first 2 shown]
	v_mov_b32_e32 v130, v0
	v_mov_b32_e32 v131, v1
	;; [unrolled: 1-line block ×3, first 2 shown]
	ds_write2_b64 v124, v[130:131], v[118:119] offset0:56 offset1:57
.LBB114_401:
	s_or_b64 exec, exec, s[0:1]
	v_cmp_lt_i32_e32 vcc, 23, v125
	s_waitcnt lgkmcnt(0)
	s_barrier
	s_and_saveexec_b64 s[0:1], vcc
	s_cbranch_execz .LBB114_403
; %bb.402:
	ds_read2_b64 v[130:133], v124 offset0:24 offset1:25
	ds_read2_b64 v[134:137], v124 offset0:26 offset1:27
	v_mul_f64 v[70:71], v[120:121], v[70:71]
	ds_read2_b64 v[138:141], v124 offset0:28 offset1:29
	s_waitcnt lgkmcnt(0)
	v_fma_f64 v[68:69], -v[70:71], v[130:131], v[68:69]
	v_fma_f64 v[66:67], -v[70:71], v[132:133], v[66:67]
	ds_read2_b64 v[130:133], v124 offset0:30 offset1:31
	v_fma_f64 v[64:65], -v[70:71], v[134:135], v[64:65]
	v_fma_f64 v[62:63], -v[70:71], v[136:137], v[62:63]
	ds_read2_b64 v[134:137], v124 offset0:32 offset1:33
	;; [unrolled: 3-line block ×3, first 2 shown]
	s_waitcnt lgkmcnt(0)
	v_fma_f64 v[56:57], -v[70:71], v[130:131], v[56:57]
	v_fma_f64 v[54:55], -v[70:71], v[132:133], v[54:55]
	;; [unrolled: 1-line block ×3, first 2 shown]
	ds_read2_b64 v[130:133], v124 offset0:36 offset1:37
	v_fma_f64 v[50:51], -v[70:71], v[136:137], v[50:51]
	ds_read2_b64 v[134:137], v124 offset0:38 offset1:39
	v_fma_f64 v[48:49], -v[70:71], v[138:139], v[48:49]
	v_fma_f64 v[46:47], -v[70:71], v[140:141], v[46:47]
	s_waitcnt lgkmcnt(0)
	v_fma_f64 v[44:45], -v[70:71], v[130:131], v[44:45]
	ds_read2_b64 v[138:141], v124 offset0:40 offset1:41
	v_fma_f64 v[42:43], -v[70:71], v[132:133], v[42:43]
	ds_read2_b64 v[130:133], v124 offset0:42 offset1:43
	v_fma_f64 v[40:41], -v[70:71], v[134:135], v[40:41]
	v_fma_f64 v[38:39], -v[70:71], v[136:137], v[38:39]
	ds_read2_b64 v[134:137], v124 offset0:44 offset1:45
	s_waitcnt lgkmcnt(0)
	v_fma_f64 v[36:37], -v[70:71], v[138:139], v[36:37]
	v_fma_f64 v[34:35], -v[70:71], v[140:141], v[34:35]
	ds_read2_b64 v[138:141], v124 offset0:46 offset1:47
	v_fma_f64 v[32:33], -v[70:71], v[130:131], v[32:33]
	v_fma_f64 v[30:31], -v[70:71], v[132:133], v[30:31]
	;; [unrolled: 1-line block ×3, first 2 shown]
	ds_read2_b64 v[130:133], v124 offset0:48 offset1:49
	v_fma_f64 v[26:27], -v[70:71], v[136:137], v[26:27]
	ds_read2_b64 v[134:137], v124 offset0:50 offset1:51
	s_waitcnt lgkmcnt(0)
	v_fma_f64 v[24:25], -v[70:71], v[138:139], v[24:25]
	v_fma_f64 v[22:23], -v[70:71], v[140:141], v[22:23]
	;; [unrolled: 1-line block ×4, first 2 shown]
	ds_read2_b64 v[130:133], v124 offset0:52 offset1:53
	ds_read2_b64 v[138:141], v124 offset0:54 offset1:55
	v_fma_f64 v[16:17], -v[70:71], v[134:135], v[16:17]
	v_fma_f64 v[14:15], -v[70:71], v[136:137], v[14:15]
	ds_read2_b64 v[134:137], v124 offset0:56 offset1:57
	s_waitcnt lgkmcnt(0)
	v_fma_f64 v[12:13], -v[70:71], v[130:131], v[12:13]
	v_fma_f64 v[10:11], -v[70:71], v[132:133], v[10:11]
	;; [unrolled: 1-line block ×6, first 2 shown]
.LBB114_403:
	s_or_b64 exec, exec, s[0:1]
	v_lshl_add_u32 v120, v125, 3, v124
	s_barrier
	ds_write_b64 v120, v[68:69]
	s_waitcnt lgkmcnt(0)
	s_barrier
	ds_read_b64 v[120:121], v124 offset:192
	s_cmp_lt_i32 s18, 26
	v_mov_b32_e32 v122, 24
	s_cbranch_scc1 .LBB114_406
; %bb.404:
	v_add_u32_e32 v129, 0xc8, v124
	s_mov_b32 s0, 25
	v_mov_b32_e32 v122, 24
.LBB114_405:                            ; =>This Inner Loop Header: Depth=1
	ds_read_b64 v[130:131], v129
	v_mov_b32_e32 v132, s0
	s_add_i32 s0, s0, 1
	v_add_u32_e32 v129, 8, v129
	s_cmp_lg_u32 s18, s0
	s_waitcnt lgkmcnt(0)
	v_cmp_lt_f64_e64 vcc, |v[120:121]|, |v[130:131]|
	v_cndmask_b32_e32 v121, v121, v131, vcc
	v_cndmask_b32_e32 v120, v120, v130, vcc
	;; [unrolled: 1-line block ×3, first 2 shown]
	s_cbranch_scc1 .LBB114_405
.LBB114_406:
	s_waitcnt lgkmcnt(0)
	v_cmp_eq_f64_e32 vcc, 0, v[120:121]
	s_and_saveexec_b64 s[0:1], vcc
	s_xor_b64 s[0:1], exec, s[0:1]
; %bb.407:
	v_cmp_ne_u32_e32 vcc, 0, v128
	v_cndmask_b32_e32 v128, 25, v128, vcc
; %bb.408:
	s_andn2_saveexec_b64 s[0:1], s[0:1]
; %bb.409:
	v_div_scale_f64 v[130:131], s[2:3], v[120:121], v[120:121], 1.0
	v_rcp_f64_e32 v[132:133], v[130:131]
	v_div_scale_f64 v[134:135], vcc, 1.0, v[120:121], 1.0
	v_fma_f64 v[136:137], -v[130:131], v[132:133], 1.0
	v_fmac_f64_e32 v[132:133], v[132:133], v[136:137]
	v_fma_f64 v[136:137], -v[130:131], v[132:133], 1.0
	v_fmac_f64_e32 v[132:133], v[132:133], v[136:137]
	v_mul_f64 v[136:137], v[134:135], v[132:133]
	v_fma_f64 v[130:131], -v[130:131], v[136:137], v[134:135]
	v_div_fmas_f64 v[130:131], v[130:131], v[132:133], v[136:137]
	v_div_fixup_f64 v[120:121], v[130:131], v[120:121], 1.0
; %bb.410:
	s_or_b64 exec, exec, s[0:1]
	v_cmp_ne_u32_e32 vcc, v125, v122
	s_and_saveexec_b64 s[0:1], vcc
	s_xor_b64 s[0:1], exec, s[0:1]
	s_cbranch_execz .LBB114_416
; %bb.411:
	v_cmp_eq_u32_e32 vcc, 24, v125
	s_and_saveexec_b64 s[2:3], vcc
	s_cbranch_execz .LBB114_415
; %bb.412:
	v_cmp_ne_u32_e32 vcc, 24, v122
	s_xor_b64 s[14:15], s[6:7], -1
	s_and_b64 s[16:17], s[14:15], vcc
	s_and_saveexec_b64 s[14:15], s[16:17]
	s_cbranch_execz .LBB114_414
; %bb.413:
	v_ashrrev_i32_e32 v123, 31, v122
	v_lshlrev_b64 v[130:131], 2, v[122:123]
	v_add_co_u32_e32 v130, vcc, v4, v130
	v_addc_co_u32_e32 v131, vcc, v5, v131, vcc
	flat_load_dword v123, v[130:131]
	flat_load_dword v125, v[4:5] offset:96
	s_waitcnt vmcnt(0) lgkmcnt(0)
	flat_store_dword v[4:5], v123 offset:96
	flat_store_dword v[130:131], v125
.LBB114_414:
	s_or_b64 exec, exec, s[14:15]
	v_mov_b32_e32 v123, v122
	v_mov_b32_e32 v125, v122
.LBB114_415:
	s_or_b64 exec, exec, s[2:3]
.LBB114_416:
	s_andn2_saveexec_b64 s[0:1], s[0:1]
	s_cbranch_execz .LBB114_418
; %bb.417:
	v_mov_b32_e32 v125, 24
	ds_write2_b64 v124, v[66:67], v[64:65] offset0:25 offset1:26
	ds_write2_b64 v124, v[62:63], v[60:61] offset0:27 offset1:28
	;; [unrolled: 1-line block ×16, first 2 shown]
	ds_write_b64 v124, v[118:119] offset:456
.LBB114_418:
	s_or_b64 exec, exec, s[0:1]
	v_cmp_lt_i32_e32 vcc, 24, v125
	s_waitcnt lgkmcnt(0)
	s_barrier
	s_and_saveexec_b64 s[0:1], vcc
	s_cbranch_execz .LBB114_420
; %bb.419:
	ds_read2_b64 v[130:133], v124 offset0:25 offset1:26
	ds_read2_b64 v[134:137], v124 offset0:27 offset1:28
	v_mul_f64 v[68:69], v[120:121], v[68:69]
	ds_read2_b64 v[138:141], v124 offset0:29 offset1:30
	ds_read_b64 v[120:121], v124 offset:456
	s_waitcnt lgkmcnt(0)
	v_fma_f64 v[66:67], -v[68:69], v[130:131], v[66:67]
	v_fma_f64 v[64:65], -v[68:69], v[132:133], v[64:65]
	ds_read2_b64 v[130:133], v124 offset0:31 offset1:32
	v_fma_f64 v[62:63], -v[68:69], v[134:135], v[62:63]
	v_fma_f64 v[60:61], -v[68:69], v[136:137], v[60:61]
	;; [unrolled: 1-line block ×3, first 2 shown]
	ds_read2_b64 v[134:137], v124 offset0:33 offset1:34
	v_fma_f64 v[56:57], -v[68:69], v[140:141], v[56:57]
	ds_read2_b64 v[138:141], v124 offset0:35 offset1:36
	s_waitcnt lgkmcnt(0)
	v_fma_f64 v[54:55], -v[68:69], v[130:131], v[54:55]
	v_fma_f64 v[52:53], -v[68:69], v[132:133], v[52:53]
	ds_read2_b64 v[130:133], v124 offset0:37 offset1:38
	v_fma_f64 v[50:51], -v[68:69], v[134:135], v[50:51]
	v_fma_f64 v[48:49], -v[68:69], v[136:137], v[48:49]
	ds_read2_b64 v[134:137], v124 offset0:39 offset1:40
	v_fma_f64 v[46:47], -v[68:69], v[138:139], v[46:47]
	v_fma_f64 v[44:45], -v[68:69], v[140:141], v[44:45]
	s_waitcnt lgkmcnt(0)
	v_fma_f64 v[42:43], -v[68:69], v[130:131], v[42:43]
	ds_read2_b64 v[138:141], v124 offset0:41 offset1:42
	v_fma_f64 v[40:41], -v[68:69], v[132:133], v[40:41]
	ds_read2_b64 v[130:133], v124 offset0:43 offset1:44
	v_fma_f64 v[38:39], -v[68:69], v[134:135], v[38:39]
	v_fma_f64 v[36:37], -v[68:69], v[136:137], v[36:37]
	s_waitcnt lgkmcnt(0)
	v_fma_f64 v[34:35], -v[68:69], v[138:139], v[34:35]
	ds_read2_b64 v[134:137], v124 offset0:45 offset1:46
	v_fma_f64 v[32:33], -v[68:69], v[140:141], v[32:33]
	ds_read2_b64 v[138:141], v124 offset0:47 offset1:48
	v_fma_f64 v[30:31], -v[68:69], v[130:131], v[30:31]
	v_fma_f64 v[28:29], -v[68:69], v[132:133], v[28:29]
	ds_read2_b64 v[130:133], v124 offset0:49 offset1:50
	s_waitcnt lgkmcnt(0)
	v_fma_f64 v[26:27], -v[68:69], v[134:135], v[26:27]
	v_fma_f64 v[24:25], -v[68:69], v[136:137], v[24:25]
	ds_read2_b64 v[134:137], v124 offset0:51 offset1:52
	v_fma_f64 v[22:23], -v[68:69], v[138:139], v[22:23]
	v_fma_f64 v[20:21], -v[68:69], v[140:141], v[20:21]
	v_fma_f64 v[18:19], -v[68:69], v[130:131], v[18:19]
	v_fma_f64 v[16:17], -v[68:69], v[132:133], v[16:17]
	ds_read2_b64 v[130:133], v124 offset0:53 offset1:54
	ds_read2_b64 v[138:141], v124 offset0:55 offset1:56
	s_waitcnt lgkmcnt(0)
	v_fma_f64 v[14:15], -v[68:69], v[134:135], v[14:15]
	v_fma_f64 v[12:13], -v[68:69], v[136:137], v[12:13]
	;; [unrolled: 1-line block ×7, first 2 shown]
.LBB114_420:
	s_or_b64 exec, exec, s[0:1]
	v_lshl_add_u32 v120, v125, 3, v124
	s_barrier
	ds_write_b64 v120, v[66:67]
	s_waitcnt lgkmcnt(0)
	s_barrier
	ds_read_b64 v[120:121], v124 offset:200
	s_cmp_lt_i32 s18, 27
	v_mov_b32_e32 v122, 25
	s_cbranch_scc1 .LBB114_423
; %bb.421:
	v_add_u32_e32 v129, 0xd0, v124
	s_mov_b32 s0, 26
	v_mov_b32_e32 v122, 25
.LBB114_422:                            ; =>This Inner Loop Header: Depth=1
	ds_read_b64 v[130:131], v129
	v_mov_b32_e32 v132, s0
	s_add_i32 s0, s0, 1
	v_add_u32_e32 v129, 8, v129
	s_cmp_lg_u32 s18, s0
	s_waitcnt lgkmcnt(0)
	v_cmp_lt_f64_e64 vcc, |v[120:121]|, |v[130:131]|
	v_cndmask_b32_e32 v121, v121, v131, vcc
	v_cndmask_b32_e32 v120, v120, v130, vcc
	v_cndmask_b32_e32 v122, v122, v132, vcc
	s_cbranch_scc1 .LBB114_422
.LBB114_423:
	s_waitcnt lgkmcnt(0)
	v_cmp_eq_f64_e32 vcc, 0, v[120:121]
	s_and_saveexec_b64 s[0:1], vcc
	s_xor_b64 s[0:1], exec, s[0:1]
; %bb.424:
	v_cmp_ne_u32_e32 vcc, 0, v128
	v_cndmask_b32_e32 v128, 26, v128, vcc
; %bb.425:
	s_andn2_saveexec_b64 s[0:1], s[0:1]
; %bb.426:
	v_div_scale_f64 v[130:131], s[2:3], v[120:121], v[120:121], 1.0
	v_rcp_f64_e32 v[132:133], v[130:131]
	v_div_scale_f64 v[134:135], vcc, 1.0, v[120:121], 1.0
	v_fma_f64 v[136:137], -v[130:131], v[132:133], 1.0
	v_fmac_f64_e32 v[132:133], v[132:133], v[136:137]
	v_fma_f64 v[136:137], -v[130:131], v[132:133], 1.0
	v_fmac_f64_e32 v[132:133], v[132:133], v[136:137]
	v_mul_f64 v[136:137], v[134:135], v[132:133]
	v_fma_f64 v[130:131], -v[130:131], v[136:137], v[134:135]
	v_div_fmas_f64 v[130:131], v[130:131], v[132:133], v[136:137]
	v_div_fixup_f64 v[120:121], v[130:131], v[120:121], 1.0
; %bb.427:
	s_or_b64 exec, exec, s[0:1]
	v_cmp_ne_u32_e32 vcc, v125, v122
	s_and_saveexec_b64 s[0:1], vcc
	s_xor_b64 s[0:1], exec, s[0:1]
	s_cbranch_execz .LBB114_433
; %bb.428:
	v_cmp_eq_u32_e32 vcc, 25, v125
	s_and_saveexec_b64 s[2:3], vcc
	s_cbranch_execz .LBB114_432
; %bb.429:
	v_cmp_ne_u32_e32 vcc, 25, v122
	s_xor_b64 s[14:15], s[6:7], -1
	s_and_b64 s[16:17], s[14:15], vcc
	s_and_saveexec_b64 s[14:15], s[16:17]
	s_cbranch_execz .LBB114_431
; %bb.430:
	v_ashrrev_i32_e32 v123, 31, v122
	v_lshlrev_b64 v[130:131], 2, v[122:123]
	v_add_co_u32_e32 v130, vcc, v4, v130
	v_addc_co_u32_e32 v131, vcc, v5, v131, vcc
	flat_load_dword v123, v[130:131]
	flat_load_dword v125, v[4:5] offset:100
	s_waitcnt vmcnt(0) lgkmcnt(0)
	flat_store_dword v[4:5], v123 offset:100
	flat_store_dword v[130:131], v125
.LBB114_431:
	s_or_b64 exec, exec, s[14:15]
	v_mov_b32_e32 v123, v122
	v_mov_b32_e32 v125, v122
.LBB114_432:
	s_or_b64 exec, exec, s[2:3]
.LBB114_433:
	s_andn2_saveexec_b64 s[0:1], s[0:1]
	s_cbranch_execz .LBB114_435
; %bb.434:
	v_mov_b32_e32 v130, v64
	v_mov_b32_e32 v131, v65
	v_mov_b32_e32 v132, v62
	v_mov_b32_e32 v133, v63
	ds_write2_b64 v124, v[130:131], v[132:133] offset0:26 offset1:27
	v_mov_b32_e32 v130, v60
	v_mov_b32_e32 v131, v61
	v_mov_b32_e32 v132, v58
	v_mov_b32_e32 v133, v59
	ds_write2_b64 v124, v[130:131], v[132:133] offset0:28 offset1:29
	;; [unrolled: 5-line block ×15, first 2 shown]
	v_mov_b32_e32 v130, v0
	v_mov_b32_e32 v131, v1
	;; [unrolled: 1-line block ×3, first 2 shown]
	ds_write2_b64 v124, v[130:131], v[118:119] offset0:56 offset1:57
.LBB114_435:
	s_or_b64 exec, exec, s[0:1]
	v_cmp_lt_i32_e32 vcc, 25, v125
	s_waitcnt lgkmcnt(0)
	s_barrier
	s_and_saveexec_b64 s[0:1], vcc
	s_cbranch_execz .LBB114_437
; %bb.436:
	ds_read2_b64 v[130:133], v124 offset0:26 offset1:27
	ds_read2_b64 v[134:137], v124 offset0:28 offset1:29
	v_mul_f64 v[66:67], v[120:121], v[66:67]
	ds_read2_b64 v[138:141], v124 offset0:30 offset1:31
	s_waitcnt lgkmcnt(0)
	v_fma_f64 v[64:65], -v[66:67], v[130:131], v[64:65]
	v_fma_f64 v[62:63], -v[66:67], v[132:133], v[62:63]
	ds_read2_b64 v[130:133], v124 offset0:32 offset1:33
	v_fma_f64 v[60:61], -v[66:67], v[134:135], v[60:61]
	v_fma_f64 v[58:59], -v[66:67], v[136:137], v[58:59]
	;; [unrolled: 1-line block ×3, first 2 shown]
	ds_read2_b64 v[134:137], v124 offset0:34 offset1:35
	v_fma_f64 v[54:55], -v[66:67], v[140:141], v[54:55]
	ds_read2_b64 v[138:141], v124 offset0:36 offset1:37
	s_waitcnt lgkmcnt(0)
	v_fma_f64 v[52:53], -v[66:67], v[130:131], v[52:53]
	v_fma_f64 v[50:51], -v[66:67], v[132:133], v[50:51]
	ds_read2_b64 v[130:133], v124 offset0:38 offset1:39
	v_fma_f64 v[48:49], -v[66:67], v[134:135], v[48:49]
	v_fma_f64 v[46:47], -v[66:67], v[136:137], v[46:47]
	ds_read2_b64 v[134:137], v124 offset0:40 offset1:41
	v_fma_f64 v[44:45], -v[66:67], v[138:139], v[44:45]
	v_fma_f64 v[42:43], -v[66:67], v[140:141], v[42:43]
	s_waitcnt lgkmcnt(0)
	v_fma_f64 v[40:41], -v[66:67], v[130:131], v[40:41]
	ds_read2_b64 v[138:141], v124 offset0:42 offset1:43
	v_fma_f64 v[38:39], -v[66:67], v[132:133], v[38:39]
	ds_read2_b64 v[130:133], v124 offset0:44 offset1:45
	v_fma_f64 v[36:37], -v[66:67], v[134:135], v[36:37]
	v_fma_f64 v[34:35], -v[66:67], v[136:137], v[34:35]
	s_waitcnt lgkmcnt(0)
	v_fma_f64 v[32:33], -v[66:67], v[138:139], v[32:33]
	ds_read2_b64 v[134:137], v124 offset0:46 offset1:47
	v_fma_f64 v[30:31], -v[66:67], v[140:141], v[30:31]
	ds_read2_b64 v[138:141], v124 offset0:48 offset1:49
	v_fma_f64 v[28:29], -v[66:67], v[130:131], v[28:29]
	v_fma_f64 v[26:27], -v[66:67], v[132:133], v[26:27]
	ds_read2_b64 v[130:133], v124 offset0:50 offset1:51
	s_waitcnt lgkmcnt(0)
	v_fma_f64 v[24:25], -v[66:67], v[134:135], v[24:25]
	v_fma_f64 v[22:23], -v[66:67], v[136:137], v[22:23]
	ds_read2_b64 v[134:137], v124 offset0:52 offset1:53
	v_fma_f64 v[20:21], -v[66:67], v[138:139], v[20:21]
	v_fma_f64 v[18:19], -v[66:67], v[140:141], v[18:19]
	;; [unrolled: 1-line block ×3, first 2 shown]
	ds_read2_b64 v[138:141], v124 offset0:54 offset1:55
	v_fma_f64 v[14:15], -v[66:67], v[132:133], v[14:15]
	ds_read2_b64 v[130:133], v124 offset0:56 offset1:57
	s_waitcnt lgkmcnt(0)
	v_fma_f64 v[12:13], -v[66:67], v[134:135], v[12:13]
	v_fma_f64 v[10:11], -v[66:67], v[136:137], v[10:11]
	;; [unrolled: 1-line block ×6, first 2 shown]
.LBB114_437:
	s_or_b64 exec, exec, s[0:1]
	v_lshl_add_u32 v120, v125, 3, v124
	s_barrier
	ds_write_b64 v120, v[64:65]
	s_waitcnt lgkmcnt(0)
	s_barrier
	ds_read_b64 v[120:121], v124 offset:208
	s_cmp_lt_i32 s18, 28
	v_mov_b32_e32 v122, 26
	s_cbranch_scc1 .LBB114_440
; %bb.438:
	v_add_u32_e32 v129, 0xd8, v124
	s_mov_b32 s0, 27
	v_mov_b32_e32 v122, 26
.LBB114_439:                            ; =>This Inner Loop Header: Depth=1
	ds_read_b64 v[130:131], v129
	v_mov_b32_e32 v132, s0
	s_add_i32 s0, s0, 1
	v_add_u32_e32 v129, 8, v129
	s_cmp_lg_u32 s18, s0
	s_waitcnt lgkmcnt(0)
	v_cmp_lt_f64_e64 vcc, |v[120:121]|, |v[130:131]|
	v_cndmask_b32_e32 v121, v121, v131, vcc
	v_cndmask_b32_e32 v120, v120, v130, vcc
	;; [unrolled: 1-line block ×3, first 2 shown]
	s_cbranch_scc1 .LBB114_439
.LBB114_440:
	s_waitcnt lgkmcnt(0)
	v_cmp_eq_f64_e32 vcc, 0, v[120:121]
	s_and_saveexec_b64 s[0:1], vcc
	s_xor_b64 s[0:1], exec, s[0:1]
; %bb.441:
	v_cmp_ne_u32_e32 vcc, 0, v128
	v_cndmask_b32_e32 v128, 27, v128, vcc
; %bb.442:
	s_andn2_saveexec_b64 s[0:1], s[0:1]
; %bb.443:
	v_div_scale_f64 v[130:131], s[2:3], v[120:121], v[120:121], 1.0
	v_rcp_f64_e32 v[132:133], v[130:131]
	v_div_scale_f64 v[134:135], vcc, 1.0, v[120:121], 1.0
	v_fma_f64 v[136:137], -v[130:131], v[132:133], 1.0
	v_fmac_f64_e32 v[132:133], v[132:133], v[136:137]
	v_fma_f64 v[136:137], -v[130:131], v[132:133], 1.0
	v_fmac_f64_e32 v[132:133], v[132:133], v[136:137]
	v_mul_f64 v[136:137], v[134:135], v[132:133]
	v_fma_f64 v[130:131], -v[130:131], v[136:137], v[134:135]
	v_div_fmas_f64 v[130:131], v[130:131], v[132:133], v[136:137]
	v_div_fixup_f64 v[120:121], v[130:131], v[120:121], 1.0
; %bb.444:
	s_or_b64 exec, exec, s[0:1]
	v_cmp_ne_u32_e32 vcc, v125, v122
	s_and_saveexec_b64 s[0:1], vcc
	s_xor_b64 s[0:1], exec, s[0:1]
	s_cbranch_execz .LBB114_450
; %bb.445:
	v_cmp_eq_u32_e32 vcc, 26, v125
	s_and_saveexec_b64 s[2:3], vcc
	s_cbranch_execz .LBB114_449
; %bb.446:
	v_cmp_ne_u32_e32 vcc, 26, v122
	s_xor_b64 s[14:15], s[6:7], -1
	s_and_b64 s[16:17], s[14:15], vcc
	s_and_saveexec_b64 s[14:15], s[16:17]
	s_cbranch_execz .LBB114_448
; %bb.447:
	v_ashrrev_i32_e32 v123, 31, v122
	v_lshlrev_b64 v[130:131], 2, v[122:123]
	v_add_co_u32_e32 v130, vcc, v4, v130
	v_addc_co_u32_e32 v131, vcc, v5, v131, vcc
	flat_load_dword v123, v[130:131]
	flat_load_dword v125, v[4:5] offset:104
	s_waitcnt vmcnt(0) lgkmcnt(0)
	flat_store_dword v[4:5], v123 offset:104
	flat_store_dword v[130:131], v125
.LBB114_448:
	s_or_b64 exec, exec, s[14:15]
	v_mov_b32_e32 v123, v122
	v_mov_b32_e32 v125, v122
.LBB114_449:
	s_or_b64 exec, exec, s[2:3]
.LBB114_450:
	s_andn2_saveexec_b64 s[0:1], s[0:1]
	s_cbranch_execz .LBB114_452
; %bb.451:
	v_mov_b32_e32 v125, 26
	ds_write2_b64 v124, v[62:63], v[60:61] offset0:27 offset1:28
	ds_write2_b64 v124, v[58:59], v[56:57] offset0:29 offset1:30
	;; [unrolled: 1-line block ×15, first 2 shown]
	ds_write_b64 v124, v[118:119] offset:456
.LBB114_452:
	s_or_b64 exec, exec, s[0:1]
	v_cmp_lt_i32_e32 vcc, 26, v125
	s_waitcnt lgkmcnt(0)
	s_barrier
	s_and_saveexec_b64 s[0:1], vcc
	s_cbranch_execz .LBB114_454
; %bb.453:
	ds_read2_b64 v[130:133], v124 offset0:27 offset1:28
	ds_read2_b64 v[134:137], v124 offset0:29 offset1:30
	;; [unrolled: 1-line block ×3, first 2 shown]
	v_mul_f64 v[64:65], v[120:121], v[64:65]
	ds_read_b64 v[120:121], v124 offset:456
	s_waitcnt lgkmcnt(0)
	v_fma_f64 v[62:63], -v[64:65], v[130:131], v[62:63]
	v_fma_f64 v[60:61], -v[64:65], v[132:133], v[60:61]
	ds_read2_b64 v[130:133], v124 offset0:33 offset1:34
	v_fma_f64 v[58:59], -v[64:65], v[134:135], v[58:59]
	v_fma_f64 v[56:57], -v[64:65], v[136:137], v[56:57]
	;; [unrolled: 1-line block ×3, first 2 shown]
	ds_read2_b64 v[134:137], v124 offset0:35 offset1:36
	v_fma_f64 v[52:53], -v[64:65], v[140:141], v[52:53]
	ds_read2_b64 v[138:141], v124 offset0:37 offset1:38
	s_waitcnt lgkmcnt(0)
	v_fma_f64 v[50:51], -v[64:65], v[130:131], v[50:51]
	v_fma_f64 v[48:49], -v[64:65], v[132:133], v[48:49]
	;; [unrolled: 1-line block ×3, first 2 shown]
	ds_read2_b64 v[130:133], v124 offset0:39 offset1:40
	v_fma_f64 v[44:45], -v[64:65], v[136:137], v[44:45]
	ds_read2_b64 v[134:137], v124 offset0:41 offset1:42
	v_fma_f64 v[42:43], -v[64:65], v[138:139], v[42:43]
	v_fma_f64 v[40:41], -v[64:65], v[140:141], v[40:41]
	ds_read2_b64 v[138:141], v124 offset0:43 offset1:44
	s_waitcnt lgkmcnt(0)
	v_fma_f64 v[38:39], -v[64:65], v[130:131], v[38:39]
	v_fma_f64 v[36:37], -v[64:65], v[132:133], v[36:37]
	ds_read2_b64 v[130:133], v124 offset0:45 offset1:46
	v_fma_f64 v[34:35], -v[64:65], v[134:135], v[34:35]
	v_fma_f64 v[32:33], -v[64:65], v[136:137], v[32:33]
	;; [unrolled: 1-line block ×3, first 2 shown]
	ds_read2_b64 v[134:137], v124 offset0:47 offset1:48
	v_fma_f64 v[28:29], -v[64:65], v[140:141], v[28:29]
	ds_read2_b64 v[138:141], v124 offset0:49 offset1:50
	s_waitcnt lgkmcnt(0)
	v_fma_f64 v[26:27], -v[64:65], v[130:131], v[26:27]
	v_fma_f64 v[24:25], -v[64:65], v[132:133], v[24:25]
	;; [unrolled: 1-line block ×3, first 2 shown]
	ds_read2_b64 v[130:133], v124 offset0:51 offset1:52
	v_fma_f64 v[20:21], -v[64:65], v[136:137], v[20:21]
	ds_read2_b64 v[134:137], v124 offset0:53 offset1:54
	v_fma_f64 v[18:19], -v[64:65], v[138:139], v[18:19]
	v_fma_f64 v[16:17], -v[64:65], v[140:141], v[16:17]
	ds_read2_b64 v[138:141], v124 offset0:55 offset1:56
	s_waitcnt lgkmcnt(0)
	v_fma_f64 v[14:15], -v[64:65], v[130:131], v[14:15]
	v_fma_f64 v[12:13], -v[64:65], v[132:133], v[12:13]
	;; [unrolled: 1-line block ×7, first 2 shown]
.LBB114_454:
	s_or_b64 exec, exec, s[0:1]
	v_lshl_add_u32 v120, v125, 3, v124
	s_barrier
	ds_write_b64 v120, v[62:63]
	s_waitcnt lgkmcnt(0)
	s_barrier
	ds_read_b64 v[120:121], v124 offset:216
	s_cmp_lt_i32 s18, 29
	v_mov_b32_e32 v122, 27
	s_cbranch_scc1 .LBB114_457
; %bb.455:
	v_add_u32_e32 v129, 0xe0, v124
	s_mov_b32 s0, 28
	v_mov_b32_e32 v122, 27
.LBB114_456:                            ; =>This Inner Loop Header: Depth=1
	ds_read_b64 v[130:131], v129
	v_mov_b32_e32 v132, s0
	s_add_i32 s0, s0, 1
	v_add_u32_e32 v129, 8, v129
	s_cmp_lg_u32 s18, s0
	s_waitcnt lgkmcnt(0)
	v_cmp_lt_f64_e64 vcc, |v[120:121]|, |v[130:131]|
	v_cndmask_b32_e32 v121, v121, v131, vcc
	v_cndmask_b32_e32 v120, v120, v130, vcc
	;; [unrolled: 1-line block ×3, first 2 shown]
	s_cbranch_scc1 .LBB114_456
.LBB114_457:
	s_waitcnt lgkmcnt(0)
	v_cmp_eq_f64_e32 vcc, 0, v[120:121]
	s_and_saveexec_b64 s[0:1], vcc
	s_xor_b64 s[0:1], exec, s[0:1]
; %bb.458:
	v_cmp_ne_u32_e32 vcc, 0, v128
	v_cndmask_b32_e32 v128, 28, v128, vcc
; %bb.459:
	s_andn2_saveexec_b64 s[0:1], s[0:1]
; %bb.460:
	v_div_scale_f64 v[130:131], s[2:3], v[120:121], v[120:121], 1.0
	v_rcp_f64_e32 v[132:133], v[130:131]
	v_div_scale_f64 v[134:135], vcc, 1.0, v[120:121], 1.0
	v_fma_f64 v[136:137], -v[130:131], v[132:133], 1.0
	v_fmac_f64_e32 v[132:133], v[132:133], v[136:137]
	v_fma_f64 v[136:137], -v[130:131], v[132:133], 1.0
	v_fmac_f64_e32 v[132:133], v[132:133], v[136:137]
	v_mul_f64 v[136:137], v[134:135], v[132:133]
	v_fma_f64 v[130:131], -v[130:131], v[136:137], v[134:135]
	v_div_fmas_f64 v[130:131], v[130:131], v[132:133], v[136:137]
	v_div_fixup_f64 v[120:121], v[130:131], v[120:121], 1.0
; %bb.461:
	s_or_b64 exec, exec, s[0:1]
	v_cmp_ne_u32_e32 vcc, v125, v122
	s_and_saveexec_b64 s[0:1], vcc
	s_xor_b64 s[0:1], exec, s[0:1]
	s_cbranch_execz .LBB114_467
; %bb.462:
	v_cmp_eq_u32_e32 vcc, 27, v125
	s_and_saveexec_b64 s[2:3], vcc
	s_cbranch_execz .LBB114_466
; %bb.463:
	v_cmp_ne_u32_e32 vcc, 27, v122
	s_xor_b64 s[14:15], s[6:7], -1
	s_and_b64 s[16:17], s[14:15], vcc
	s_and_saveexec_b64 s[14:15], s[16:17]
	s_cbranch_execz .LBB114_465
; %bb.464:
	v_ashrrev_i32_e32 v123, 31, v122
	v_lshlrev_b64 v[130:131], 2, v[122:123]
	v_add_co_u32_e32 v130, vcc, v4, v130
	v_addc_co_u32_e32 v131, vcc, v5, v131, vcc
	flat_load_dword v123, v[130:131]
	flat_load_dword v125, v[4:5] offset:108
	s_waitcnt vmcnt(0) lgkmcnt(0)
	flat_store_dword v[4:5], v123 offset:108
	flat_store_dword v[130:131], v125
.LBB114_465:
	s_or_b64 exec, exec, s[14:15]
	v_mov_b32_e32 v123, v122
	v_mov_b32_e32 v125, v122
.LBB114_466:
	s_or_b64 exec, exec, s[2:3]
.LBB114_467:
	s_andn2_saveexec_b64 s[0:1], s[0:1]
	s_cbranch_execz .LBB114_469
; %bb.468:
	v_mov_b32_e32 v130, v60
	v_mov_b32_e32 v131, v61
	v_mov_b32_e32 v132, v58
	v_mov_b32_e32 v133, v59
	ds_write2_b64 v124, v[130:131], v[132:133] offset0:28 offset1:29
	v_mov_b32_e32 v130, v56
	v_mov_b32_e32 v131, v57
	v_mov_b32_e32 v132, v54
	v_mov_b32_e32 v133, v55
	ds_write2_b64 v124, v[130:131], v[132:133] offset0:30 offset1:31
	;; [unrolled: 5-line block ×14, first 2 shown]
	v_mov_b32_e32 v130, v0
	v_mov_b32_e32 v131, v1
	;; [unrolled: 1-line block ×3, first 2 shown]
	ds_write2_b64 v124, v[130:131], v[118:119] offset0:56 offset1:57
.LBB114_469:
	s_or_b64 exec, exec, s[0:1]
	v_cmp_lt_i32_e32 vcc, 27, v125
	s_waitcnt lgkmcnt(0)
	s_barrier
	s_and_saveexec_b64 s[0:1], vcc
	s_cbranch_execz .LBB114_471
; %bb.470:
	ds_read2_b64 v[130:133], v124 offset0:28 offset1:29
	ds_read2_b64 v[134:137], v124 offset0:30 offset1:31
	;; [unrolled: 1-line block ×3, first 2 shown]
	v_mul_f64 v[62:63], v[120:121], v[62:63]
	s_waitcnt lgkmcnt(0)
	v_fma_f64 v[60:61], -v[62:63], v[130:131], v[60:61]
	v_fma_f64 v[58:59], -v[62:63], v[132:133], v[58:59]
	ds_read2_b64 v[130:133], v124 offset0:34 offset1:35
	v_fma_f64 v[56:57], -v[62:63], v[134:135], v[56:57]
	v_fma_f64 v[54:55], -v[62:63], v[136:137], v[54:55]
	v_fma_f64 v[52:53], -v[62:63], v[138:139], v[52:53]
	ds_read2_b64 v[134:137], v124 offset0:36 offset1:37
	v_fma_f64 v[50:51], -v[62:63], v[140:141], v[50:51]
	ds_read2_b64 v[138:141], v124 offset0:38 offset1:39
	s_waitcnt lgkmcnt(0)
	v_fma_f64 v[48:49], -v[62:63], v[130:131], v[48:49]
	v_fma_f64 v[46:47], -v[62:63], v[132:133], v[46:47]
	v_fma_f64 v[44:45], -v[62:63], v[134:135], v[44:45]
	ds_read2_b64 v[130:133], v124 offset0:40 offset1:41
	v_fma_f64 v[42:43], -v[62:63], v[136:137], v[42:43]
	ds_read2_b64 v[134:137], v124 offset0:42 offset1:43
	v_fma_f64 v[40:41], -v[62:63], v[138:139], v[40:41]
	v_fma_f64 v[38:39], -v[62:63], v[140:141], v[38:39]
	ds_read2_b64 v[138:141], v124 offset0:44 offset1:45
	s_waitcnt lgkmcnt(0)
	v_fma_f64 v[36:37], -v[62:63], v[130:131], v[36:37]
	v_fma_f64 v[34:35], -v[62:63], v[132:133], v[34:35]
	ds_read2_b64 v[130:133], v124 offset0:46 offset1:47
	v_fma_f64 v[32:33], -v[62:63], v[134:135], v[32:33]
	v_fma_f64 v[30:31], -v[62:63], v[136:137], v[30:31]
	;; [unrolled: 1-line block ×3, first 2 shown]
	ds_read2_b64 v[134:137], v124 offset0:48 offset1:49
	v_fma_f64 v[26:27], -v[62:63], v[140:141], v[26:27]
	ds_read2_b64 v[138:141], v124 offset0:50 offset1:51
	s_waitcnt lgkmcnt(0)
	v_fma_f64 v[24:25], -v[62:63], v[130:131], v[24:25]
	v_fma_f64 v[22:23], -v[62:63], v[132:133], v[22:23]
	;; [unrolled: 1-line block ×4, first 2 shown]
	ds_read2_b64 v[130:133], v124 offset0:52 offset1:53
	ds_read2_b64 v[134:137], v124 offset0:54 offset1:55
	v_fma_f64 v[16:17], -v[62:63], v[138:139], v[16:17]
	v_fma_f64 v[14:15], -v[62:63], v[140:141], v[14:15]
	ds_read2_b64 v[138:141], v124 offset0:56 offset1:57
	s_waitcnt lgkmcnt(0)
	v_fma_f64 v[12:13], -v[62:63], v[130:131], v[12:13]
	v_fma_f64 v[10:11], -v[62:63], v[132:133], v[10:11]
	;; [unrolled: 1-line block ×6, first 2 shown]
.LBB114_471:
	s_or_b64 exec, exec, s[0:1]
	v_lshl_add_u32 v120, v125, 3, v124
	s_barrier
	ds_write_b64 v120, v[60:61]
	s_waitcnt lgkmcnt(0)
	s_barrier
	ds_read_b64 v[120:121], v124 offset:224
	s_cmp_lt_i32 s18, 30
	v_mov_b32_e32 v122, 28
	s_cbranch_scc1 .LBB114_474
; %bb.472:
	v_add_u32_e32 v129, 0xe8, v124
	s_mov_b32 s0, 29
	v_mov_b32_e32 v122, 28
.LBB114_473:                            ; =>This Inner Loop Header: Depth=1
	ds_read_b64 v[130:131], v129
	v_mov_b32_e32 v132, s0
	s_add_i32 s0, s0, 1
	v_add_u32_e32 v129, 8, v129
	s_cmp_lg_u32 s18, s0
	s_waitcnt lgkmcnt(0)
	v_cmp_lt_f64_e64 vcc, |v[120:121]|, |v[130:131]|
	v_cndmask_b32_e32 v121, v121, v131, vcc
	v_cndmask_b32_e32 v120, v120, v130, vcc
	;; [unrolled: 1-line block ×3, first 2 shown]
	s_cbranch_scc1 .LBB114_473
.LBB114_474:
	s_waitcnt lgkmcnt(0)
	v_cmp_eq_f64_e32 vcc, 0, v[120:121]
	s_and_saveexec_b64 s[0:1], vcc
	s_xor_b64 s[0:1], exec, s[0:1]
; %bb.475:
	v_cmp_ne_u32_e32 vcc, 0, v128
	v_cndmask_b32_e32 v128, 29, v128, vcc
; %bb.476:
	s_andn2_saveexec_b64 s[0:1], s[0:1]
; %bb.477:
	v_div_scale_f64 v[130:131], s[2:3], v[120:121], v[120:121], 1.0
	v_rcp_f64_e32 v[132:133], v[130:131]
	v_div_scale_f64 v[134:135], vcc, 1.0, v[120:121], 1.0
	v_fma_f64 v[136:137], -v[130:131], v[132:133], 1.0
	v_fmac_f64_e32 v[132:133], v[132:133], v[136:137]
	v_fma_f64 v[136:137], -v[130:131], v[132:133], 1.0
	v_fmac_f64_e32 v[132:133], v[132:133], v[136:137]
	v_mul_f64 v[136:137], v[134:135], v[132:133]
	v_fma_f64 v[130:131], -v[130:131], v[136:137], v[134:135]
	v_div_fmas_f64 v[130:131], v[130:131], v[132:133], v[136:137]
	v_div_fixup_f64 v[120:121], v[130:131], v[120:121], 1.0
; %bb.478:
	s_or_b64 exec, exec, s[0:1]
	v_cmp_ne_u32_e32 vcc, v125, v122
	s_and_saveexec_b64 s[0:1], vcc
	s_xor_b64 s[0:1], exec, s[0:1]
	s_cbranch_execz .LBB114_484
; %bb.479:
	v_cmp_eq_u32_e32 vcc, 28, v125
	s_and_saveexec_b64 s[2:3], vcc
	s_cbranch_execz .LBB114_483
; %bb.480:
	v_cmp_ne_u32_e32 vcc, 28, v122
	s_xor_b64 s[14:15], s[6:7], -1
	s_and_b64 s[16:17], s[14:15], vcc
	s_and_saveexec_b64 s[14:15], s[16:17]
	s_cbranch_execz .LBB114_482
; %bb.481:
	v_ashrrev_i32_e32 v123, 31, v122
	v_lshlrev_b64 v[130:131], 2, v[122:123]
	v_add_co_u32_e32 v130, vcc, v4, v130
	v_addc_co_u32_e32 v131, vcc, v5, v131, vcc
	flat_load_dword v123, v[130:131]
	flat_load_dword v125, v[4:5] offset:112
	s_waitcnt vmcnt(0) lgkmcnt(0)
	flat_store_dword v[4:5], v123 offset:112
	flat_store_dword v[130:131], v125
.LBB114_482:
	s_or_b64 exec, exec, s[14:15]
	v_mov_b32_e32 v123, v122
	v_mov_b32_e32 v125, v122
.LBB114_483:
	s_or_b64 exec, exec, s[2:3]
.LBB114_484:
	s_andn2_saveexec_b64 s[0:1], s[0:1]
	s_cbranch_execz .LBB114_486
; %bb.485:
	v_mov_b32_e32 v125, 28
	ds_write2_b64 v124, v[58:59], v[56:57] offset0:29 offset1:30
	ds_write2_b64 v124, v[54:55], v[52:53] offset0:31 offset1:32
	ds_write2_b64 v124, v[50:51], v[48:49] offset0:33 offset1:34
	ds_write2_b64 v124, v[46:47], v[44:45] offset0:35 offset1:36
	ds_write2_b64 v124, v[42:43], v[40:41] offset0:37 offset1:38
	ds_write2_b64 v124, v[38:39], v[36:37] offset0:39 offset1:40
	ds_write2_b64 v124, v[34:35], v[32:33] offset0:41 offset1:42
	ds_write2_b64 v124, v[30:31], v[28:29] offset0:43 offset1:44
	ds_write2_b64 v124, v[26:27], v[24:25] offset0:45 offset1:46
	ds_write2_b64 v124, v[22:23], v[20:21] offset0:47 offset1:48
	ds_write2_b64 v124, v[18:19], v[16:17] offset0:49 offset1:50
	ds_write2_b64 v124, v[14:15], v[12:13] offset0:51 offset1:52
	ds_write2_b64 v124, v[10:11], v[8:9] offset0:53 offset1:54
	ds_write2_b64 v124, v[6:7], v[0:1] offset0:55 offset1:56
	ds_write_b64 v124, v[118:119] offset:456
.LBB114_486:
	s_or_b64 exec, exec, s[0:1]
	v_cmp_lt_i32_e32 vcc, 28, v125
	s_waitcnt lgkmcnt(0)
	s_barrier
	s_and_saveexec_b64 s[0:1], vcc
	s_cbranch_execz .LBB114_488
; %bb.487:
	ds_read2_b64 v[130:133], v124 offset0:29 offset1:30
	ds_read2_b64 v[134:137], v124 offset0:31 offset1:32
	v_mul_f64 v[60:61], v[120:121], v[60:61]
	ds_read2_b64 v[138:141], v124 offset0:33 offset1:34
	ds_read_b64 v[120:121], v124 offset:456
	s_waitcnt lgkmcnt(0)
	v_fma_f64 v[58:59], -v[60:61], v[130:131], v[58:59]
	v_fma_f64 v[56:57], -v[60:61], v[132:133], v[56:57]
	ds_read2_b64 v[130:133], v124 offset0:35 offset1:36
	v_fma_f64 v[54:55], -v[60:61], v[134:135], v[54:55]
	v_fma_f64 v[52:53], -v[60:61], v[136:137], v[52:53]
	ds_read2_b64 v[134:137], v124 offset0:37 offset1:38
	;; [unrolled: 3-line block ×3, first 2 shown]
	s_waitcnt lgkmcnt(0)
	v_fma_f64 v[46:47], -v[60:61], v[130:131], v[46:47]
	v_fma_f64 v[44:45], -v[60:61], v[132:133], v[44:45]
	v_fma_f64 v[42:43], -v[60:61], v[134:135], v[42:43]
	ds_read2_b64 v[130:133], v124 offset0:41 offset1:42
	v_fma_f64 v[40:41], -v[60:61], v[136:137], v[40:41]
	ds_read2_b64 v[134:137], v124 offset0:43 offset1:44
	v_fma_f64 v[38:39], -v[60:61], v[138:139], v[38:39]
	v_fma_f64 v[36:37], -v[60:61], v[140:141], v[36:37]
	s_waitcnt lgkmcnt(0)
	v_fma_f64 v[34:35], -v[60:61], v[130:131], v[34:35]
	ds_read2_b64 v[138:141], v124 offset0:45 offset1:46
	v_fma_f64 v[32:33], -v[60:61], v[132:133], v[32:33]
	ds_read2_b64 v[130:133], v124 offset0:47 offset1:48
	v_fma_f64 v[30:31], -v[60:61], v[134:135], v[30:31]
	v_fma_f64 v[28:29], -v[60:61], v[136:137], v[28:29]
	ds_read2_b64 v[134:137], v124 offset0:49 offset1:50
	s_waitcnt lgkmcnt(0)
	v_fma_f64 v[26:27], -v[60:61], v[138:139], v[26:27]
	v_fma_f64 v[24:25], -v[60:61], v[140:141], v[24:25]
	ds_read2_b64 v[138:141], v124 offset0:51 offset1:52
	v_fma_f64 v[22:23], -v[60:61], v[130:131], v[22:23]
	v_fma_f64 v[20:21], -v[60:61], v[132:133], v[20:21]
	;; [unrolled: 1-line block ×4, first 2 shown]
	ds_read2_b64 v[130:133], v124 offset0:53 offset1:54
	ds_read2_b64 v[134:137], v124 offset0:55 offset1:56
	s_waitcnt lgkmcnt(0)
	v_fma_f64 v[14:15], -v[60:61], v[138:139], v[14:15]
	v_fma_f64 v[12:13], -v[60:61], v[140:141], v[12:13]
	;; [unrolled: 1-line block ×7, first 2 shown]
.LBB114_488:
	s_or_b64 exec, exec, s[0:1]
	v_lshl_add_u32 v120, v125, 3, v124
	s_barrier
	ds_write_b64 v120, v[58:59]
	s_waitcnt lgkmcnt(0)
	s_barrier
	ds_read_b64 v[120:121], v124 offset:232
	s_cmp_lt_i32 s18, 31
	v_mov_b32_e32 v122, 29
	s_cbranch_scc1 .LBB114_491
; %bb.489:
	v_add_u32_e32 v129, 0xf0, v124
	s_mov_b32 s0, 30
	v_mov_b32_e32 v122, 29
.LBB114_490:                            ; =>This Inner Loop Header: Depth=1
	ds_read_b64 v[130:131], v129
	v_mov_b32_e32 v132, s0
	s_add_i32 s0, s0, 1
	v_add_u32_e32 v129, 8, v129
	s_cmp_lg_u32 s18, s0
	s_waitcnt lgkmcnt(0)
	v_cmp_lt_f64_e64 vcc, |v[120:121]|, |v[130:131]|
	v_cndmask_b32_e32 v121, v121, v131, vcc
	v_cndmask_b32_e32 v120, v120, v130, vcc
	;; [unrolled: 1-line block ×3, first 2 shown]
	s_cbranch_scc1 .LBB114_490
.LBB114_491:
	s_waitcnt lgkmcnt(0)
	v_cmp_eq_f64_e32 vcc, 0, v[120:121]
	s_and_saveexec_b64 s[0:1], vcc
	s_xor_b64 s[0:1], exec, s[0:1]
; %bb.492:
	v_cmp_ne_u32_e32 vcc, 0, v128
	v_cndmask_b32_e32 v128, 30, v128, vcc
; %bb.493:
	s_andn2_saveexec_b64 s[0:1], s[0:1]
; %bb.494:
	v_div_scale_f64 v[130:131], s[2:3], v[120:121], v[120:121], 1.0
	v_rcp_f64_e32 v[132:133], v[130:131]
	v_div_scale_f64 v[134:135], vcc, 1.0, v[120:121], 1.0
	v_fma_f64 v[136:137], -v[130:131], v[132:133], 1.0
	v_fmac_f64_e32 v[132:133], v[132:133], v[136:137]
	v_fma_f64 v[136:137], -v[130:131], v[132:133], 1.0
	v_fmac_f64_e32 v[132:133], v[132:133], v[136:137]
	v_mul_f64 v[136:137], v[134:135], v[132:133]
	v_fma_f64 v[130:131], -v[130:131], v[136:137], v[134:135]
	v_div_fmas_f64 v[130:131], v[130:131], v[132:133], v[136:137]
	v_div_fixup_f64 v[120:121], v[130:131], v[120:121], 1.0
; %bb.495:
	s_or_b64 exec, exec, s[0:1]
	v_cmp_ne_u32_e32 vcc, v125, v122
	s_and_saveexec_b64 s[0:1], vcc
	s_xor_b64 s[0:1], exec, s[0:1]
	s_cbranch_execz .LBB114_501
; %bb.496:
	v_cmp_eq_u32_e32 vcc, 29, v125
	s_and_saveexec_b64 s[2:3], vcc
	s_cbranch_execz .LBB114_500
; %bb.497:
	v_cmp_ne_u32_e32 vcc, 29, v122
	s_xor_b64 s[14:15], s[6:7], -1
	s_and_b64 s[16:17], s[14:15], vcc
	s_and_saveexec_b64 s[14:15], s[16:17]
	s_cbranch_execz .LBB114_499
; %bb.498:
	v_ashrrev_i32_e32 v123, 31, v122
	v_lshlrev_b64 v[130:131], 2, v[122:123]
	v_add_co_u32_e32 v130, vcc, v4, v130
	v_addc_co_u32_e32 v131, vcc, v5, v131, vcc
	flat_load_dword v123, v[130:131]
	flat_load_dword v125, v[4:5] offset:116
	s_waitcnt vmcnt(0) lgkmcnt(0)
	flat_store_dword v[4:5], v123 offset:116
	flat_store_dword v[130:131], v125
.LBB114_499:
	s_or_b64 exec, exec, s[14:15]
	v_mov_b32_e32 v123, v122
	v_mov_b32_e32 v125, v122
.LBB114_500:
	s_or_b64 exec, exec, s[2:3]
.LBB114_501:
	s_andn2_saveexec_b64 s[0:1], s[0:1]
	s_cbranch_execz .LBB114_503
; %bb.502:
	v_mov_b32_e32 v130, v56
	v_mov_b32_e32 v131, v57
	v_mov_b32_e32 v132, v54
	v_mov_b32_e32 v133, v55
	ds_write2_b64 v124, v[130:131], v[132:133] offset0:30 offset1:31
	v_mov_b32_e32 v130, v52
	v_mov_b32_e32 v131, v53
	v_mov_b32_e32 v132, v50
	v_mov_b32_e32 v133, v51
	ds_write2_b64 v124, v[130:131], v[132:133] offset0:32 offset1:33
	;; [unrolled: 5-line block ×13, first 2 shown]
	v_mov_b32_e32 v130, v0
	v_mov_b32_e32 v131, v1
	;; [unrolled: 1-line block ×3, first 2 shown]
	ds_write2_b64 v124, v[130:131], v[118:119] offset0:56 offset1:57
.LBB114_503:
	s_or_b64 exec, exec, s[0:1]
	v_cmp_lt_i32_e32 vcc, 29, v125
	s_waitcnt lgkmcnt(0)
	s_barrier
	s_and_saveexec_b64 s[0:1], vcc
	s_cbranch_execz .LBB114_505
; %bb.504:
	ds_read2_b64 v[130:133], v124 offset0:30 offset1:31
	ds_read2_b64 v[134:137], v124 offset0:32 offset1:33
	v_mul_f64 v[58:59], v[120:121], v[58:59]
	ds_read2_b64 v[138:141], v124 offset0:34 offset1:35
	s_waitcnt lgkmcnt(0)
	v_fma_f64 v[56:57], -v[58:59], v[130:131], v[56:57]
	v_fma_f64 v[54:55], -v[58:59], v[132:133], v[54:55]
	ds_read2_b64 v[130:133], v124 offset0:36 offset1:37
	v_fma_f64 v[52:53], -v[58:59], v[134:135], v[52:53]
	v_fma_f64 v[50:51], -v[58:59], v[136:137], v[50:51]
	ds_read2_b64 v[134:137], v124 offset0:38 offset1:39
	;; [unrolled: 3-line block ×3, first 2 shown]
	s_waitcnt lgkmcnt(0)
	v_fma_f64 v[44:45], -v[58:59], v[130:131], v[44:45]
	v_fma_f64 v[42:43], -v[58:59], v[132:133], v[42:43]
	v_fma_f64 v[40:41], -v[58:59], v[134:135], v[40:41]
	ds_read2_b64 v[130:133], v124 offset0:42 offset1:43
	v_fma_f64 v[38:39], -v[58:59], v[136:137], v[38:39]
	ds_read2_b64 v[134:137], v124 offset0:44 offset1:45
	v_fma_f64 v[36:37], -v[58:59], v[138:139], v[36:37]
	v_fma_f64 v[34:35], -v[58:59], v[140:141], v[34:35]
	s_waitcnt lgkmcnt(0)
	v_fma_f64 v[32:33], -v[58:59], v[130:131], v[32:33]
	ds_read2_b64 v[138:141], v124 offset0:46 offset1:47
	v_fma_f64 v[30:31], -v[58:59], v[132:133], v[30:31]
	ds_read2_b64 v[130:133], v124 offset0:48 offset1:49
	v_fma_f64 v[28:29], -v[58:59], v[134:135], v[28:29]
	v_fma_f64 v[26:27], -v[58:59], v[136:137], v[26:27]
	ds_read2_b64 v[134:137], v124 offset0:50 offset1:51
	s_waitcnt lgkmcnt(0)
	v_fma_f64 v[24:25], -v[58:59], v[138:139], v[24:25]
	v_fma_f64 v[22:23], -v[58:59], v[140:141], v[22:23]
	;; [unrolled: 1-line block ×4, first 2 shown]
	ds_read2_b64 v[130:133], v124 offset0:52 offset1:53
	v_fma_f64 v[16:17], -v[58:59], v[134:135], v[16:17]
	ds_read2_b64 v[138:141], v124 offset0:54 offset1:55
	v_fma_f64 v[14:15], -v[58:59], v[136:137], v[14:15]
	ds_read2_b64 v[134:137], v124 offset0:56 offset1:57
	s_waitcnt lgkmcnt(0)
	v_fma_f64 v[12:13], -v[58:59], v[130:131], v[12:13]
	v_fma_f64 v[10:11], -v[58:59], v[132:133], v[10:11]
	;; [unrolled: 1-line block ×6, first 2 shown]
.LBB114_505:
	s_or_b64 exec, exec, s[0:1]
	v_lshl_add_u32 v120, v125, 3, v124
	s_barrier
	ds_write_b64 v120, v[56:57]
	s_waitcnt lgkmcnt(0)
	s_barrier
	ds_read_b64 v[120:121], v124 offset:240
	s_cmp_lt_i32 s18, 32
	v_mov_b32_e32 v122, 30
	s_cbranch_scc1 .LBB114_508
; %bb.506:
	v_add_u32_e32 v129, 0xf8, v124
	s_mov_b32 s0, 31
	v_mov_b32_e32 v122, 30
.LBB114_507:                            ; =>This Inner Loop Header: Depth=1
	ds_read_b64 v[130:131], v129
	v_mov_b32_e32 v132, s0
	s_add_i32 s0, s0, 1
	v_add_u32_e32 v129, 8, v129
	s_cmp_lg_u32 s18, s0
	s_waitcnt lgkmcnt(0)
	v_cmp_lt_f64_e64 vcc, |v[120:121]|, |v[130:131]|
	v_cndmask_b32_e32 v121, v121, v131, vcc
	v_cndmask_b32_e32 v120, v120, v130, vcc
	;; [unrolled: 1-line block ×3, first 2 shown]
	s_cbranch_scc1 .LBB114_507
.LBB114_508:
	s_waitcnt lgkmcnt(0)
	v_cmp_eq_f64_e32 vcc, 0, v[120:121]
	s_and_saveexec_b64 s[0:1], vcc
	s_xor_b64 s[0:1], exec, s[0:1]
; %bb.509:
	v_cmp_ne_u32_e32 vcc, 0, v128
	v_cndmask_b32_e32 v128, 31, v128, vcc
; %bb.510:
	s_andn2_saveexec_b64 s[0:1], s[0:1]
; %bb.511:
	v_div_scale_f64 v[130:131], s[2:3], v[120:121], v[120:121], 1.0
	v_rcp_f64_e32 v[132:133], v[130:131]
	v_div_scale_f64 v[134:135], vcc, 1.0, v[120:121], 1.0
	v_fma_f64 v[136:137], -v[130:131], v[132:133], 1.0
	v_fmac_f64_e32 v[132:133], v[132:133], v[136:137]
	v_fma_f64 v[136:137], -v[130:131], v[132:133], 1.0
	v_fmac_f64_e32 v[132:133], v[132:133], v[136:137]
	v_mul_f64 v[136:137], v[134:135], v[132:133]
	v_fma_f64 v[130:131], -v[130:131], v[136:137], v[134:135]
	v_div_fmas_f64 v[130:131], v[130:131], v[132:133], v[136:137]
	v_div_fixup_f64 v[120:121], v[130:131], v[120:121], 1.0
; %bb.512:
	s_or_b64 exec, exec, s[0:1]
	v_cmp_ne_u32_e32 vcc, v125, v122
	s_and_saveexec_b64 s[0:1], vcc
	s_xor_b64 s[0:1], exec, s[0:1]
	s_cbranch_execz .LBB114_518
; %bb.513:
	v_cmp_eq_u32_e32 vcc, 30, v125
	s_and_saveexec_b64 s[2:3], vcc
	s_cbranch_execz .LBB114_517
; %bb.514:
	v_cmp_ne_u32_e32 vcc, 30, v122
	s_xor_b64 s[14:15], s[6:7], -1
	s_and_b64 s[16:17], s[14:15], vcc
	s_and_saveexec_b64 s[14:15], s[16:17]
	s_cbranch_execz .LBB114_516
; %bb.515:
	v_ashrrev_i32_e32 v123, 31, v122
	v_lshlrev_b64 v[130:131], 2, v[122:123]
	v_add_co_u32_e32 v130, vcc, v4, v130
	v_addc_co_u32_e32 v131, vcc, v5, v131, vcc
	flat_load_dword v123, v[130:131]
	flat_load_dword v125, v[4:5] offset:120
	s_waitcnt vmcnt(0) lgkmcnt(0)
	flat_store_dword v[4:5], v123 offset:120
	flat_store_dword v[130:131], v125
.LBB114_516:
	s_or_b64 exec, exec, s[14:15]
	v_mov_b32_e32 v123, v122
	v_mov_b32_e32 v125, v122
.LBB114_517:
	s_or_b64 exec, exec, s[2:3]
.LBB114_518:
	s_andn2_saveexec_b64 s[0:1], s[0:1]
	s_cbranch_execz .LBB114_520
; %bb.519:
	v_mov_b32_e32 v125, 30
	ds_write2_b64 v124, v[54:55], v[52:53] offset0:31 offset1:32
	ds_write2_b64 v124, v[50:51], v[48:49] offset0:33 offset1:34
	;; [unrolled: 1-line block ×13, first 2 shown]
	ds_write_b64 v124, v[118:119] offset:456
.LBB114_520:
	s_or_b64 exec, exec, s[0:1]
	v_cmp_lt_i32_e32 vcc, 30, v125
	s_waitcnt lgkmcnt(0)
	s_barrier
	s_and_saveexec_b64 s[0:1], vcc
	s_cbranch_execz .LBB114_522
; %bb.521:
	ds_read2_b64 v[130:133], v124 offset0:31 offset1:32
	ds_read2_b64 v[134:137], v124 offset0:33 offset1:34
	v_mul_f64 v[56:57], v[120:121], v[56:57]
	ds_read2_b64 v[138:141], v124 offset0:35 offset1:36
	ds_read_b64 v[120:121], v124 offset:456
	s_waitcnt lgkmcnt(0)
	v_fma_f64 v[54:55], -v[56:57], v[130:131], v[54:55]
	v_fma_f64 v[52:53], -v[56:57], v[132:133], v[52:53]
	ds_read2_b64 v[130:133], v124 offset0:37 offset1:38
	v_fma_f64 v[50:51], -v[56:57], v[134:135], v[50:51]
	v_fma_f64 v[48:49], -v[56:57], v[136:137], v[48:49]
	;; [unrolled: 1-line block ×3, first 2 shown]
	ds_read2_b64 v[134:137], v124 offset0:39 offset1:40
	v_fma_f64 v[44:45], -v[56:57], v[140:141], v[44:45]
	ds_read2_b64 v[138:141], v124 offset0:41 offset1:42
	s_waitcnt lgkmcnt(0)
	v_fma_f64 v[42:43], -v[56:57], v[130:131], v[42:43]
	v_fma_f64 v[40:41], -v[56:57], v[132:133], v[40:41]
	ds_read2_b64 v[130:133], v124 offset0:43 offset1:44
	v_fma_f64 v[38:39], -v[56:57], v[134:135], v[38:39]
	v_fma_f64 v[36:37], -v[56:57], v[136:137], v[36:37]
	ds_read2_b64 v[134:137], v124 offset0:45 offset1:46
	v_fma_f64 v[34:35], -v[56:57], v[138:139], v[34:35]
	v_fma_f64 v[32:33], -v[56:57], v[140:141], v[32:33]
	s_waitcnt lgkmcnt(0)
	v_fma_f64 v[30:31], -v[56:57], v[130:131], v[30:31]
	ds_read2_b64 v[138:141], v124 offset0:47 offset1:48
	v_fma_f64 v[28:29], -v[56:57], v[132:133], v[28:29]
	ds_read2_b64 v[130:133], v124 offset0:49 offset1:50
	v_fma_f64 v[26:27], -v[56:57], v[134:135], v[26:27]
	v_fma_f64 v[24:25], -v[56:57], v[136:137], v[24:25]
	s_waitcnt lgkmcnt(0)
	v_fma_f64 v[22:23], -v[56:57], v[138:139], v[22:23]
	ds_read2_b64 v[134:137], v124 offset0:51 offset1:52
	v_fma_f64 v[20:21], -v[56:57], v[140:141], v[20:21]
	v_fma_f64 v[18:19], -v[56:57], v[130:131], v[18:19]
	;; [unrolled: 1-line block ×3, first 2 shown]
	ds_read2_b64 v[130:133], v124 offset0:53 offset1:54
	ds_read2_b64 v[138:141], v124 offset0:55 offset1:56
	s_waitcnt lgkmcnt(0)
	v_fma_f64 v[14:15], -v[56:57], v[134:135], v[14:15]
	v_fma_f64 v[12:13], -v[56:57], v[136:137], v[12:13]
	;; [unrolled: 1-line block ×7, first 2 shown]
.LBB114_522:
	s_or_b64 exec, exec, s[0:1]
	v_lshl_add_u32 v120, v125, 3, v124
	s_barrier
	ds_write_b64 v120, v[54:55]
	s_waitcnt lgkmcnt(0)
	s_barrier
	ds_read_b64 v[120:121], v124 offset:248
	s_cmp_lt_i32 s18, 33
	v_mov_b32_e32 v122, 31
	s_cbranch_scc1 .LBB114_525
; %bb.523:
	v_add_u32_e32 v129, 0x100, v124
	s_mov_b32 s0, 32
	v_mov_b32_e32 v122, 31
.LBB114_524:                            ; =>This Inner Loop Header: Depth=1
	ds_read_b64 v[130:131], v129
	v_mov_b32_e32 v132, s0
	s_add_i32 s0, s0, 1
	v_add_u32_e32 v129, 8, v129
	s_cmp_lg_u32 s18, s0
	s_waitcnt lgkmcnt(0)
	v_cmp_lt_f64_e64 vcc, |v[120:121]|, |v[130:131]|
	v_cndmask_b32_e32 v121, v121, v131, vcc
	v_cndmask_b32_e32 v120, v120, v130, vcc
	;; [unrolled: 1-line block ×3, first 2 shown]
	s_cbranch_scc1 .LBB114_524
.LBB114_525:
	s_waitcnt lgkmcnt(0)
	v_cmp_eq_f64_e32 vcc, 0, v[120:121]
	s_and_saveexec_b64 s[0:1], vcc
	s_xor_b64 s[0:1], exec, s[0:1]
; %bb.526:
	v_cmp_ne_u32_e32 vcc, 0, v128
	v_cndmask_b32_e32 v128, 32, v128, vcc
; %bb.527:
	s_andn2_saveexec_b64 s[0:1], s[0:1]
; %bb.528:
	v_div_scale_f64 v[130:131], s[2:3], v[120:121], v[120:121], 1.0
	v_rcp_f64_e32 v[132:133], v[130:131]
	v_div_scale_f64 v[134:135], vcc, 1.0, v[120:121], 1.0
	v_fma_f64 v[136:137], -v[130:131], v[132:133], 1.0
	v_fmac_f64_e32 v[132:133], v[132:133], v[136:137]
	v_fma_f64 v[136:137], -v[130:131], v[132:133], 1.0
	v_fmac_f64_e32 v[132:133], v[132:133], v[136:137]
	v_mul_f64 v[136:137], v[134:135], v[132:133]
	v_fma_f64 v[130:131], -v[130:131], v[136:137], v[134:135]
	v_div_fmas_f64 v[130:131], v[130:131], v[132:133], v[136:137]
	v_div_fixup_f64 v[120:121], v[130:131], v[120:121], 1.0
; %bb.529:
	s_or_b64 exec, exec, s[0:1]
	v_cmp_ne_u32_e32 vcc, v125, v122
	s_and_saveexec_b64 s[0:1], vcc
	s_xor_b64 s[0:1], exec, s[0:1]
	s_cbranch_execz .LBB114_535
; %bb.530:
	v_cmp_eq_u32_e32 vcc, 31, v125
	s_and_saveexec_b64 s[2:3], vcc
	s_cbranch_execz .LBB114_534
; %bb.531:
	v_cmp_ne_u32_e32 vcc, 31, v122
	s_xor_b64 s[14:15], s[6:7], -1
	s_and_b64 s[16:17], s[14:15], vcc
	s_and_saveexec_b64 s[14:15], s[16:17]
	s_cbranch_execz .LBB114_533
; %bb.532:
	v_ashrrev_i32_e32 v123, 31, v122
	v_lshlrev_b64 v[130:131], 2, v[122:123]
	v_add_co_u32_e32 v130, vcc, v4, v130
	v_addc_co_u32_e32 v131, vcc, v5, v131, vcc
	flat_load_dword v123, v[130:131]
	flat_load_dword v125, v[4:5] offset:124
	s_waitcnt vmcnt(0) lgkmcnt(0)
	flat_store_dword v[4:5], v123 offset:124
	flat_store_dword v[130:131], v125
.LBB114_533:
	s_or_b64 exec, exec, s[14:15]
	v_mov_b32_e32 v123, v122
	v_mov_b32_e32 v125, v122
.LBB114_534:
	s_or_b64 exec, exec, s[2:3]
.LBB114_535:
	s_andn2_saveexec_b64 s[0:1], s[0:1]
	s_cbranch_execz .LBB114_537
; %bb.536:
	v_mov_b32_e32 v130, v52
	v_mov_b32_e32 v131, v53
	v_mov_b32_e32 v132, v50
	v_mov_b32_e32 v133, v51
	ds_write2_b64 v124, v[130:131], v[132:133] offset0:32 offset1:33
	v_mov_b32_e32 v130, v48
	v_mov_b32_e32 v131, v49
	v_mov_b32_e32 v132, v46
	v_mov_b32_e32 v133, v47
	ds_write2_b64 v124, v[130:131], v[132:133] offset0:34 offset1:35
	;; [unrolled: 5-line block ×12, first 2 shown]
	v_mov_b32_e32 v130, v0
	v_mov_b32_e32 v131, v1
	;; [unrolled: 1-line block ×3, first 2 shown]
	ds_write2_b64 v124, v[130:131], v[118:119] offset0:56 offset1:57
.LBB114_537:
	s_or_b64 exec, exec, s[0:1]
	v_cmp_lt_i32_e32 vcc, 31, v125
	s_waitcnt lgkmcnt(0)
	s_barrier
	s_and_saveexec_b64 s[0:1], vcc
	s_cbranch_execz .LBB114_539
; %bb.538:
	ds_read2_b64 v[130:133], v124 offset0:32 offset1:33
	ds_read2_b64 v[134:137], v124 offset0:34 offset1:35
	v_mul_f64 v[54:55], v[120:121], v[54:55]
	ds_read2_b64 v[138:141], v124 offset0:36 offset1:37
	s_waitcnt lgkmcnt(0)
	v_fma_f64 v[52:53], -v[54:55], v[130:131], v[52:53]
	v_fma_f64 v[50:51], -v[54:55], v[132:133], v[50:51]
	ds_read2_b64 v[130:133], v124 offset0:38 offset1:39
	v_fma_f64 v[48:49], -v[54:55], v[134:135], v[48:49]
	v_fma_f64 v[46:47], -v[54:55], v[136:137], v[46:47]
	;; [unrolled: 1-line block ×3, first 2 shown]
	ds_read2_b64 v[134:137], v124 offset0:40 offset1:41
	v_fma_f64 v[42:43], -v[54:55], v[140:141], v[42:43]
	ds_read2_b64 v[138:141], v124 offset0:42 offset1:43
	s_waitcnt lgkmcnt(0)
	v_fma_f64 v[40:41], -v[54:55], v[130:131], v[40:41]
	v_fma_f64 v[38:39], -v[54:55], v[132:133], v[38:39]
	ds_read2_b64 v[130:133], v124 offset0:44 offset1:45
	v_fma_f64 v[36:37], -v[54:55], v[134:135], v[36:37]
	v_fma_f64 v[34:35], -v[54:55], v[136:137], v[34:35]
	ds_read2_b64 v[134:137], v124 offset0:46 offset1:47
	v_fma_f64 v[32:33], -v[54:55], v[138:139], v[32:33]
	v_fma_f64 v[30:31], -v[54:55], v[140:141], v[30:31]
	s_waitcnt lgkmcnt(0)
	v_fma_f64 v[28:29], -v[54:55], v[130:131], v[28:29]
	ds_read2_b64 v[138:141], v124 offset0:48 offset1:49
	v_fma_f64 v[26:27], -v[54:55], v[132:133], v[26:27]
	ds_read2_b64 v[130:133], v124 offset0:50 offset1:51
	v_fma_f64 v[24:25], -v[54:55], v[134:135], v[24:25]
	v_fma_f64 v[22:23], -v[54:55], v[136:137], v[22:23]
	s_waitcnt lgkmcnt(0)
	v_fma_f64 v[20:21], -v[54:55], v[138:139], v[20:21]
	v_fma_f64 v[18:19], -v[54:55], v[140:141], v[18:19]
	ds_read2_b64 v[134:137], v124 offset0:52 offset1:53
	ds_read2_b64 v[138:141], v124 offset0:54 offset1:55
	v_fma_f64 v[16:17], -v[54:55], v[130:131], v[16:17]
	v_fma_f64 v[14:15], -v[54:55], v[132:133], v[14:15]
	ds_read2_b64 v[130:133], v124 offset0:56 offset1:57
	s_waitcnt lgkmcnt(0)
	v_fma_f64 v[12:13], -v[54:55], v[134:135], v[12:13]
	v_fma_f64 v[10:11], -v[54:55], v[136:137], v[10:11]
	;; [unrolled: 1-line block ×6, first 2 shown]
.LBB114_539:
	s_or_b64 exec, exec, s[0:1]
	v_lshl_add_u32 v120, v125, 3, v124
	s_barrier
	ds_write_b64 v120, v[52:53]
	s_waitcnt lgkmcnt(0)
	s_barrier
	ds_read_b64 v[120:121], v124 offset:256
	s_cmp_lt_i32 s18, 34
	v_mov_b32_e32 v122, 32
	s_cbranch_scc1 .LBB114_542
; %bb.540:
	v_add_u32_e32 v129, 0x108, v124
	s_mov_b32 s0, 33
	v_mov_b32_e32 v122, 32
.LBB114_541:                            ; =>This Inner Loop Header: Depth=1
	ds_read_b64 v[130:131], v129
	v_mov_b32_e32 v132, s0
	s_add_i32 s0, s0, 1
	v_add_u32_e32 v129, 8, v129
	s_cmp_lg_u32 s18, s0
	s_waitcnt lgkmcnt(0)
	v_cmp_lt_f64_e64 vcc, |v[120:121]|, |v[130:131]|
	v_cndmask_b32_e32 v121, v121, v131, vcc
	v_cndmask_b32_e32 v120, v120, v130, vcc
	;; [unrolled: 1-line block ×3, first 2 shown]
	s_cbranch_scc1 .LBB114_541
.LBB114_542:
	s_waitcnt lgkmcnt(0)
	v_cmp_eq_f64_e32 vcc, 0, v[120:121]
	s_and_saveexec_b64 s[0:1], vcc
	s_xor_b64 s[0:1], exec, s[0:1]
; %bb.543:
	v_cmp_ne_u32_e32 vcc, 0, v128
	v_cndmask_b32_e32 v128, 33, v128, vcc
; %bb.544:
	s_andn2_saveexec_b64 s[0:1], s[0:1]
; %bb.545:
	v_div_scale_f64 v[130:131], s[2:3], v[120:121], v[120:121], 1.0
	v_rcp_f64_e32 v[132:133], v[130:131]
	v_div_scale_f64 v[134:135], vcc, 1.0, v[120:121], 1.0
	v_fma_f64 v[136:137], -v[130:131], v[132:133], 1.0
	v_fmac_f64_e32 v[132:133], v[132:133], v[136:137]
	v_fma_f64 v[136:137], -v[130:131], v[132:133], 1.0
	v_fmac_f64_e32 v[132:133], v[132:133], v[136:137]
	v_mul_f64 v[136:137], v[134:135], v[132:133]
	v_fma_f64 v[130:131], -v[130:131], v[136:137], v[134:135]
	v_div_fmas_f64 v[130:131], v[130:131], v[132:133], v[136:137]
	v_div_fixup_f64 v[120:121], v[130:131], v[120:121], 1.0
; %bb.546:
	s_or_b64 exec, exec, s[0:1]
	v_cmp_ne_u32_e32 vcc, v125, v122
	s_and_saveexec_b64 s[0:1], vcc
	s_xor_b64 s[0:1], exec, s[0:1]
	s_cbranch_execz .LBB114_552
; %bb.547:
	v_cmp_eq_u32_e32 vcc, 32, v125
	s_and_saveexec_b64 s[2:3], vcc
	s_cbranch_execz .LBB114_551
; %bb.548:
	v_cmp_ne_u32_e32 vcc, 32, v122
	s_xor_b64 s[14:15], s[6:7], -1
	s_and_b64 s[16:17], s[14:15], vcc
	s_and_saveexec_b64 s[14:15], s[16:17]
	s_cbranch_execz .LBB114_550
; %bb.549:
	v_ashrrev_i32_e32 v123, 31, v122
	v_lshlrev_b64 v[130:131], 2, v[122:123]
	v_add_co_u32_e32 v130, vcc, v4, v130
	v_addc_co_u32_e32 v131, vcc, v5, v131, vcc
	flat_load_dword v123, v[130:131]
	flat_load_dword v125, v[4:5] offset:128
	s_waitcnt vmcnt(0) lgkmcnt(0)
	flat_store_dword v[4:5], v123 offset:128
	flat_store_dword v[130:131], v125
.LBB114_550:
	s_or_b64 exec, exec, s[14:15]
	v_mov_b32_e32 v123, v122
	v_mov_b32_e32 v125, v122
.LBB114_551:
	s_or_b64 exec, exec, s[2:3]
.LBB114_552:
	s_andn2_saveexec_b64 s[0:1], s[0:1]
	s_cbranch_execz .LBB114_554
; %bb.553:
	v_mov_b32_e32 v125, 32
	ds_write2_b64 v124, v[50:51], v[48:49] offset0:33 offset1:34
	ds_write2_b64 v124, v[46:47], v[44:45] offset0:35 offset1:36
	;; [unrolled: 1-line block ×12, first 2 shown]
	ds_write_b64 v124, v[118:119] offset:456
.LBB114_554:
	s_or_b64 exec, exec, s[0:1]
	v_cmp_lt_i32_e32 vcc, 32, v125
	s_waitcnt lgkmcnt(0)
	s_barrier
	s_and_saveexec_b64 s[0:1], vcc
	s_cbranch_execz .LBB114_556
; %bb.555:
	ds_read2_b64 v[130:133], v124 offset0:33 offset1:34
	ds_read2_b64 v[134:137], v124 offset0:35 offset1:36
	;; [unrolled: 1-line block ×3, first 2 shown]
	v_mul_f64 v[52:53], v[120:121], v[52:53]
	ds_read_b64 v[120:121], v124 offset:456
	s_waitcnt lgkmcnt(0)
	v_fma_f64 v[50:51], -v[52:53], v[130:131], v[50:51]
	v_fma_f64 v[48:49], -v[52:53], v[132:133], v[48:49]
	ds_read2_b64 v[130:133], v124 offset0:39 offset1:40
	v_fma_f64 v[46:47], -v[52:53], v[134:135], v[46:47]
	v_fma_f64 v[44:45], -v[52:53], v[136:137], v[44:45]
	;; [unrolled: 1-line block ×3, first 2 shown]
	ds_read2_b64 v[134:137], v124 offset0:41 offset1:42
	v_fma_f64 v[40:41], -v[52:53], v[140:141], v[40:41]
	ds_read2_b64 v[138:141], v124 offset0:43 offset1:44
	s_waitcnt lgkmcnt(0)
	v_fma_f64 v[38:39], -v[52:53], v[130:131], v[38:39]
	v_fma_f64 v[36:37], -v[52:53], v[132:133], v[36:37]
	;; [unrolled: 1-line block ×3, first 2 shown]
	ds_read2_b64 v[130:133], v124 offset0:45 offset1:46
	v_fma_f64 v[32:33], -v[52:53], v[136:137], v[32:33]
	ds_read2_b64 v[134:137], v124 offset0:47 offset1:48
	v_fma_f64 v[30:31], -v[52:53], v[138:139], v[30:31]
	v_fma_f64 v[28:29], -v[52:53], v[140:141], v[28:29]
	ds_read2_b64 v[138:141], v124 offset0:49 offset1:50
	s_waitcnt lgkmcnt(0)
	v_fma_f64 v[26:27], -v[52:53], v[130:131], v[26:27]
	v_fma_f64 v[24:25], -v[52:53], v[132:133], v[24:25]
	ds_read2_b64 v[130:133], v124 offset0:51 offset1:52
	v_fma_f64 v[22:23], -v[52:53], v[134:135], v[22:23]
	v_fma_f64 v[20:21], -v[52:53], v[136:137], v[20:21]
	;; [unrolled: 1-line block ×4, first 2 shown]
	ds_read2_b64 v[134:137], v124 offset0:53 offset1:54
	ds_read2_b64 v[138:141], v124 offset0:55 offset1:56
	s_waitcnt lgkmcnt(0)
	v_fma_f64 v[14:15], -v[52:53], v[130:131], v[14:15]
	v_fma_f64 v[12:13], -v[52:53], v[132:133], v[12:13]
	;; [unrolled: 1-line block ×7, first 2 shown]
.LBB114_556:
	s_or_b64 exec, exec, s[0:1]
	v_lshl_add_u32 v120, v125, 3, v124
	s_barrier
	ds_write_b64 v120, v[50:51]
	s_waitcnt lgkmcnt(0)
	s_barrier
	ds_read_b64 v[120:121], v124 offset:264
	s_cmp_lt_i32 s18, 35
	v_mov_b32_e32 v122, 33
	s_cbranch_scc1 .LBB114_559
; %bb.557:
	v_add_u32_e32 v129, 0x110, v124
	s_mov_b32 s0, 34
	v_mov_b32_e32 v122, 33
.LBB114_558:                            ; =>This Inner Loop Header: Depth=1
	ds_read_b64 v[130:131], v129
	v_mov_b32_e32 v132, s0
	s_add_i32 s0, s0, 1
	v_add_u32_e32 v129, 8, v129
	s_cmp_lg_u32 s18, s0
	s_waitcnt lgkmcnt(0)
	v_cmp_lt_f64_e64 vcc, |v[120:121]|, |v[130:131]|
	v_cndmask_b32_e32 v121, v121, v131, vcc
	v_cndmask_b32_e32 v120, v120, v130, vcc
	;; [unrolled: 1-line block ×3, first 2 shown]
	s_cbranch_scc1 .LBB114_558
.LBB114_559:
	s_waitcnt lgkmcnt(0)
	v_cmp_eq_f64_e32 vcc, 0, v[120:121]
	s_and_saveexec_b64 s[0:1], vcc
	s_xor_b64 s[0:1], exec, s[0:1]
; %bb.560:
	v_cmp_ne_u32_e32 vcc, 0, v128
	v_cndmask_b32_e32 v128, 34, v128, vcc
; %bb.561:
	s_andn2_saveexec_b64 s[0:1], s[0:1]
; %bb.562:
	v_div_scale_f64 v[130:131], s[2:3], v[120:121], v[120:121], 1.0
	v_rcp_f64_e32 v[132:133], v[130:131]
	v_div_scale_f64 v[134:135], vcc, 1.0, v[120:121], 1.0
	v_fma_f64 v[136:137], -v[130:131], v[132:133], 1.0
	v_fmac_f64_e32 v[132:133], v[132:133], v[136:137]
	v_fma_f64 v[136:137], -v[130:131], v[132:133], 1.0
	v_fmac_f64_e32 v[132:133], v[132:133], v[136:137]
	v_mul_f64 v[136:137], v[134:135], v[132:133]
	v_fma_f64 v[130:131], -v[130:131], v[136:137], v[134:135]
	v_div_fmas_f64 v[130:131], v[130:131], v[132:133], v[136:137]
	v_div_fixup_f64 v[120:121], v[130:131], v[120:121], 1.0
; %bb.563:
	s_or_b64 exec, exec, s[0:1]
	v_cmp_ne_u32_e32 vcc, v125, v122
	s_and_saveexec_b64 s[0:1], vcc
	s_xor_b64 s[0:1], exec, s[0:1]
	s_cbranch_execz .LBB114_569
; %bb.564:
	v_cmp_eq_u32_e32 vcc, 33, v125
	s_and_saveexec_b64 s[2:3], vcc
	s_cbranch_execz .LBB114_568
; %bb.565:
	v_cmp_ne_u32_e32 vcc, 33, v122
	s_xor_b64 s[14:15], s[6:7], -1
	s_and_b64 s[16:17], s[14:15], vcc
	s_and_saveexec_b64 s[14:15], s[16:17]
	s_cbranch_execz .LBB114_567
; %bb.566:
	v_ashrrev_i32_e32 v123, 31, v122
	v_lshlrev_b64 v[130:131], 2, v[122:123]
	v_add_co_u32_e32 v130, vcc, v4, v130
	v_addc_co_u32_e32 v131, vcc, v5, v131, vcc
	flat_load_dword v123, v[130:131]
	flat_load_dword v125, v[4:5] offset:132
	s_waitcnt vmcnt(0) lgkmcnt(0)
	flat_store_dword v[4:5], v123 offset:132
	flat_store_dword v[130:131], v125
.LBB114_567:
	s_or_b64 exec, exec, s[14:15]
	v_mov_b32_e32 v123, v122
	v_mov_b32_e32 v125, v122
.LBB114_568:
	s_or_b64 exec, exec, s[2:3]
.LBB114_569:
	s_andn2_saveexec_b64 s[0:1], s[0:1]
	s_cbranch_execz .LBB114_571
; %bb.570:
	v_mov_b32_e32 v130, v48
	v_mov_b32_e32 v131, v49
	v_mov_b32_e32 v132, v46
	v_mov_b32_e32 v133, v47
	ds_write2_b64 v124, v[130:131], v[132:133] offset0:34 offset1:35
	v_mov_b32_e32 v130, v44
	v_mov_b32_e32 v131, v45
	v_mov_b32_e32 v132, v42
	v_mov_b32_e32 v133, v43
	ds_write2_b64 v124, v[130:131], v[132:133] offset0:36 offset1:37
	;; [unrolled: 5-line block ×11, first 2 shown]
	v_mov_b32_e32 v130, v0
	v_mov_b32_e32 v131, v1
	;; [unrolled: 1-line block ×3, first 2 shown]
	ds_write2_b64 v124, v[130:131], v[118:119] offset0:56 offset1:57
.LBB114_571:
	s_or_b64 exec, exec, s[0:1]
	v_cmp_lt_i32_e32 vcc, 33, v125
	s_waitcnt lgkmcnt(0)
	s_barrier
	s_and_saveexec_b64 s[0:1], vcc
	s_cbranch_execz .LBB114_573
; %bb.572:
	ds_read2_b64 v[130:133], v124 offset0:34 offset1:35
	ds_read2_b64 v[134:137], v124 offset0:36 offset1:37
	;; [unrolled: 1-line block ×3, first 2 shown]
	v_mul_f64 v[50:51], v[120:121], v[50:51]
	s_waitcnt lgkmcnt(0)
	v_fma_f64 v[48:49], -v[50:51], v[130:131], v[48:49]
	v_fma_f64 v[46:47], -v[50:51], v[132:133], v[46:47]
	ds_read2_b64 v[130:133], v124 offset0:40 offset1:41
	v_fma_f64 v[44:45], -v[50:51], v[134:135], v[44:45]
	v_fma_f64 v[42:43], -v[50:51], v[136:137], v[42:43]
	;; [unrolled: 1-line block ×3, first 2 shown]
	ds_read2_b64 v[134:137], v124 offset0:42 offset1:43
	v_fma_f64 v[38:39], -v[50:51], v[140:141], v[38:39]
	ds_read2_b64 v[138:141], v124 offset0:44 offset1:45
	s_waitcnt lgkmcnt(0)
	v_fma_f64 v[36:37], -v[50:51], v[130:131], v[36:37]
	v_fma_f64 v[34:35], -v[50:51], v[132:133], v[34:35]
	;; [unrolled: 1-line block ×3, first 2 shown]
	ds_read2_b64 v[130:133], v124 offset0:46 offset1:47
	v_fma_f64 v[30:31], -v[50:51], v[136:137], v[30:31]
	ds_read2_b64 v[134:137], v124 offset0:48 offset1:49
	v_fma_f64 v[28:29], -v[50:51], v[138:139], v[28:29]
	v_fma_f64 v[26:27], -v[50:51], v[140:141], v[26:27]
	ds_read2_b64 v[138:141], v124 offset0:50 offset1:51
	s_waitcnt lgkmcnt(0)
	v_fma_f64 v[24:25], -v[50:51], v[130:131], v[24:25]
	v_fma_f64 v[22:23], -v[50:51], v[132:133], v[22:23]
	ds_read2_b64 v[130:133], v124 offset0:52 offset1:53
	v_fma_f64 v[20:21], -v[50:51], v[134:135], v[20:21]
	v_fma_f64 v[18:19], -v[50:51], v[136:137], v[18:19]
	;; [unrolled: 1-line block ×3, first 2 shown]
	ds_read2_b64 v[134:137], v124 offset0:54 offset1:55
	v_fma_f64 v[14:15], -v[50:51], v[140:141], v[14:15]
	ds_read2_b64 v[138:141], v124 offset0:56 offset1:57
	s_waitcnt lgkmcnt(0)
	v_fma_f64 v[12:13], -v[50:51], v[130:131], v[12:13]
	v_fma_f64 v[10:11], -v[50:51], v[132:133], v[10:11]
	;; [unrolled: 1-line block ×6, first 2 shown]
.LBB114_573:
	s_or_b64 exec, exec, s[0:1]
	v_lshl_add_u32 v120, v125, 3, v124
	s_barrier
	ds_write_b64 v120, v[48:49]
	s_waitcnt lgkmcnt(0)
	s_barrier
	ds_read_b64 v[120:121], v124 offset:272
	s_cmp_lt_i32 s18, 36
	v_mov_b32_e32 v122, 34
	s_cbranch_scc1 .LBB114_576
; %bb.574:
	v_add_u32_e32 v129, 0x118, v124
	s_mov_b32 s0, 35
	v_mov_b32_e32 v122, 34
.LBB114_575:                            ; =>This Inner Loop Header: Depth=1
	ds_read_b64 v[130:131], v129
	v_mov_b32_e32 v132, s0
	s_add_i32 s0, s0, 1
	v_add_u32_e32 v129, 8, v129
	s_cmp_lg_u32 s18, s0
	s_waitcnt lgkmcnt(0)
	v_cmp_lt_f64_e64 vcc, |v[120:121]|, |v[130:131]|
	v_cndmask_b32_e32 v121, v121, v131, vcc
	v_cndmask_b32_e32 v120, v120, v130, vcc
	;; [unrolled: 1-line block ×3, first 2 shown]
	s_cbranch_scc1 .LBB114_575
.LBB114_576:
	s_waitcnt lgkmcnt(0)
	v_cmp_eq_f64_e32 vcc, 0, v[120:121]
	s_and_saveexec_b64 s[0:1], vcc
	s_xor_b64 s[0:1], exec, s[0:1]
; %bb.577:
	v_cmp_ne_u32_e32 vcc, 0, v128
	v_cndmask_b32_e32 v128, 35, v128, vcc
; %bb.578:
	s_andn2_saveexec_b64 s[0:1], s[0:1]
; %bb.579:
	v_div_scale_f64 v[130:131], s[2:3], v[120:121], v[120:121], 1.0
	v_rcp_f64_e32 v[132:133], v[130:131]
	v_div_scale_f64 v[134:135], vcc, 1.0, v[120:121], 1.0
	v_fma_f64 v[136:137], -v[130:131], v[132:133], 1.0
	v_fmac_f64_e32 v[132:133], v[132:133], v[136:137]
	v_fma_f64 v[136:137], -v[130:131], v[132:133], 1.0
	v_fmac_f64_e32 v[132:133], v[132:133], v[136:137]
	v_mul_f64 v[136:137], v[134:135], v[132:133]
	v_fma_f64 v[130:131], -v[130:131], v[136:137], v[134:135]
	v_div_fmas_f64 v[130:131], v[130:131], v[132:133], v[136:137]
	v_div_fixup_f64 v[120:121], v[130:131], v[120:121], 1.0
; %bb.580:
	s_or_b64 exec, exec, s[0:1]
	v_cmp_ne_u32_e32 vcc, v125, v122
	s_and_saveexec_b64 s[0:1], vcc
	s_xor_b64 s[0:1], exec, s[0:1]
	s_cbranch_execz .LBB114_586
; %bb.581:
	v_cmp_eq_u32_e32 vcc, 34, v125
	s_and_saveexec_b64 s[2:3], vcc
	s_cbranch_execz .LBB114_585
; %bb.582:
	v_cmp_ne_u32_e32 vcc, 34, v122
	s_xor_b64 s[14:15], s[6:7], -1
	s_and_b64 s[16:17], s[14:15], vcc
	s_and_saveexec_b64 s[14:15], s[16:17]
	s_cbranch_execz .LBB114_584
; %bb.583:
	v_ashrrev_i32_e32 v123, 31, v122
	v_lshlrev_b64 v[130:131], 2, v[122:123]
	v_add_co_u32_e32 v130, vcc, v4, v130
	v_addc_co_u32_e32 v131, vcc, v5, v131, vcc
	flat_load_dword v123, v[130:131]
	flat_load_dword v125, v[4:5] offset:136
	s_waitcnt vmcnt(0) lgkmcnt(0)
	flat_store_dword v[4:5], v123 offset:136
	flat_store_dword v[130:131], v125
.LBB114_584:
	s_or_b64 exec, exec, s[14:15]
	v_mov_b32_e32 v123, v122
	v_mov_b32_e32 v125, v122
.LBB114_585:
	s_or_b64 exec, exec, s[2:3]
.LBB114_586:
	s_andn2_saveexec_b64 s[0:1], s[0:1]
	s_cbranch_execz .LBB114_588
; %bb.587:
	v_mov_b32_e32 v125, 34
	ds_write2_b64 v124, v[46:47], v[44:45] offset0:35 offset1:36
	ds_write2_b64 v124, v[42:43], v[40:41] offset0:37 offset1:38
	;; [unrolled: 1-line block ×11, first 2 shown]
	ds_write_b64 v124, v[118:119] offset:456
.LBB114_588:
	s_or_b64 exec, exec, s[0:1]
	v_cmp_lt_i32_e32 vcc, 34, v125
	s_waitcnt lgkmcnt(0)
	s_barrier
	s_and_saveexec_b64 s[0:1], vcc
	s_cbranch_execz .LBB114_590
; %bb.589:
	ds_read2_b64 v[130:133], v124 offset0:35 offset1:36
	ds_read2_b64 v[134:137], v124 offset0:37 offset1:38
	v_mul_f64 v[48:49], v[120:121], v[48:49]
	ds_read2_b64 v[138:141], v124 offset0:39 offset1:40
	ds_read_b64 v[120:121], v124 offset:456
	s_waitcnt lgkmcnt(0)
	v_fma_f64 v[46:47], -v[48:49], v[130:131], v[46:47]
	v_fma_f64 v[44:45], -v[48:49], v[132:133], v[44:45]
	ds_read2_b64 v[130:133], v124 offset0:41 offset1:42
	v_fma_f64 v[42:43], -v[48:49], v[134:135], v[42:43]
	v_fma_f64 v[40:41], -v[48:49], v[136:137], v[40:41]
	ds_read2_b64 v[134:137], v124 offset0:43 offset1:44
	;; [unrolled: 3-line block ×3, first 2 shown]
	s_waitcnt lgkmcnt(0)
	v_fma_f64 v[34:35], -v[48:49], v[130:131], v[34:35]
	v_fma_f64 v[32:33], -v[48:49], v[132:133], v[32:33]
	v_fma_f64 v[30:31], -v[48:49], v[134:135], v[30:31]
	ds_read2_b64 v[130:133], v124 offset0:47 offset1:48
	v_fma_f64 v[28:29], -v[48:49], v[136:137], v[28:29]
	ds_read2_b64 v[134:137], v124 offset0:49 offset1:50
	v_fma_f64 v[26:27], -v[48:49], v[138:139], v[26:27]
	v_fma_f64 v[24:25], -v[48:49], v[140:141], v[24:25]
	s_waitcnt lgkmcnt(0)
	v_fma_f64 v[22:23], -v[48:49], v[130:131], v[22:23]
	ds_read2_b64 v[138:141], v124 offset0:51 offset1:52
	v_fma_f64 v[20:21], -v[48:49], v[132:133], v[20:21]
	ds_read2_b64 v[130:133], v124 offset0:53 offset1:54
	v_fma_f64 v[18:19], -v[48:49], v[134:135], v[18:19]
	v_fma_f64 v[16:17], -v[48:49], v[136:137], v[16:17]
	ds_read2_b64 v[134:137], v124 offset0:55 offset1:56
	s_waitcnt lgkmcnt(0)
	v_fma_f64 v[14:15], -v[48:49], v[138:139], v[14:15]
	v_fma_f64 v[12:13], -v[48:49], v[140:141], v[12:13]
	;; [unrolled: 1-line block ×7, first 2 shown]
.LBB114_590:
	s_or_b64 exec, exec, s[0:1]
	v_lshl_add_u32 v120, v125, 3, v124
	s_barrier
	ds_write_b64 v120, v[46:47]
	s_waitcnt lgkmcnt(0)
	s_barrier
	ds_read_b64 v[120:121], v124 offset:280
	s_cmp_lt_i32 s18, 37
	v_mov_b32_e32 v122, 35
	s_cbranch_scc1 .LBB114_593
; %bb.591:
	v_add_u32_e32 v129, 0x120, v124
	s_mov_b32 s0, 36
	v_mov_b32_e32 v122, 35
.LBB114_592:                            ; =>This Inner Loop Header: Depth=1
	ds_read_b64 v[130:131], v129
	v_mov_b32_e32 v132, s0
	s_add_i32 s0, s0, 1
	v_add_u32_e32 v129, 8, v129
	s_cmp_lg_u32 s18, s0
	s_waitcnt lgkmcnt(0)
	v_cmp_lt_f64_e64 vcc, |v[120:121]|, |v[130:131]|
	v_cndmask_b32_e32 v121, v121, v131, vcc
	v_cndmask_b32_e32 v120, v120, v130, vcc
	;; [unrolled: 1-line block ×3, first 2 shown]
	s_cbranch_scc1 .LBB114_592
.LBB114_593:
	s_waitcnt lgkmcnt(0)
	v_cmp_eq_f64_e32 vcc, 0, v[120:121]
	s_and_saveexec_b64 s[0:1], vcc
	s_xor_b64 s[0:1], exec, s[0:1]
; %bb.594:
	v_cmp_ne_u32_e32 vcc, 0, v128
	v_cndmask_b32_e32 v128, 36, v128, vcc
; %bb.595:
	s_andn2_saveexec_b64 s[0:1], s[0:1]
; %bb.596:
	v_div_scale_f64 v[130:131], s[2:3], v[120:121], v[120:121], 1.0
	v_rcp_f64_e32 v[132:133], v[130:131]
	v_div_scale_f64 v[134:135], vcc, 1.0, v[120:121], 1.0
	v_fma_f64 v[136:137], -v[130:131], v[132:133], 1.0
	v_fmac_f64_e32 v[132:133], v[132:133], v[136:137]
	v_fma_f64 v[136:137], -v[130:131], v[132:133], 1.0
	v_fmac_f64_e32 v[132:133], v[132:133], v[136:137]
	v_mul_f64 v[136:137], v[134:135], v[132:133]
	v_fma_f64 v[130:131], -v[130:131], v[136:137], v[134:135]
	v_div_fmas_f64 v[130:131], v[130:131], v[132:133], v[136:137]
	v_div_fixup_f64 v[120:121], v[130:131], v[120:121], 1.0
; %bb.597:
	s_or_b64 exec, exec, s[0:1]
	v_cmp_ne_u32_e32 vcc, v125, v122
	s_and_saveexec_b64 s[0:1], vcc
	s_xor_b64 s[0:1], exec, s[0:1]
	s_cbranch_execz .LBB114_603
; %bb.598:
	v_cmp_eq_u32_e32 vcc, 35, v125
	s_and_saveexec_b64 s[2:3], vcc
	s_cbranch_execz .LBB114_602
; %bb.599:
	v_cmp_ne_u32_e32 vcc, 35, v122
	s_xor_b64 s[14:15], s[6:7], -1
	s_and_b64 s[16:17], s[14:15], vcc
	s_and_saveexec_b64 s[14:15], s[16:17]
	s_cbranch_execz .LBB114_601
; %bb.600:
	v_ashrrev_i32_e32 v123, 31, v122
	v_lshlrev_b64 v[130:131], 2, v[122:123]
	v_add_co_u32_e32 v130, vcc, v4, v130
	v_addc_co_u32_e32 v131, vcc, v5, v131, vcc
	flat_load_dword v123, v[130:131]
	flat_load_dword v125, v[4:5] offset:140
	s_waitcnt vmcnt(0) lgkmcnt(0)
	flat_store_dword v[4:5], v123 offset:140
	flat_store_dword v[130:131], v125
.LBB114_601:
	s_or_b64 exec, exec, s[14:15]
	v_mov_b32_e32 v123, v122
	v_mov_b32_e32 v125, v122
.LBB114_602:
	s_or_b64 exec, exec, s[2:3]
.LBB114_603:
	s_andn2_saveexec_b64 s[0:1], s[0:1]
	s_cbranch_execz .LBB114_605
; %bb.604:
	v_mov_b32_e32 v130, v44
	v_mov_b32_e32 v131, v45
	v_mov_b32_e32 v132, v42
	v_mov_b32_e32 v133, v43
	ds_write2_b64 v124, v[130:131], v[132:133] offset0:36 offset1:37
	v_mov_b32_e32 v130, v40
	v_mov_b32_e32 v131, v41
	v_mov_b32_e32 v132, v38
	v_mov_b32_e32 v133, v39
	ds_write2_b64 v124, v[130:131], v[132:133] offset0:38 offset1:39
	;; [unrolled: 5-line block ×10, first 2 shown]
	v_mov_b32_e32 v130, v0
	v_mov_b32_e32 v131, v1
	;; [unrolled: 1-line block ×3, first 2 shown]
	ds_write2_b64 v124, v[130:131], v[118:119] offset0:56 offset1:57
.LBB114_605:
	s_or_b64 exec, exec, s[0:1]
	v_cmp_lt_i32_e32 vcc, 35, v125
	s_waitcnt lgkmcnt(0)
	s_barrier
	s_and_saveexec_b64 s[0:1], vcc
	s_cbranch_execz .LBB114_607
; %bb.606:
	ds_read2_b64 v[130:133], v124 offset0:36 offset1:37
	ds_read2_b64 v[134:137], v124 offset0:38 offset1:39
	v_mul_f64 v[46:47], v[120:121], v[46:47]
	ds_read2_b64 v[138:141], v124 offset0:40 offset1:41
	s_waitcnt lgkmcnt(0)
	v_fma_f64 v[44:45], -v[46:47], v[130:131], v[44:45]
	v_fma_f64 v[42:43], -v[46:47], v[132:133], v[42:43]
	ds_read2_b64 v[130:133], v124 offset0:42 offset1:43
	v_fma_f64 v[40:41], -v[46:47], v[134:135], v[40:41]
	v_fma_f64 v[38:39], -v[46:47], v[136:137], v[38:39]
	ds_read2_b64 v[134:137], v124 offset0:44 offset1:45
	;; [unrolled: 3-line block ×3, first 2 shown]
	s_waitcnt lgkmcnt(0)
	v_fma_f64 v[32:33], -v[46:47], v[130:131], v[32:33]
	v_fma_f64 v[30:31], -v[46:47], v[132:133], v[30:31]
	;; [unrolled: 1-line block ×3, first 2 shown]
	ds_read2_b64 v[130:133], v124 offset0:48 offset1:49
	v_fma_f64 v[26:27], -v[46:47], v[136:137], v[26:27]
	ds_read2_b64 v[134:137], v124 offset0:50 offset1:51
	v_fma_f64 v[24:25], -v[46:47], v[138:139], v[24:25]
	v_fma_f64 v[22:23], -v[46:47], v[140:141], v[22:23]
	s_waitcnt lgkmcnt(0)
	v_fma_f64 v[20:21], -v[46:47], v[130:131], v[20:21]
	v_fma_f64 v[18:19], -v[46:47], v[132:133], v[18:19]
	ds_read2_b64 v[130:133], v124 offset0:52 offset1:53
	ds_read2_b64 v[138:141], v124 offset0:54 offset1:55
	v_fma_f64 v[16:17], -v[46:47], v[134:135], v[16:17]
	v_fma_f64 v[14:15], -v[46:47], v[136:137], v[14:15]
	ds_read2_b64 v[134:137], v124 offset0:56 offset1:57
	s_waitcnt lgkmcnt(0)
	v_fma_f64 v[12:13], -v[46:47], v[130:131], v[12:13]
	v_fma_f64 v[10:11], -v[46:47], v[132:133], v[10:11]
	;; [unrolled: 1-line block ×6, first 2 shown]
.LBB114_607:
	s_or_b64 exec, exec, s[0:1]
	v_lshl_add_u32 v120, v125, 3, v124
	s_barrier
	ds_write_b64 v120, v[44:45]
	s_waitcnt lgkmcnt(0)
	s_barrier
	ds_read_b64 v[120:121], v124 offset:288
	s_cmp_lt_i32 s18, 38
	v_mov_b32_e32 v122, 36
	s_cbranch_scc1 .LBB114_610
; %bb.608:
	v_add_u32_e32 v129, 0x128, v124
	s_mov_b32 s0, 37
	v_mov_b32_e32 v122, 36
.LBB114_609:                            ; =>This Inner Loop Header: Depth=1
	ds_read_b64 v[130:131], v129
	v_mov_b32_e32 v132, s0
	s_add_i32 s0, s0, 1
	v_add_u32_e32 v129, 8, v129
	s_cmp_lg_u32 s18, s0
	s_waitcnt lgkmcnt(0)
	v_cmp_lt_f64_e64 vcc, |v[120:121]|, |v[130:131]|
	v_cndmask_b32_e32 v121, v121, v131, vcc
	v_cndmask_b32_e32 v120, v120, v130, vcc
	v_cndmask_b32_e32 v122, v122, v132, vcc
	s_cbranch_scc1 .LBB114_609
.LBB114_610:
	s_waitcnt lgkmcnt(0)
	v_cmp_eq_f64_e32 vcc, 0, v[120:121]
	s_and_saveexec_b64 s[0:1], vcc
	s_xor_b64 s[0:1], exec, s[0:1]
; %bb.611:
	v_cmp_ne_u32_e32 vcc, 0, v128
	v_cndmask_b32_e32 v128, 37, v128, vcc
; %bb.612:
	s_andn2_saveexec_b64 s[0:1], s[0:1]
; %bb.613:
	v_div_scale_f64 v[130:131], s[2:3], v[120:121], v[120:121], 1.0
	v_rcp_f64_e32 v[132:133], v[130:131]
	v_div_scale_f64 v[134:135], vcc, 1.0, v[120:121], 1.0
	v_fma_f64 v[136:137], -v[130:131], v[132:133], 1.0
	v_fmac_f64_e32 v[132:133], v[132:133], v[136:137]
	v_fma_f64 v[136:137], -v[130:131], v[132:133], 1.0
	v_fmac_f64_e32 v[132:133], v[132:133], v[136:137]
	v_mul_f64 v[136:137], v[134:135], v[132:133]
	v_fma_f64 v[130:131], -v[130:131], v[136:137], v[134:135]
	v_div_fmas_f64 v[130:131], v[130:131], v[132:133], v[136:137]
	v_div_fixup_f64 v[120:121], v[130:131], v[120:121], 1.0
; %bb.614:
	s_or_b64 exec, exec, s[0:1]
	v_cmp_ne_u32_e32 vcc, v125, v122
	s_and_saveexec_b64 s[0:1], vcc
	s_xor_b64 s[0:1], exec, s[0:1]
	s_cbranch_execz .LBB114_620
; %bb.615:
	v_cmp_eq_u32_e32 vcc, 36, v125
	s_and_saveexec_b64 s[2:3], vcc
	s_cbranch_execz .LBB114_619
; %bb.616:
	v_cmp_ne_u32_e32 vcc, 36, v122
	s_xor_b64 s[14:15], s[6:7], -1
	s_and_b64 s[16:17], s[14:15], vcc
	s_and_saveexec_b64 s[14:15], s[16:17]
	s_cbranch_execz .LBB114_618
; %bb.617:
	v_ashrrev_i32_e32 v123, 31, v122
	v_lshlrev_b64 v[130:131], 2, v[122:123]
	v_add_co_u32_e32 v130, vcc, v4, v130
	v_addc_co_u32_e32 v131, vcc, v5, v131, vcc
	flat_load_dword v123, v[130:131]
	flat_load_dword v125, v[4:5] offset:144
	s_waitcnt vmcnt(0) lgkmcnt(0)
	flat_store_dword v[4:5], v123 offset:144
	flat_store_dword v[130:131], v125
.LBB114_618:
	s_or_b64 exec, exec, s[14:15]
	v_mov_b32_e32 v123, v122
	v_mov_b32_e32 v125, v122
.LBB114_619:
	s_or_b64 exec, exec, s[2:3]
.LBB114_620:
	s_andn2_saveexec_b64 s[0:1], s[0:1]
	s_cbranch_execz .LBB114_622
; %bb.621:
	v_mov_b32_e32 v125, 36
	ds_write2_b64 v124, v[42:43], v[40:41] offset0:37 offset1:38
	ds_write2_b64 v124, v[38:39], v[36:37] offset0:39 offset1:40
	;; [unrolled: 1-line block ×10, first 2 shown]
	ds_write_b64 v124, v[118:119] offset:456
.LBB114_622:
	s_or_b64 exec, exec, s[0:1]
	v_cmp_lt_i32_e32 vcc, 36, v125
	s_waitcnt lgkmcnt(0)
	s_barrier
	s_and_saveexec_b64 s[0:1], vcc
	s_cbranch_execz .LBB114_624
; %bb.623:
	ds_read2_b64 v[130:133], v124 offset0:37 offset1:38
	ds_read2_b64 v[134:137], v124 offset0:39 offset1:40
	v_mul_f64 v[44:45], v[120:121], v[44:45]
	ds_read2_b64 v[138:141], v124 offset0:41 offset1:42
	ds_read_b64 v[120:121], v124 offset:456
	s_waitcnt lgkmcnt(0)
	v_fma_f64 v[42:43], -v[44:45], v[130:131], v[42:43]
	v_fma_f64 v[40:41], -v[44:45], v[132:133], v[40:41]
	ds_read2_b64 v[130:133], v124 offset0:43 offset1:44
	v_fma_f64 v[38:39], -v[44:45], v[134:135], v[38:39]
	v_fma_f64 v[36:37], -v[44:45], v[136:137], v[36:37]
	;; [unrolled: 1-line block ×3, first 2 shown]
	ds_read2_b64 v[134:137], v124 offset0:45 offset1:46
	v_fma_f64 v[32:33], -v[44:45], v[140:141], v[32:33]
	ds_read2_b64 v[138:141], v124 offset0:47 offset1:48
	s_waitcnt lgkmcnt(0)
	v_fma_f64 v[30:31], -v[44:45], v[130:131], v[30:31]
	v_fma_f64 v[28:29], -v[44:45], v[132:133], v[28:29]
	ds_read2_b64 v[130:133], v124 offset0:49 offset1:50
	v_fma_f64 v[26:27], -v[44:45], v[134:135], v[26:27]
	v_fma_f64 v[24:25], -v[44:45], v[136:137], v[24:25]
	ds_read2_b64 v[134:137], v124 offset0:51 offset1:52
	v_fma_f64 v[22:23], -v[44:45], v[138:139], v[22:23]
	v_fma_f64 v[20:21], -v[44:45], v[140:141], v[20:21]
	s_waitcnt lgkmcnt(0)
	v_fma_f64 v[18:19], -v[44:45], v[130:131], v[18:19]
	v_fma_f64 v[16:17], -v[44:45], v[132:133], v[16:17]
	ds_read2_b64 v[130:133], v124 offset0:53 offset1:54
	ds_read2_b64 v[138:141], v124 offset0:55 offset1:56
	v_fma_f64 v[14:15], -v[44:45], v[134:135], v[14:15]
	v_fma_f64 v[12:13], -v[44:45], v[136:137], v[12:13]
	;; [unrolled: 1-line block ×3, first 2 shown]
	s_waitcnt lgkmcnt(0)
	v_fma_f64 v[10:11], -v[44:45], v[130:131], v[10:11]
	v_fma_f64 v[8:9], -v[44:45], v[132:133], v[8:9]
	;; [unrolled: 1-line block ×4, first 2 shown]
.LBB114_624:
	s_or_b64 exec, exec, s[0:1]
	v_lshl_add_u32 v120, v125, 3, v124
	s_barrier
	ds_write_b64 v120, v[42:43]
	s_waitcnt lgkmcnt(0)
	s_barrier
	ds_read_b64 v[120:121], v124 offset:296
	s_cmp_lt_i32 s18, 39
	v_mov_b32_e32 v122, 37
	s_cbranch_scc1 .LBB114_627
; %bb.625:
	v_add_u32_e32 v129, 0x130, v124
	s_mov_b32 s0, 38
	v_mov_b32_e32 v122, 37
.LBB114_626:                            ; =>This Inner Loop Header: Depth=1
	ds_read_b64 v[130:131], v129
	v_mov_b32_e32 v132, s0
	s_add_i32 s0, s0, 1
	v_add_u32_e32 v129, 8, v129
	s_cmp_lg_u32 s18, s0
	s_waitcnt lgkmcnt(0)
	v_cmp_lt_f64_e64 vcc, |v[120:121]|, |v[130:131]|
	v_cndmask_b32_e32 v121, v121, v131, vcc
	v_cndmask_b32_e32 v120, v120, v130, vcc
	;; [unrolled: 1-line block ×3, first 2 shown]
	s_cbranch_scc1 .LBB114_626
.LBB114_627:
	s_waitcnt lgkmcnt(0)
	v_cmp_eq_f64_e32 vcc, 0, v[120:121]
	s_and_saveexec_b64 s[0:1], vcc
	s_xor_b64 s[0:1], exec, s[0:1]
; %bb.628:
	v_cmp_ne_u32_e32 vcc, 0, v128
	v_cndmask_b32_e32 v128, 38, v128, vcc
; %bb.629:
	s_andn2_saveexec_b64 s[0:1], s[0:1]
; %bb.630:
	v_div_scale_f64 v[130:131], s[2:3], v[120:121], v[120:121], 1.0
	v_rcp_f64_e32 v[132:133], v[130:131]
	v_div_scale_f64 v[134:135], vcc, 1.0, v[120:121], 1.0
	v_fma_f64 v[136:137], -v[130:131], v[132:133], 1.0
	v_fmac_f64_e32 v[132:133], v[132:133], v[136:137]
	v_fma_f64 v[136:137], -v[130:131], v[132:133], 1.0
	v_fmac_f64_e32 v[132:133], v[132:133], v[136:137]
	v_mul_f64 v[136:137], v[134:135], v[132:133]
	v_fma_f64 v[130:131], -v[130:131], v[136:137], v[134:135]
	v_div_fmas_f64 v[130:131], v[130:131], v[132:133], v[136:137]
	v_div_fixup_f64 v[120:121], v[130:131], v[120:121], 1.0
; %bb.631:
	s_or_b64 exec, exec, s[0:1]
	v_cmp_ne_u32_e32 vcc, v125, v122
	s_and_saveexec_b64 s[0:1], vcc
	s_xor_b64 s[0:1], exec, s[0:1]
	s_cbranch_execz .LBB114_637
; %bb.632:
	v_cmp_eq_u32_e32 vcc, 37, v125
	s_and_saveexec_b64 s[2:3], vcc
	s_cbranch_execz .LBB114_636
; %bb.633:
	v_cmp_ne_u32_e32 vcc, 37, v122
	s_xor_b64 s[14:15], s[6:7], -1
	s_and_b64 s[16:17], s[14:15], vcc
	s_and_saveexec_b64 s[14:15], s[16:17]
	s_cbranch_execz .LBB114_635
; %bb.634:
	v_ashrrev_i32_e32 v123, 31, v122
	v_lshlrev_b64 v[130:131], 2, v[122:123]
	v_add_co_u32_e32 v130, vcc, v4, v130
	v_addc_co_u32_e32 v131, vcc, v5, v131, vcc
	flat_load_dword v123, v[130:131]
	flat_load_dword v125, v[4:5] offset:148
	s_waitcnt vmcnt(0) lgkmcnt(0)
	flat_store_dword v[4:5], v123 offset:148
	flat_store_dword v[130:131], v125
.LBB114_635:
	s_or_b64 exec, exec, s[14:15]
	v_mov_b32_e32 v123, v122
	v_mov_b32_e32 v125, v122
.LBB114_636:
	s_or_b64 exec, exec, s[2:3]
.LBB114_637:
	s_andn2_saveexec_b64 s[0:1], s[0:1]
	s_cbranch_execz .LBB114_639
; %bb.638:
	v_mov_b32_e32 v130, v40
	v_mov_b32_e32 v131, v41
	v_mov_b32_e32 v132, v38
	v_mov_b32_e32 v133, v39
	ds_write2_b64 v124, v[130:131], v[132:133] offset0:38 offset1:39
	v_mov_b32_e32 v130, v36
	v_mov_b32_e32 v131, v37
	v_mov_b32_e32 v132, v34
	v_mov_b32_e32 v133, v35
	ds_write2_b64 v124, v[130:131], v[132:133] offset0:40 offset1:41
	;; [unrolled: 5-line block ×9, first 2 shown]
	v_mov_b32_e32 v130, v0
	v_mov_b32_e32 v131, v1
	;; [unrolled: 1-line block ×3, first 2 shown]
	ds_write2_b64 v124, v[130:131], v[118:119] offset0:56 offset1:57
.LBB114_639:
	s_or_b64 exec, exec, s[0:1]
	v_cmp_lt_i32_e32 vcc, 37, v125
	s_waitcnt lgkmcnt(0)
	s_barrier
	s_and_saveexec_b64 s[0:1], vcc
	s_cbranch_execz .LBB114_641
; %bb.640:
	ds_read2_b64 v[130:133], v124 offset0:38 offset1:39
	ds_read2_b64 v[134:137], v124 offset0:40 offset1:41
	v_mul_f64 v[42:43], v[120:121], v[42:43]
	ds_read2_b64 v[138:141], v124 offset0:42 offset1:43
	s_waitcnt lgkmcnt(0)
	v_fma_f64 v[40:41], -v[42:43], v[130:131], v[40:41]
	v_fma_f64 v[38:39], -v[42:43], v[132:133], v[38:39]
	ds_read2_b64 v[130:133], v124 offset0:44 offset1:45
	v_fma_f64 v[36:37], -v[42:43], v[134:135], v[36:37]
	v_fma_f64 v[34:35], -v[42:43], v[136:137], v[34:35]
	;; [unrolled: 1-line block ×3, first 2 shown]
	ds_read2_b64 v[134:137], v124 offset0:46 offset1:47
	v_fma_f64 v[30:31], -v[42:43], v[140:141], v[30:31]
	ds_read2_b64 v[138:141], v124 offset0:48 offset1:49
	s_waitcnt lgkmcnt(0)
	v_fma_f64 v[28:29], -v[42:43], v[130:131], v[28:29]
	v_fma_f64 v[26:27], -v[42:43], v[132:133], v[26:27]
	ds_read2_b64 v[130:133], v124 offset0:50 offset1:51
	v_fma_f64 v[24:25], -v[42:43], v[134:135], v[24:25]
	v_fma_f64 v[22:23], -v[42:43], v[136:137], v[22:23]
	ds_read2_b64 v[134:137], v124 offset0:52 offset1:53
	v_fma_f64 v[20:21], -v[42:43], v[138:139], v[20:21]
	v_fma_f64 v[18:19], -v[42:43], v[140:141], v[18:19]
	s_waitcnt lgkmcnt(0)
	v_fma_f64 v[16:17], -v[42:43], v[130:131], v[16:17]
	ds_read2_b64 v[138:141], v124 offset0:54 offset1:55
	v_fma_f64 v[14:15], -v[42:43], v[132:133], v[14:15]
	ds_read2_b64 v[130:133], v124 offset0:56 offset1:57
	v_fma_f64 v[12:13], -v[42:43], v[134:135], v[12:13]
	v_fma_f64 v[10:11], -v[42:43], v[136:137], v[10:11]
	s_waitcnt lgkmcnt(0)
	v_fma_f64 v[8:9], -v[42:43], v[138:139], v[8:9]
	v_fma_f64 v[6:7], -v[42:43], v[140:141], v[6:7]
	;; [unrolled: 1-line block ×4, first 2 shown]
.LBB114_641:
	s_or_b64 exec, exec, s[0:1]
	v_lshl_add_u32 v120, v125, 3, v124
	s_barrier
	ds_write_b64 v120, v[40:41]
	s_waitcnt lgkmcnt(0)
	s_barrier
	ds_read_b64 v[120:121], v124 offset:304
	s_cmp_lt_i32 s18, 40
	v_mov_b32_e32 v122, 38
	s_cbranch_scc1 .LBB114_644
; %bb.642:
	v_add_u32_e32 v129, 0x138, v124
	s_mov_b32 s0, 39
	v_mov_b32_e32 v122, 38
.LBB114_643:                            ; =>This Inner Loop Header: Depth=1
	ds_read_b64 v[130:131], v129
	v_mov_b32_e32 v132, s0
	s_add_i32 s0, s0, 1
	v_add_u32_e32 v129, 8, v129
	s_cmp_lg_u32 s18, s0
	s_waitcnt lgkmcnt(0)
	v_cmp_lt_f64_e64 vcc, |v[120:121]|, |v[130:131]|
	v_cndmask_b32_e32 v121, v121, v131, vcc
	v_cndmask_b32_e32 v120, v120, v130, vcc
	;; [unrolled: 1-line block ×3, first 2 shown]
	s_cbranch_scc1 .LBB114_643
.LBB114_644:
	s_waitcnt lgkmcnt(0)
	v_cmp_eq_f64_e32 vcc, 0, v[120:121]
	s_and_saveexec_b64 s[0:1], vcc
	s_xor_b64 s[0:1], exec, s[0:1]
; %bb.645:
	v_cmp_ne_u32_e32 vcc, 0, v128
	v_cndmask_b32_e32 v128, 39, v128, vcc
; %bb.646:
	s_andn2_saveexec_b64 s[0:1], s[0:1]
; %bb.647:
	v_div_scale_f64 v[130:131], s[2:3], v[120:121], v[120:121], 1.0
	v_rcp_f64_e32 v[132:133], v[130:131]
	v_div_scale_f64 v[134:135], vcc, 1.0, v[120:121], 1.0
	v_fma_f64 v[136:137], -v[130:131], v[132:133], 1.0
	v_fmac_f64_e32 v[132:133], v[132:133], v[136:137]
	v_fma_f64 v[136:137], -v[130:131], v[132:133], 1.0
	v_fmac_f64_e32 v[132:133], v[132:133], v[136:137]
	v_mul_f64 v[136:137], v[134:135], v[132:133]
	v_fma_f64 v[130:131], -v[130:131], v[136:137], v[134:135]
	v_div_fmas_f64 v[130:131], v[130:131], v[132:133], v[136:137]
	v_div_fixup_f64 v[120:121], v[130:131], v[120:121], 1.0
; %bb.648:
	s_or_b64 exec, exec, s[0:1]
	v_cmp_ne_u32_e32 vcc, v125, v122
	s_and_saveexec_b64 s[0:1], vcc
	s_xor_b64 s[0:1], exec, s[0:1]
	s_cbranch_execz .LBB114_654
; %bb.649:
	v_cmp_eq_u32_e32 vcc, 38, v125
	s_and_saveexec_b64 s[2:3], vcc
	s_cbranch_execz .LBB114_653
; %bb.650:
	v_cmp_ne_u32_e32 vcc, 38, v122
	s_xor_b64 s[14:15], s[6:7], -1
	s_and_b64 s[16:17], s[14:15], vcc
	s_and_saveexec_b64 s[14:15], s[16:17]
	s_cbranch_execz .LBB114_652
; %bb.651:
	v_ashrrev_i32_e32 v123, 31, v122
	v_lshlrev_b64 v[130:131], 2, v[122:123]
	v_add_co_u32_e32 v130, vcc, v4, v130
	v_addc_co_u32_e32 v131, vcc, v5, v131, vcc
	flat_load_dword v123, v[130:131]
	flat_load_dword v125, v[4:5] offset:152
	s_waitcnt vmcnt(0) lgkmcnt(0)
	flat_store_dword v[4:5], v123 offset:152
	flat_store_dword v[130:131], v125
.LBB114_652:
	s_or_b64 exec, exec, s[14:15]
	v_mov_b32_e32 v123, v122
	v_mov_b32_e32 v125, v122
.LBB114_653:
	s_or_b64 exec, exec, s[2:3]
.LBB114_654:
	s_andn2_saveexec_b64 s[0:1], s[0:1]
	s_cbranch_execz .LBB114_656
; %bb.655:
	v_mov_b32_e32 v125, 38
	ds_write2_b64 v124, v[38:39], v[36:37] offset0:39 offset1:40
	ds_write2_b64 v124, v[34:35], v[32:33] offset0:41 offset1:42
	;; [unrolled: 1-line block ×9, first 2 shown]
	ds_write_b64 v124, v[118:119] offset:456
.LBB114_656:
	s_or_b64 exec, exec, s[0:1]
	v_cmp_lt_i32_e32 vcc, 38, v125
	s_waitcnt lgkmcnt(0)
	s_barrier
	s_and_saveexec_b64 s[0:1], vcc
	s_cbranch_execz .LBB114_658
; %bb.657:
	ds_read2_b64 v[130:133], v124 offset0:39 offset1:40
	ds_read2_b64 v[134:137], v124 offset0:41 offset1:42
	;; [unrolled: 1-line block ×3, first 2 shown]
	v_mul_f64 v[40:41], v[120:121], v[40:41]
	ds_read_b64 v[120:121], v124 offset:456
	s_waitcnt lgkmcnt(0)
	v_fma_f64 v[38:39], -v[40:41], v[130:131], v[38:39]
	v_fma_f64 v[36:37], -v[40:41], v[132:133], v[36:37]
	ds_read2_b64 v[130:133], v124 offset0:45 offset1:46
	v_fma_f64 v[34:35], -v[40:41], v[134:135], v[34:35]
	v_fma_f64 v[32:33], -v[40:41], v[136:137], v[32:33]
	v_fma_f64 v[30:31], -v[40:41], v[138:139], v[30:31]
	ds_read2_b64 v[134:137], v124 offset0:47 offset1:48
	v_fma_f64 v[28:29], -v[40:41], v[140:141], v[28:29]
	ds_read2_b64 v[138:141], v124 offset0:49 offset1:50
	s_waitcnt lgkmcnt(0)
	v_fma_f64 v[26:27], -v[40:41], v[130:131], v[26:27]
	v_fma_f64 v[24:25], -v[40:41], v[132:133], v[24:25]
	;; [unrolled: 1-line block ×3, first 2 shown]
	ds_read2_b64 v[130:133], v124 offset0:51 offset1:52
	v_fma_f64 v[20:21], -v[40:41], v[136:137], v[20:21]
	ds_read2_b64 v[134:137], v124 offset0:53 offset1:54
	v_fma_f64 v[18:19], -v[40:41], v[138:139], v[18:19]
	v_fma_f64 v[16:17], -v[40:41], v[140:141], v[16:17]
	ds_read2_b64 v[138:141], v124 offset0:55 offset1:56
	s_waitcnt lgkmcnt(0)
	v_fma_f64 v[14:15], -v[40:41], v[130:131], v[14:15]
	v_fma_f64 v[12:13], -v[40:41], v[132:133], v[12:13]
	;; [unrolled: 1-line block ×7, first 2 shown]
.LBB114_658:
	s_or_b64 exec, exec, s[0:1]
	v_lshl_add_u32 v120, v125, 3, v124
	s_barrier
	ds_write_b64 v120, v[38:39]
	s_waitcnt lgkmcnt(0)
	s_barrier
	ds_read_b64 v[120:121], v124 offset:312
	s_cmp_lt_i32 s18, 41
	v_mov_b32_e32 v122, 39
	s_cbranch_scc1 .LBB114_661
; %bb.659:
	v_add_u32_e32 v129, 0x140, v124
	s_mov_b32 s0, 40
	v_mov_b32_e32 v122, 39
.LBB114_660:                            ; =>This Inner Loop Header: Depth=1
	ds_read_b64 v[130:131], v129
	v_mov_b32_e32 v132, s0
	s_add_i32 s0, s0, 1
	v_add_u32_e32 v129, 8, v129
	s_cmp_lg_u32 s18, s0
	s_waitcnt lgkmcnt(0)
	v_cmp_lt_f64_e64 vcc, |v[120:121]|, |v[130:131]|
	v_cndmask_b32_e32 v121, v121, v131, vcc
	v_cndmask_b32_e32 v120, v120, v130, vcc
	v_cndmask_b32_e32 v122, v122, v132, vcc
	s_cbranch_scc1 .LBB114_660
.LBB114_661:
	s_waitcnt lgkmcnt(0)
	v_cmp_eq_f64_e32 vcc, 0, v[120:121]
	s_and_saveexec_b64 s[0:1], vcc
	s_xor_b64 s[0:1], exec, s[0:1]
; %bb.662:
	v_cmp_ne_u32_e32 vcc, 0, v128
	v_cndmask_b32_e32 v128, 40, v128, vcc
; %bb.663:
	s_andn2_saveexec_b64 s[0:1], s[0:1]
; %bb.664:
	v_div_scale_f64 v[130:131], s[2:3], v[120:121], v[120:121], 1.0
	v_rcp_f64_e32 v[132:133], v[130:131]
	v_div_scale_f64 v[134:135], vcc, 1.0, v[120:121], 1.0
	v_fma_f64 v[136:137], -v[130:131], v[132:133], 1.0
	v_fmac_f64_e32 v[132:133], v[132:133], v[136:137]
	v_fma_f64 v[136:137], -v[130:131], v[132:133], 1.0
	v_fmac_f64_e32 v[132:133], v[132:133], v[136:137]
	v_mul_f64 v[136:137], v[134:135], v[132:133]
	v_fma_f64 v[130:131], -v[130:131], v[136:137], v[134:135]
	v_div_fmas_f64 v[130:131], v[130:131], v[132:133], v[136:137]
	v_div_fixup_f64 v[120:121], v[130:131], v[120:121], 1.0
; %bb.665:
	s_or_b64 exec, exec, s[0:1]
	v_cmp_ne_u32_e32 vcc, v125, v122
	s_and_saveexec_b64 s[0:1], vcc
	s_xor_b64 s[0:1], exec, s[0:1]
	s_cbranch_execz .LBB114_671
; %bb.666:
	v_cmp_eq_u32_e32 vcc, 39, v125
	s_and_saveexec_b64 s[2:3], vcc
	s_cbranch_execz .LBB114_670
; %bb.667:
	v_cmp_ne_u32_e32 vcc, 39, v122
	s_xor_b64 s[14:15], s[6:7], -1
	s_and_b64 s[16:17], s[14:15], vcc
	s_and_saveexec_b64 s[14:15], s[16:17]
	s_cbranch_execz .LBB114_669
; %bb.668:
	v_ashrrev_i32_e32 v123, 31, v122
	v_lshlrev_b64 v[130:131], 2, v[122:123]
	v_add_co_u32_e32 v130, vcc, v4, v130
	v_addc_co_u32_e32 v131, vcc, v5, v131, vcc
	flat_load_dword v123, v[130:131]
	flat_load_dword v125, v[4:5] offset:156
	s_waitcnt vmcnt(0) lgkmcnt(0)
	flat_store_dword v[4:5], v123 offset:156
	flat_store_dword v[130:131], v125
.LBB114_669:
	s_or_b64 exec, exec, s[14:15]
	v_mov_b32_e32 v123, v122
	v_mov_b32_e32 v125, v122
.LBB114_670:
	s_or_b64 exec, exec, s[2:3]
.LBB114_671:
	s_andn2_saveexec_b64 s[0:1], s[0:1]
	s_cbranch_execz .LBB114_673
; %bb.672:
	v_mov_b32_e32 v130, v36
	v_mov_b32_e32 v131, v37
	v_mov_b32_e32 v132, v34
	v_mov_b32_e32 v133, v35
	ds_write2_b64 v124, v[130:131], v[132:133] offset0:40 offset1:41
	v_mov_b32_e32 v130, v32
	v_mov_b32_e32 v131, v33
	v_mov_b32_e32 v132, v30
	v_mov_b32_e32 v133, v31
	ds_write2_b64 v124, v[130:131], v[132:133] offset0:42 offset1:43
	;; [unrolled: 5-line block ×8, first 2 shown]
	v_mov_b32_e32 v130, v0
	v_mov_b32_e32 v131, v1
	;; [unrolled: 1-line block ×3, first 2 shown]
	ds_write2_b64 v124, v[130:131], v[118:119] offset0:56 offset1:57
.LBB114_673:
	s_or_b64 exec, exec, s[0:1]
	v_cmp_lt_i32_e32 vcc, 39, v125
	s_waitcnt lgkmcnt(0)
	s_barrier
	s_and_saveexec_b64 s[0:1], vcc
	s_cbranch_execz .LBB114_675
; %bb.674:
	ds_read2_b64 v[130:133], v124 offset0:40 offset1:41
	ds_read2_b64 v[134:137], v124 offset0:42 offset1:43
	;; [unrolled: 1-line block ×3, first 2 shown]
	v_mul_f64 v[38:39], v[120:121], v[38:39]
	s_waitcnt lgkmcnt(0)
	v_fma_f64 v[36:37], -v[38:39], v[130:131], v[36:37]
	v_fma_f64 v[34:35], -v[38:39], v[132:133], v[34:35]
	ds_read2_b64 v[130:133], v124 offset0:46 offset1:47
	v_fma_f64 v[32:33], -v[38:39], v[134:135], v[32:33]
	v_fma_f64 v[30:31], -v[38:39], v[136:137], v[30:31]
	;; [unrolled: 1-line block ×3, first 2 shown]
	ds_read2_b64 v[134:137], v124 offset0:48 offset1:49
	v_fma_f64 v[26:27], -v[38:39], v[140:141], v[26:27]
	ds_read2_b64 v[138:141], v124 offset0:50 offset1:51
	s_waitcnt lgkmcnt(0)
	v_fma_f64 v[24:25], -v[38:39], v[130:131], v[24:25]
	v_fma_f64 v[22:23], -v[38:39], v[132:133], v[22:23]
	;; [unrolled: 1-line block ×4, first 2 shown]
	ds_read2_b64 v[130:133], v124 offset0:52 offset1:53
	ds_read2_b64 v[134:137], v124 offset0:54 offset1:55
	v_fma_f64 v[16:17], -v[38:39], v[138:139], v[16:17]
	v_fma_f64 v[14:15], -v[38:39], v[140:141], v[14:15]
	ds_read2_b64 v[138:141], v124 offset0:56 offset1:57
	s_waitcnt lgkmcnt(0)
	v_fma_f64 v[12:13], -v[38:39], v[130:131], v[12:13]
	v_fma_f64 v[10:11], -v[38:39], v[132:133], v[10:11]
	;; [unrolled: 1-line block ×6, first 2 shown]
.LBB114_675:
	s_or_b64 exec, exec, s[0:1]
	v_lshl_add_u32 v120, v125, 3, v124
	s_barrier
	ds_write_b64 v120, v[36:37]
	s_waitcnt lgkmcnt(0)
	s_barrier
	ds_read_b64 v[120:121], v124 offset:320
	s_cmp_lt_i32 s18, 42
	v_mov_b32_e32 v122, 40
	s_cbranch_scc1 .LBB114_678
; %bb.676:
	v_add_u32_e32 v129, 0x148, v124
	s_mov_b32 s0, 41
	v_mov_b32_e32 v122, 40
.LBB114_677:                            ; =>This Inner Loop Header: Depth=1
	ds_read_b64 v[130:131], v129
	v_mov_b32_e32 v132, s0
	s_add_i32 s0, s0, 1
	v_add_u32_e32 v129, 8, v129
	s_cmp_lg_u32 s18, s0
	s_waitcnt lgkmcnt(0)
	v_cmp_lt_f64_e64 vcc, |v[120:121]|, |v[130:131]|
	v_cndmask_b32_e32 v121, v121, v131, vcc
	v_cndmask_b32_e32 v120, v120, v130, vcc
	;; [unrolled: 1-line block ×3, first 2 shown]
	s_cbranch_scc1 .LBB114_677
.LBB114_678:
	s_waitcnt lgkmcnt(0)
	v_cmp_eq_f64_e32 vcc, 0, v[120:121]
	s_and_saveexec_b64 s[0:1], vcc
	s_xor_b64 s[0:1], exec, s[0:1]
; %bb.679:
	v_cmp_ne_u32_e32 vcc, 0, v128
	v_cndmask_b32_e32 v128, 41, v128, vcc
; %bb.680:
	s_andn2_saveexec_b64 s[0:1], s[0:1]
; %bb.681:
	v_div_scale_f64 v[130:131], s[2:3], v[120:121], v[120:121], 1.0
	v_rcp_f64_e32 v[132:133], v[130:131]
	v_div_scale_f64 v[134:135], vcc, 1.0, v[120:121], 1.0
	v_fma_f64 v[136:137], -v[130:131], v[132:133], 1.0
	v_fmac_f64_e32 v[132:133], v[132:133], v[136:137]
	v_fma_f64 v[136:137], -v[130:131], v[132:133], 1.0
	v_fmac_f64_e32 v[132:133], v[132:133], v[136:137]
	v_mul_f64 v[136:137], v[134:135], v[132:133]
	v_fma_f64 v[130:131], -v[130:131], v[136:137], v[134:135]
	v_div_fmas_f64 v[130:131], v[130:131], v[132:133], v[136:137]
	v_div_fixup_f64 v[120:121], v[130:131], v[120:121], 1.0
; %bb.682:
	s_or_b64 exec, exec, s[0:1]
	v_cmp_ne_u32_e32 vcc, v125, v122
	s_and_saveexec_b64 s[0:1], vcc
	s_xor_b64 s[0:1], exec, s[0:1]
	s_cbranch_execz .LBB114_688
; %bb.683:
	v_cmp_eq_u32_e32 vcc, 40, v125
	s_and_saveexec_b64 s[2:3], vcc
	s_cbranch_execz .LBB114_687
; %bb.684:
	v_cmp_ne_u32_e32 vcc, 40, v122
	s_xor_b64 s[14:15], s[6:7], -1
	s_and_b64 s[16:17], s[14:15], vcc
	s_and_saveexec_b64 s[14:15], s[16:17]
	s_cbranch_execz .LBB114_686
; %bb.685:
	v_ashrrev_i32_e32 v123, 31, v122
	v_lshlrev_b64 v[130:131], 2, v[122:123]
	v_add_co_u32_e32 v130, vcc, v4, v130
	v_addc_co_u32_e32 v131, vcc, v5, v131, vcc
	flat_load_dword v123, v[130:131]
	flat_load_dword v125, v[4:5] offset:160
	s_waitcnt vmcnt(0) lgkmcnt(0)
	flat_store_dword v[4:5], v123 offset:160
	flat_store_dword v[130:131], v125
.LBB114_686:
	s_or_b64 exec, exec, s[14:15]
	v_mov_b32_e32 v123, v122
	v_mov_b32_e32 v125, v122
.LBB114_687:
	s_or_b64 exec, exec, s[2:3]
.LBB114_688:
	s_andn2_saveexec_b64 s[0:1], s[0:1]
	s_cbranch_execz .LBB114_690
; %bb.689:
	v_mov_b32_e32 v125, 40
	ds_write2_b64 v124, v[34:35], v[32:33] offset0:41 offset1:42
	ds_write2_b64 v124, v[30:31], v[28:29] offset0:43 offset1:44
	;; [unrolled: 1-line block ×8, first 2 shown]
	ds_write_b64 v124, v[118:119] offset:456
.LBB114_690:
	s_or_b64 exec, exec, s[0:1]
	v_cmp_lt_i32_e32 vcc, 40, v125
	s_waitcnt lgkmcnt(0)
	s_barrier
	s_and_saveexec_b64 s[0:1], vcc
	s_cbranch_execz .LBB114_692
; %bb.691:
	ds_read2_b64 v[130:133], v124 offset0:41 offset1:42
	ds_read2_b64 v[134:137], v124 offset0:43 offset1:44
	v_mul_f64 v[36:37], v[120:121], v[36:37]
	ds_read2_b64 v[138:141], v124 offset0:45 offset1:46
	ds_read_b64 v[120:121], v124 offset:456
	s_waitcnt lgkmcnt(0)
	v_fma_f64 v[34:35], -v[36:37], v[130:131], v[34:35]
	v_fma_f64 v[32:33], -v[36:37], v[132:133], v[32:33]
	ds_read2_b64 v[130:133], v124 offset0:47 offset1:48
	v_fma_f64 v[30:31], -v[36:37], v[134:135], v[30:31]
	v_fma_f64 v[28:29], -v[36:37], v[136:137], v[28:29]
	ds_read2_b64 v[134:137], v124 offset0:49 offset1:50
	;; [unrolled: 3-line block ×3, first 2 shown]
	s_waitcnt lgkmcnt(0)
	v_fma_f64 v[22:23], -v[36:37], v[130:131], v[22:23]
	v_fma_f64 v[20:21], -v[36:37], v[132:133], v[20:21]
	;; [unrolled: 1-line block ×4, first 2 shown]
	ds_read2_b64 v[130:133], v124 offset0:53 offset1:54
	ds_read2_b64 v[134:137], v124 offset0:55 offset1:56
	v_fma_f64 v[14:15], -v[36:37], v[138:139], v[14:15]
	v_fma_f64 v[12:13], -v[36:37], v[140:141], v[12:13]
	;; [unrolled: 1-line block ×3, first 2 shown]
	s_waitcnt lgkmcnt(0)
	v_fma_f64 v[10:11], -v[36:37], v[130:131], v[10:11]
	v_fma_f64 v[8:9], -v[36:37], v[132:133], v[8:9]
	;; [unrolled: 1-line block ×4, first 2 shown]
.LBB114_692:
	s_or_b64 exec, exec, s[0:1]
	v_lshl_add_u32 v120, v125, 3, v124
	s_barrier
	ds_write_b64 v120, v[34:35]
	s_waitcnt lgkmcnt(0)
	s_barrier
	ds_read_b64 v[120:121], v124 offset:328
	s_cmp_lt_i32 s18, 43
	v_mov_b32_e32 v122, 41
	s_cbranch_scc1 .LBB114_695
; %bb.693:
	v_add_u32_e32 v129, 0x150, v124
	s_mov_b32 s0, 42
	v_mov_b32_e32 v122, 41
.LBB114_694:                            ; =>This Inner Loop Header: Depth=1
	ds_read_b64 v[130:131], v129
	v_mov_b32_e32 v132, s0
	s_add_i32 s0, s0, 1
	v_add_u32_e32 v129, 8, v129
	s_cmp_lg_u32 s18, s0
	s_waitcnt lgkmcnt(0)
	v_cmp_lt_f64_e64 vcc, |v[120:121]|, |v[130:131]|
	v_cndmask_b32_e32 v121, v121, v131, vcc
	v_cndmask_b32_e32 v120, v120, v130, vcc
	;; [unrolled: 1-line block ×3, first 2 shown]
	s_cbranch_scc1 .LBB114_694
.LBB114_695:
	s_waitcnt lgkmcnt(0)
	v_cmp_eq_f64_e32 vcc, 0, v[120:121]
	s_and_saveexec_b64 s[0:1], vcc
	s_xor_b64 s[0:1], exec, s[0:1]
; %bb.696:
	v_cmp_ne_u32_e32 vcc, 0, v128
	v_cndmask_b32_e32 v128, 42, v128, vcc
; %bb.697:
	s_andn2_saveexec_b64 s[0:1], s[0:1]
; %bb.698:
	v_div_scale_f64 v[130:131], s[2:3], v[120:121], v[120:121], 1.0
	v_rcp_f64_e32 v[132:133], v[130:131]
	v_div_scale_f64 v[134:135], vcc, 1.0, v[120:121], 1.0
	v_fma_f64 v[136:137], -v[130:131], v[132:133], 1.0
	v_fmac_f64_e32 v[132:133], v[132:133], v[136:137]
	v_fma_f64 v[136:137], -v[130:131], v[132:133], 1.0
	v_fmac_f64_e32 v[132:133], v[132:133], v[136:137]
	v_mul_f64 v[136:137], v[134:135], v[132:133]
	v_fma_f64 v[130:131], -v[130:131], v[136:137], v[134:135]
	v_div_fmas_f64 v[130:131], v[130:131], v[132:133], v[136:137]
	v_div_fixup_f64 v[120:121], v[130:131], v[120:121], 1.0
; %bb.699:
	s_or_b64 exec, exec, s[0:1]
	v_cmp_ne_u32_e32 vcc, v125, v122
	s_and_saveexec_b64 s[0:1], vcc
	s_xor_b64 s[0:1], exec, s[0:1]
	s_cbranch_execz .LBB114_705
; %bb.700:
	v_cmp_eq_u32_e32 vcc, 41, v125
	s_and_saveexec_b64 s[2:3], vcc
	s_cbranch_execz .LBB114_704
; %bb.701:
	v_cmp_ne_u32_e32 vcc, 41, v122
	s_xor_b64 s[14:15], s[6:7], -1
	s_and_b64 s[16:17], s[14:15], vcc
	s_and_saveexec_b64 s[14:15], s[16:17]
	s_cbranch_execz .LBB114_703
; %bb.702:
	v_ashrrev_i32_e32 v123, 31, v122
	v_lshlrev_b64 v[130:131], 2, v[122:123]
	v_add_co_u32_e32 v130, vcc, v4, v130
	v_addc_co_u32_e32 v131, vcc, v5, v131, vcc
	flat_load_dword v123, v[130:131]
	flat_load_dword v125, v[4:5] offset:164
	s_waitcnt vmcnt(0) lgkmcnt(0)
	flat_store_dword v[4:5], v123 offset:164
	flat_store_dword v[130:131], v125
.LBB114_703:
	s_or_b64 exec, exec, s[14:15]
	v_mov_b32_e32 v123, v122
	v_mov_b32_e32 v125, v122
.LBB114_704:
	s_or_b64 exec, exec, s[2:3]
.LBB114_705:
	s_andn2_saveexec_b64 s[0:1], s[0:1]
	s_cbranch_execz .LBB114_707
; %bb.706:
	v_mov_b32_e32 v130, v32
	v_mov_b32_e32 v131, v33
	v_mov_b32_e32 v132, v30
	v_mov_b32_e32 v133, v31
	ds_write2_b64 v124, v[130:131], v[132:133] offset0:42 offset1:43
	v_mov_b32_e32 v130, v28
	v_mov_b32_e32 v131, v29
	v_mov_b32_e32 v132, v26
	v_mov_b32_e32 v133, v27
	ds_write2_b64 v124, v[130:131], v[132:133] offset0:44 offset1:45
	;; [unrolled: 5-line block ×7, first 2 shown]
	v_mov_b32_e32 v130, v0
	v_mov_b32_e32 v131, v1
	;; [unrolled: 1-line block ×3, first 2 shown]
	ds_write2_b64 v124, v[130:131], v[118:119] offset0:56 offset1:57
.LBB114_707:
	s_or_b64 exec, exec, s[0:1]
	v_cmp_lt_i32_e32 vcc, 41, v125
	s_waitcnt lgkmcnt(0)
	s_barrier
	s_and_saveexec_b64 s[0:1], vcc
	s_cbranch_execz .LBB114_709
; %bb.708:
	ds_read2_b64 v[130:133], v124 offset0:42 offset1:43
	ds_read2_b64 v[134:137], v124 offset0:44 offset1:45
	v_mul_f64 v[34:35], v[120:121], v[34:35]
	ds_read2_b64 v[138:141], v124 offset0:46 offset1:47
	s_waitcnt lgkmcnt(0)
	v_fma_f64 v[32:33], -v[34:35], v[130:131], v[32:33]
	v_fma_f64 v[30:31], -v[34:35], v[132:133], v[30:31]
	ds_read2_b64 v[130:133], v124 offset0:48 offset1:49
	v_fma_f64 v[28:29], -v[34:35], v[134:135], v[28:29]
	v_fma_f64 v[26:27], -v[34:35], v[136:137], v[26:27]
	ds_read2_b64 v[134:137], v124 offset0:50 offset1:51
	v_fma_f64 v[24:25], -v[34:35], v[138:139], v[24:25]
	v_fma_f64 v[22:23], -v[34:35], v[140:141], v[22:23]
	s_waitcnt lgkmcnt(0)
	v_fma_f64 v[20:21], -v[34:35], v[130:131], v[20:21]
	v_fma_f64 v[18:19], -v[34:35], v[132:133], v[18:19]
	ds_read2_b64 v[130:133], v124 offset0:52 offset1:53
	v_fma_f64 v[16:17], -v[34:35], v[134:135], v[16:17]
	ds_read2_b64 v[138:141], v124 offset0:54 offset1:55
	;; [unrolled: 2-line block ×3, first 2 shown]
	s_waitcnt lgkmcnt(0)
	v_fma_f64 v[12:13], -v[34:35], v[130:131], v[12:13]
	v_fma_f64 v[10:11], -v[34:35], v[132:133], v[10:11]
	;; [unrolled: 1-line block ×6, first 2 shown]
.LBB114_709:
	s_or_b64 exec, exec, s[0:1]
	v_lshl_add_u32 v120, v125, 3, v124
	s_barrier
	ds_write_b64 v120, v[32:33]
	s_waitcnt lgkmcnt(0)
	s_barrier
	ds_read_b64 v[120:121], v124 offset:336
	s_cmp_lt_i32 s18, 44
	v_mov_b32_e32 v122, 42
	s_cbranch_scc1 .LBB114_712
; %bb.710:
	v_add_u32_e32 v129, 0x158, v124
	s_mov_b32 s0, 43
	v_mov_b32_e32 v122, 42
.LBB114_711:                            ; =>This Inner Loop Header: Depth=1
	ds_read_b64 v[130:131], v129
	v_mov_b32_e32 v132, s0
	s_add_i32 s0, s0, 1
	v_add_u32_e32 v129, 8, v129
	s_cmp_lg_u32 s18, s0
	s_waitcnt lgkmcnt(0)
	v_cmp_lt_f64_e64 vcc, |v[120:121]|, |v[130:131]|
	v_cndmask_b32_e32 v121, v121, v131, vcc
	v_cndmask_b32_e32 v120, v120, v130, vcc
	;; [unrolled: 1-line block ×3, first 2 shown]
	s_cbranch_scc1 .LBB114_711
.LBB114_712:
	s_waitcnt lgkmcnt(0)
	v_cmp_eq_f64_e32 vcc, 0, v[120:121]
	s_and_saveexec_b64 s[0:1], vcc
	s_xor_b64 s[0:1], exec, s[0:1]
; %bb.713:
	v_cmp_ne_u32_e32 vcc, 0, v128
	v_cndmask_b32_e32 v128, 43, v128, vcc
; %bb.714:
	s_andn2_saveexec_b64 s[0:1], s[0:1]
; %bb.715:
	v_div_scale_f64 v[130:131], s[2:3], v[120:121], v[120:121], 1.0
	v_rcp_f64_e32 v[132:133], v[130:131]
	v_div_scale_f64 v[134:135], vcc, 1.0, v[120:121], 1.0
	v_fma_f64 v[136:137], -v[130:131], v[132:133], 1.0
	v_fmac_f64_e32 v[132:133], v[132:133], v[136:137]
	v_fma_f64 v[136:137], -v[130:131], v[132:133], 1.0
	v_fmac_f64_e32 v[132:133], v[132:133], v[136:137]
	v_mul_f64 v[136:137], v[134:135], v[132:133]
	v_fma_f64 v[130:131], -v[130:131], v[136:137], v[134:135]
	v_div_fmas_f64 v[130:131], v[130:131], v[132:133], v[136:137]
	v_div_fixup_f64 v[120:121], v[130:131], v[120:121], 1.0
; %bb.716:
	s_or_b64 exec, exec, s[0:1]
	v_cmp_ne_u32_e32 vcc, v125, v122
	s_and_saveexec_b64 s[0:1], vcc
	s_xor_b64 s[0:1], exec, s[0:1]
	s_cbranch_execz .LBB114_722
; %bb.717:
	v_cmp_eq_u32_e32 vcc, 42, v125
	s_and_saveexec_b64 s[2:3], vcc
	s_cbranch_execz .LBB114_721
; %bb.718:
	v_cmp_ne_u32_e32 vcc, 42, v122
	s_xor_b64 s[14:15], s[6:7], -1
	s_and_b64 s[16:17], s[14:15], vcc
	s_and_saveexec_b64 s[14:15], s[16:17]
	s_cbranch_execz .LBB114_720
; %bb.719:
	v_ashrrev_i32_e32 v123, 31, v122
	v_lshlrev_b64 v[130:131], 2, v[122:123]
	v_add_co_u32_e32 v130, vcc, v4, v130
	v_addc_co_u32_e32 v131, vcc, v5, v131, vcc
	flat_load_dword v123, v[130:131]
	flat_load_dword v125, v[4:5] offset:168
	s_waitcnt vmcnt(0) lgkmcnt(0)
	flat_store_dword v[4:5], v123 offset:168
	flat_store_dword v[130:131], v125
.LBB114_720:
	s_or_b64 exec, exec, s[14:15]
	v_mov_b32_e32 v123, v122
	v_mov_b32_e32 v125, v122
.LBB114_721:
	s_or_b64 exec, exec, s[2:3]
.LBB114_722:
	s_andn2_saveexec_b64 s[0:1], s[0:1]
	s_cbranch_execz .LBB114_724
; %bb.723:
	v_mov_b32_e32 v125, 42
	ds_write2_b64 v124, v[30:31], v[28:29] offset0:43 offset1:44
	ds_write2_b64 v124, v[26:27], v[24:25] offset0:45 offset1:46
	;; [unrolled: 1-line block ×7, first 2 shown]
	ds_write_b64 v124, v[118:119] offset:456
.LBB114_724:
	s_or_b64 exec, exec, s[0:1]
	v_cmp_lt_i32_e32 vcc, 42, v125
	s_waitcnt lgkmcnt(0)
	s_barrier
	s_and_saveexec_b64 s[0:1], vcc
	s_cbranch_execz .LBB114_726
; %bb.725:
	ds_read2_b64 v[130:133], v124 offset0:43 offset1:44
	ds_read2_b64 v[134:137], v124 offset0:45 offset1:46
	v_mul_f64 v[32:33], v[120:121], v[32:33]
	ds_read2_b64 v[138:141], v124 offset0:47 offset1:48
	ds_read_b64 v[120:121], v124 offset:456
	s_waitcnt lgkmcnt(0)
	v_fma_f64 v[30:31], -v[32:33], v[130:131], v[30:31]
	v_fma_f64 v[28:29], -v[32:33], v[132:133], v[28:29]
	ds_read2_b64 v[130:133], v124 offset0:49 offset1:50
	v_fma_f64 v[26:27], -v[32:33], v[134:135], v[26:27]
	v_fma_f64 v[24:25], -v[32:33], v[136:137], v[24:25]
	;; [unrolled: 1-line block ×3, first 2 shown]
	ds_read2_b64 v[134:137], v124 offset0:51 offset1:52
	v_fma_f64 v[20:21], -v[32:33], v[140:141], v[20:21]
	s_waitcnt lgkmcnt(0)
	v_fma_f64 v[18:19], -v[32:33], v[130:131], v[18:19]
	v_fma_f64 v[16:17], -v[32:33], v[132:133], v[16:17]
	ds_read2_b64 v[130:133], v124 offset0:53 offset1:54
	ds_read2_b64 v[138:141], v124 offset0:55 offset1:56
	v_fma_f64 v[14:15], -v[32:33], v[134:135], v[14:15]
	v_fma_f64 v[12:13], -v[32:33], v[136:137], v[12:13]
	;; [unrolled: 1-line block ×3, first 2 shown]
	s_waitcnt lgkmcnt(0)
	v_fma_f64 v[10:11], -v[32:33], v[130:131], v[10:11]
	v_fma_f64 v[8:9], -v[32:33], v[132:133], v[8:9]
	;; [unrolled: 1-line block ×4, first 2 shown]
.LBB114_726:
	s_or_b64 exec, exec, s[0:1]
	v_lshl_add_u32 v120, v125, 3, v124
	s_barrier
	ds_write_b64 v120, v[30:31]
	s_waitcnt lgkmcnt(0)
	s_barrier
	ds_read_b64 v[120:121], v124 offset:344
	s_cmp_lt_i32 s18, 45
	v_mov_b32_e32 v122, 43
	s_cbranch_scc1 .LBB114_729
; %bb.727:
	v_add_u32_e32 v129, 0x160, v124
	s_mov_b32 s0, 44
	v_mov_b32_e32 v122, 43
.LBB114_728:                            ; =>This Inner Loop Header: Depth=1
	ds_read_b64 v[130:131], v129
	v_mov_b32_e32 v132, s0
	s_add_i32 s0, s0, 1
	v_add_u32_e32 v129, 8, v129
	s_cmp_lg_u32 s18, s0
	s_waitcnt lgkmcnt(0)
	v_cmp_lt_f64_e64 vcc, |v[120:121]|, |v[130:131]|
	v_cndmask_b32_e32 v121, v121, v131, vcc
	v_cndmask_b32_e32 v120, v120, v130, vcc
	;; [unrolled: 1-line block ×3, first 2 shown]
	s_cbranch_scc1 .LBB114_728
.LBB114_729:
	s_waitcnt lgkmcnt(0)
	v_cmp_eq_f64_e32 vcc, 0, v[120:121]
	s_and_saveexec_b64 s[0:1], vcc
	s_xor_b64 s[0:1], exec, s[0:1]
; %bb.730:
	v_cmp_ne_u32_e32 vcc, 0, v128
	v_cndmask_b32_e32 v128, 44, v128, vcc
; %bb.731:
	s_andn2_saveexec_b64 s[0:1], s[0:1]
; %bb.732:
	v_div_scale_f64 v[130:131], s[2:3], v[120:121], v[120:121], 1.0
	v_rcp_f64_e32 v[132:133], v[130:131]
	v_div_scale_f64 v[134:135], vcc, 1.0, v[120:121], 1.0
	v_fma_f64 v[136:137], -v[130:131], v[132:133], 1.0
	v_fmac_f64_e32 v[132:133], v[132:133], v[136:137]
	v_fma_f64 v[136:137], -v[130:131], v[132:133], 1.0
	v_fmac_f64_e32 v[132:133], v[132:133], v[136:137]
	v_mul_f64 v[136:137], v[134:135], v[132:133]
	v_fma_f64 v[130:131], -v[130:131], v[136:137], v[134:135]
	v_div_fmas_f64 v[130:131], v[130:131], v[132:133], v[136:137]
	v_div_fixup_f64 v[120:121], v[130:131], v[120:121], 1.0
; %bb.733:
	s_or_b64 exec, exec, s[0:1]
	v_cmp_ne_u32_e32 vcc, v125, v122
	s_and_saveexec_b64 s[0:1], vcc
	s_xor_b64 s[0:1], exec, s[0:1]
	s_cbranch_execz .LBB114_739
; %bb.734:
	v_cmp_eq_u32_e32 vcc, 43, v125
	s_and_saveexec_b64 s[2:3], vcc
	s_cbranch_execz .LBB114_738
; %bb.735:
	v_cmp_ne_u32_e32 vcc, 43, v122
	s_xor_b64 s[14:15], s[6:7], -1
	s_and_b64 s[16:17], s[14:15], vcc
	s_and_saveexec_b64 s[14:15], s[16:17]
	s_cbranch_execz .LBB114_737
; %bb.736:
	v_ashrrev_i32_e32 v123, 31, v122
	v_lshlrev_b64 v[130:131], 2, v[122:123]
	v_add_co_u32_e32 v130, vcc, v4, v130
	v_addc_co_u32_e32 v131, vcc, v5, v131, vcc
	flat_load_dword v123, v[130:131]
	flat_load_dword v125, v[4:5] offset:172
	s_waitcnt vmcnt(0) lgkmcnt(0)
	flat_store_dword v[4:5], v123 offset:172
	flat_store_dword v[130:131], v125
.LBB114_737:
	s_or_b64 exec, exec, s[14:15]
	v_mov_b32_e32 v123, v122
	v_mov_b32_e32 v125, v122
.LBB114_738:
	s_or_b64 exec, exec, s[2:3]
.LBB114_739:
	s_andn2_saveexec_b64 s[0:1], s[0:1]
	s_cbranch_execz .LBB114_741
; %bb.740:
	v_mov_b32_e32 v130, v28
	v_mov_b32_e32 v131, v29
	v_mov_b32_e32 v132, v26
	v_mov_b32_e32 v133, v27
	ds_write2_b64 v124, v[130:131], v[132:133] offset0:44 offset1:45
	v_mov_b32_e32 v130, v24
	v_mov_b32_e32 v131, v25
	v_mov_b32_e32 v132, v22
	v_mov_b32_e32 v133, v23
	ds_write2_b64 v124, v[130:131], v[132:133] offset0:46 offset1:47
	;; [unrolled: 5-line block ×6, first 2 shown]
	v_mov_b32_e32 v130, v0
	v_mov_b32_e32 v131, v1
	;; [unrolled: 1-line block ×3, first 2 shown]
	ds_write2_b64 v124, v[130:131], v[118:119] offset0:56 offset1:57
.LBB114_741:
	s_or_b64 exec, exec, s[0:1]
	v_cmp_lt_i32_e32 vcc, 43, v125
	s_waitcnt lgkmcnt(0)
	s_barrier
	s_and_saveexec_b64 s[0:1], vcc
	s_cbranch_execz .LBB114_743
; %bb.742:
	ds_read2_b64 v[130:133], v124 offset0:44 offset1:45
	ds_read2_b64 v[134:137], v124 offset0:46 offset1:47
	v_mul_f64 v[30:31], v[120:121], v[30:31]
	ds_read2_b64 v[138:141], v124 offset0:48 offset1:49
	s_waitcnt lgkmcnt(0)
	v_fma_f64 v[28:29], -v[30:31], v[130:131], v[28:29]
	v_fma_f64 v[26:27], -v[30:31], v[132:133], v[26:27]
	ds_read2_b64 v[130:133], v124 offset0:50 offset1:51
	v_fma_f64 v[24:25], -v[30:31], v[134:135], v[24:25]
	v_fma_f64 v[22:23], -v[30:31], v[136:137], v[22:23]
	;; [unrolled: 1-line block ×4, first 2 shown]
	ds_read2_b64 v[134:137], v124 offset0:52 offset1:53
	ds_read2_b64 v[138:141], v124 offset0:54 offset1:55
	s_waitcnt lgkmcnt(0)
	v_fma_f64 v[16:17], -v[30:31], v[130:131], v[16:17]
	v_fma_f64 v[14:15], -v[30:31], v[132:133], v[14:15]
	ds_read2_b64 v[130:133], v124 offset0:56 offset1:57
	v_fma_f64 v[12:13], -v[30:31], v[134:135], v[12:13]
	v_fma_f64 v[10:11], -v[30:31], v[136:137], v[10:11]
	;; [unrolled: 1-line block ×4, first 2 shown]
	s_waitcnt lgkmcnt(0)
	v_fma_f64 v[0:1], -v[30:31], v[130:131], v[0:1]
	v_fma_f64 v[118:119], -v[30:31], v[132:133], v[118:119]
.LBB114_743:
	s_or_b64 exec, exec, s[0:1]
	v_lshl_add_u32 v120, v125, 3, v124
	s_barrier
	ds_write_b64 v120, v[28:29]
	s_waitcnt lgkmcnt(0)
	s_barrier
	ds_read_b64 v[120:121], v124 offset:352
	s_cmp_lt_i32 s18, 46
	v_mov_b32_e32 v122, 44
	s_cbranch_scc1 .LBB114_746
; %bb.744:
	v_add_u32_e32 v129, 0x168, v124
	s_mov_b32 s0, 45
	v_mov_b32_e32 v122, 44
.LBB114_745:                            ; =>This Inner Loop Header: Depth=1
	ds_read_b64 v[130:131], v129
	v_mov_b32_e32 v132, s0
	s_add_i32 s0, s0, 1
	v_add_u32_e32 v129, 8, v129
	s_cmp_lg_u32 s18, s0
	s_waitcnt lgkmcnt(0)
	v_cmp_lt_f64_e64 vcc, |v[120:121]|, |v[130:131]|
	v_cndmask_b32_e32 v121, v121, v131, vcc
	v_cndmask_b32_e32 v120, v120, v130, vcc
	;; [unrolled: 1-line block ×3, first 2 shown]
	s_cbranch_scc1 .LBB114_745
.LBB114_746:
	s_waitcnt lgkmcnt(0)
	v_cmp_eq_f64_e32 vcc, 0, v[120:121]
	s_and_saveexec_b64 s[0:1], vcc
	s_xor_b64 s[0:1], exec, s[0:1]
; %bb.747:
	v_cmp_ne_u32_e32 vcc, 0, v128
	v_cndmask_b32_e32 v128, 45, v128, vcc
; %bb.748:
	s_andn2_saveexec_b64 s[0:1], s[0:1]
; %bb.749:
	v_div_scale_f64 v[130:131], s[2:3], v[120:121], v[120:121], 1.0
	v_rcp_f64_e32 v[132:133], v[130:131]
	v_div_scale_f64 v[134:135], vcc, 1.0, v[120:121], 1.0
	v_fma_f64 v[136:137], -v[130:131], v[132:133], 1.0
	v_fmac_f64_e32 v[132:133], v[132:133], v[136:137]
	v_fma_f64 v[136:137], -v[130:131], v[132:133], 1.0
	v_fmac_f64_e32 v[132:133], v[132:133], v[136:137]
	v_mul_f64 v[136:137], v[134:135], v[132:133]
	v_fma_f64 v[130:131], -v[130:131], v[136:137], v[134:135]
	v_div_fmas_f64 v[130:131], v[130:131], v[132:133], v[136:137]
	v_div_fixup_f64 v[120:121], v[130:131], v[120:121], 1.0
; %bb.750:
	s_or_b64 exec, exec, s[0:1]
	v_cmp_ne_u32_e32 vcc, v125, v122
	s_and_saveexec_b64 s[0:1], vcc
	s_xor_b64 s[0:1], exec, s[0:1]
	s_cbranch_execz .LBB114_756
; %bb.751:
	v_cmp_eq_u32_e32 vcc, 44, v125
	s_and_saveexec_b64 s[2:3], vcc
	s_cbranch_execz .LBB114_755
; %bb.752:
	v_cmp_ne_u32_e32 vcc, 44, v122
	s_xor_b64 s[14:15], s[6:7], -1
	s_and_b64 s[16:17], s[14:15], vcc
	s_and_saveexec_b64 s[14:15], s[16:17]
	s_cbranch_execz .LBB114_754
; %bb.753:
	v_ashrrev_i32_e32 v123, 31, v122
	v_lshlrev_b64 v[130:131], 2, v[122:123]
	v_add_co_u32_e32 v130, vcc, v4, v130
	v_addc_co_u32_e32 v131, vcc, v5, v131, vcc
	flat_load_dword v123, v[130:131]
	flat_load_dword v125, v[4:5] offset:176
	s_waitcnt vmcnt(0) lgkmcnt(0)
	flat_store_dword v[4:5], v123 offset:176
	flat_store_dword v[130:131], v125
.LBB114_754:
	s_or_b64 exec, exec, s[14:15]
	v_mov_b32_e32 v123, v122
	v_mov_b32_e32 v125, v122
.LBB114_755:
	s_or_b64 exec, exec, s[2:3]
.LBB114_756:
	s_andn2_saveexec_b64 s[0:1], s[0:1]
	s_cbranch_execz .LBB114_758
; %bb.757:
	v_mov_b32_e32 v125, 44
	ds_write2_b64 v124, v[26:27], v[24:25] offset0:45 offset1:46
	ds_write2_b64 v124, v[22:23], v[20:21] offset0:47 offset1:48
	;; [unrolled: 1-line block ×6, first 2 shown]
	ds_write_b64 v124, v[118:119] offset:456
.LBB114_758:
	s_or_b64 exec, exec, s[0:1]
	v_cmp_lt_i32_e32 vcc, 44, v125
	s_waitcnt lgkmcnt(0)
	s_barrier
	s_and_saveexec_b64 s[0:1], vcc
	s_cbranch_execz .LBB114_760
; %bb.759:
	ds_read2_b64 v[130:133], v124 offset0:45 offset1:46
	ds_read2_b64 v[134:137], v124 offset0:47 offset1:48
	;; [unrolled: 1-line block ×3, first 2 shown]
	v_mul_f64 v[28:29], v[120:121], v[28:29]
	ds_read_b64 v[120:121], v124 offset:456
	s_waitcnt lgkmcnt(0)
	v_fma_f64 v[26:27], -v[28:29], v[130:131], v[26:27]
	v_fma_f64 v[24:25], -v[28:29], v[132:133], v[24:25]
	ds_read2_b64 v[130:133], v124 offset0:51 offset1:52
	v_fma_f64 v[22:23], -v[28:29], v[134:135], v[22:23]
	v_fma_f64 v[20:21], -v[28:29], v[136:137], v[20:21]
	;; [unrolled: 1-line block ×4, first 2 shown]
	ds_read2_b64 v[134:137], v124 offset0:53 offset1:54
	ds_read2_b64 v[138:141], v124 offset0:55 offset1:56
	s_waitcnt lgkmcnt(0)
	v_fma_f64 v[14:15], -v[28:29], v[130:131], v[14:15]
	v_fma_f64 v[12:13], -v[28:29], v[132:133], v[12:13]
	;; [unrolled: 1-line block ×7, first 2 shown]
.LBB114_760:
	s_or_b64 exec, exec, s[0:1]
	v_lshl_add_u32 v120, v125, 3, v124
	s_barrier
	ds_write_b64 v120, v[26:27]
	s_waitcnt lgkmcnt(0)
	s_barrier
	ds_read_b64 v[120:121], v124 offset:360
	s_cmp_lt_i32 s18, 47
	v_mov_b32_e32 v122, 45
	s_cbranch_scc1 .LBB114_763
; %bb.761:
	v_add_u32_e32 v129, 0x170, v124
	s_mov_b32 s0, 46
	v_mov_b32_e32 v122, 45
.LBB114_762:                            ; =>This Inner Loop Header: Depth=1
	ds_read_b64 v[130:131], v129
	v_mov_b32_e32 v132, s0
	s_add_i32 s0, s0, 1
	v_add_u32_e32 v129, 8, v129
	s_cmp_lg_u32 s18, s0
	s_waitcnt lgkmcnt(0)
	v_cmp_lt_f64_e64 vcc, |v[120:121]|, |v[130:131]|
	v_cndmask_b32_e32 v121, v121, v131, vcc
	v_cndmask_b32_e32 v120, v120, v130, vcc
	;; [unrolled: 1-line block ×3, first 2 shown]
	s_cbranch_scc1 .LBB114_762
.LBB114_763:
	s_waitcnt lgkmcnt(0)
	v_cmp_eq_f64_e32 vcc, 0, v[120:121]
	s_and_saveexec_b64 s[0:1], vcc
	s_xor_b64 s[0:1], exec, s[0:1]
; %bb.764:
	v_cmp_ne_u32_e32 vcc, 0, v128
	v_cndmask_b32_e32 v128, 46, v128, vcc
; %bb.765:
	s_andn2_saveexec_b64 s[0:1], s[0:1]
; %bb.766:
	v_div_scale_f64 v[130:131], s[2:3], v[120:121], v[120:121], 1.0
	v_rcp_f64_e32 v[132:133], v[130:131]
	v_div_scale_f64 v[134:135], vcc, 1.0, v[120:121], 1.0
	v_fma_f64 v[136:137], -v[130:131], v[132:133], 1.0
	v_fmac_f64_e32 v[132:133], v[132:133], v[136:137]
	v_fma_f64 v[136:137], -v[130:131], v[132:133], 1.0
	v_fmac_f64_e32 v[132:133], v[132:133], v[136:137]
	v_mul_f64 v[136:137], v[134:135], v[132:133]
	v_fma_f64 v[130:131], -v[130:131], v[136:137], v[134:135]
	v_div_fmas_f64 v[130:131], v[130:131], v[132:133], v[136:137]
	v_div_fixup_f64 v[120:121], v[130:131], v[120:121], 1.0
; %bb.767:
	s_or_b64 exec, exec, s[0:1]
	v_cmp_ne_u32_e32 vcc, v125, v122
	s_and_saveexec_b64 s[0:1], vcc
	s_xor_b64 s[0:1], exec, s[0:1]
	s_cbranch_execz .LBB114_773
; %bb.768:
	v_cmp_eq_u32_e32 vcc, 45, v125
	s_and_saveexec_b64 s[2:3], vcc
	s_cbranch_execz .LBB114_772
; %bb.769:
	v_cmp_ne_u32_e32 vcc, 45, v122
	s_xor_b64 s[14:15], s[6:7], -1
	s_and_b64 s[16:17], s[14:15], vcc
	s_and_saveexec_b64 s[14:15], s[16:17]
	s_cbranch_execz .LBB114_771
; %bb.770:
	v_ashrrev_i32_e32 v123, 31, v122
	v_lshlrev_b64 v[130:131], 2, v[122:123]
	v_add_co_u32_e32 v130, vcc, v4, v130
	v_addc_co_u32_e32 v131, vcc, v5, v131, vcc
	flat_load_dword v123, v[130:131]
	flat_load_dword v125, v[4:5] offset:180
	s_waitcnt vmcnt(0) lgkmcnt(0)
	flat_store_dword v[4:5], v123 offset:180
	flat_store_dword v[130:131], v125
.LBB114_771:
	s_or_b64 exec, exec, s[14:15]
	v_mov_b32_e32 v123, v122
	v_mov_b32_e32 v125, v122
.LBB114_772:
	s_or_b64 exec, exec, s[2:3]
.LBB114_773:
	s_andn2_saveexec_b64 s[0:1], s[0:1]
	s_cbranch_execz .LBB114_775
; %bb.774:
	v_mov_b32_e32 v130, v24
	v_mov_b32_e32 v131, v25
	v_mov_b32_e32 v132, v22
	v_mov_b32_e32 v133, v23
	ds_write2_b64 v124, v[130:131], v[132:133] offset0:46 offset1:47
	v_mov_b32_e32 v130, v20
	v_mov_b32_e32 v131, v21
	v_mov_b32_e32 v132, v18
	v_mov_b32_e32 v133, v19
	ds_write2_b64 v124, v[130:131], v[132:133] offset0:48 offset1:49
	;; [unrolled: 5-line block ×5, first 2 shown]
	v_mov_b32_e32 v130, v0
	v_mov_b32_e32 v131, v1
	v_mov_b32_e32 v125, 45
	ds_write2_b64 v124, v[130:131], v[118:119] offset0:56 offset1:57
.LBB114_775:
	s_or_b64 exec, exec, s[0:1]
	v_cmp_lt_i32_e32 vcc, 45, v125
	s_waitcnt lgkmcnt(0)
	s_barrier
	s_and_saveexec_b64 s[0:1], vcc
	s_cbranch_execz .LBB114_777
; %bb.776:
	ds_read2_b64 v[130:133], v124 offset0:46 offset1:47
	ds_read2_b64 v[134:137], v124 offset0:48 offset1:49
	;; [unrolled: 1-line block ×3, first 2 shown]
	v_mul_f64 v[26:27], v[120:121], v[26:27]
	s_waitcnt lgkmcnt(0)
	v_fma_f64 v[24:25], -v[26:27], v[130:131], v[24:25]
	v_fma_f64 v[22:23], -v[26:27], v[132:133], v[22:23]
	ds_read2_b64 v[130:133], v124 offset0:52 offset1:53
	v_fma_f64 v[20:21], -v[26:27], v[134:135], v[20:21]
	v_fma_f64 v[18:19], -v[26:27], v[136:137], v[18:19]
	v_fma_f64 v[16:17], -v[26:27], v[138:139], v[16:17]
	ds_read2_b64 v[134:137], v124 offset0:54 offset1:55
	v_fma_f64 v[14:15], -v[26:27], v[140:141], v[14:15]
	ds_read2_b64 v[138:141], v124 offset0:56 offset1:57
	s_waitcnt lgkmcnt(0)
	v_fma_f64 v[12:13], -v[26:27], v[130:131], v[12:13]
	v_fma_f64 v[10:11], -v[26:27], v[132:133], v[10:11]
	;; [unrolled: 1-line block ×6, first 2 shown]
.LBB114_777:
	s_or_b64 exec, exec, s[0:1]
	v_lshl_add_u32 v120, v125, 3, v124
	s_barrier
	ds_write_b64 v120, v[24:25]
	s_waitcnt lgkmcnt(0)
	s_barrier
	ds_read_b64 v[120:121], v124 offset:368
	s_cmp_lt_i32 s18, 48
	v_mov_b32_e32 v122, 46
	s_cbranch_scc1 .LBB114_780
; %bb.778:
	v_add_u32_e32 v129, 0x178, v124
	s_mov_b32 s0, 47
	v_mov_b32_e32 v122, 46
.LBB114_779:                            ; =>This Inner Loop Header: Depth=1
	ds_read_b64 v[130:131], v129
	v_mov_b32_e32 v132, s0
	s_add_i32 s0, s0, 1
	v_add_u32_e32 v129, 8, v129
	s_cmp_lg_u32 s18, s0
	s_waitcnt lgkmcnt(0)
	v_cmp_lt_f64_e64 vcc, |v[120:121]|, |v[130:131]|
	v_cndmask_b32_e32 v121, v121, v131, vcc
	v_cndmask_b32_e32 v120, v120, v130, vcc
	v_cndmask_b32_e32 v122, v122, v132, vcc
	s_cbranch_scc1 .LBB114_779
.LBB114_780:
	s_waitcnt lgkmcnt(0)
	v_cmp_eq_f64_e32 vcc, 0, v[120:121]
	s_and_saveexec_b64 s[0:1], vcc
	s_xor_b64 s[0:1], exec, s[0:1]
; %bb.781:
	v_cmp_ne_u32_e32 vcc, 0, v128
	v_cndmask_b32_e32 v128, 47, v128, vcc
; %bb.782:
	s_andn2_saveexec_b64 s[0:1], s[0:1]
; %bb.783:
	v_div_scale_f64 v[130:131], s[2:3], v[120:121], v[120:121], 1.0
	v_rcp_f64_e32 v[132:133], v[130:131]
	v_div_scale_f64 v[134:135], vcc, 1.0, v[120:121], 1.0
	v_fma_f64 v[136:137], -v[130:131], v[132:133], 1.0
	v_fmac_f64_e32 v[132:133], v[132:133], v[136:137]
	v_fma_f64 v[136:137], -v[130:131], v[132:133], 1.0
	v_fmac_f64_e32 v[132:133], v[132:133], v[136:137]
	v_mul_f64 v[136:137], v[134:135], v[132:133]
	v_fma_f64 v[130:131], -v[130:131], v[136:137], v[134:135]
	v_div_fmas_f64 v[130:131], v[130:131], v[132:133], v[136:137]
	v_div_fixup_f64 v[120:121], v[130:131], v[120:121], 1.0
; %bb.784:
	s_or_b64 exec, exec, s[0:1]
	v_cmp_ne_u32_e32 vcc, v125, v122
	s_and_saveexec_b64 s[0:1], vcc
	s_xor_b64 s[0:1], exec, s[0:1]
	s_cbranch_execz .LBB114_790
; %bb.785:
	v_cmp_eq_u32_e32 vcc, 46, v125
	s_and_saveexec_b64 s[2:3], vcc
	s_cbranch_execz .LBB114_789
; %bb.786:
	v_cmp_ne_u32_e32 vcc, 46, v122
	s_xor_b64 s[14:15], s[6:7], -1
	s_and_b64 s[16:17], s[14:15], vcc
	s_and_saveexec_b64 s[14:15], s[16:17]
	s_cbranch_execz .LBB114_788
; %bb.787:
	v_ashrrev_i32_e32 v123, 31, v122
	v_lshlrev_b64 v[130:131], 2, v[122:123]
	v_add_co_u32_e32 v130, vcc, v4, v130
	v_addc_co_u32_e32 v131, vcc, v5, v131, vcc
	flat_load_dword v123, v[130:131]
	flat_load_dword v125, v[4:5] offset:184
	s_waitcnt vmcnt(0) lgkmcnt(0)
	flat_store_dword v[4:5], v123 offset:184
	flat_store_dword v[130:131], v125
.LBB114_788:
	s_or_b64 exec, exec, s[14:15]
	v_mov_b32_e32 v123, v122
	v_mov_b32_e32 v125, v122
.LBB114_789:
	s_or_b64 exec, exec, s[2:3]
.LBB114_790:
	s_andn2_saveexec_b64 s[0:1], s[0:1]
	s_cbranch_execz .LBB114_792
; %bb.791:
	v_mov_b32_e32 v125, 46
	ds_write2_b64 v124, v[22:23], v[20:21] offset0:47 offset1:48
	ds_write2_b64 v124, v[18:19], v[16:17] offset0:49 offset1:50
	;; [unrolled: 1-line block ×5, first 2 shown]
	ds_write_b64 v124, v[118:119] offset:456
.LBB114_792:
	s_or_b64 exec, exec, s[0:1]
	v_cmp_lt_i32_e32 vcc, 46, v125
	s_waitcnt lgkmcnt(0)
	s_barrier
	s_and_saveexec_b64 s[0:1], vcc
	s_cbranch_execz .LBB114_794
; %bb.793:
	ds_read2_b64 v[130:133], v124 offset0:47 offset1:48
	ds_read2_b64 v[134:137], v124 offset0:49 offset1:50
	v_mul_f64 v[24:25], v[120:121], v[24:25]
	ds_read2_b64 v[138:141], v124 offset0:51 offset1:52
	ds_read_b64 v[120:121], v124 offset:456
	s_waitcnt lgkmcnt(0)
	v_fma_f64 v[22:23], -v[24:25], v[130:131], v[22:23]
	v_fma_f64 v[20:21], -v[24:25], v[132:133], v[20:21]
	ds_read2_b64 v[130:133], v124 offset0:53 offset1:54
	v_fma_f64 v[18:19], -v[24:25], v[134:135], v[18:19]
	v_fma_f64 v[16:17], -v[24:25], v[136:137], v[16:17]
	ds_read2_b64 v[134:137], v124 offset0:55 offset1:56
	v_fma_f64 v[14:15], -v[24:25], v[138:139], v[14:15]
	v_fma_f64 v[12:13], -v[24:25], v[140:141], v[12:13]
	s_waitcnt lgkmcnt(0)
	v_fma_f64 v[10:11], -v[24:25], v[130:131], v[10:11]
	v_fma_f64 v[8:9], -v[24:25], v[132:133], v[8:9]
	;; [unrolled: 1-line block ×5, first 2 shown]
.LBB114_794:
	s_or_b64 exec, exec, s[0:1]
	v_lshl_add_u32 v120, v125, 3, v124
	s_barrier
	ds_write_b64 v120, v[22:23]
	s_waitcnt lgkmcnt(0)
	s_barrier
	ds_read_b64 v[120:121], v124 offset:376
	s_cmp_lt_i32 s18, 49
	v_mov_b32_e32 v122, 47
	s_cbranch_scc1 .LBB114_797
; %bb.795:
	v_add_u32_e32 v129, 0x180, v124
	s_mov_b32 s0, 48
	v_mov_b32_e32 v122, 47
.LBB114_796:                            ; =>This Inner Loop Header: Depth=1
	ds_read_b64 v[130:131], v129
	v_mov_b32_e32 v132, s0
	s_add_i32 s0, s0, 1
	v_add_u32_e32 v129, 8, v129
	s_cmp_lg_u32 s18, s0
	s_waitcnt lgkmcnt(0)
	v_cmp_lt_f64_e64 vcc, |v[120:121]|, |v[130:131]|
	v_cndmask_b32_e32 v121, v121, v131, vcc
	v_cndmask_b32_e32 v120, v120, v130, vcc
	;; [unrolled: 1-line block ×3, first 2 shown]
	s_cbranch_scc1 .LBB114_796
.LBB114_797:
	s_waitcnt lgkmcnt(0)
	v_cmp_eq_f64_e32 vcc, 0, v[120:121]
	s_and_saveexec_b64 s[0:1], vcc
	s_xor_b64 s[0:1], exec, s[0:1]
; %bb.798:
	v_cmp_ne_u32_e32 vcc, 0, v128
	v_cndmask_b32_e32 v128, 48, v128, vcc
; %bb.799:
	s_andn2_saveexec_b64 s[0:1], s[0:1]
; %bb.800:
	v_div_scale_f64 v[130:131], s[2:3], v[120:121], v[120:121], 1.0
	v_rcp_f64_e32 v[132:133], v[130:131]
	v_div_scale_f64 v[134:135], vcc, 1.0, v[120:121], 1.0
	v_fma_f64 v[136:137], -v[130:131], v[132:133], 1.0
	v_fmac_f64_e32 v[132:133], v[132:133], v[136:137]
	v_fma_f64 v[136:137], -v[130:131], v[132:133], 1.0
	v_fmac_f64_e32 v[132:133], v[132:133], v[136:137]
	v_mul_f64 v[136:137], v[134:135], v[132:133]
	v_fma_f64 v[130:131], -v[130:131], v[136:137], v[134:135]
	v_div_fmas_f64 v[130:131], v[130:131], v[132:133], v[136:137]
	v_div_fixup_f64 v[120:121], v[130:131], v[120:121], 1.0
; %bb.801:
	s_or_b64 exec, exec, s[0:1]
	v_cmp_ne_u32_e32 vcc, v125, v122
	s_and_saveexec_b64 s[0:1], vcc
	s_xor_b64 s[0:1], exec, s[0:1]
	s_cbranch_execz .LBB114_807
; %bb.802:
	v_cmp_eq_u32_e32 vcc, 47, v125
	s_and_saveexec_b64 s[2:3], vcc
	s_cbranch_execz .LBB114_806
; %bb.803:
	v_cmp_ne_u32_e32 vcc, 47, v122
	s_xor_b64 s[14:15], s[6:7], -1
	s_and_b64 s[16:17], s[14:15], vcc
	s_and_saveexec_b64 s[14:15], s[16:17]
	s_cbranch_execz .LBB114_805
; %bb.804:
	v_ashrrev_i32_e32 v123, 31, v122
	v_lshlrev_b64 v[130:131], 2, v[122:123]
	v_add_co_u32_e32 v130, vcc, v4, v130
	v_addc_co_u32_e32 v131, vcc, v5, v131, vcc
	flat_load_dword v123, v[130:131]
	flat_load_dword v125, v[4:5] offset:188
	s_waitcnt vmcnt(0) lgkmcnt(0)
	flat_store_dword v[4:5], v123 offset:188
	flat_store_dword v[130:131], v125
.LBB114_805:
	s_or_b64 exec, exec, s[14:15]
	v_mov_b32_e32 v123, v122
	v_mov_b32_e32 v125, v122
.LBB114_806:
	s_or_b64 exec, exec, s[2:3]
.LBB114_807:
	s_andn2_saveexec_b64 s[0:1], s[0:1]
	s_cbranch_execz .LBB114_809
; %bb.808:
	v_mov_b32_e32 v130, v20
	v_mov_b32_e32 v131, v21
	v_mov_b32_e32 v132, v18
	v_mov_b32_e32 v133, v19
	ds_write2_b64 v124, v[130:131], v[132:133] offset0:48 offset1:49
	v_mov_b32_e32 v130, v16
	v_mov_b32_e32 v131, v17
	v_mov_b32_e32 v132, v14
	v_mov_b32_e32 v133, v15
	ds_write2_b64 v124, v[130:131], v[132:133] offset0:50 offset1:51
	;; [unrolled: 5-line block ×4, first 2 shown]
	v_mov_b32_e32 v130, v0
	v_mov_b32_e32 v131, v1
	;; [unrolled: 1-line block ×3, first 2 shown]
	ds_write2_b64 v124, v[130:131], v[118:119] offset0:56 offset1:57
.LBB114_809:
	s_or_b64 exec, exec, s[0:1]
	v_cmp_lt_i32_e32 vcc, 47, v125
	s_waitcnt lgkmcnt(0)
	s_barrier
	s_and_saveexec_b64 s[0:1], vcc
	s_cbranch_execz .LBB114_811
; %bb.810:
	ds_read2_b64 v[130:133], v124 offset0:48 offset1:49
	ds_read2_b64 v[134:137], v124 offset0:50 offset1:51
	v_mul_f64 v[22:23], v[120:121], v[22:23]
	ds_read2_b64 v[138:141], v124 offset0:54 offset1:55
	s_waitcnt lgkmcnt(0)
	v_fma_f64 v[20:21], -v[22:23], v[130:131], v[20:21]
	v_fma_f64 v[18:19], -v[22:23], v[132:133], v[18:19]
	ds_read2_b64 v[130:133], v124 offset0:52 offset1:53
	v_fma_f64 v[16:17], -v[22:23], v[134:135], v[16:17]
	v_fma_f64 v[14:15], -v[22:23], v[136:137], v[14:15]
	ds_read2_b64 v[134:137], v124 offset0:56 offset1:57
	v_fma_f64 v[8:9], -v[22:23], v[138:139], v[8:9]
	s_waitcnt lgkmcnt(0)
	v_fma_f64 v[12:13], -v[22:23], v[130:131], v[12:13]
	v_fma_f64 v[10:11], -v[22:23], v[132:133], v[10:11]
	;; [unrolled: 1-line block ×5, first 2 shown]
.LBB114_811:
	s_or_b64 exec, exec, s[0:1]
	v_lshl_add_u32 v120, v125, 3, v124
	s_barrier
	ds_write_b64 v120, v[20:21]
	s_waitcnt lgkmcnt(0)
	s_barrier
	ds_read_b64 v[120:121], v124 offset:384
	s_cmp_lt_i32 s18, 50
	v_mov_b32_e32 v122, 48
	s_cbranch_scc1 .LBB114_814
; %bb.812:
	v_add_u32_e32 v129, 0x188, v124
	s_mov_b32 s0, 49
	v_mov_b32_e32 v122, 48
.LBB114_813:                            ; =>This Inner Loop Header: Depth=1
	ds_read_b64 v[130:131], v129
	v_mov_b32_e32 v132, s0
	s_add_i32 s0, s0, 1
	v_add_u32_e32 v129, 8, v129
	s_cmp_lg_u32 s18, s0
	s_waitcnt lgkmcnt(0)
	v_cmp_lt_f64_e64 vcc, |v[120:121]|, |v[130:131]|
	v_cndmask_b32_e32 v121, v121, v131, vcc
	v_cndmask_b32_e32 v120, v120, v130, vcc
	;; [unrolled: 1-line block ×3, first 2 shown]
	s_cbranch_scc1 .LBB114_813
.LBB114_814:
	s_waitcnt lgkmcnt(0)
	v_cmp_eq_f64_e32 vcc, 0, v[120:121]
	s_and_saveexec_b64 s[0:1], vcc
	s_xor_b64 s[0:1], exec, s[0:1]
; %bb.815:
	v_cmp_ne_u32_e32 vcc, 0, v128
	v_cndmask_b32_e32 v128, 49, v128, vcc
; %bb.816:
	s_andn2_saveexec_b64 s[0:1], s[0:1]
; %bb.817:
	v_div_scale_f64 v[130:131], s[2:3], v[120:121], v[120:121], 1.0
	v_rcp_f64_e32 v[132:133], v[130:131]
	v_div_scale_f64 v[134:135], vcc, 1.0, v[120:121], 1.0
	v_fma_f64 v[136:137], -v[130:131], v[132:133], 1.0
	v_fmac_f64_e32 v[132:133], v[132:133], v[136:137]
	v_fma_f64 v[136:137], -v[130:131], v[132:133], 1.0
	v_fmac_f64_e32 v[132:133], v[132:133], v[136:137]
	v_mul_f64 v[136:137], v[134:135], v[132:133]
	v_fma_f64 v[130:131], -v[130:131], v[136:137], v[134:135]
	v_div_fmas_f64 v[130:131], v[130:131], v[132:133], v[136:137]
	v_div_fixup_f64 v[120:121], v[130:131], v[120:121], 1.0
; %bb.818:
	s_or_b64 exec, exec, s[0:1]
	v_cmp_ne_u32_e32 vcc, v125, v122
	s_and_saveexec_b64 s[0:1], vcc
	s_xor_b64 s[0:1], exec, s[0:1]
	s_cbranch_execz .LBB114_824
; %bb.819:
	v_cmp_eq_u32_e32 vcc, 48, v125
	s_and_saveexec_b64 s[2:3], vcc
	s_cbranch_execz .LBB114_823
; %bb.820:
	v_cmp_ne_u32_e32 vcc, 48, v122
	s_xor_b64 s[14:15], s[6:7], -1
	s_and_b64 s[16:17], s[14:15], vcc
	s_and_saveexec_b64 s[14:15], s[16:17]
	s_cbranch_execz .LBB114_822
; %bb.821:
	v_ashrrev_i32_e32 v123, 31, v122
	v_lshlrev_b64 v[130:131], 2, v[122:123]
	v_add_co_u32_e32 v130, vcc, v4, v130
	v_addc_co_u32_e32 v131, vcc, v5, v131, vcc
	flat_load_dword v123, v[130:131]
	flat_load_dword v125, v[4:5] offset:192
	s_waitcnt vmcnt(0) lgkmcnt(0)
	flat_store_dword v[4:5], v123 offset:192
	flat_store_dword v[130:131], v125
.LBB114_822:
	s_or_b64 exec, exec, s[14:15]
	v_mov_b32_e32 v123, v122
	v_mov_b32_e32 v125, v122
.LBB114_823:
	s_or_b64 exec, exec, s[2:3]
.LBB114_824:
	s_andn2_saveexec_b64 s[0:1], s[0:1]
	s_cbranch_execz .LBB114_826
; %bb.825:
	v_mov_b32_e32 v125, 48
	ds_write2_b64 v124, v[18:19], v[16:17] offset0:49 offset1:50
	ds_write2_b64 v124, v[14:15], v[12:13] offset0:51 offset1:52
	;; [unrolled: 1-line block ×4, first 2 shown]
	ds_write_b64 v124, v[118:119] offset:456
.LBB114_826:
	s_or_b64 exec, exec, s[0:1]
	v_cmp_lt_i32_e32 vcc, 48, v125
	s_waitcnt lgkmcnt(0)
	s_barrier
	s_and_saveexec_b64 s[0:1], vcc
	s_cbranch_execz .LBB114_828
; %bb.827:
	ds_read2_b64 v[130:133], v124 offset0:49 offset1:50
	ds_read2_b64 v[134:137], v124 offset0:51 offset1:52
	v_mul_f64 v[20:21], v[120:121], v[20:21]
	ds_read_b64 v[120:121], v124 offset:456
	ds_read2_b64 v[138:141], v124 offset0:55 offset1:56
	s_waitcnt lgkmcnt(0)
	v_fma_f64 v[18:19], -v[20:21], v[130:131], v[18:19]
	v_fma_f64 v[16:17], -v[20:21], v[132:133], v[16:17]
	ds_read2_b64 v[130:133], v124 offset0:53 offset1:54
	v_fma_f64 v[14:15], -v[20:21], v[134:135], v[14:15]
	v_fma_f64 v[12:13], -v[20:21], v[136:137], v[12:13]
	;; [unrolled: 1-line block ×4, first 2 shown]
	s_waitcnt lgkmcnt(0)
	v_fma_f64 v[10:11], -v[20:21], v[130:131], v[10:11]
	v_fma_f64 v[8:9], -v[20:21], v[132:133], v[8:9]
	;; [unrolled: 1-line block ×3, first 2 shown]
.LBB114_828:
	s_or_b64 exec, exec, s[0:1]
	v_lshl_add_u32 v120, v125, 3, v124
	s_barrier
	ds_write_b64 v120, v[18:19]
	s_waitcnt lgkmcnt(0)
	s_barrier
	ds_read_b64 v[120:121], v124 offset:392
	s_cmp_lt_i32 s18, 51
	v_mov_b32_e32 v122, 49
	s_cbranch_scc1 .LBB114_831
; %bb.829:
	v_add_u32_e32 v129, 0x190, v124
	s_mov_b32 s0, 50
	v_mov_b32_e32 v122, 49
.LBB114_830:                            ; =>This Inner Loop Header: Depth=1
	ds_read_b64 v[130:131], v129
	v_mov_b32_e32 v132, s0
	s_add_i32 s0, s0, 1
	v_add_u32_e32 v129, 8, v129
	s_cmp_lg_u32 s18, s0
	s_waitcnt lgkmcnt(0)
	v_cmp_lt_f64_e64 vcc, |v[120:121]|, |v[130:131]|
	v_cndmask_b32_e32 v121, v121, v131, vcc
	v_cndmask_b32_e32 v120, v120, v130, vcc
	;; [unrolled: 1-line block ×3, first 2 shown]
	s_cbranch_scc1 .LBB114_830
.LBB114_831:
	s_waitcnt lgkmcnt(0)
	v_cmp_eq_f64_e32 vcc, 0, v[120:121]
	s_and_saveexec_b64 s[0:1], vcc
	s_xor_b64 s[0:1], exec, s[0:1]
; %bb.832:
	v_cmp_ne_u32_e32 vcc, 0, v128
	v_cndmask_b32_e32 v128, 50, v128, vcc
; %bb.833:
	s_andn2_saveexec_b64 s[0:1], s[0:1]
; %bb.834:
	v_div_scale_f64 v[130:131], s[2:3], v[120:121], v[120:121], 1.0
	v_rcp_f64_e32 v[132:133], v[130:131]
	v_div_scale_f64 v[134:135], vcc, 1.0, v[120:121], 1.0
	v_fma_f64 v[136:137], -v[130:131], v[132:133], 1.0
	v_fmac_f64_e32 v[132:133], v[132:133], v[136:137]
	v_fma_f64 v[136:137], -v[130:131], v[132:133], 1.0
	v_fmac_f64_e32 v[132:133], v[132:133], v[136:137]
	v_mul_f64 v[136:137], v[134:135], v[132:133]
	v_fma_f64 v[130:131], -v[130:131], v[136:137], v[134:135]
	v_div_fmas_f64 v[130:131], v[130:131], v[132:133], v[136:137]
	v_div_fixup_f64 v[120:121], v[130:131], v[120:121], 1.0
; %bb.835:
	s_or_b64 exec, exec, s[0:1]
	v_cmp_ne_u32_e32 vcc, v125, v122
	s_and_saveexec_b64 s[0:1], vcc
	s_xor_b64 s[0:1], exec, s[0:1]
	s_cbranch_execz .LBB114_841
; %bb.836:
	v_cmp_eq_u32_e32 vcc, 49, v125
	s_and_saveexec_b64 s[2:3], vcc
	s_cbranch_execz .LBB114_840
; %bb.837:
	v_cmp_ne_u32_e32 vcc, 49, v122
	s_xor_b64 s[14:15], s[6:7], -1
	s_and_b64 s[16:17], s[14:15], vcc
	s_and_saveexec_b64 s[14:15], s[16:17]
	s_cbranch_execz .LBB114_839
; %bb.838:
	v_ashrrev_i32_e32 v123, 31, v122
	v_lshlrev_b64 v[130:131], 2, v[122:123]
	v_add_co_u32_e32 v130, vcc, v4, v130
	v_addc_co_u32_e32 v131, vcc, v5, v131, vcc
	flat_load_dword v123, v[130:131]
	flat_load_dword v125, v[4:5] offset:196
	s_waitcnt vmcnt(0) lgkmcnt(0)
	flat_store_dword v[4:5], v123 offset:196
	flat_store_dword v[130:131], v125
.LBB114_839:
	s_or_b64 exec, exec, s[14:15]
	v_mov_b32_e32 v123, v122
	v_mov_b32_e32 v125, v122
.LBB114_840:
	s_or_b64 exec, exec, s[2:3]
.LBB114_841:
	s_andn2_saveexec_b64 s[0:1], s[0:1]
	s_cbranch_execz .LBB114_843
; %bb.842:
	v_mov_b32_e32 v130, v16
	v_mov_b32_e32 v131, v17
	v_mov_b32_e32 v132, v14
	v_mov_b32_e32 v133, v15
	ds_write2_b64 v124, v[130:131], v[132:133] offset0:50 offset1:51
	v_mov_b32_e32 v130, v12
	v_mov_b32_e32 v131, v13
	v_mov_b32_e32 v132, v10
	v_mov_b32_e32 v133, v11
	ds_write2_b64 v124, v[130:131], v[132:133] offset0:52 offset1:53
	;; [unrolled: 5-line block ×3, first 2 shown]
	v_mov_b32_e32 v130, v0
	v_mov_b32_e32 v131, v1
	;; [unrolled: 1-line block ×3, first 2 shown]
	ds_write2_b64 v124, v[130:131], v[118:119] offset0:56 offset1:57
.LBB114_843:
	s_or_b64 exec, exec, s[0:1]
	v_cmp_lt_i32_e32 vcc, 49, v125
	s_waitcnt lgkmcnt(0)
	s_barrier
	s_and_saveexec_b64 s[0:1], vcc
	s_cbranch_execz .LBB114_845
; %bb.844:
	ds_read2_b64 v[130:133], v124 offset0:50 offset1:51
	ds_read2_b64 v[134:137], v124 offset0:52 offset1:53
	v_mul_f64 v[18:19], v[120:121], v[18:19]
	ds_read2_b64 v[138:141], v124 offset0:54 offset1:55
	s_waitcnt lgkmcnt(0)
	v_fma_f64 v[16:17], -v[18:19], v[130:131], v[16:17]
	v_fma_f64 v[14:15], -v[18:19], v[132:133], v[14:15]
	ds_read2_b64 v[130:133], v124 offset0:56 offset1:57
	v_fma_f64 v[12:13], -v[18:19], v[134:135], v[12:13]
	v_fma_f64 v[10:11], -v[18:19], v[136:137], v[10:11]
	;; [unrolled: 1-line block ×4, first 2 shown]
	s_waitcnt lgkmcnt(0)
	v_fma_f64 v[0:1], -v[18:19], v[130:131], v[0:1]
	v_fma_f64 v[118:119], -v[18:19], v[132:133], v[118:119]
.LBB114_845:
	s_or_b64 exec, exec, s[0:1]
	v_lshl_add_u32 v120, v125, 3, v124
	s_barrier
	ds_write_b64 v120, v[16:17]
	s_waitcnt lgkmcnt(0)
	s_barrier
	ds_read_b64 v[120:121], v124 offset:400
	s_cmp_lt_i32 s18, 52
	v_mov_b32_e32 v122, 50
	s_cbranch_scc1 .LBB114_848
; %bb.846:
	v_add_u32_e32 v129, 0x198, v124
	s_mov_b32 s0, 51
	v_mov_b32_e32 v122, 50
.LBB114_847:                            ; =>This Inner Loop Header: Depth=1
	ds_read_b64 v[130:131], v129
	v_mov_b32_e32 v132, s0
	s_add_i32 s0, s0, 1
	v_add_u32_e32 v129, 8, v129
	s_cmp_lg_u32 s18, s0
	s_waitcnt lgkmcnt(0)
	v_cmp_lt_f64_e64 vcc, |v[120:121]|, |v[130:131]|
	v_cndmask_b32_e32 v121, v121, v131, vcc
	v_cndmask_b32_e32 v120, v120, v130, vcc
	;; [unrolled: 1-line block ×3, first 2 shown]
	s_cbranch_scc1 .LBB114_847
.LBB114_848:
	s_waitcnt lgkmcnt(0)
	v_cmp_eq_f64_e32 vcc, 0, v[120:121]
	s_and_saveexec_b64 s[0:1], vcc
	s_xor_b64 s[0:1], exec, s[0:1]
; %bb.849:
	v_cmp_ne_u32_e32 vcc, 0, v128
	v_cndmask_b32_e32 v128, 51, v128, vcc
; %bb.850:
	s_andn2_saveexec_b64 s[0:1], s[0:1]
; %bb.851:
	v_div_scale_f64 v[130:131], s[2:3], v[120:121], v[120:121], 1.0
	v_rcp_f64_e32 v[132:133], v[130:131]
	v_div_scale_f64 v[134:135], vcc, 1.0, v[120:121], 1.0
	v_fma_f64 v[136:137], -v[130:131], v[132:133], 1.0
	v_fmac_f64_e32 v[132:133], v[132:133], v[136:137]
	v_fma_f64 v[136:137], -v[130:131], v[132:133], 1.0
	v_fmac_f64_e32 v[132:133], v[132:133], v[136:137]
	v_mul_f64 v[136:137], v[134:135], v[132:133]
	v_fma_f64 v[130:131], -v[130:131], v[136:137], v[134:135]
	v_div_fmas_f64 v[130:131], v[130:131], v[132:133], v[136:137]
	v_div_fixup_f64 v[120:121], v[130:131], v[120:121], 1.0
; %bb.852:
	s_or_b64 exec, exec, s[0:1]
	v_cmp_ne_u32_e32 vcc, v125, v122
	s_and_saveexec_b64 s[0:1], vcc
	s_xor_b64 s[0:1], exec, s[0:1]
	s_cbranch_execz .LBB114_858
; %bb.853:
	v_cmp_eq_u32_e32 vcc, 50, v125
	s_and_saveexec_b64 s[2:3], vcc
	s_cbranch_execz .LBB114_857
; %bb.854:
	v_cmp_ne_u32_e32 vcc, 50, v122
	s_xor_b64 s[14:15], s[6:7], -1
	s_and_b64 s[16:17], s[14:15], vcc
	s_and_saveexec_b64 s[14:15], s[16:17]
	s_cbranch_execz .LBB114_856
; %bb.855:
	v_ashrrev_i32_e32 v123, 31, v122
	v_lshlrev_b64 v[130:131], 2, v[122:123]
	v_add_co_u32_e32 v130, vcc, v4, v130
	v_addc_co_u32_e32 v131, vcc, v5, v131, vcc
	flat_load_dword v123, v[130:131]
	flat_load_dword v125, v[4:5] offset:200
	s_waitcnt vmcnt(0) lgkmcnt(0)
	flat_store_dword v[4:5], v123 offset:200
	flat_store_dword v[130:131], v125
.LBB114_856:
	s_or_b64 exec, exec, s[14:15]
	v_mov_b32_e32 v123, v122
	v_mov_b32_e32 v125, v122
.LBB114_857:
	s_or_b64 exec, exec, s[2:3]
.LBB114_858:
	s_andn2_saveexec_b64 s[0:1], s[0:1]
	s_cbranch_execz .LBB114_860
; %bb.859:
	v_mov_b32_e32 v125, 50
	ds_write2_b64 v124, v[14:15], v[12:13] offset0:51 offset1:52
	ds_write2_b64 v124, v[10:11], v[8:9] offset0:53 offset1:54
	ds_write2_b64 v124, v[6:7], v[0:1] offset0:55 offset1:56
	ds_write_b64 v124, v[118:119] offset:456
.LBB114_860:
	s_or_b64 exec, exec, s[0:1]
	v_cmp_lt_i32_e32 vcc, 50, v125
	s_waitcnt lgkmcnt(0)
	s_barrier
	s_and_saveexec_b64 s[0:1], vcc
	s_cbranch_execz .LBB114_862
; %bb.861:
	ds_read2_b64 v[130:133], v124 offset0:51 offset1:52
	ds_read2_b64 v[134:137], v124 offset0:53 offset1:54
	v_mul_f64 v[16:17], v[120:121], v[16:17]
	ds_read2_b64 v[138:141], v124 offset0:55 offset1:56
	ds_read_b64 v[120:121], v124 offset:456
	s_waitcnt lgkmcnt(0)
	v_fma_f64 v[14:15], -v[16:17], v[130:131], v[14:15]
	v_fma_f64 v[12:13], -v[16:17], v[132:133], v[12:13]
	;; [unrolled: 1-line block ×7, first 2 shown]
.LBB114_862:
	s_or_b64 exec, exec, s[0:1]
	v_lshl_add_u32 v120, v125, 3, v124
	s_barrier
	ds_write_b64 v120, v[14:15]
	s_waitcnt lgkmcnt(0)
	s_barrier
	ds_read_b64 v[120:121], v124 offset:408
	s_cmp_lt_i32 s18, 53
	v_mov_b32_e32 v122, 51
	s_cbranch_scc1 .LBB114_865
; %bb.863:
	v_add_u32_e32 v129, 0x1a0, v124
	s_mov_b32 s0, 52
	v_mov_b32_e32 v122, 51
.LBB114_864:                            ; =>This Inner Loop Header: Depth=1
	ds_read_b64 v[130:131], v129
	v_mov_b32_e32 v132, s0
	s_add_i32 s0, s0, 1
	v_add_u32_e32 v129, 8, v129
	s_cmp_lg_u32 s18, s0
	s_waitcnt lgkmcnt(0)
	v_cmp_lt_f64_e64 vcc, |v[120:121]|, |v[130:131]|
	v_cndmask_b32_e32 v121, v121, v131, vcc
	v_cndmask_b32_e32 v120, v120, v130, vcc
	;; [unrolled: 1-line block ×3, first 2 shown]
	s_cbranch_scc1 .LBB114_864
.LBB114_865:
	s_waitcnt lgkmcnt(0)
	v_cmp_eq_f64_e32 vcc, 0, v[120:121]
	s_and_saveexec_b64 s[0:1], vcc
	s_xor_b64 s[0:1], exec, s[0:1]
; %bb.866:
	v_cmp_ne_u32_e32 vcc, 0, v128
	v_cndmask_b32_e32 v128, 52, v128, vcc
; %bb.867:
	s_andn2_saveexec_b64 s[0:1], s[0:1]
; %bb.868:
	v_div_scale_f64 v[130:131], s[2:3], v[120:121], v[120:121], 1.0
	v_rcp_f64_e32 v[132:133], v[130:131]
	v_div_scale_f64 v[134:135], vcc, 1.0, v[120:121], 1.0
	v_fma_f64 v[136:137], -v[130:131], v[132:133], 1.0
	v_fmac_f64_e32 v[132:133], v[132:133], v[136:137]
	v_fma_f64 v[136:137], -v[130:131], v[132:133], 1.0
	v_fmac_f64_e32 v[132:133], v[132:133], v[136:137]
	v_mul_f64 v[136:137], v[134:135], v[132:133]
	v_fma_f64 v[130:131], -v[130:131], v[136:137], v[134:135]
	v_div_fmas_f64 v[130:131], v[130:131], v[132:133], v[136:137]
	v_div_fixup_f64 v[120:121], v[130:131], v[120:121], 1.0
; %bb.869:
	s_or_b64 exec, exec, s[0:1]
	v_cmp_ne_u32_e32 vcc, v125, v122
	s_and_saveexec_b64 s[0:1], vcc
	s_xor_b64 s[0:1], exec, s[0:1]
	s_cbranch_execz .LBB114_875
; %bb.870:
	v_cmp_eq_u32_e32 vcc, 51, v125
	s_and_saveexec_b64 s[2:3], vcc
	s_cbranch_execz .LBB114_874
; %bb.871:
	v_cmp_ne_u32_e32 vcc, 51, v122
	s_xor_b64 s[14:15], s[6:7], -1
	s_and_b64 s[16:17], s[14:15], vcc
	s_and_saveexec_b64 s[14:15], s[16:17]
	s_cbranch_execz .LBB114_873
; %bb.872:
	v_ashrrev_i32_e32 v123, 31, v122
	v_lshlrev_b64 v[130:131], 2, v[122:123]
	v_add_co_u32_e32 v130, vcc, v4, v130
	v_addc_co_u32_e32 v131, vcc, v5, v131, vcc
	flat_load_dword v123, v[130:131]
	flat_load_dword v125, v[4:5] offset:204
	s_waitcnt vmcnt(0) lgkmcnt(0)
	flat_store_dword v[4:5], v123 offset:204
	flat_store_dword v[130:131], v125
.LBB114_873:
	s_or_b64 exec, exec, s[14:15]
	v_mov_b32_e32 v123, v122
	v_mov_b32_e32 v125, v122
.LBB114_874:
	s_or_b64 exec, exec, s[2:3]
.LBB114_875:
	s_andn2_saveexec_b64 s[0:1], s[0:1]
	s_cbranch_execz .LBB114_877
; %bb.876:
	v_mov_b32_e32 v130, v12
	v_mov_b32_e32 v131, v13
	;; [unrolled: 1-line block ×4, first 2 shown]
	ds_write2_b64 v124, v[130:131], v[132:133] offset0:52 offset1:53
	v_mov_b32_e32 v130, v8
	v_mov_b32_e32 v131, v9
	;; [unrolled: 1-line block ×4, first 2 shown]
	ds_write2_b64 v124, v[130:131], v[132:133] offset0:54 offset1:55
	v_mov_b32_e32 v130, v0
	v_mov_b32_e32 v131, v1
	;; [unrolled: 1-line block ×3, first 2 shown]
	ds_write2_b64 v124, v[130:131], v[118:119] offset0:56 offset1:57
.LBB114_877:
	s_or_b64 exec, exec, s[0:1]
	v_cmp_lt_i32_e32 vcc, 51, v125
	s_waitcnt lgkmcnt(0)
	s_barrier
	s_and_saveexec_b64 s[0:1], vcc
	s_cbranch_execz .LBB114_879
; %bb.878:
	ds_read2_b64 v[130:133], v124 offset0:52 offset1:53
	ds_read2_b64 v[134:137], v124 offset0:54 offset1:55
	;; [unrolled: 1-line block ×3, first 2 shown]
	v_mul_f64 v[14:15], v[120:121], v[14:15]
	s_waitcnt lgkmcnt(0)
	v_fma_f64 v[12:13], -v[14:15], v[130:131], v[12:13]
	v_fma_f64 v[10:11], -v[14:15], v[132:133], v[10:11]
	;; [unrolled: 1-line block ×6, first 2 shown]
.LBB114_879:
	s_or_b64 exec, exec, s[0:1]
	v_lshl_add_u32 v120, v125, 3, v124
	s_barrier
	ds_write_b64 v120, v[12:13]
	s_waitcnt lgkmcnt(0)
	s_barrier
	ds_read_b64 v[120:121], v124 offset:416
	s_cmp_lt_i32 s18, 54
	v_mov_b32_e32 v122, 52
	s_cbranch_scc1 .LBB114_882
; %bb.880:
	v_add_u32_e32 v129, 0x1a8, v124
	s_mov_b32 s0, 53
	v_mov_b32_e32 v122, 52
.LBB114_881:                            ; =>This Inner Loop Header: Depth=1
	ds_read_b64 v[130:131], v129
	v_mov_b32_e32 v132, s0
	s_add_i32 s0, s0, 1
	v_add_u32_e32 v129, 8, v129
	s_cmp_lg_u32 s18, s0
	s_waitcnt lgkmcnt(0)
	v_cmp_lt_f64_e64 vcc, |v[120:121]|, |v[130:131]|
	v_cndmask_b32_e32 v121, v121, v131, vcc
	v_cndmask_b32_e32 v120, v120, v130, vcc
	;; [unrolled: 1-line block ×3, first 2 shown]
	s_cbranch_scc1 .LBB114_881
.LBB114_882:
	s_waitcnt lgkmcnt(0)
	v_cmp_eq_f64_e32 vcc, 0, v[120:121]
	s_and_saveexec_b64 s[0:1], vcc
	s_xor_b64 s[0:1], exec, s[0:1]
; %bb.883:
	v_cmp_ne_u32_e32 vcc, 0, v128
	v_cndmask_b32_e32 v128, 53, v128, vcc
; %bb.884:
	s_andn2_saveexec_b64 s[0:1], s[0:1]
; %bb.885:
	v_div_scale_f64 v[130:131], s[2:3], v[120:121], v[120:121], 1.0
	v_rcp_f64_e32 v[132:133], v[130:131]
	v_div_scale_f64 v[134:135], vcc, 1.0, v[120:121], 1.0
	v_fma_f64 v[136:137], -v[130:131], v[132:133], 1.0
	v_fmac_f64_e32 v[132:133], v[132:133], v[136:137]
	v_fma_f64 v[136:137], -v[130:131], v[132:133], 1.0
	v_fmac_f64_e32 v[132:133], v[132:133], v[136:137]
	v_mul_f64 v[136:137], v[134:135], v[132:133]
	v_fma_f64 v[130:131], -v[130:131], v[136:137], v[134:135]
	v_div_fmas_f64 v[130:131], v[130:131], v[132:133], v[136:137]
	v_div_fixup_f64 v[120:121], v[130:131], v[120:121], 1.0
; %bb.886:
	s_or_b64 exec, exec, s[0:1]
	v_cmp_ne_u32_e32 vcc, v125, v122
	s_and_saveexec_b64 s[0:1], vcc
	s_xor_b64 s[0:1], exec, s[0:1]
	s_cbranch_execz .LBB114_892
; %bb.887:
	v_cmp_eq_u32_e32 vcc, 52, v125
	s_and_saveexec_b64 s[2:3], vcc
	s_cbranch_execz .LBB114_891
; %bb.888:
	v_cmp_ne_u32_e32 vcc, 52, v122
	s_xor_b64 s[14:15], s[6:7], -1
	s_and_b64 s[16:17], s[14:15], vcc
	s_and_saveexec_b64 s[14:15], s[16:17]
	s_cbranch_execz .LBB114_890
; %bb.889:
	v_ashrrev_i32_e32 v123, 31, v122
	v_lshlrev_b64 v[130:131], 2, v[122:123]
	v_add_co_u32_e32 v130, vcc, v4, v130
	v_addc_co_u32_e32 v131, vcc, v5, v131, vcc
	flat_load_dword v123, v[130:131]
	flat_load_dword v125, v[4:5] offset:208
	s_waitcnt vmcnt(0) lgkmcnt(0)
	flat_store_dword v[4:5], v123 offset:208
	flat_store_dword v[130:131], v125
.LBB114_890:
	s_or_b64 exec, exec, s[14:15]
	v_mov_b32_e32 v123, v122
	v_mov_b32_e32 v125, v122
.LBB114_891:
	s_or_b64 exec, exec, s[2:3]
.LBB114_892:
	s_andn2_saveexec_b64 s[0:1], s[0:1]
	s_cbranch_execz .LBB114_894
; %bb.893:
	v_mov_b32_e32 v125, 52
	ds_write2_b64 v124, v[10:11], v[8:9] offset0:53 offset1:54
	ds_write2_b64 v124, v[6:7], v[0:1] offset0:55 offset1:56
	ds_write_b64 v124, v[118:119] offset:456
.LBB114_894:
	s_or_b64 exec, exec, s[0:1]
	v_cmp_lt_i32_e32 vcc, 52, v125
	s_waitcnt lgkmcnt(0)
	s_barrier
	s_and_saveexec_b64 s[0:1], vcc
	s_cbranch_execz .LBB114_896
; %bb.895:
	ds_read2_b64 v[130:133], v124 offset0:53 offset1:54
	ds_read2_b64 v[134:137], v124 offset0:55 offset1:56
	v_mul_f64 v[12:13], v[120:121], v[12:13]
	ds_read_b64 v[120:121], v124 offset:456
	s_waitcnt lgkmcnt(0)
	v_fma_f64 v[10:11], -v[12:13], v[130:131], v[10:11]
	v_fma_f64 v[8:9], -v[12:13], v[132:133], v[8:9]
	v_fma_f64 v[6:7], -v[12:13], v[134:135], v[6:7]
	v_fma_f64 v[0:1], -v[12:13], v[136:137], v[0:1]
	v_fma_f64 v[118:119], -v[12:13], v[120:121], v[118:119]
.LBB114_896:
	s_or_b64 exec, exec, s[0:1]
	v_lshl_add_u32 v120, v125, 3, v124
	s_barrier
	ds_write_b64 v120, v[10:11]
	s_waitcnt lgkmcnt(0)
	s_barrier
	ds_read_b64 v[120:121], v124 offset:424
	s_cmp_lt_i32 s18, 55
	v_mov_b32_e32 v122, 53
	s_cbranch_scc1 .LBB114_899
; %bb.897:
	v_add_u32_e32 v129, 0x1b0, v124
	s_mov_b32 s0, 54
	v_mov_b32_e32 v122, 53
.LBB114_898:                            ; =>This Inner Loop Header: Depth=1
	ds_read_b64 v[130:131], v129
	v_mov_b32_e32 v132, s0
	s_add_i32 s0, s0, 1
	v_add_u32_e32 v129, 8, v129
	s_cmp_lg_u32 s18, s0
	s_waitcnt lgkmcnt(0)
	v_cmp_lt_f64_e64 vcc, |v[120:121]|, |v[130:131]|
	v_cndmask_b32_e32 v121, v121, v131, vcc
	v_cndmask_b32_e32 v120, v120, v130, vcc
	;; [unrolled: 1-line block ×3, first 2 shown]
	s_cbranch_scc1 .LBB114_898
.LBB114_899:
	s_waitcnt lgkmcnt(0)
	v_cmp_eq_f64_e32 vcc, 0, v[120:121]
	s_and_saveexec_b64 s[0:1], vcc
	s_xor_b64 s[0:1], exec, s[0:1]
; %bb.900:
	v_cmp_ne_u32_e32 vcc, 0, v128
	v_cndmask_b32_e32 v128, 54, v128, vcc
; %bb.901:
	s_andn2_saveexec_b64 s[0:1], s[0:1]
; %bb.902:
	v_div_scale_f64 v[130:131], s[2:3], v[120:121], v[120:121], 1.0
	v_rcp_f64_e32 v[132:133], v[130:131]
	v_div_scale_f64 v[134:135], vcc, 1.0, v[120:121], 1.0
	v_fma_f64 v[136:137], -v[130:131], v[132:133], 1.0
	v_fmac_f64_e32 v[132:133], v[132:133], v[136:137]
	v_fma_f64 v[136:137], -v[130:131], v[132:133], 1.0
	v_fmac_f64_e32 v[132:133], v[132:133], v[136:137]
	v_mul_f64 v[136:137], v[134:135], v[132:133]
	v_fma_f64 v[130:131], -v[130:131], v[136:137], v[134:135]
	v_div_fmas_f64 v[130:131], v[130:131], v[132:133], v[136:137]
	v_div_fixup_f64 v[120:121], v[130:131], v[120:121], 1.0
; %bb.903:
	s_or_b64 exec, exec, s[0:1]
	v_cmp_ne_u32_e32 vcc, v125, v122
	s_and_saveexec_b64 s[0:1], vcc
	s_xor_b64 s[0:1], exec, s[0:1]
	s_cbranch_execz .LBB114_909
; %bb.904:
	v_cmp_eq_u32_e32 vcc, 53, v125
	s_and_saveexec_b64 s[2:3], vcc
	s_cbranch_execz .LBB114_908
; %bb.905:
	v_cmp_ne_u32_e32 vcc, 53, v122
	s_xor_b64 s[14:15], s[6:7], -1
	s_and_b64 s[16:17], s[14:15], vcc
	s_and_saveexec_b64 s[14:15], s[16:17]
	s_cbranch_execz .LBB114_907
; %bb.906:
	v_ashrrev_i32_e32 v123, 31, v122
	v_lshlrev_b64 v[130:131], 2, v[122:123]
	v_add_co_u32_e32 v130, vcc, v4, v130
	v_addc_co_u32_e32 v131, vcc, v5, v131, vcc
	flat_load_dword v123, v[130:131]
	flat_load_dword v125, v[4:5] offset:212
	s_waitcnt vmcnt(0) lgkmcnt(0)
	flat_store_dword v[4:5], v123 offset:212
	flat_store_dword v[130:131], v125
.LBB114_907:
	s_or_b64 exec, exec, s[14:15]
	v_mov_b32_e32 v123, v122
	v_mov_b32_e32 v125, v122
.LBB114_908:
	s_or_b64 exec, exec, s[2:3]
.LBB114_909:
	s_andn2_saveexec_b64 s[0:1], s[0:1]
	s_cbranch_execz .LBB114_911
; %bb.910:
	v_mov_b32_e32 v130, v8
	v_mov_b32_e32 v131, v9
	;; [unrolled: 1-line block ×4, first 2 shown]
	ds_write2_b64 v124, v[130:131], v[132:133] offset0:54 offset1:55
	v_mov_b32_e32 v130, v0
	v_mov_b32_e32 v131, v1
	;; [unrolled: 1-line block ×3, first 2 shown]
	ds_write2_b64 v124, v[130:131], v[118:119] offset0:56 offset1:57
.LBB114_911:
	s_or_b64 exec, exec, s[0:1]
	v_cmp_lt_i32_e32 vcc, 53, v125
	s_waitcnt lgkmcnt(0)
	s_barrier
	s_and_saveexec_b64 s[0:1], vcc
	s_cbranch_execz .LBB114_913
; %bb.912:
	ds_read2_b64 v[130:133], v124 offset0:54 offset1:55
	ds_read2_b64 v[134:137], v124 offset0:56 offset1:57
	v_mul_f64 v[10:11], v[120:121], v[10:11]
	s_waitcnt lgkmcnt(0)
	v_fma_f64 v[8:9], -v[10:11], v[130:131], v[8:9]
	v_fma_f64 v[6:7], -v[10:11], v[132:133], v[6:7]
	;; [unrolled: 1-line block ×4, first 2 shown]
.LBB114_913:
	s_or_b64 exec, exec, s[0:1]
	v_lshl_add_u32 v120, v125, 3, v124
	s_barrier
	ds_write_b64 v120, v[8:9]
	s_waitcnt lgkmcnt(0)
	s_barrier
	ds_read_b64 v[120:121], v124 offset:432
	s_cmp_lt_i32 s18, 56
	v_mov_b32_e32 v122, 54
	s_cbranch_scc1 .LBB114_916
; %bb.914:
	v_add_u32_e32 v129, 0x1b8, v124
	s_mov_b32 s0, 55
	v_mov_b32_e32 v122, 54
.LBB114_915:                            ; =>This Inner Loop Header: Depth=1
	ds_read_b64 v[130:131], v129
	v_mov_b32_e32 v132, s0
	s_add_i32 s0, s0, 1
	v_add_u32_e32 v129, 8, v129
	s_cmp_lg_u32 s18, s0
	s_waitcnt lgkmcnt(0)
	v_cmp_lt_f64_e64 vcc, |v[120:121]|, |v[130:131]|
	v_cndmask_b32_e32 v121, v121, v131, vcc
	v_cndmask_b32_e32 v120, v120, v130, vcc
	;; [unrolled: 1-line block ×3, first 2 shown]
	s_cbranch_scc1 .LBB114_915
.LBB114_916:
	s_waitcnt lgkmcnt(0)
	v_cmp_eq_f64_e32 vcc, 0, v[120:121]
	s_and_saveexec_b64 s[0:1], vcc
	s_xor_b64 s[0:1], exec, s[0:1]
; %bb.917:
	v_cmp_ne_u32_e32 vcc, 0, v128
	v_cndmask_b32_e32 v128, 55, v128, vcc
; %bb.918:
	s_andn2_saveexec_b64 s[0:1], s[0:1]
; %bb.919:
	v_div_scale_f64 v[130:131], s[2:3], v[120:121], v[120:121], 1.0
	v_rcp_f64_e32 v[132:133], v[130:131]
	v_div_scale_f64 v[134:135], vcc, 1.0, v[120:121], 1.0
	v_fma_f64 v[136:137], -v[130:131], v[132:133], 1.0
	v_fmac_f64_e32 v[132:133], v[132:133], v[136:137]
	v_fma_f64 v[136:137], -v[130:131], v[132:133], 1.0
	v_fmac_f64_e32 v[132:133], v[132:133], v[136:137]
	v_mul_f64 v[136:137], v[134:135], v[132:133]
	v_fma_f64 v[130:131], -v[130:131], v[136:137], v[134:135]
	v_div_fmas_f64 v[130:131], v[130:131], v[132:133], v[136:137]
	v_div_fixup_f64 v[120:121], v[130:131], v[120:121], 1.0
; %bb.920:
	s_or_b64 exec, exec, s[0:1]
	v_cmp_ne_u32_e32 vcc, v125, v122
	s_and_saveexec_b64 s[0:1], vcc
	s_xor_b64 s[0:1], exec, s[0:1]
	s_cbranch_execz .LBB114_926
; %bb.921:
	v_cmp_eq_u32_e32 vcc, 54, v125
	s_and_saveexec_b64 s[2:3], vcc
	s_cbranch_execz .LBB114_925
; %bb.922:
	v_cmp_ne_u32_e32 vcc, 54, v122
	s_xor_b64 s[14:15], s[6:7], -1
	s_and_b64 s[16:17], s[14:15], vcc
	s_and_saveexec_b64 s[14:15], s[16:17]
	s_cbranch_execz .LBB114_924
; %bb.923:
	v_ashrrev_i32_e32 v123, 31, v122
	v_lshlrev_b64 v[130:131], 2, v[122:123]
	v_add_co_u32_e32 v130, vcc, v4, v130
	v_addc_co_u32_e32 v131, vcc, v5, v131, vcc
	flat_load_dword v123, v[130:131]
	flat_load_dword v125, v[4:5] offset:216
	s_waitcnt vmcnt(0) lgkmcnt(0)
	flat_store_dword v[4:5], v123 offset:216
	flat_store_dword v[130:131], v125
.LBB114_924:
	s_or_b64 exec, exec, s[14:15]
	v_mov_b32_e32 v123, v122
	v_mov_b32_e32 v125, v122
.LBB114_925:
	s_or_b64 exec, exec, s[2:3]
.LBB114_926:
	s_andn2_saveexec_b64 s[0:1], s[0:1]
	s_cbranch_execz .LBB114_928
; %bb.927:
	v_mov_b32_e32 v125, 54
	ds_write2_b64 v124, v[6:7], v[0:1] offset0:55 offset1:56
	ds_write_b64 v124, v[118:119] offset:456
.LBB114_928:
	s_or_b64 exec, exec, s[0:1]
	v_cmp_lt_i32_e32 vcc, 54, v125
	s_waitcnt lgkmcnt(0)
	s_barrier
	s_and_saveexec_b64 s[0:1], vcc
	s_cbranch_execz .LBB114_930
; %bb.929:
	ds_read2_b64 v[130:133], v124 offset0:55 offset1:56
	ds_read_b64 v[134:135], v124 offset:456
	v_mul_f64 v[8:9], v[120:121], v[8:9]
	s_waitcnt lgkmcnt(0)
	v_fma_f64 v[6:7], -v[8:9], v[130:131], v[6:7]
	v_fma_f64 v[0:1], -v[8:9], v[132:133], v[0:1]
	;; [unrolled: 1-line block ×3, first 2 shown]
.LBB114_930:
	s_or_b64 exec, exec, s[0:1]
	v_lshl_add_u32 v120, v125, 3, v124
	s_barrier
	ds_write_b64 v120, v[6:7]
	s_waitcnt lgkmcnt(0)
	s_barrier
	ds_read_b64 v[120:121], v124 offset:440
	s_cmp_lt_i32 s18, 57
	v_mov_b32_e32 v122, 55
	s_cbranch_scc1 .LBB114_933
; %bb.931:
	v_add_u32_e32 v129, 0x1c0, v124
	s_mov_b32 s0, 56
	v_mov_b32_e32 v122, 55
.LBB114_932:                            ; =>This Inner Loop Header: Depth=1
	ds_read_b64 v[130:131], v129
	v_mov_b32_e32 v132, s0
	s_add_i32 s0, s0, 1
	v_add_u32_e32 v129, 8, v129
	s_cmp_lg_u32 s18, s0
	s_waitcnt lgkmcnt(0)
	v_cmp_lt_f64_e64 vcc, |v[120:121]|, |v[130:131]|
	v_cndmask_b32_e32 v121, v121, v131, vcc
	v_cndmask_b32_e32 v120, v120, v130, vcc
	v_cndmask_b32_e32 v122, v122, v132, vcc
	s_cbranch_scc1 .LBB114_932
.LBB114_933:
	s_waitcnt lgkmcnt(0)
	v_cmp_eq_f64_e32 vcc, 0, v[120:121]
	s_and_saveexec_b64 s[0:1], vcc
	s_xor_b64 s[0:1], exec, s[0:1]
; %bb.934:
	v_cmp_ne_u32_e32 vcc, 0, v128
	v_cndmask_b32_e32 v128, 56, v128, vcc
; %bb.935:
	s_andn2_saveexec_b64 s[0:1], s[0:1]
; %bb.936:
	v_div_scale_f64 v[130:131], s[2:3], v[120:121], v[120:121], 1.0
	v_rcp_f64_e32 v[132:133], v[130:131]
	v_div_scale_f64 v[134:135], vcc, 1.0, v[120:121], 1.0
	v_fma_f64 v[136:137], -v[130:131], v[132:133], 1.0
	v_fmac_f64_e32 v[132:133], v[132:133], v[136:137]
	v_fma_f64 v[136:137], -v[130:131], v[132:133], 1.0
	v_fmac_f64_e32 v[132:133], v[132:133], v[136:137]
	v_mul_f64 v[136:137], v[134:135], v[132:133]
	v_fma_f64 v[130:131], -v[130:131], v[136:137], v[134:135]
	v_div_fmas_f64 v[130:131], v[130:131], v[132:133], v[136:137]
	v_div_fixup_f64 v[120:121], v[130:131], v[120:121], 1.0
; %bb.937:
	s_or_b64 exec, exec, s[0:1]
	v_cmp_ne_u32_e32 vcc, v125, v122
	s_and_saveexec_b64 s[0:1], vcc
	s_xor_b64 s[0:1], exec, s[0:1]
	s_cbranch_execz .LBB114_943
; %bb.938:
	v_cmp_eq_u32_e32 vcc, 55, v125
	s_and_saveexec_b64 s[2:3], vcc
	s_cbranch_execz .LBB114_942
; %bb.939:
	v_cmp_ne_u32_e32 vcc, 55, v122
	s_xor_b64 s[14:15], s[6:7], -1
	s_and_b64 s[16:17], s[14:15], vcc
	s_and_saveexec_b64 s[14:15], s[16:17]
	s_cbranch_execz .LBB114_941
; %bb.940:
	v_ashrrev_i32_e32 v123, 31, v122
	v_lshlrev_b64 v[130:131], 2, v[122:123]
	v_add_co_u32_e32 v130, vcc, v4, v130
	v_addc_co_u32_e32 v131, vcc, v5, v131, vcc
	flat_load_dword v123, v[130:131]
	flat_load_dword v125, v[4:5] offset:220
	s_waitcnt vmcnt(0) lgkmcnt(0)
	flat_store_dword v[4:5], v123 offset:220
	flat_store_dword v[130:131], v125
.LBB114_941:
	s_or_b64 exec, exec, s[14:15]
	v_mov_b32_e32 v123, v122
	v_mov_b32_e32 v125, v122
.LBB114_942:
	s_or_b64 exec, exec, s[2:3]
.LBB114_943:
	s_andn2_saveexec_b64 s[0:1], s[0:1]
	s_cbranch_execz .LBB114_945
; %bb.944:
	v_mov_b32_e32 v130, v0
	v_mov_b32_e32 v131, v1
	;; [unrolled: 1-line block ×3, first 2 shown]
	ds_write2_b64 v124, v[130:131], v[118:119] offset0:56 offset1:57
.LBB114_945:
	s_or_b64 exec, exec, s[0:1]
	v_cmp_lt_i32_e32 vcc, 55, v125
	s_waitcnt lgkmcnt(0)
	s_barrier
	s_and_saveexec_b64 s[0:1], vcc
	s_cbranch_execz .LBB114_947
; %bb.946:
	ds_read2_b64 v[130:133], v124 offset0:56 offset1:57
	v_mul_f64 v[6:7], v[120:121], v[6:7]
	s_waitcnt lgkmcnt(0)
	v_fma_f64 v[0:1], -v[6:7], v[130:131], v[0:1]
	v_fma_f64 v[118:119], -v[6:7], v[132:133], v[118:119]
.LBB114_947:
	s_or_b64 exec, exec, s[0:1]
	v_lshl_add_u32 v120, v125, 3, v124
	s_barrier
	ds_write_b64 v120, v[0:1]
	s_waitcnt lgkmcnt(0)
	s_barrier
	ds_read_b64 v[120:121], v124 offset:448
	s_cmp_lt_i32 s18, 58
	v_mov_b32_e32 v122, 56
	s_cbranch_scc1 .LBB114_950
; %bb.948:
	v_add_u32_e32 v129, 0x1c8, v124
	s_mov_b32 s0, 57
	v_mov_b32_e32 v122, 56
.LBB114_949:                            ; =>This Inner Loop Header: Depth=1
	ds_read_b64 v[130:131], v129
	v_mov_b32_e32 v132, s0
	s_add_i32 s0, s0, 1
	v_add_u32_e32 v129, 8, v129
	s_cmp_lg_u32 s18, s0
	s_waitcnt lgkmcnt(0)
	v_cmp_lt_f64_e64 vcc, |v[120:121]|, |v[130:131]|
	v_cndmask_b32_e32 v121, v121, v131, vcc
	v_cndmask_b32_e32 v120, v120, v130, vcc
	;; [unrolled: 1-line block ×3, first 2 shown]
	s_cbranch_scc1 .LBB114_949
.LBB114_950:
	s_waitcnt lgkmcnt(0)
	v_cmp_eq_f64_e32 vcc, 0, v[120:121]
	s_and_saveexec_b64 s[0:1], vcc
	s_xor_b64 s[0:1], exec, s[0:1]
; %bb.951:
	v_cmp_ne_u32_e32 vcc, 0, v128
	v_cndmask_b32_e32 v128, 57, v128, vcc
; %bb.952:
	s_andn2_saveexec_b64 s[0:1], s[0:1]
; %bb.953:
	v_div_scale_f64 v[130:131], s[2:3], v[120:121], v[120:121], 1.0
	v_rcp_f64_e32 v[132:133], v[130:131]
	v_div_scale_f64 v[134:135], vcc, 1.0, v[120:121], 1.0
	v_fma_f64 v[136:137], -v[130:131], v[132:133], 1.0
	v_fmac_f64_e32 v[132:133], v[132:133], v[136:137]
	v_fma_f64 v[136:137], -v[130:131], v[132:133], 1.0
	v_fmac_f64_e32 v[132:133], v[132:133], v[136:137]
	v_mul_f64 v[136:137], v[134:135], v[132:133]
	v_fma_f64 v[130:131], -v[130:131], v[136:137], v[134:135]
	v_div_fmas_f64 v[130:131], v[130:131], v[132:133], v[136:137]
	v_div_fixup_f64 v[120:121], v[130:131], v[120:121], 1.0
; %bb.954:
	s_or_b64 exec, exec, s[0:1]
	v_cmp_ne_u32_e32 vcc, v125, v122
	s_and_saveexec_b64 s[0:1], vcc
	s_xor_b64 s[0:1], exec, s[0:1]
	s_cbranch_execz .LBB114_960
; %bb.955:
	v_cmp_eq_u32_e32 vcc, 56, v125
	s_and_saveexec_b64 s[2:3], vcc
	s_cbranch_execz .LBB114_959
; %bb.956:
	v_cmp_ne_u32_e32 vcc, 56, v122
	s_xor_b64 s[14:15], s[6:7], -1
	s_and_b64 s[16:17], s[14:15], vcc
	s_and_saveexec_b64 s[14:15], s[16:17]
	s_cbranch_execz .LBB114_958
; %bb.957:
	v_ashrrev_i32_e32 v123, 31, v122
	v_lshlrev_b64 v[130:131], 2, v[122:123]
	v_add_co_u32_e32 v130, vcc, v4, v130
	v_addc_co_u32_e32 v131, vcc, v5, v131, vcc
	flat_load_dword v123, v[130:131]
	flat_load_dword v125, v[4:5] offset:224
	s_waitcnt vmcnt(0) lgkmcnt(0)
	flat_store_dword v[4:5], v123 offset:224
	flat_store_dword v[130:131], v125
.LBB114_958:
	s_or_b64 exec, exec, s[14:15]
	v_mov_b32_e32 v123, v122
	v_mov_b32_e32 v125, v122
.LBB114_959:
	s_or_b64 exec, exec, s[2:3]
.LBB114_960:
	s_andn2_saveexec_b64 s[0:1], s[0:1]
	s_cbranch_execz .LBB114_962
; %bb.961:
	v_mov_b32_e32 v125, 56
	ds_write_b64 v124, v[118:119] offset:456
.LBB114_962:
	s_or_b64 exec, exec, s[0:1]
	v_cmp_lt_i32_e32 vcc, 56, v125
	s_waitcnt lgkmcnt(0)
	s_barrier
	s_and_saveexec_b64 s[0:1], vcc
	s_cbranch_execz .LBB114_964
; %bb.963:
	ds_read_b64 v[130:131], v124 offset:456
	v_mul_f64 v[0:1], v[120:121], v[0:1]
	s_waitcnt lgkmcnt(0)
	v_fma_f64 v[118:119], -v[0:1], v[130:131], v[118:119]
.LBB114_964:
	s_or_b64 exec, exec, s[0:1]
	v_lshl_add_u32 v120, v125, 3, v124
	s_barrier
	ds_write_b64 v120, v[118:119]
	s_waitcnt lgkmcnt(0)
	s_barrier
	ds_read_b64 v[120:121], v124 offset:456
	s_cmp_lt_i32 s18, 59
	v_mov_b32_e32 v122, 57
	s_cbranch_scc1 .LBB114_967
; %bb.965:
	v_add_u32_e32 v124, 0x1d0, v124
	s_mov_b32 s0, 58
	v_mov_b32_e32 v122, 57
.LBB114_966:                            ; =>This Inner Loop Header: Depth=1
	ds_read_b64 v[130:131], v124
	v_mov_b32_e32 v129, s0
	s_add_i32 s0, s0, 1
	v_add_u32_e32 v124, 8, v124
	s_cmp_lg_u32 s18, s0
	s_waitcnt lgkmcnt(0)
	v_cmp_lt_f64_e64 vcc, |v[120:121]|, |v[130:131]|
	v_cndmask_b32_e32 v121, v121, v131, vcc
	v_cndmask_b32_e32 v120, v120, v130, vcc
	;; [unrolled: 1-line block ×3, first 2 shown]
	s_cbranch_scc1 .LBB114_966
.LBB114_967:
	s_waitcnt lgkmcnt(0)
	v_cmp_eq_f64_e32 vcc, 0, v[120:121]
	s_and_saveexec_b64 s[0:1], vcc
	s_xor_b64 s[0:1], exec, s[0:1]
; %bb.968:
	v_cmp_ne_u32_e32 vcc, 0, v128
	v_cndmask_b32_e32 v128, 58, v128, vcc
; %bb.969:
	s_andn2_saveexec_b64 s[0:1], s[0:1]
; %bb.970:
	v_div_scale_f64 v[130:131], s[2:3], v[120:121], v[120:121], 1.0
	v_rcp_f64_e32 v[132:133], v[130:131]
	v_div_scale_f64 v[134:135], vcc, 1.0, v[120:121], 1.0
	v_fma_f64 v[136:137], -v[130:131], v[132:133], 1.0
	v_fmac_f64_e32 v[132:133], v[132:133], v[136:137]
	v_fma_f64 v[136:137], -v[130:131], v[132:133], 1.0
	v_fmac_f64_e32 v[132:133], v[132:133], v[136:137]
	v_mul_f64 v[136:137], v[134:135], v[132:133]
	v_fma_f64 v[130:131], -v[130:131], v[136:137], v[134:135]
	v_div_fmas_f64 v[130:131], v[130:131], v[132:133], v[136:137]
	v_div_fixup_f64 v[120:121], v[130:131], v[120:121], 1.0
; %bb.971:
	s_or_b64 exec, exec, s[0:1]
	v_cmp_ne_u32_e32 vcc, v125, v122
	v_mov_b32_e32 v124, 57
	s_and_saveexec_b64 s[0:1], vcc
	s_cbranch_execz .LBB114_977
; %bb.972:
	v_cmp_eq_u32_e32 vcc, 57, v125
	s_and_saveexec_b64 s[2:3], vcc
	s_cbranch_execz .LBB114_976
; %bb.973:
	v_cmp_ne_u32_e32 vcc, 57, v122
	s_xor_b64 s[6:7], s[6:7], -1
	s_and_b64 s[14:15], s[6:7], vcc
	s_and_saveexec_b64 s[6:7], s[14:15]
	s_cbranch_execz .LBB114_975
; %bb.974:
	v_ashrrev_i32_e32 v123, 31, v122
	v_lshlrev_b64 v[124:125], 2, v[122:123]
	v_add_co_u32_e32 v124, vcc, v4, v124
	v_addc_co_u32_e32 v125, vcc, v5, v125, vcc
	flat_load_dword v123, v[124:125]
	flat_load_dword v129, v[4:5] offset:228
	s_waitcnt vmcnt(0) lgkmcnt(0)
	flat_store_dword v[4:5], v123 offset:228
	flat_store_dword v[124:125], v129
.LBB114_975:
	s_or_b64 exec, exec, s[6:7]
	v_mov_b32_e32 v123, v122
	v_mov_b32_e32 v125, v122
.LBB114_976:
	s_or_b64 exec, exec, s[2:3]
	v_mov_b32_e32 v124, v125
.LBB114_977:
	s_or_b64 exec, exec, s[0:1]
	s_load_dwordx8 s[0:7], s[4:5], 0x28
	v_cmp_gt_i32_e32 vcc, 58, v124
	v_ashrrev_i32_e32 v125, 31, v124
	s_waitcnt lgkmcnt(0)
	s_barrier
	s_barrier
	s_and_saveexec_b64 s[14:15], vcc
	s_cbranch_execz .LBB114_979
; %bb.978:
	v_mul_lo_u32 v122, v3, s4
	v_mul_lo_u32 v129, v2, s5
	v_mad_u64_u32 v[4:5], s[4:5], v2, s4, 0
	s_lshl_b64 s[2:3], s[2:3], 2
	v_add3_u32 v5, v5, v129, v122
	s_add_u32 s0, s2, s0
	v_lshlrev_b64 v[4:5], 2, v[4:5]
	s_addc_u32 s1, s3, s1
	v_mov_b32_e32 v122, s1
	v_add_co_u32_e32 v129, vcc, s0, v4
	v_addc_co_u32_e32 v122, vcc, v122, v5, vcc
	v_lshlrev_b64 v[4:5], 2, v[124:125]
	v_add_co_u32_e32 v4, vcc, v129, v4
	v_addc_co_u32_e32 v5, vcc, v122, v5, vcc
	v_add3_u32 v122, v123, s13, 1
	global_store_dword v[4:5], v122, off
.LBB114_979:
	s_or_b64 exec, exec, s[14:15]
	v_cmp_eq_u32_e32 vcc, 0, v124
	s_and_saveexec_b64 s[2:3], vcc
	s_cbranch_execz .LBB114_982
; %bb.980:
	v_lshlrev_b64 v[2:3], 2, v[2:3]
	v_mov_b32_e32 v4, s7
	v_add_co_u32_e32 v2, vcc, s6, v2
	v_addc_co_u32_e32 v3, vcc, v4, v3, vcc
	global_load_dword v4, v[2:3], off
	v_cmp_lt_i32_e64 s[0:1], 0, v128
	s_waitcnt vmcnt(0)
	v_cmp_eq_u32_e32 vcc, 0, v4
	s_and_b64 s[0:1], vcc, s[0:1]
	s_and_b64 exec, exec, s[0:1]
	s_cbranch_execz .LBB114_982
; %bb.981:
	v_add_u32_e32 v4, s13, v128
	global_store_dword v[2:3], v4, off
.LBB114_982:
	s_or_b64 exec, exec, s[2:3]
	v_mul_f64 v[2:3], v[120:121], v[118:119]
	v_cmp_lt_i32_e32 vcc, 57, v124
	v_lshlrev_b64 v[4:5], 3, v[124:125]
	v_cndmask_b32_e32 v3, v119, v3, vcc
	v_cndmask_b32_e32 v2, v118, v2, vcc
	v_add_co_u32_e32 v4, vcc, v126, v4
	v_addc_co_u32_e32 v5, vcc, v127, v5, vcc
	global_store_dwordx2 v[4:5], v[116:117], off
	v_mov_b32_e32 v116, s11
	v_add_co_u32_e32 v4, vcc, s10, v4
	v_addc_co_u32_e32 v5, vcc, v5, v116, vcc
	global_store_dwordx2 v[4:5], v[114:115], off
	v_add_u32_e32 v4, s12, v124
	v_ashrrev_i32_e32 v5, 31, v4
	v_lshlrev_b64 v[114:115], 3, v[4:5]
	v_add_co_u32_e32 v114, vcc, v126, v114
	v_add_u32_e32 v4, s8, v4
	v_addc_co_u32_e32 v115, vcc, v127, v115, vcc
	v_ashrrev_i32_e32 v5, 31, v4
	global_store_dwordx2 v[114:115], v[112:113], off
	v_lshlrev_b64 v[112:113], 3, v[4:5]
	v_add_co_u32_e32 v112, vcc, v126, v112
	v_add_u32_e32 v4, s8, v4
	v_addc_co_u32_e32 v113, vcc, v127, v113, vcc
	v_ashrrev_i32_e32 v5, 31, v4
	global_store_dwordx2 v[112:113], v[110:111], off
	;; [unrolled: 6-line block ×54, first 2 shown]
	v_lshlrev_b64 v[6:7], 3, v[4:5]
	v_add_co_u32_e32 v6, vcc, v126, v6
	v_addc_co_u32_e32 v7, vcc, v127, v7, vcc
	global_store_dwordx2 v[6:7], v[0:1], off
	v_add_u32_e32 v0, s8, v4
	v_ashrrev_i32_e32 v1, 31, v0
	v_lshlrev_b64 v[0:1], 3, v[0:1]
	v_add_co_u32_e32 v0, vcc, v126, v0
	v_addc_co_u32_e32 v1, vcc, v127, v1, vcc
	global_store_dwordx2 v[0:1], v[2:3], off
.LBB114_983:
	s_endpgm
	.section	.rodata,"a",@progbits
	.p2align	6, 0x0
	.amdhsa_kernel _ZN9rocsolver6v33100L18getf2_small_kernelILi58EdiiPKPdEEvT1_T3_lS5_lPS5_llPT2_S5_S5_S7_l
		.amdhsa_group_segment_fixed_size 0
		.amdhsa_private_segment_fixed_size 0
		.amdhsa_kernarg_size 352
		.amdhsa_user_sgpr_count 6
		.amdhsa_user_sgpr_private_segment_buffer 1
		.amdhsa_user_sgpr_dispatch_ptr 0
		.amdhsa_user_sgpr_queue_ptr 0
		.amdhsa_user_sgpr_kernarg_segment_ptr 1
		.amdhsa_user_sgpr_dispatch_id 0
		.amdhsa_user_sgpr_flat_scratch_init 0
		.amdhsa_user_sgpr_kernarg_preload_length 0
		.amdhsa_user_sgpr_kernarg_preload_offset 0
		.amdhsa_user_sgpr_private_segment_size 0
		.amdhsa_uses_dynamic_stack 0
		.amdhsa_system_sgpr_private_segment_wavefront_offset 0
		.amdhsa_system_sgpr_workgroup_id_x 1
		.amdhsa_system_sgpr_workgroup_id_y 1
		.amdhsa_system_sgpr_workgroup_id_z 0
		.amdhsa_system_sgpr_workgroup_info 0
		.amdhsa_system_vgpr_workitem_id 1
		.amdhsa_next_free_vgpr 182
		.amdhsa_next_free_sgpr 22
		.amdhsa_accum_offset 184
		.amdhsa_reserve_vcc 1
		.amdhsa_reserve_flat_scratch 0
		.amdhsa_float_round_mode_32 0
		.amdhsa_float_round_mode_16_64 0
		.amdhsa_float_denorm_mode_32 3
		.amdhsa_float_denorm_mode_16_64 3
		.amdhsa_dx10_clamp 1
		.amdhsa_ieee_mode 1
		.amdhsa_fp16_overflow 0
		.amdhsa_tg_split 0
		.amdhsa_exception_fp_ieee_invalid_op 0
		.amdhsa_exception_fp_denorm_src 0
		.amdhsa_exception_fp_ieee_div_zero 0
		.amdhsa_exception_fp_ieee_overflow 0
		.amdhsa_exception_fp_ieee_underflow 0
		.amdhsa_exception_fp_ieee_inexact 0
		.amdhsa_exception_int_div_zero 0
	.end_amdhsa_kernel
	.section	.text._ZN9rocsolver6v33100L18getf2_small_kernelILi58EdiiPKPdEEvT1_T3_lS5_lPS5_llPT2_S5_S5_S7_l,"axG",@progbits,_ZN9rocsolver6v33100L18getf2_small_kernelILi58EdiiPKPdEEvT1_T3_lS5_lPS5_llPT2_S5_S5_S7_l,comdat
.Lfunc_end114:
	.size	_ZN9rocsolver6v33100L18getf2_small_kernelILi58EdiiPKPdEEvT1_T3_lS5_lPS5_llPT2_S5_S5_S7_l, .Lfunc_end114-_ZN9rocsolver6v33100L18getf2_small_kernelILi58EdiiPKPdEEvT1_T3_lS5_lPS5_llPT2_S5_S5_S7_l
                                        ; -- End function
	.section	.AMDGPU.csdata,"",@progbits
; Kernel info:
; codeLenInByte = 61084
; NumSgprs: 26
; NumVgprs: 182
; NumAgprs: 0
; TotalNumVgprs: 182
; ScratchSize: 0
; MemoryBound: 0
; FloatMode: 240
; IeeeMode: 1
; LDSByteSize: 0 bytes/workgroup (compile time only)
; SGPRBlocks: 3
; VGPRBlocks: 22
; NumSGPRsForWavesPerEU: 26
; NumVGPRsForWavesPerEU: 182
; AccumOffset: 184
; Occupancy: 2
; WaveLimiterHint : 1
; COMPUTE_PGM_RSRC2:SCRATCH_EN: 0
; COMPUTE_PGM_RSRC2:USER_SGPR: 6
; COMPUTE_PGM_RSRC2:TRAP_HANDLER: 0
; COMPUTE_PGM_RSRC2:TGID_X_EN: 1
; COMPUTE_PGM_RSRC2:TGID_Y_EN: 1
; COMPUTE_PGM_RSRC2:TGID_Z_EN: 0
; COMPUTE_PGM_RSRC2:TIDIG_COMP_CNT: 1
; COMPUTE_PGM_RSRC3_GFX90A:ACCUM_OFFSET: 45
; COMPUTE_PGM_RSRC3_GFX90A:TG_SPLIT: 0
	.section	.text._ZN9rocsolver6v33100L23getf2_npvt_small_kernelILi58EdiiPKPdEEvT1_T3_lS5_lPT2_S5_S5_,"axG",@progbits,_ZN9rocsolver6v33100L23getf2_npvt_small_kernelILi58EdiiPKPdEEvT1_T3_lS5_lPT2_S5_S5_,comdat
	.globl	_ZN9rocsolver6v33100L23getf2_npvt_small_kernelILi58EdiiPKPdEEvT1_T3_lS5_lPT2_S5_S5_ ; -- Begin function _ZN9rocsolver6v33100L23getf2_npvt_small_kernelILi58EdiiPKPdEEvT1_T3_lS5_lPT2_S5_S5_
	.p2align	8
	.type	_ZN9rocsolver6v33100L23getf2_npvt_small_kernelILi58EdiiPKPdEEvT1_T3_lS5_lPT2_S5_S5_,@function
_ZN9rocsolver6v33100L23getf2_npvt_small_kernelILi58EdiiPKPdEEvT1_T3_lS5_lPT2_S5_S5_: ; @_ZN9rocsolver6v33100L23getf2_npvt_small_kernelILi58EdiiPKPdEEvT1_T3_lS5_lPT2_S5_S5_
; %bb.0:
	s_mov_b64 s[18:19], s[2:3]
	s_mov_b64 s[16:17], s[0:1]
	s_add_u32 s16, s16, s8
	s_load_dword s0, s[4:5], 0x44
	s_load_dwordx2 s[8:9], s[4:5], 0x30
	s_addc_u32 s17, s17, 0
	v_bfe_u32 v1, v0, 10, 10
	s_waitcnt lgkmcnt(0)
	s_lshr_b32 s6, s0, 16
	s_mul_i32 s7, s7, s6
	v_add_u32_e32 v58, s7, v1
	v_cmp_gt_i32_e32 vcc, s8, v58
	s_and_saveexec_b64 s[0:1], vcc
	s_cbranch_execz .LBB115_293
; %bb.1:
	s_load_dwordx4 s[12:15], s[4:5], 0x8
	s_load_dword s0, s[4:5], 0x18
	v_ashrrev_i32_e32 v59, 31, v58
	v_lshlrev_b64 v[2:3], 3, v[58:59]
	v_and_b32_e32 v50, 0x3ff, v0
	s_waitcnt lgkmcnt(0)
	v_mov_b32_e32 v4, s13
	v_add_co_u32_e32 v2, vcc, s12, v2
	v_addc_co_u32_e32 v3, vcc, v4, v3, vcc
	global_load_dwordx2 v[2:3], v[2:3], off
	s_add_i32 s1, s0, s0
	s_lshl_b64 s[2:3], s[14:15], 3
	v_add_u32_e32 v4, s1, v50
	v_mov_b32_e32 v0, s3
	v_ashrrev_i32_e32 v5, 31, v4
	v_add_u32_e32 v6, s0, v4
	v_lshlrev_b64 v[4:5], 3, v[4:5]
	v_ashrrev_i32_e32 v7, 31, v6
	v_add_u32_e32 v8, s0, v6
	v_lshlrev_b64 v[6:7], 3, v[6:7]
	;; [unrolled: 3-line block ×10, first 2 shown]
	v_ashrrev_i32_e32 v25, 31, v24
	s_ashr_i32 s1, s0, 31
	s_mulk_i32 s6, 0x1d0
	s_waitcnt vmcnt(0)
	v_add_co_u32_e32 v26, vcc, s2, v2
	v_addc_co_u32_e32 v0, vcc, v3, v0, vcc
	v_add_co_u32_e32 v234, vcc, v26, v4
	v_addc_co_u32_e32 v235, vcc, v0, v5, vcc
	v_add_co_u32_e32 v60, vcc, v26, v6
	v_addc_co_u32_e32 v61, vcc, v0, v7, vcc
	v_add_co_u32_e32 v62, vcc, v26, v8
	v_addc_co_u32_e32 v63, vcc, v0, v9, vcc
	v_add_co_u32_e32 v64, vcc, v26, v10
	v_addc_co_u32_e32 v65, vcc, v0, v11, vcc
	v_add_co_u32_e32 v66, vcc, v26, v12
	v_addc_co_u32_e32 v67, vcc, v0, v13, vcc
	v_add_co_u32_e32 v68, vcc, v26, v14
	v_addc_co_u32_e32 v69, vcc, v0, v15, vcc
	v_add_co_u32_e32 v70, vcc, v26, v16
	v_addc_co_u32_e32 v71, vcc, v0, v17, vcc
	v_add_co_u32_e32 v72, vcc, v26, v18
	v_addc_co_u32_e32 v73, vcc, v0, v19, vcc
	v_add_co_u32_e32 v74, vcc, v26, v20
	v_addc_co_u32_e32 v75, vcc, v0, v21, vcc
	v_add_co_u32_e32 v76, vcc, v26, v22
	v_addc_co_u32_e32 v77, vcc, v0, v23, vcc
	v_lshlrev_b64 v[2:3], 3, v[24:25]
	v_add_co_u32_e32 v78, vcc, v26, v2
	v_add_u32_e32 v2, s0, v24
	v_addc_co_u32_e32 v79, vcc, v0, v3, vcc
	v_ashrrev_i32_e32 v3, 31, v2
	v_lshlrev_b64 v[4:5], 3, v[2:3]
	v_add_u32_e32 v2, s0, v2
	v_add_co_u32_e32 v80, vcc, v26, v4
	v_ashrrev_i32_e32 v3, 31, v2
	v_addc_co_u32_e32 v81, vcc, v0, v5, vcc
	v_lshlrev_b64 v[4:5], 3, v[2:3]
	v_add_u32_e32 v2, s0, v2
	v_add_co_u32_e32 v82, vcc, v26, v4
	v_ashrrev_i32_e32 v3, 31, v2
	v_addc_co_u32_e32 v83, vcc, v0, v5, vcc
	;; [unrolled: 5-line block ×44, first 2 shown]
	v_lshlrev_b64 v[2:3], 3, v[2:3]
	v_add_co_u32_e32 v34, vcc, v26, v2
	v_addc_co_u32_e32 v35, vcc, v0, v3, vcc
	v_lshlrev_b32_e32 v2, 3, v50
	v_add_co_u32_e32 v2, vcc, v26, v2
	v_addc_co_u32_e32 v3, vcc, 0, v0, vcc
	s_lshl_b64 s[0:1], s[0:1], 3
	v_mov_b32_e32 v0, s1
	v_add_co_u32_e32 v26, vcc, s0, v2
	v_addc_co_u32_e32 v27, vcc, v3, v0, vcc
	buffer_store_dword v2, off, s[16:19], 0 offset:120 ; 4-byte Folded Spill
	s_nop 0
	buffer_store_dword v3, off, s[16:19], 0 offset:124 ; 4-byte Folded Spill
	s_movk_i32 s0, 0x1d0
	s_add_i32 s1, s6, 0
	v_mad_u32_u24 v49, v1, s0, 0
	v_lshl_add_u32 v48, v1, 3, s1
	v_cmp_ne_u32_e64 s[2:3], 0, v50
	v_cmp_eq_u32_e64 s[0:1], 0, v50
	global_load_dwordx2 v[118:119], v[2:3], off
	s_nop 0
	buffer_store_dword v26, off, s[16:19], 0 offset:128 ; 4-byte Folded Spill
	s_nop 0
	buffer_store_dword v27, off, s[16:19], 0 offset:132 ; 4-byte Folded Spill
	global_load_dwordx2 v[174:175], v[26:27], off
	global_load_dwordx2 v[230:231], v[234:235], off
	;; [unrolled: 1-line block ×42, first 2 shown]
	s_nop 0
	buffer_store_dword v6, off, s[16:19], 0 ; 4-byte Folded Spill
	s_nop 0
	buffer_store_dword v7, off, s[16:19], 0 offset:4 ; 4-byte Folded Spill
	global_load_dwordx2 v[132:133], v[6:7], off
	s_nop 0
	buffer_store_dword v8, off, s[16:19], 0 offset:8 ; 4-byte Folded Spill
	s_nop 0
	buffer_store_dword v9, off, s[16:19], 0 offset:12 ; 4-byte Folded Spill
	global_load_dwordx2 v[188:189], v[8:9], off
	s_nop 0
	buffer_store_dword v10, off, s[16:19], 0 offset:16 ; 4-byte Folded Spill
	;; [unrolled: 5-line block ×14, first 2 shown]
	s_nop 0
	buffer_store_dword v35, off, s[16:19], 0 offset:116 ; 4-byte Folded Spill
	global_load_dwordx2 v[232:233], v[34:35], off
	s_and_saveexec_b64 s[6:7], s[0:1]
	s_cbranch_execz .LBB115_4
; %bb.2:
	s_waitcnt vmcnt(62)
	ds_write_b64 v48, v[118:119]
	ds_write2_b64 v49, v[174:175], v[230:231] offset0:1 offset1:2
	ds_write2_b64 v49, v[172:173], v[228:229] offset0:3 offset1:4
	;; [unrolled: 1-line block ×12, first 2 shown]
	s_waitcnt vmcnt(61)
	ds_write2_b64 v49, v[150:151], v[206:207] offset0:25 offset1:26
	s_waitcnt vmcnt(59)
	ds_write2_b64 v49, v[148:149], v[204:205] offset0:27 offset1:28
	;; [unrolled: 2-line block ×16, first 2 shown]
	s_waitcnt vmcnt(0)
	ds_write_b64 v49, v[232:233] offset:456
	ds_read_b64 v[0:1], v48
	s_waitcnt lgkmcnt(0)
	v_cmp_neq_f64_e32 vcc, 0, v[0:1]
	s_and_b64 exec, exec, vcc
	s_cbranch_execz .LBB115_4
; %bb.3:
	v_div_scale_f64 v[2:3], s[10:11], v[0:1], v[0:1], 1.0
	v_rcp_f64_e32 v[4:5], v[2:3]
	v_div_scale_f64 v[6:7], vcc, 1.0, v[0:1], 1.0
	v_fma_f64 v[8:9], -v[2:3], v[4:5], 1.0
	v_fmac_f64_e32 v[4:5], v[4:5], v[8:9]
	v_fma_f64 v[8:9], -v[2:3], v[4:5], 1.0
	v_fmac_f64_e32 v[4:5], v[4:5], v[8:9]
	v_mul_f64 v[8:9], v[6:7], v[4:5]
	v_fma_f64 v[2:3], -v[2:3], v[8:9], v[6:7]
	v_div_fmas_f64 v[2:3], v[2:3], v[4:5], v[8:9]
	v_div_fixup_f64 v[0:1], v[2:3], v[0:1], 1.0
	ds_write_b64 v48, v[0:1]
.LBB115_4:
	s_or_b64 exec, exec, s[6:7]
	s_waitcnt lgkmcnt(0)
	s_barrier
	ds_read_b64 v[0:1], v48
	s_waitcnt lgkmcnt(0)
	buffer_store_dword v0, off, s[16:19], 0 offset:136 ; 4-byte Folded Spill
	s_nop 0
	buffer_store_dword v1, off, s[16:19], 0 offset:140 ; 4-byte Folded Spill
	s_and_saveexec_b64 s[6:7], s[2:3]
	s_cbranch_execz .LBB115_6
; %bb.5:
	ds_read2_b64 v[0:3], v49 offset0:1 offset1:2
	ds_read2_b64 v[4:7], v49 offset0:3 offset1:4
	buffer_load_dword v8, off, s[16:19], 0 offset:136 ; 4-byte Folded Reload
	buffer_load_dword v9, off, s[16:19], 0 offset:140 ; 4-byte Folded Reload
	s_waitcnt vmcnt(0)
	v_mul_f64 v[118:119], v[8:9], v[118:119]
	s_waitcnt lgkmcnt(1)
	v_fma_f64 v[174:175], -v[118:119], v[0:1], v[174:175]
	ds_read2_b64 v[8:11], v49 offset0:5 offset1:6
	v_fma_f64 v[230:231], -v[118:119], v[2:3], v[230:231]
	ds_read2_b64 v[0:3], v49 offset0:7 offset1:8
	s_waitcnt lgkmcnt(2)
	v_fma_f64 v[172:173], -v[118:119], v[4:5], v[172:173]
	v_fma_f64 v[228:229], -v[118:119], v[6:7], v[228:229]
	ds_read2_b64 v[4:7], v49 offset0:9 offset1:10
	s_waitcnt lgkmcnt(2)
	v_fma_f64 v[170:171], -v[118:119], v[8:9], v[170:171]
	v_fma_f64 v[226:227], -v[118:119], v[10:11], v[226:227]
	ds_read2_b64 v[8:11], v49 offset0:11 offset1:12
	s_waitcnt lgkmcnt(2)
	v_fma_f64 v[168:169], -v[118:119], v[0:1], v[168:169]
	v_fma_f64 v[224:225], -v[118:119], v[2:3], v[224:225]
	s_waitcnt lgkmcnt(1)
	v_fma_f64 v[166:167], -v[118:119], v[4:5], v[166:167]
	ds_read2_b64 v[0:3], v49 offset0:13 offset1:14
	v_fma_f64 v[222:223], -v[118:119], v[6:7], v[222:223]
	ds_read2_b64 v[4:7], v49 offset0:15 offset1:16
	s_waitcnt lgkmcnt(2)
	v_fma_f64 v[164:165], -v[118:119], v[8:9], v[164:165]
	v_fma_f64 v[220:221], -v[118:119], v[10:11], v[220:221]
	s_waitcnt lgkmcnt(1)
	v_fma_f64 v[162:163], -v[118:119], v[0:1], v[162:163]
	ds_read2_b64 v[8:11], v49 offset0:17 offset1:18
	v_fma_f64 v[218:219], -v[118:119], v[2:3], v[218:219]
	ds_read2_b64 v[0:3], v49 offset0:19 offset1:20
	s_waitcnt lgkmcnt(2)
	v_fma_f64 v[160:161], -v[118:119], v[4:5], v[160:161]
	v_fma_f64 v[216:217], -v[118:119], v[6:7], v[216:217]
	ds_read2_b64 v[4:7], v49 offset0:21 offset1:22
	s_waitcnt lgkmcnt(2)
	v_fma_f64 v[158:159], -v[118:119], v[8:9], v[158:159]
	v_fma_f64 v[214:215], -v[118:119], v[10:11], v[214:215]
	ds_read2_b64 v[8:11], v49 offset0:23 offset1:24
	s_waitcnt lgkmcnt(2)
	v_fma_f64 v[156:157], -v[118:119], v[0:1], v[156:157]
	v_fma_f64 v[212:213], -v[118:119], v[2:3], v[212:213]
	s_waitcnt lgkmcnt(1)
	v_fma_f64 v[154:155], -v[118:119], v[4:5], v[154:155]
	ds_read2_b64 v[0:3], v49 offset0:25 offset1:26
	v_fma_f64 v[210:211], -v[118:119], v[6:7], v[210:211]
	ds_read2_b64 v[4:7], v49 offset0:27 offset1:28
	s_waitcnt lgkmcnt(2)
	v_fma_f64 v[152:153], -v[118:119], v[8:9], v[152:153]
	v_fma_f64 v[208:209], -v[118:119], v[10:11], v[208:209]
	;; [unrolled: 24-line block ×4, first 2 shown]
	s_waitcnt lgkmcnt(1)
	v_fma_f64 v[126:127], -v[118:119], v[0:1], v[126:127]
	v_fma_f64 v[182:183], -v[118:119], v[2:3], v[182:183]
	ds_read2_b64 v[0:3], v49 offset0:53 offset1:54
	ds_read2_b64 v[8:11], v49 offset0:55 offset1:56
	s_waitcnt lgkmcnt(2)
	v_fma_f64 v[124:125], -v[118:119], v[4:5], v[124:125]
	ds_read_b64 v[4:5], v49 offset:456
	v_fma_f64 v[180:181], -v[118:119], v[6:7], v[180:181]
	s_waitcnt lgkmcnt(2)
	v_fma_f64 v[122:123], -v[118:119], v[0:1], v[122:123]
	v_fma_f64 v[178:179], -v[118:119], v[2:3], v[178:179]
	s_waitcnt lgkmcnt(1)
	v_fma_f64 v[120:121], -v[118:119], v[8:9], v[120:121]
	;; [unrolled: 3-line block ×3, first 2 shown]
.LBB115_6:
	s_or_b64 exec, exec, s[6:7]
	v_cmp_eq_u32_e32 vcc, 1, v50
	s_waitcnt vmcnt(63) expcnt(7) lgkmcnt(15)
	s_barrier
	s_and_saveexec_b64 s[2:3], vcc
	s_cbranch_execz .LBB115_9
; %bb.7:
	v_mov_b32_e32 v0, v230
	v_mov_b32_e32 v1, v231
	;; [unrolled: 1-line block ×4, first 2 shown]
	ds_write_b64 v48, v[174:175]
	ds_write2_b64 v49, v[0:1], v[2:3] offset0:2 offset1:3
	v_mov_b32_e32 v0, v228
	v_mov_b32_e32 v1, v229
	v_mov_b32_e32 v2, v170
	v_mov_b32_e32 v3, v171
	ds_write2_b64 v49, v[0:1], v[2:3] offset0:4 offset1:5
	v_mov_b32_e32 v0, v226
	v_mov_b32_e32 v1, v227
	v_mov_b32_e32 v2, v168
	v_mov_b32_e32 v3, v169
	;; [unrolled: 5-line block ×11, first 2 shown]
	ds_write2_b64 v49, v[0:1], v[2:3] offset0:24 offset1:25
	v_mov_b32_e32 v0, v206
	v_mov_b32_e32 v1, v207
	s_waitcnt vmcnt(62)
	v_mov_b32_e32 v2, v148
	v_mov_b32_e32 v3, v149
	ds_write2_b64 v49, v[0:1], v[2:3] offset0:26 offset1:27
	s_waitcnt vmcnt(61)
	v_mov_b32_e32 v0, v204
	v_mov_b32_e32 v1, v205
	s_waitcnt vmcnt(60)
	v_mov_b32_e32 v2, v146
	v_mov_b32_e32 v3, v147
	ds_write2_b64 v49, v[0:1], v[2:3] offset0:28 offset1:29
	s_waitcnt vmcnt(59)
	;; [unrolled: 7-line block ×15, first 2 shown]
	v_mov_b32_e32 v0, v176
	v_mov_b32_e32 v1, v177
	s_waitcnt vmcnt(2)
	ds_write2_b64 v49, v[0:1], v[232:233] offset0:56 offset1:57
	ds_read_b64 v[0:1], v48
	s_waitcnt lgkmcnt(0)
	v_cmp_neq_f64_e32 vcc, 0, v[0:1]
	s_and_b64 exec, exec, vcc
	s_cbranch_execz .LBB115_9
; %bb.8:
	v_div_scale_f64 v[2:3], s[6:7], v[0:1], v[0:1], 1.0
	v_rcp_f64_e32 v[4:5], v[2:3]
	v_div_scale_f64 v[6:7], vcc, 1.0, v[0:1], 1.0
	v_fma_f64 v[8:9], -v[2:3], v[4:5], 1.0
	v_fmac_f64_e32 v[4:5], v[4:5], v[8:9]
	v_fma_f64 v[8:9], -v[2:3], v[4:5], 1.0
	v_fmac_f64_e32 v[4:5], v[4:5], v[8:9]
	v_mul_f64 v[8:9], v[6:7], v[4:5]
	v_fma_f64 v[2:3], -v[2:3], v[8:9], v[6:7]
	v_div_fmas_f64 v[2:3], v[2:3], v[4:5], v[8:9]
	v_div_fixup_f64 v[0:1], v[2:3], v[0:1], 1.0
	ds_write_b64 v48, v[0:1]
.LBB115_9:
	s_or_b64 exec, exec, s[2:3]
	s_waitcnt lgkmcnt(0)
	s_barrier
	ds_read_b64 v[0:1], v48
	v_cmp_lt_u32_e32 vcc, 1, v50
	s_waitcnt lgkmcnt(0)
	buffer_store_dword v0, off, s[16:19], 0 offset:144 ; 4-byte Folded Spill
	s_nop 0
	buffer_store_dword v1, off, s[16:19], 0 offset:148 ; 4-byte Folded Spill
	s_and_saveexec_b64 s[2:3], vcc
	s_cbranch_execz .LBB115_11
; %bb.10:
	ds_read2_b64 v[0:3], v49 offset0:2 offset1:3
	ds_read2_b64 v[4:7], v49 offset0:4 offset1:5
	buffer_load_dword v8, off, s[16:19], 0 offset:144 ; 4-byte Folded Reload
	buffer_load_dword v9, off, s[16:19], 0 offset:148 ; 4-byte Folded Reload
	s_waitcnt vmcnt(0)
	v_mul_f64 v[174:175], v[8:9], v[174:175]
	s_waitcnt lgkmcnt(1)
	v_fma_f64 v[230:231], -v[174:175], v[0:1], v[230:231]
	ds_read2_b64 v[8:11], v49 offset0:6 offset1:7
	v_fma_f64 v[172:173], -v[174:175], v[2:3], v[172:173]
	ds_read2_b64 v[0:3], v49 offset0:8 offset1:9
	s_waitcnt lgkmcnt(2)
	v_fma_f64 v[228:229], -v[174:175], v[4:5], v[228:229]
	v_fma_f64 v[170:171], -v[174:175], v[6:7], v[170:171]
	s_waitcnt lgkmcnt(1)
	v_fma_f64 v[226:227], -v[174:175], v[8:9], v[226:227]
	ds_read2_b64 v[4:7], v49 offset0:10 offset1:11
	v_fma_f64 v[168:169], -v[174:175], v[10:11], v[168:169]
	ds_read2_b64 v[8:11], v49 offset0:12 offset1:13
	s_waitcnt lgkmcnt(2)
	v_fma_f64 v[224:225], -v[174:175], v[0:1], v[224:225]
	v_fma_f64 v[166:167], -v[174:175], v[2:3], v[166:167]
	ds_read2_b64 v[0:3], v49 offset0:14 offset1:15
	s_waitcnt lgkmcnt(2)
	v_fma_f64 v[222:223], -v[174:175], v[4:5], v[222:223]
	v_fma_f64 v[164:165], -v[174:175], v[6:7], v[164:165]
	ds_read2_b64 v[4:7], v49 offset0:16 offset1:17
	s_waitcnt lgkmcnt(2)
	v_fma_f64 v[220:221], -v[174:175], v[8:9], v[220:221]
	v_fma_f64 v[162:163], -v[174:175], v[10:11], v[162:163]
	s_waitcnt lgkmcnt(1)
	v_fma_f64 v[218:219], -v[174:175], v[0:1], v[218:219]
	ds_read2_b64 v[8:11], v49 offset0:18 offset1:19
	v_fma_f64 v[160:161], -v[174:175], v[2:3], v[160:161]
	ds_read2_b64 v[0:3], v49 offset0:20 offset1:21
	s_waitcnt lgkmcnt(2)
	v_fma_f64 v[216:217], -v[174:175], v[4:5], v[216:217]
	v_fma_f64 v[158:159], -v[174:175], v[6:7], v[158:159]
	s_waitcnt lgkmcnt(1)
	v_fma_f64 v[214:215], -v[174:175], v[8:9], v[214:215]
	ds_read2_b64 v[4:7], v49 offset0:22 offset1:23
	v_fma_f64 v[156:157], -v[174:175], v[10:11], v[156:157]
	ds_read2_b64 v[8:11], v49 offset0:24 offset1:25
	s_waitcnt lgkmcnt(2)
	v_fma_f64 v[212:213], -v[174:175], v[0:1], v[212:213]
	v_fma_f64 v[154:155], -v[174:175], v[2:3], v[154:155]
	ds_read2_b64 v[0:3], v49 offset0:26 offset1:27
	s_waitcnt lgkmcnt(2)
	v_fma_f64 v[210:211], -v[174:175], v[4:5], v[210:211]
	v_fma_f64 v[152:153], -v[174:175], v[6:7], v[152:153]
	ds_read2_b64 v[4:7], v49 offset0:28 offset1:29
	s_waitcnt lgkmcnt(2)
	v_fma_f64 v[208:209], -v[174:175], v[8:9], v[208:209]
	v_fma_f64 v[150:151], -v[174:175], v[10:11], v[150:151]
	;; [unrolled: 24-line block ×4, first 2 shown]
	s_waitcnt lgkmcnt(1)
	v_fma_f64 v[182:183], -v[174:175], v[0:1], v[182:183]
	ds_read2_b64 v[8:11], v49 offset0:54 offset1:55
	v_fma_f64 v[124:125], -v[174:175], v[2:3], v[124:125]
	ds_read2_b64 v[0:3], v49 offset0:56 offset1:57
	s_waitcnt lgkmcnt(2)
	v_fma_f64 v[180:181], -v[174:175], v[4:5], v[180:181]
	v_fma_f64 v[122:123], -v[174:175], v[6:7], v[122:123]
	s_waitcnt lgkmcnt(1)
	v_fma_f64 v[178:179], -v[174:175], v[8:9], v[178:179]
	v_fma_f64 v[120:121], -v[174:175], v[10:11], v[120:121]
	;; [unrolled: 3-line block ×3, first 2 shown]
.LBB115_11:
	s_or_b64 exec, exec, s[2:3]
	v_cmp_eq_u32_e32 vcc, 2, v50
	s_waitcnt vmcnt(63) expcnt(7) lgkmcnt(15)
	s_barrier
	s_and_saveexec_b64 s[2:3], vcc
	s_cbranch_execz .LBB115_14
; %bb.12:
	ds_write_b64 v48, v[230:231]
	ds_write2_b64 v49, v[172:173], v[228:229] offset0:3 offset1:4
	ds_write2_b64 v49, v[170:171], v[226:227] offset0:5 offset1:6
	;; [unrolled: 1-line block ×13, first 2 shown]
	s_waitcnt vmcnt(61)
	ds_write2_b64 v49, v[146:147], v[202:203] offset0:29 offset1:30
	s_waitcnt vmcnt(59)
	ds_write2_b64 v49, v[144:145], v[200:201] offset0:31 offset1:32
	s_waitcnt vmcnt(57)
	ds_write2_b64 v49, v[142:143], v[198:199] offset0:33 offset1:34
	s_waitcnt vmcnt(55)
	ds_write2_b64 v49, v[140:141], v[196:197] offset0:35 offset1:36
	s_waitcnt vmcnt(53)
	ds_write2_b64 v49, v[138:139], v[194:195] offset0:37 offset1:38
	s_waitcnt vmcnt(51)
	ds_write2_b64 v49, v[136:137], v[192:193] offset0:39 offset1:40
	s_waitcnt vmcnt(49)
	ds_write2_b64 v49, v[134:135], v[190:191] offset0:41 offset1:42
	s_waitcnt vmcnt(43)
	ds_write2_b64 v49, v[132:133], v[188:189] offset0:43 offset1:44
	s_waitcnt vmcnt(37)
	ds_write2_b64 v49, v[130:131], v[186:187] offset0:45 offset1:46
	s_waitcnt vmcnt(31)
	ds_write2_b64 v49, v[128:129], v[184:185] offset0:47 offset1:48
	s_waitcnt vmcnt(25)
	ds_write2_b64 v49, v[126:127], v[182:183] offset0:49 offset1:50
	s_waitcnt vmcnt(19)
	ds_write2_b64 v49, v[124:125], v[180:181] offset0:51 offset1:52
	s_waitcnt vmcnt(13)
	ds_write2_b64 v49, v[122:123], v[178:179] offset0:53 offset1:54
	s_waitcnt vmcnt(7)
	ds_write2_b64 v49, v[120:121], v[176:177] offset0:55 offset1:56
	s_waitcnt vmcnt(4)
	ds_write_b64 v49, v[232:233] offset:456
	ds_read_b64 v[0:1], v48
	s_waitcnt lgkmcnt(0)
	v_cmp_neq_f64_e32 vcc, 0, v[0:1]
	s_and_b64 exec, exec, vcc
	s_cbranch_execz .LBB115_14
; %bb.13:
	v_div_scale_f64 v[2:3], s[6:7], v[0:1], v[0:1], 1.0
	v_rcp_f64_e32 v[4:5], v[2:3]
	v_div_scale_f64 v[6:7], vcc, 1.0, v[0:1], 1.0
	v_fma_f64 v[8:9], -v[2:3], v[4:5], 1.0
	v_fmac_f64_e32 v[4:5], v[4:5], v[8:9]
	v_fma_f64 v[8:9], -v[2:3], v[4:5], 1.0
	v_fmac_f64_e32 v[4:5], v[4:5], v[8:9]
	v_mul_f64 v[8:9], v[6:7], v[4:5]
	v_fma_f64 v[2:3], -v[2:3], v[8:9], v[6:7]
	v_div_fmas_f64 v[2:3], v[2:3], v[4:5], v[8:9]
	v_div_fixup_f64 v[0:1], v[2:3], v[0:1], 1.0
	ds_write_b64 v48, v[0:1]
.LBB115_14:
	s_or_b64 exec, exec, s[2:3]
	s_waitcnt lgkmcnt(0)
	s_barrier
	ds_read_b64 v[0:1], v48
	v_cmp_lt_u32_e32 vcc, 2, v50
	s_waitcnt lgkmcnt(0)
	buffer_store_dword v0, off, s[16:19], 0 offset:152 ; 4-byte Folded Spill
	s_nop 0
	buffer_store_dword v1, off, s[16:19], 0 offset:156 ; 4-byte Folded Spill
	s_and_saveexec_b64 s[2:3], vcc
	s_cbranch_execz .LBB115_16
; %bb.15:
	ds_read2_b64 v[0:3], v49 offset0:3 offset1:4
	ds_read2_b64 v[4:7], v49 offset0:5 offset1:6
	buffer_load_dword v8, off, s[16:19], 0 offset:152 ; 4-byte Folded Reload
	buffer_load_dword v9, off, s[16:19], 0 offset:156 ; 4-byte Folded Reload
	s_waitcnt vmcnt(0)
	v_mul_f64 v[230:231], v[8:9], v[230:231]
	s_waitcnt lgkmcnt(1)
	v_fma_f64 v[172:173], -v[230:231], v[0:1], v[172:173]
	ds_read2_b64 v[8:11], v49 offset0:7 offset1:8
	v_fma_f64 v[228:229], -v[230:231], v[2:3], v[228:229]
	ds_read2_b64 v[0:3], v49 offset0:9 offset1:10
	s_waitcnt lgkmcnt(2)
	v_fma_f64 v[170:171], -v[230:231], v[4:5], v[170:171]
	v_fma_f64 v[226:227], -v[230:231], v[6:7], v[226:227]
	s_waitcnt lgkmcnt(1)
	v_fma_f64 v[168:169], -v[230:231], v[8:9], v[168:169]
	ds_read2_b64 v[4:7], v49 offset0:11 offset1:12
	v_fma_f64 v[224:225], -v[230:231], v[10:11], v[224:225]
	ds_read2_b64 v[8:11], v49 offset0:13 offset1:14
	s_waitcnt lgkmcnt(2)
	v_fma_f64 v[166:167], -v[230:231], v[0:1], v[166:167]
	v_fma_f64 v[222:223], -v[230:231], v[2:3], v[222:223]
	ds_read2_b64 v[0:3], v49 offset0:15 offset1:16
	s_waitcnt lgkmcnt(2)
	v_fma_f64 v[164:165], -v[230:231], v[4:5], v[164:165]
	v_fma_f64 v[220:221], -v[230:231], v[6:7], v[220:221]
	ds_read2_b64 v[4:7], v49 offset0:17 offset1:18
	s_waitcnt lgkmcnt(2)
	v_fma_f64 v[162:163], -v[230:231], v[8:9], v[162:163]
	v_fma_f64 v[218:219], -v[230:231], v[10:11], v[218:219]
	s_waitcnt lgkmcnt(1)
	v_fma_f64 v[160:161], -v[230:231], v[0:1], v[160:161]
	ds_read2_b64 v[8:11], v49 offset0:19 offset1:20
	v_fma_f64 v[216:217], -v[230:231], v[2:3], v[216:217]
	ds_read2_b64 v[0:3], v49 offset0:21 offset1:22
	s_waitcnt lgkmcnt(2)
	v_fma_f64 v[158:159], -v[230:231], v[4:5], v[158:159]
	v_fma_f64 v[214:215], -v[230:231], v[6:7], v[214:215]
	s_waitcnt lgkmcnt(1)
	v_fma_f64 v[156:157], -v[230:231], v[8:9], v[156:157]
	ds_read2_b64 v[4:7], v49 offset0:23 offset1:24
	v_fma_f64 v[212:213], -v[230:231], v[10:11], v[212:213]
	ds_read2_b64 v[8:11], v49 offset0:25 offset1:26
	s_waitcnt lgkmcnt(2)
	v_fma_f64 v[154:155], -v[230:231], v[0:1], v[154:155]
	v_fma_f64 v[210:211], -v[230:231], v[2:3], v[210:211]
	ds_read2_b64 v[0:3], v49 offset0:27 offset1:28
	s_waitcnt lgkmcnt(2)
	v_fma_f64 v[152:153], -v[230:231], v[4:5], v[152:153]
	v_fma_f64 v[208:209], -v[230:231], v[6:7], v[208:209]
	ds_read2_b64 v[4:7], v49 offset0:29 offset1:30
	s_waitcnt lgkmcnt(2)
	v_fma_f64 v[150:151], -v[230:231], v[8:9], v[150:151]
	v_fma_f64 v[206:207], -v[230:231], v[10:11], v[206:207]
	;; [unrolled: 24-line block ×4, first 2 shown]
	s_waitcnt lgkmcnt(1)
	v_fma_f64 v[124:125], -v[230:231], v[0:1], v[124:125]
	ds_read2_b64 v[8:11], v49 offset0:55 offset1:56
	ds_read_b64 v[0:1], v49 offset:456
	v_fma_f64 v[180:181], -v[230:231], v[2:3], v[180:181]
	s_waitcnt lgkmcnt(2)
	v_fma_f64 v[122:123], -v[230:231], v[4:5], v[122:123]
	v_fma_f64 v[178:179], -v[230:231], v[6:7], v[178:179]
	s_waitcnt lgkmcnt(1)
	v_fma_f64 v[120:121], -v[230:231], v[8:9], v[120:121]
	;; [unrolled: 3-line block ×3, first 2 shown]
.LBB115_16:
	s_or_b64 exec, exec, s[2:3]
	v_cmp_eq_u32_e32 vcc, 3, v50
	s_waitcnt vmcnt(63) expcnt(7) lgkmcnt(15)
	s_barrier
	s_and_saveexec_b64 s[2:3], vcc
	s_cbranch_execz .LBB115_19
; %bb.17:
	v_mov_b32_e32 v0, v228
	v_mov_b32_e32 v1, v229
	;; [unrolled: 1-line block ×4, first 2 shown]
	ds_write_b64 v48, v[172:173]
	ds_write2_b64 v49, v[0:1], v[2:3] offset0:4 offset1:5
	v_mov_b32_e32 v0, v226
	v_mov_b32_e32 v1, v227
	v_mov_b32_e32 v2, v168
	v_mov_b32_e32 v3, v169
	ds_write2_b64 v49, v[0:1], v[2:3] offset0:6 offset1:7
	v_mov_b32_e32 v0, v224
	v_mov_b32_e32 v1, v225
	v_mov_b32_e32 v2, v166
	v_mov_b32_e32 v3, v167
	;; [unrolled: 5-line block ×12, first 2 shown]
	ds_write2_b64 v49, v[0:1], v[2:3] offset0:28 offset1:29
	v_mov_b32_e32 v0, v202
	v_mov_b32_e32 v1, v203
	s_waitcnt vmcnt(62)
	v_mov_b32_e32 v2, v144
	v_mov_b32_e32 v3, v145
	ds_write2_b64 v49, v[0:1], v[2:3] offset0:30 offset1:31
	s_waitcnt vmcnt(61)
	v_mov_b32_e32 v0, v200
	v_mov_b32_e32 v1, v201
	s_waitcnt vmcnt(60)
	v_mov_b32_e32 v2, v142
	v_mov_b32_e32 v3, v143
	ds_write2_b64 v49, v[0:1], v[2:3] offset0:32 offset1:33
	s_waitcnt vmcnt(59)
	;; [unrolled: 7-line block ×13, first 2 shown]
	v_mov_b32_e32 v0, v176
	v_mov_b32_e32 v1, v177
	s_waitcnt vmcnt(6)
	ds_write2_b64 v49, v[0:1], v[232:233] offset0:56 offset1:57
	ds_read_b64 v[0:1], v48
	s_waitcnt lgkmcnt(0)
	v_cmp_neq_f64_e32 vcc, 0, v[0:1]
	s_and_b64 exec, exec, vcc
	s_cbranch_execz .LBB115_19
; %bb.18:
	v_div_scale_f64 v[2:3], s[6:7], v[0:1], v[0:1], 1.0
	v_rcp_f64_e32 v[4:5], v[2:3]
	v_div_scale_f64 v[6:7], vcc, 1.0, v[0:1], 1.0
	v_fma_f64 v[8:9], -v[2:3], v[4:5], 1.0
	v_fmac_f64_e32 v[4:5], v[4:5], v[8:9]
	v_fma_f64 v[8:9], -v[2:3], v[4:5], 1.0
	v_fmac_f64_e32 v[4:5], v[4:5], v[8:9]
	v_mul_f64 v[8:9], v[6:7], v[4:5]
	v_fma_f64 v[2:3], -v[2:3], v[8:9], v[6:7]
	v_div_fmas_f64 v[2:3], v[2:3], v[4:5], v[8:9]
	v_div_fixup_f64 v[0:1], v[2:3], v[0:1], 1.0
	ds_write_b64 v48, v[0:1]
.LBB115_19:
	s_or_b64 exec, exec, s[2:3]
	s_waitcnt lgkmcnt(0)
	s_barrier
	ds_read_b64 v[0:1], v48
	v_cmp_lt_u32_e32 vcc, 3, v50
	s_waitcnt lgkmcnt(0)
	buffer_store_dword v0, off, s[16:19], 0 offset:160 ; 4-byte Folded Spill
	s_nop 0
	buffer_store_dword v1, off, s[16:19], 0 offset:164 ; 4-byte Folded Spill
	s_and_saveexec_b64 s[2:3], vcc
	s_cbranch_execz .LBB115_21
; %bb.20:
	buffer_load_dword v0, off, s[16:19], 0 offset:160 ; 4-byte Folded Reload
	buffer_load_dword v1, off, s[16:19], 0 offset:164 ; 4-byte Folded Reload
	s_waitcnt vmcnt(0)
	v_mul_f64 v[172:173], v[0:1], v[172:173]
	ds_read2_b64 v[0:3], v49 offset0:4 offset1:5
	s_waitcnt lgkmcnt(0)
	v_fma_f64 v[228:229], -v[172:173], v[0:1], v[228:229]
	v_fma_f64 v[170:171], -v[172:173], v[2:3], v[170:171]
	ds_read2_b64 v[0:3], v49 offset0:6 offset1:7
	s_waitcnt lgkmcnt(0)
	v_fma_f64 v[226:227], -v[172:173], v[0:1], v[226:227]
	v_fma_f64 v[168:169], -v[172:173], v[2:3], v[168:169]
	;; [unrolled: 4-line block ×27, first 2 shown]
.LBB115_21:
	s_or_b64 exec, exec, s[2:3]
	v_cmp_eq_u32_e32 vcc, 4, v50
	s_waitcnt vmcnt(63) expcnt(7) lgkmcnt(15)
	s_barrier
	s_and_saveexec_b64 s[2:3], vcc
	s_cbranch_execz .LBB115_24
; %bb.22:
	ds_write_b64 v48, v[228:229]
	ds_write2_b64 v49, v[170:171], v[226:227] offset0:5 offset1:6
	ds_write2_b64 v49, v[168:169], v[224:225] offset0:7 offset1:8
	;; [unrolled: 1-line block ×14, first 2 shown]
	s_waitcnt vmcnt(61)
	ds_write2_b64 v49, v[142:143], v[198:199] offset0:33 offset1:34
	s_waitcnt vmcnt(59)
	ds_write2_b64 v49, v[140:141], v[196:197] offset0:35 offset1:36
	;; [unrolled: 2-line block ×12, first 2 shown]
	s_waitcnt vmcnt(8)
	ds_write_b64 v49, v[232:233] offset:456
	ds_read_b64 v[0:1], v48
	s_waitcnt lgkmcnt(0)
	v_cmp_neq_f64_e32 vcc, 0, v[0:1]
	s_and_b64 exec, exec, vcc
	s_cbranch_execz .LBB115_24
; %bb.23:
	v_div_scale_f64 v[2:3], s[6:7], v[0:1], v[0:1], 1.0
	v_rcp_f64_e32 v[4:5], v[2:3]
	v_div_scale_f64 v[6:7], vcc, 1.0, v[0:1], 1.0
	v_fma_f64 v[8:9], -v[2:3], v[4:5], 1.0
	v_fmac_f64_e32 v[4:5], v[4:5], v[8:9]
	v_fma_f64 v[8:9], -v[2:3], v[4:5], 1.0
	v_fmac_f64_e32 v[4:5], v[4:5], v[8:9]
	v_mul_f64 v[8:9], v[6:7], v[4:5]
	v_fma_f64 v[2:3], -v[2:3], v[8:9], v[6:7]
	v_div_fmas_f64 v[2:3], v[2:3], v[4:5], v[8:9]
	v_div_fixup_f64 v[0:1], v[2:3], v[0:1], 1.0
	ds_write_b64 v48, v[0:1]
.LBB115_24:
	s_or_b64 exec, exec, s[2:3]
	s_waitcnt lgkmcnt(0)
	s_barrier
	ds_read_b64 v[0:1], v48
	v_cmp_lt_u32_e32 vcc, 4, v50
	s_waitcnt lgkmcnt(0)
	buffer_store_dword v0, off, s[16:19], 0 offset:168 ; 4-byte Folded Spill
	s_nop 0
	buffer_store_dword v1, off, s[16:19], 0 offset:172 ; 4-byte Folded Spill
	s_and_saveexec_b64 s[2:3], vcc
	s_cbranch_execz .LBB115_26
; %bb.25:
	buffer_load_dword v0, off, s[16:19], 0 offset:168 ; 4-byte Folded Reload
	buffer_load_dword v1, off, s[16:19], 0 offset:172 ; 4-byte Folded Reload
	s_waitcnt vmcnt(0)
	v_mul_f64 v[228:229], v[0:1], v[228:229]
	ds_read2_b64 v[0:3], v49 offset0:5 offset1:6
	s_waitcnt lgkmcnt(0)
	v_fma_f64 v[170:171], -v[228:229], v[0:1], v[170:171]
	v_fma_f64 v[226:227], -v[228:229], v[2:3], v[226:227]
	ds_read2_b64 v[0:3], v49 offset0:7 offset1:8
	s_waitcnt lgkmcnt(0)
	v_fma_f64 v[168:169], -v[228:229], v[0:1], v[168:169]
	v_fma_f64 v[224:225], -v[228:229], v[2:3], v[224:225]
	;; [unrolled: 4-line block ×25, first 2 shown]
	ds_read2_b64 v[0:3], v49 offset0:55 offset1:56
	s_waitcnt lgkmcnt(0)
	v_fma_f64 v[120:121], -v[228:229], v[0:1], v[120:121]
	ds_read_b64 v[0:1], v49 offset:456
	v_fma_f64 v[176:177], -v[228:229], v[2:3], v[176:177]
	s_waitcnt lgkmcnt(0)
	v_fma_f64 v[232:233], -v[228:229], v[0:1], v[232:233]
.LBB115_26:
	s_or_b64 exec, exec, s[2:3]
	v_cmp_eq_u32_e32 vcc, 5, v50
	s_waitcnt vmcnt(63) expcnt(7) lgkmcnt(15)
	s_barrier
	s_and_saveexec_b64 s[2:3], vcc
	s_cbranch_execz .LBB115_29
; %bb.27:
	v_mov_b32_e32 v0, v226
	v_mov_b32_e32 v1, v227
	;; [unrolled: 1-line block ×4, first 2 shown]
	ds_write_b64 v48, v[170:171]
	ds_write2_b64 v49, v[0:1], v[2:3] offset0:6 offset1:7
	v_mov_b32_e32 v0, v224
	v_mov_b32_e32 v1, v225
	v_mov_b32_e32 v2, v166
	v_mov_b32_e32 v3, v167
	ds_write2_b64 v49, v[0:1], v[2:3] offset0:8 offset1:9
	v_mov_b32_e32 v0, v222
	v_mov_b32_e32 v1, v223
	v_mov_b32_e32 v2, v164
	v_mov_b32_e32 v3, v165
	;; [unrolled: 5-line block ×13, first 2 shown]
	ds_write2_b64 v49, v[0:1], v[2:3] offset0:32 offset1:33
	v_mov_b32_e32 v0, v198
	v_mov_b32_e32 v1, v199
	s_waitcnt vmcnt(62)
	v_mov_b32_e32 v2, v140
	v_mov_b32_e32 v3, v141
	ds_write2_b64 v49, v[0:1], v[2:3] offset0:34 offset1:35
	s_waitcnt vmcnt(61)
	v_mov_b32_e32 v0, v196
	v_mov_b32_e32 v1, v197
	s_waitcnt vmcnt(60)
	v_mov_b32_e32 v2, v138
	v_mov_b32_e32 v3, v139
	ds_write2_b64 v49, v[0:1], v[2:3] offset0:36 offset1:37
	s_waitcnt vmcnt(59)
	;; [unrolled: 7-line block ×11, first 2 shown]
	v_mov_b32_e32 v0, v176
	v_mov_b32_e32 v1, v177
	s_waitcnt vmcnt(10)
	ds_write2_b64 v49, v[0:1], v[232:233] offset0:56 offset1:57
	ds_read_b64 v[0:1], v48
	s_waitcnt lgkmcnt(0)
	v_cmp_neq_f64_e32 vcc, 0, v[0:1]
	s_and_b64 exec, exec, vcc
	s_cbranch_execz .LBB115_29
; %bb.28:
	v_div_scale_f64 v[2:3], s[6:7], v[0:1], v[0:1], 1.0
	v_rcp_f64_e32 v[4:5], v[2:3]
	v_div_scale_f64 v[6:7], vcc, 1.0, v[0:1], 1.0
	v_fma_f64 v[8:9], -v[2:3], v[4:5], 1.0
	v_fmac_f64_e32 v[4:5], v[4:5], v[8:9]
	v_fma_f64 v[8:9], -v[2:3], v[4:5], 1.0
	v_fmac_f64_e32 v[4:5], v[4:5], v[8:9]
	v_mul_f64 v[8:9], v[6:7], v[4:5]
	v_fma_f64 v[2:3], -v[2:3], v[8:9], v[6:7]
	v_div_fmas_f64 v[2:3], v[2:3], v[4:5], v[8:9]
	v_div_fixup_f64 v[0:1], v[2:3], v[0:1], 1.0
	ds_write_b64 v48, v[0:1]
.LBB115_29:
	s_or_b64 exec, exec, s[2:3]
	s_waitcnt lgkmcnt(0)
	s_barrier
	ds_read_b64 v[0:1], v48
	v_cmp_lt_u32_e32 vcc, 5, v50
	s_waitcnt lgkmcnt(0)
	buffer_store_dword v0, off, s[16:19], 0 offset:176 ; 4-byte Folded Spill
	s_nop 0
	buffer_store_dword v1, off, s[16:19], 0 offset:180 ; 4-byte Folded Spill
	s_and_saveexec_b64 s[2:3], vcc
	s_cbranch_execz .LBB115_31
; %bb.30:
	buffer_load_dword v0, off, s[16:19], 0 offset:176 ; 4-byte Folded Reload
	buffer_load_dword v1, off, s[16:19], 0 offset:180 ; 4-byte Folded Reload
	s_waitcnt vmcnt(0)
	v_mul_f64 v[170:171], v[0:1], v[170:171]
	ds_read2_b64 v[0:3], v49 offset0:6 offset1:7
	s_waitcnt lgkmcnt(0)
	v_fma_f64 v[226:227], -v[170:171], v[0:1], v[226:227]
	v_fma_f64 v[168:169], -v[170:171], v[2:3], v[168:169]
	ds_read2_b64 v[0:3], v49 offset0:8 offset1:9
	s_waitcnt lgkmcnt(0)
	v_fma_f64 v[224:225], -v[170:171], v[0:1], v[224:225]
	v_fma_f64 v[166:167], -v[170:171], v[2:3], v[166:167]
	;; [unrolled: 4-line block ×26, first 2 shown]
.LBB115_31:
	s_or_b64 exec, exec, s[2:3]
	v_cmp_eq_u32_e32 vcc, 6, v50
	s_waitcnt vmcnt(63) expcnt(7) lgkmcnt(15)
	s_barrier
	s_and_saveexec_b64 s[2:3], vcc
	s_cbranch_execz .LBB115_34
; %bb.32:
	ds_write_b64 v48, v[226:227]
	ds_write2_b64 v49, v[168:169], v[224:225] offset0:7 offset1:8
	ds_write2_b64 v49, v[166:167], v[222:223] offset0:9 offset1:10
	;; [unrolled: 1-line block ×15, first 2 shown]
	s_waitcnt vmcnt(61)
	ds_write2_b64 v49, v[138:139], v[194:195] offset0:37 offset1:38
	s_waitcnt vmcnt(59)
	ds_write2_b64 v49, v[136:137], v[192:193] offset0:39 offset1:40
	;; [unrolled: 2-line block ×10, first 2 shown]
	s_waitcnt vmcnt(12)
	ds_write_b64 v49, v[232:233] offset:456
	ds_read_b64 v[0:1], v48
	s_waitcnt lgkmcnt(0)
	v_cmp_neq_f64_e32 vcc, 0, v[0:1]
	s_and_b64 exec, exec, vcc
	s_cbranch_execz .LBB115_34
; %bb.33:
	v_div_scale_f64 v[2:3], s[6:7], v[0:1], v[0:1], 1.0
	v_rcp_f64_e32 v[4:5], v[2:3]
	v_div_scale_f64 v[6:7], vcc, 1.0, v[0:1], 1.0
	v_fma_f64 v[8:9], -v[2:3], v[4:5], 1.0
	v_fmac_f64_e32 v[4:5], v[4:5], v[8:9]
	v_fma_f64 v[8:9], -v[2:3], v[4:5], 1.0
	v_fmac_f64_e32 v[4:5], v[4:5], v[8:9]
	v_mul_f64 v[8:9], v[6:7], v[4:5]
	v_fma_f64 v[2:3], -v[2:3], v[8:9], v[6:7]
	v_div_fmas_f64 v[2:3], v[2:3], v[4:5], v[8:9]
	v_div_fixup_f64 v[0:1], v[2:3], v[0:1], 1.0
	ds_write_b64 v48, v[0:1]
.LBB115_34:
	s_or_b64 exec, exec, s[2:3]
	s_waitcnt lgkmcnt(0)
	s_barrier
	ds_read_b64 v[0:1], v48
	v_cmp_lt_u32_e32 vcc, 6, v50
	s_waitcnt lgkmcnt(0)
	buffer_store_dword v0, off, s[16:19], 0 offset:184 ; 4-byte Folded Spill
	s_nop 0
	buffer_store_dword v1, off, s[16:19], 0 offset:188 ; 4-byte Folded Spill
	s_and_saveexec_b64 s[2:3], vcc
	s_cbranch_execz .LBB115_36
; %bb.35:
	buffer_load_dword v0, off, s[16:19], 0 offset:184 ; 4-byte Folded Reload
	buffer_load_dword v1, off, s[16:19], 0 offset:188 ; 4-byte Folded Reload
	s_waitcnt vmcnt(0)
	v_mul_f64 v[226:227], v[0:1], v[226:227]
	ds_read2_b64 v[0:3], v49 offset0:7 offset1:8
	s_waitcnt lgkmcnt(0)
	v_fma_f64 v[168:169], -v[226:227], v[0:1], v[168:169]
	v_fma_f64 v[224:225], -v[226:227], v[2:3], v[224:225]
	ds_read2_b64 v[0:3], v49 offset0:9 offset1:10
	s_waitcnt lgkmcnt(0)
	v_fma_f64 v[166:167], -v[226:227], v[0:1], v[166:167]
	v_fma_f64 v[222:223], -v[226:227], v[2:3], v[222:223]
	;; [unrolled: 4-line block ×24, first 2 shown]
	ds_read2_b64 v[0:3], v49 offset0:55 offset1:56
	s_waitcnt lgkmcnt(0)
	v_fma_f64 v[120:121], -v[226:227], v[0:1], v[120:121]
	ds_read_b64 v[0:1], v49 offset:456
	v_fma_f64 v[176:177], -v[226:227], v[2:3], v[176:177]
	s_waitcnt lgkmcnt(0)
	v_fma_f64 v[232:233], -v[226:227], v[0:1], v[232:233]
.LBB115_36:
	s_or_b64 exec, exec, s[2:3]
	v_cmp_eq_u32_e32 vcc, 7, v50
	s_waitcnt vmcnt(63) expcnt(7) lgkmcnt(15)
	s_barrier
	s_and_saveexec_b64 s[2:3], vcc
	s_cbranch_execz .LBB115_39
; %bb.37:
	v_mov_b32_e32 v0, v224
	v_mov_b32_e32 v1, v225
	;; [unrolled: 1-line block ×4, first 2 shown]
	ds_write_b64 v48, v[168:169]
	ds_write2_b64 v49, v[0:1], v[2:3] offset0:8 offset1:9
	v_mov_b32_e32 v0, v222
	v_mov_b32_e32 v1, v223
	v_mov_b32_e32 v2, v164
	v_mov_b32_e32 v3, v165
	ds_write2_b64 v49, v[0:1], v[2:3] offset0:10 offset1:11
	v_mov_b32_e32 v0, v220
	v_mov_b32_e32 v1, v221
	v_mov_b32_e32 v2, v162
	v_mov_b32_e32 v3, v163
	;; [unrolled: 5-line block ×14, first 2 shown]
	ds_write2_b64 v49, v[0:1], v[2:3] offset0:36 offset1:37
	v_mov_b32_e32 v0, v194
	v_mov_b32_e32 v1, v195
	s_waitcnt vmcnt(62)
	v_mov_b32_e32 v2, v136
	v_mov_b32_e32 v3, v137
	ds_write2_b64 v49, v[0:1], v[2:3] offset0:38 offset1:39
	s_waitcnt vmcnt(61)
	v_mov_b32_e32 v0, v192
	v_mov_b32_e32 v1, v193
	s_waitcnt vmcnt(60)
	v_mov_b32_e32 v2, v134
	v_mov_b32_e32 v3, v135
	ds_write2_b64 v49, v[0:1], v[2:3] offset0:40 offset1:41
	s_waitcnt vmcnt(59)
	v_mov_b32_e32 v0, v190
	v_mov_b32_e32 v1, v191
	s_waitcnt vmcnt(56)
	v_mov_b32_e32 v2, v132
	v_mov_b32_e32 v3, v133
	ds_write2_b64 v49, v[0:1], v[2:3] offset0:42 offset1:43
	s_waitcnt vmcnt(53)
	v_mov_b32_e32 v0, v188
	v_mov_b32_e32 v1, v189
	s_waitcnt vmcnt(50)
	v_mov_b32_e32 v2, v130
	v_mov_b32_e32 v3, v131
	ds_write2_b64 v49, v[0:1], v[2:3] offset0:44 offset1:45
	s_waitcnt vmcnt(47)
	v_mov_b32_e32 v0, v186
	v_mov_b32_e32 v1, v187
	s_waitcnt vmcnt(44)
	v_mov_b32_e32 v2, v128
	v_mov_b32_e32 v3, v129
	ds_write2_b64 v49, v[0:1], v[2:3] offset0:46 offset1:47
	s_waitcnt vmcnt(41)
	v_mov_b32_e32 v0, v184
	v_mov_b32_e32 v1, v185
	s_waitcnt vmcnt(38)
	v_mov_b32_e32 v2, v126
	v_mov_b32_e32 v3, v127
	ds_write2_b64 v49, v[0:1], v[2:3] offset0:48 offset1:49
	s_waitcnt vmcnt(35)
	v_mov_b32_e32 v0, v182
	v_mov_b32_e32 v1, v183
	s_waitcnt vmcnt(32)
	v_mov_b32_e32 v2, v124
	v_mov_b32_e32 v3, v125
	ds_write2_b64 v49, v[0:1], v[2:3] offset0:50 offset1:51
	s_waitcnt vmcnt(29)
	v_mov_b32_e32 v0, v180
	v_mov_b32_e32 v1, v181
	s_waitcnt vmcnt(26)
	v_mov_b32_e32 v2, v122
	v_mov_b32_e32 v3, v123
	ds_write2_b64 v49, v[0:1], v[2:3] offset0:52 offset1:53
	s_waitcnt vmcnt(23)
	v_mov_b32_e32 v0, v178
	v_mov_b32_e32 v1, v179
	s_waitcnt vmcnt(20)
	v_mov_b32_e32 v2, v120
	v_mov_b32_e32 v3, v121
	ds_write2_b64 v49, v[0:1], v[2:3] offset0:54 offset1:55
	s_waitcnt vmcnt(17)
	v_mov_b32_e32 v0, v176
	v_mov_b32_e32 v1, v177
	s_waitcnt vmcnt(14)
	ds_write2_b64 v49, v[0:1], v[232:233] offset0:56 offset1:57
	ds_read_b64 v[0:1], v48
	s_waitcnt lgkmcnt(0)
	v_cmp_neq_f64_e32 vcc, 0, v[0:1]
	s_and_b64 exec, exec, vcc
	s_cbranch_execz .LBB115_39
; %bb.38:
	v_div_scale_f64 v[2:3], s[6:7], v[0:1], v[0:1], 1.0
	v_rcp_f64_e32 v[4:5], v[2:3]
	v_div_scale_f64 v[6:7], vcc, 1.0, v[0:1], 1.0
	v_fma_f64 v[8:9], -v[2:3], v[4:5], 1.0
	v_fmac_f64_e32 v[4:5], v[4:5], v[8:9]
	v_fma_f64 v[8:9], -v[2:3], v[4:5], 1.0
	v_fmac_f64_e32 v[4:5], v[4:5], v[8:9]
	v_mul_f64 v[8:9], v[6:7], v[4:5]
	v_fma_f64 v[2:3], -v[2:3], v[8:9], v[6:7]
	v_div_fmas_f64 v[2:3], v[2:3], v[4:5], v[8:9]
	v_div_fixup_f64 v[0:1], v[2:3], v[0:1], 1.0
	ds_write_b64 v48, v[0:1]
.LBB115_39:
	s_or_b64 exec, exec, s[2:3]
	s_waitcnt lgkmcnt(0)
	s_barrier
	ds_read_b64 v[0:1], v48
	v_cmp_lt_u32_e32 vcc, 7, v50
	s_waitcnt lgkmcnt(0)
	buffer_store_dword v0, off, s[16:19], 0 offset:192 ; 4-byte Folded Spill
	s_nop 0
	buffer_store_dword v1, off, s[16:19], 0 offset:196 ; 4-byte Folded Spill
	s_and_saveexec_b64 s[2:3], vcc
	s_cbranch_execz .LBB115_41
; %bb.40:
	buffer_load_dword v0, off, s[16:19], 0 offset:192 ; 4-byte Folded Reload
	buffer_load_dword v1, off, s[16:19], 0 offset:196 ; 4-byte Folded Reload
	s_waitcnt vmcnt(0)
	v_mul_f64 v[168:169], v[0:1], v[168:169]
	ds_read2_b64 v[0:3], v49 offset0:8 offset1:9
	s_waitcnt lgkmcnt(0)
	v_fma_f64 v[224:225], -v[168:169], v[0:1], v[224:225]
	v_fma_f64 v[166:167], -v[168:169], v[2:3], v[166:167]
	ds_read2_b64 v[0:3], v49 offset0:10 offset1:11
	s_waitcnt lgkmcnt(0)
	v_fma_f64 v[222:223], -v[168:169], v[0:1], v[222:223]
	v_fma_f64 v[164:165], -v[168:169], v[2:3], v[164:165]
	;; [unrolled: 4-line block ×25, first 2 shown]
.LBB115_41:
	s_or_b64 exec, exec, s[2:3]
	v_cmp_eq_u32_e32 vcc, 8, v50
	s_waitcnt vmcnt(63) expcnt(7) lgkmcnt(15)
	s_barrier
	s_and_saveexec_b64 s[2:3], vcc
	s_cbranch_execz .LBB115_44
; %bb.42:
	ds_write_b64 v48, v[224:225]
	ds_write2_b64 v49, v[166:167], v[222:223] offset0:9 offset1:10
	ds_write2_b64 v49, v[164:165], v[220:221] offset0:11 offset1:12
	;; [unrolled: 1-line block ×16, first 2 shown]
	s_waitcnt vmcnt(61)
	ds_write2_b64 v49, v[134:135], v[190:191] offset0:41 offset1:42
	s_waitcnt vmcnt(55)
	ds_write2_b64 v49, v[132:133], v[188:189] offset0:43 offset1:44
	;; [unrolled: 2-line block ×8, first 2 shown]
	s_waitcnt vmcnt(16)
	ds_write_b64 v49, v[232:233] offset:456
	ds_read_b64 v[0:1], v48
	s_waitcnt lgkmcnt(0)
	v_cmp_neq_f64_e32 vcc, 0, v[0:1]
	s_and_b64 exec, exec, vcc
	s_cbranch_execz .LBB115_44
; %bb.43:
	v_div_scale_f64 v[2:3], s[6:7], v[0:1], v[0:1], 1.0
	v_rcp_f64_e32 v[4:5], v[2:3]
	v_div_scale_f64 v[6:7], vcc, 1.0, v[0:1], 1.0
	v_fma_f64 v[8:9], -v[2:3], v[4:5], 1.0
	v_fmac_f64_e32 v[4:5], v[4:5], v[8:9]
	v_fma_f64 v[8:9], -v[2:3], v[4:5], 1.0
	v_fmac_f64_e32 v[4:5], v[4:5], v[8:9]
	v_mul_f64 v[8:9], v[6:7], v[4:5]
	v_fma_f64 v[2:3], -v[2:3], v[8:9], v[6:7]
	v_div_fmas_f64 v[2:3], v[2:3], v[4:5], v[8:9]
	v_div_fixup_f64 v[0:1], v[2:3], v[0:1], 1.0
	ds_write_b64 v48, v[0:1]
.LBB115_44:
	s_or_b64 exec, exec, s[2:3]
	s_waitcnt lgkmcnt(0)
	s_barrier
	ds_read_b64 v[0:1], v48
	v_cmp_lt_u32_e32 vcc, 8, v50
	s_waitcnt lgkmcnt(0)
	buffer_store_dword v0, off, s[16:19], 0 offset:200 ; 4-byte Folded Spill
	s_nop 0
	buffer_store_dword v1, off, s[16:19], 0 offset:204 ; 4-byte Folded Spill
	s_and_saveexec_b64 s[2:3], vcc
	s_cbranch_execz .LBB115_46
; %bb.45:
	buffer_load_dword v0, off, s[16:19], 0 offset:200 ; 4-byte Folded Reload
	buffer_load_dword v1, off, s[16:19], 0 offset:204 ; 4-byte Folded Reload
	s_waitcnt vmcnt(0)
	v_mul_f64 v[224:225], v[0:1], v[224:225]
	ds_read2_b64 v[0:3], v49 offset0:9 offset1:10
	s_waitcnt lgkmcnt(0)
	v_fma_f64 v[166:167], -v[224:225], v[0:1], v[166:167]
	v_fma_f64 v[222:223], -v[224:225], v[2:3], v[222:223]
	ds_read2_b64 v[0:3], v49 offset0:11 offset1:12
	s_waitcnt lgkmcnt(0)
	v_fma_f64 v[164:165], -v[224:225], v[0:1], v[164:165]
	v_fma_f64 v[220:221], -v[224:225], v[2:3], v[220:221]
	;; [unrolled: 4-line block ×23, first 2 shown]
	ds_read2_b64 v[0:3], v49 offset0:55 offset1:56
	s_waitcnt lgkmcnt(0)
	v_fma_f64 v[120:121], -v[224:225], v[0:1], v[120:121]
	ds_read_b64 v[0:1], v49 offset:456
	v_fma_f64 v[176:177], -v[224:225], v[2:3], v[176:177]
	s_waitcnt lgkmcnt(0)
	v_fma_f64 v[232:233], -v[224:225], v[0:1], v[232:233]
.LBB115_46:
	s_or_b64 exec, exec, s[2:3]
	v_cmp_eq_u32_e32 vcc, 9, v50
	s_waitcnt vmcnt(63) expcnt(7) lgkmcnt(15)
	s_barrier
	s_and_saveexec_b64 s[2:3], vcc
	s_cbranch_execz .LBB115_49
; %bb.47:
	v_mov_b32_e32 v0, v222
	v_mov_b32_e32 v1, v223
	;; [unrolled: 1-line block ×4, first 2 shown]
	ds_write_b64 v48, v[166:167]
	ds_write2_b64 v49, v[0:1], v[2:3] offset0:10 offset1:11
	v_mov_b32_e32 v0, v220
	v_mov_b32_e32 v1, v221
	v_mov_b32_e32 v2, v162
	v_mov_b32_e32 v3, v163
	ds_write2_b64 v49, v[0:1], v[2:3] offset0:12 offset1:13
	v_mov_b32_e32 v0, v218
	v_mov_b32_e32 v1, v219
	v_mov_b32_e32 v2, v160
	v_mov_b32_e32 v3, v161
	;; [unrolled: 5-line block ×15, first 2 shown]
	ds_write2_b64 v49, v[0:1], v[2:3] offset0:40 offset1:41
	v_mov_b32_e32 v0, v190
	v_mov_b32_e32 v1, v191
	s_waitcnt vmcnt(60)
	v_mov_b32_e32 v2, v132
	v_mov_b32_e32 v3, v133
	ds_write2_b64 v49, v[0:1], v[2:3] offset0:42 offset1:43
	s_waitcnt vmcnt(57)
	v_mov_b32_e32 v0, v188
	v_mov_b32_e32 v1, v189
	s_waitcnt vmcnt(54)
	v_mov_b32_e32 v2, v130
	v_mov_b32_e32 v3, v131
	ds_write2_b64 v49, v[0:1], v[2:3] offset0:44 offset1:45
	s_waitcnt vmcnt(51)
	;; [unrolled: 7-line block ×7, first 2 shown]
	v_mov_b32_e32 v0, v176
	v_mov_b32_e32 v1, v177
	s_waitcnt vmcnt(18)
	ds_write2_b64 v49, v[0:1], v[232:233] offset0:56 offset1:57
	ds_read_b64 v[0:1], v48
	s_waitcnt lgkmcnt(0)
	v_cmp_neq_f64_e32 vcc, 0, v[0:1]
	s_and_b64 exec, exec, vcc
	s_cbranch_execz .LBB115_49
; %bb.48:
	v_div_scale_f64 v[2:3], s[6:7], v[0:1], v[0:1], 1.0
	v_rcp_f64_e32 v[4:5], v[2:3]
	v_div_scale_f64 v[6:7], vcc, 1.0, v[0:1], 1.0
	v_fma_f64 v[8:9], -v[2:3], v[4:5], 1.0
	v_fmac_f64_e32 v[4:5], v[4:5], v[8:9]
	v_fma_f64 v[8:9], -v[2:3], v[4:5], 1.0
	v_fmac_f64_e32 v[4:5], v[4:5], v[8:9]
	v_mul_f64 v[8:9], v[6:7], v[4:5]
	v_fma_f64 v[2:3], -v[2:3], v[8:9], v[6:7]
	v_div_fmas_f64 v[2:3], v[2:3], v[4:5], v[8:9]
	v_div_fixup_f64 v[0:1], v[2:3], v[0:1], 1.0
	ds_write_b64 v48, v[0:1]
.LBB115_49:
	s_or_b64 exec, exec, s[2:3]
	s_waitcnt lgkmcnt(0)
	s_barrier
	ds_read_b64 v[0:1], v48
	v_cmp_lt_u32_e32 vcc, 9, v50
	s_waitcnt lgkmcnt(0)
	buffer_store_dword v0, off, s[16:19], 0 offset:208 ; 4-byte Folded Spill
	s_nop 0
	buffer_store_dword v1, off, s[16:19], 0 offset:212 ; 4-byte Folded Spill
	s_and_saveexec_b64 s[2:3], vcc
	s_cbranch_execz .LBB115_51
; %bb.50:
	buffer_load_dword v0, off, s[16:19], 0 offset:208 ; 4-byte Folded Reload
	buffer_load_dword v1, off, s[16:19], 0 offset:212 ; 4-byte Folded Reload
	s_waitcnt vmcnt(0)
	v_mul_f64 v[166:167], v[0:1], v[166:167]
	ds_read2_b64 v[0:3], v49 offset0:10 offset1:11
	s_waitcnt lgkmcnt(0)
	v_fma_f64 v[222:223], -v[166:167], v[0:1], v[222:223]
	v_fma_f64 v[164:165], -v[166:167], v[2:3], v[164:165]
	ds_read2_b64 v[0:3], v49 offset0:12 offset1:13
	s_waitcnt lgkmcnt(0)
	v_fma_f64 v[220:221], -v[166:167], v[0:1], v[220:221]
	v_fma_f64 v[162:163], -v[166:167], v[2:3], v[162:163]
	;; [unrolled: 4-line block ×24, first 2 shown]
.LBB115_51:
	s_or_b64 exec, exec, s[2:3]
	v_cmp_eq_u32_e32 vcc, 10, v50
	s_waitcnt vmcnt(63) expcnt(7) lgkmcnt(15)
	s_barrier
	s_and_saveexec_b64 s[2:3], vcc
	s_cbranch_execz .LBB115_54
; %bb.52:
	ds_write_b64 v48, v[222:223]
	ds_write2_b64 v49, v[164:165], v[220:221] offset0:11 offset1:12
	ds_write2_b64 v49, v[162:163], v[218:219] offset0:13 offset1:14
	;; [unrolled: 1-line block ×16, first 2 shown]
	s_waitcnt vmcnt(59)
	ds_write2_b64 v49, v[132:133], v[188:189] offset0:43 offset1:44
	s_waitcnt vmcnt(53)
	ds_write2_b64 v49, v[130:131], v[186:187] offset0:45 offset1:46
	;; [unrolled: 2-line block ×7, first 2 shown]
	s_waitcnt vmcnt(20)
	ds_write_b64 v49, v[232:233] offset:456
	ds_read_b64 v[0:1], v48
	s_waitcnt lgkmcnt(0)
	v_cmp_neq_f64_e32 vcc, 0, v[0:1]
	s_and_b64 exec, exec, vcc
	s_cbranch_execz .LBB115_54
; %bb.53:
	v_div_scale_f64 v[2:3], s[6:7], v[0:1], v[0:1], 1.0
	v_rcp_f64_e32 v[4:5], v[2:3]
	v_div_scale_f64 v[6:7], vcc, 1.0, v[0:1], 1.0
	v_fma_f64 v[8:9], -v[2:3], v[4:5], 1.0
	v_fmac_f64_e32 v[4:5], v[4:5], v[8:9]
	v_fma_f64 v[8:9], -v[2:3], v[4:5], 1.0
	v_fmac_f64_e32 v[4:5], v[4:5], v[8:9]
	v_mul_f64 v[8:9], v[6:7], v[4:5]
	v_fma_f64 v[2:3], -v[2:3], v[8:9], v[6:7]
	v_div_fmas_f64 v[2:3], v[2:3], v[4:5], v[8:9]
	v_div_fixup_f64 v[0:1], v[2:3], v[0:1], 1.0
	ds_write_b64 v48, v[0:1]
.LBB115_54:
	s_or_b64 exec, exec, s[2:3]
	s_waitcnt lgkmcnt(0)
	s_barrier
	ds_read_b64 v[0:1], v48
	v_cmp_lt_u32_e32 vcc, 10, v50
	s_waitcnt lgkmcnt(0)
	buffer_store_dword v0, off, s[16:19], 0 offset:216 ; 4-byte Folded Spill
	s_nop 0
	buffer_store_dword v1, off, s[16:19], 0 offset:220 ; 4-byte Folded Spill
	s_and_saveexec_b64 s[2:3], vcc
	s_cbranch_execz .LBB115_56
; %bb.55:
	buffer_load_dword v0, off, s[16:19], 0 offset:216 ; 4-byte Folded Reload
	buffer_load_dword v1, off, s[16:19], 0 offset:220 ; 4-byte Folded Reload
	s_waitcnt vmcnt(0)
	v_mul_f64 v[222:223], v[0:1], v[222:223]
	ds_read2_b64 v[0:3], v49 offset0:11 offset1:12
	s_waitcnt lgkmcnt(0)
	v_fma_f64 v[164:165], -v[222:223], v[0:1], v[164:165]
	v_fma_f64 v[220:221], -v[222:223], v[2:3], v[220:221]
	ds_read2_b64 v[0:3], v49 offset0:13 offset1:14
	s_waitcnt lgkmcnt(0)
	v_fma_f64 v[162:163], -v[222:223], v[0:1], v[162:163]
	v_fma_f64 v[218:219], -v[222:223], v[2:3], v[218:219]
	;; [unrolled: 4-line block ×22, first 2 shown]
	ds_read2_b64 v[0:3], v49 offset0:55 offset1:56
	s_waitcnt lgkmcnt(0)
	v_fma_f64 v[120:121], -v[222:223], v[0:1], v[120:121]
	ds_read_b64 v[0:1], v49 offset:456
	v_fma_f64 v[176:177], -v[222:223], v[2:3], v[176:177]
	s_waitcnt lgkmcnt(0)
	v_fma_f64 v[232:233], -v[222:223], v[0:1], v[232:233]
.LBB115_56:
	s_or_b64 exec, exec, s[2:3]
	v_cmp_eq_u32_e32 vcc, 11, v50
	s_waitcnt vmcnt(63) expcnt(7) lgkmcnt(15)
	s_barrier
	s_and_saveexec_b64 s[2:3], vcc
	s_cbranch_execz .LBB115_59
; %bb.57:
	v_mov_b32_e32 v0, v220
	v_mov_b32_e32 v1, v221
	;; [unrolled: 1-line block ×4, first 2 shown]
	ds_write_b64 v48, v[164:165]
	ds_write2_b64 v49, v[0:1], v[2:3] offset0:12 offset1:13
	v_mov_b32_e32 v0, v218
	v_mov_b32_e32 v1, v219
	v_mov_b32_e32 v2, v160
	v_mov_b32_e32 v3, v161
	ds_write2_b64 v49, v[0:1], v[2:3] offset0:14 offset1:15
	v_mov_b32_e32 v0, v216
	v_mov_b32_e32 v1, v217
	v_mov_b32_e32 v2, v158
	v_mov_b32_e32 v3, v159
	ds_write2_b64 v49, v[0:1], v[2:3] offset0:16 offset1:17
	v_mov_b32_e32 v0, v214
	v_mov_b32_e32 v1, v215
	v_mov_b32_e32 v2, v156
	v_mov_b32_e32 v3, v157
	ds_write2_b64 v49, v[0:1], v[2:3] offset0:18 offset1:19
	v_mov_b32_e32 v0, v212
	v_mov_b32_e32 v1, v213
	v_mov_b32_e32 v2, v154
	v_mov_b32_e32 v3, v155
	ds_write2_b64 v49, v[0:1], v[2:3] offset0:20 offset1:21
	v_mov_b32_e32 v0, v210
	v_mov_b32_e32 v1, v211
	v_mov_b32_e32 v2, v152
	v_mov_b32_e32 v3, v153
	ds_write2_b64 v49, v[0:1], v[2:3] offset0:22 offset1:23
	v_mov_b32_e32 v0, v208
	v_mov_b32_e32 v1, v209
	v_mov_b32_e32 v2, v150
	v_mov_b32_e32 v3, v151
	ds_write2_b64 v49, v[0:1], v[2:3] offset0:24 offset1:25
	v_mov_b32_e32 v0, v206
	v_mov_b32_e32 v1, v207
	v_mov_b32_e32 v2, v148
	v_mov_b32_e32 v3, v149
	ds_write2_b64 v49, v[0:1], v[2:3] offset0:26 offset1:27
	v_mov_b32_e32 v0, v204
	v_mov_b32_e32 v1, v205
	v_mov_b32_e32 v2, v146
	v_mov_b32_e32 v3, v147
	ds_write2_b64 v49, v[0:1], v[2:3] offset0:28 offset1:29
	v_mov_b32_e32 v0, v202
	v_mov_b32_e32 v1, v203
	v_mov_b32_e32 v2, v144
	v_mov_b32_e32 v3, v145
	ds_write2_b64 v49, v[0:1], v[2:3] offset0:30 offset1:31
	v_mov_b32_e32 v0, v200
	v_mov_b32_e32 v1, v201
	v_mov_b32_e32 v2, v142
	v_mov_b32_e32 v3, v143
	ds_write2_b64 v49, v[0:1], v[2:3] offset0:32 offset1:33
	v_mov_b32_e32 v0, v198
	v_mov_b32_e32 v1, v199
	v_mov_b32_e32 v2, v140
	v_mov_b32_e32 v3, v141
	ds_write2_b64 v49, v[0:1], v[2:3] offset0:34 offset1:35
	v_mov_b32_e32 v0, v196
	v_mov_b32_e32 v1, v197
	v_mov_b32_e32 v2, v138
	v_mov_b32_e32 v3, v139
	ds_write2_b64 v49, v[0:1], v[2:3] offset0:36 offset1:37
	v_mov_b32_e32 v0, v194
	v_mov_b32_e32 v1, v195
	v_mov_b32_e32 v2, v136
	v_mov_b32_e32 v3, v137
	ds_write2_b64 v49, v[0:1], v[2:3] offset0:38 offset1:39
	v_mov_b32_e32 v0, v192
	v_mov_b32_e32 v1, v193
	v_mov_b32_e32 v2, v134
	v_mov_b32_e32 v3, v135
	ds_write2_b64 v49, v[0:1], v[2:3] offset0:40 offset1:41
	v_mov_b32_e32 v0, v190
	v_mov_b32_e32 v1, v191
	v_mov_b32_e32 v2, v132
	v_mov_b32_e32 v3, v133
	ds_write2_b64 v49, v[0:1], v[2:3] offset0:42 offset1:43
	s_waitcnt vmcnt(61)
	v_mov_b32_e32 v0, v188
	v_mov_b32_e32 v1, v189
	s_waitcnt vmcnt(58)
	v_mov_b32_e32 v2, v130
	v_mov_b32_e32 v3, v131
	ds_write2_b64 v49, v[0:1], v[2:3] offset0:44 offset1:45
	s_waitcnt vmcnt(55)
	v_mov_b32_e32 v0, v186
	v_mov_b32_e32 v1, v187
	s_waitcnt vmcnt(52)
	v_mov_b32_e32 v2, v128
	v_mov_b32_e32 v3, v129
	;; [unrolled: 7-line block ×6, first 2 shown]
	ds_write2_b64 v49, v[0:1], v[2:3] offset0:54 offset1:55
	s_waitcnt vmcnt(25)
	v_mov_b32_e32 v0, v176
	v_mov_b32_e32 v1, v177
	s_waitcnt vmcnt(22)
	ds_write2_b64 v49, v[0:1], v[232:233] offset0:56 offset1:57
	ds_read_b64 v[0:1], v48
	s_waitcnt lgkmcnt(0)
	v_cmp_neq_f64_e32 vcc, 0, v[0:1]
	s_and_b64 exec, exec, vcc
	s_cbranch_execz .LBB115_59
; %bb.58:
	v_div_scale_f64 v[2:3], s[6:7], v[0:1], v[0:1], 1.0
	v_rcp_f64_e32 v[4:5], v[2:3]
	v_div_scale_f64 v[6:7], vcc, 1.0, v[0:1], 1.0
	v_fma_f64 v[8:9], -v[2:3], v[4:5], 1.0
	v_fmac_f64_e32 v[4:5], v[4:5], v[8:9]
	v_fma_f64 v[8:9], -v[2:3], v[4:5], 1.0
	v_fmac_f64_e32 v[4:5], v[4:5], v[8:9]
	v_mul_f64 v[8:9], v[6:7], v[4:5]
	v_fma_f64 v[2:3], -v[2:3], v[8:9], v[6:7]
	v_div_fmas_f64 v[2:3], v[2:3], v[4:5], v[8:9]
	v_div_fixup_f64 v[0:1], v[2:3], v[0:1], 1.0
	ds_write_b64 v48, v[0:1]
.LBB115_59:
	s_or_b64 exec, exec, s[2:3]
	s_waitcnt lgkmcnt(0)
	s_barrier
	ds_read_b64 v[0:1], v48
	v_cmp_lt_u32_e32 vcc, 11, v50
	s_waitcnt lgkmcnt(0)
	buffer_store_dword v0, off, s[16:19], 0 offset:224 ; 4-byte Folded Spill
	s_nop 0
	buffer_store_dword v1, off, s[16:19], 0 offset:228 ; 4-byte Folded Spill
	s_and_saveexec_b64 s[2:3], vcc
	s_cbranch_execz .LBB115_61
; %bb.60:
	buffer_load_dword v0, off, s[16:19], 0 offset:224 ; 4-byte Folded Reload
	buffer_load_dword v1, off, s[16:19], 0 offset:228 ; 4-byte Folded Reload
	s_waitcnt vmcnt(0)
	v_mul_f64 v[164:165], v[0:1], v[164:165]
	ds_read2_b64 v[0:3], v49 offset0:12 offset1:13
	s_waitcnt lgkmcnt(0)
	v_fma_f64 v[220:221], -v[164:165], v[0:1], v[220:221]
	v_fma_f64 v[162:163], -v[164:165], v[2:3], v[162:163]
	ds_read2_b64 v[0:3], v49 offset0:14 offset1:15
	s_waitcnt lgkmcnt(0)
	v_fma_f64 v[218:219], -v[164:165], v[0:1], v[218:219]
	v_fma_f64 v[160:161], -v[164:165], v[2:3], v[160:161]
	;; [unrolled: 4-line block ×23, first 2 shown]
.LBB115_61:
	s_or_b64 exec, exec, s[2:3]
	v_cmp_eq_u32_e32 vcc, 12, v50
	s_waitcnt vmcnt(63) expcnt(7) lgkmcnt(15)
	s_barrier
	s_and_saveexec_b64 s[2:3], vcc
	s_cbranch_execz .LBB115_64
; %bb.62:
	ds_write_b64 v48, v[220:221]
	ds_write2_b64 v49, v[162:163], v[218:219] offset0:13 offset1:14
	ds_write2_b64 v49, v[160:161], v[216:217] offset0:15 offset1:16
	;; [unrolled: 1-line block ×16, first 2 shown]
	s_waitcnt vmcnt(57)
	ds_write2_b64 v49, v[130:131], v[186:187] offset0:45 offset1:46
	s_waitcnt vmcnt(51)
	ds_write2_b64 v49, v[128:129], v[184:185] offset0:47 offset1:48
	;; [unrolled: 2-line block ×6, first 2 shown]
	s_waitcnt vmcnt(24)
	ds_write_b64 v49, v[232:233] offset:456
	ds_read_b64 v[0:1], v48
	s_waitcnt lgkmcnt(0)
	v_cmp_neq_f64_e32 vcc, 0, v[0:1]
	s_and_b64 exec, exec, vcc
	s_cbranch_execz .LBB115_64
; %bb.63:
	v_div_scale_f64 v[2:3], s[6:7], v[0:1], v[0:1], 1.0
	v_rcp_f64_e32 v[4:5], v[2:3]
	v_div_scale_f64 v[6:7], vcc, 1.0, v[0:1], 1.0
	v_fma_f64 v[8:9], -v[2:3], v[4:5], 1.0
	v_fmac_f64_e32 v[4:5], v[4:5], v[8:9]
	v_fma_f64 v[8:9], -v[2:3], v[4:5], 1.0
	v_fmac_f64_e32 v[4:5], v[4:5], v[8:9]
	v_mul_f64 v[8:9], v[6:7], v[4:5]
	v_fma_f64 v[2:3], -v[2:3], v[8:9], v[6:7]
	v_div_fmas_f64 v[2:3], v[2:3], v[4:5], v[8:9]
	v_div_fixup_f64 v[0:1], v[2:3], v[0:1], 1.0
	ds_write_b64 v48, v[0:1]
.LBB115_64:
	s_or_b64 exec, exec, s[2:3]
	s_waitcnt lgkmcnt(0)
	s_barrier
	ds_read_b64 v[0:1], v48
	v_cmp_lt_u32_e32 vcc, 12, v50
	s_waitcnt lgkmcnt(0)
	buffer_store_dword v0, off, s[16:19], 0 offset:232 ; 4-byte Folded Spill
	s_nop 0
	buffer_store_dword v1, off, s[16:19], 0 offset:236 ; 4-byte Folded Spill
	s_and_saveexec_b64 s[2:3], vcc
	s_cbranch_execz .LBB115_66
; %bb.65:
	buffer_load_dword v0, off, s[16:19], 0 offset:232 ; 4-byte Folded Reload
	buffer_load_dword v1, off, s[16:19], 0 offset:236 ; 4-byte Folded Reload
	s_waitcnt vmcnt(0)
	v_mul_f64 v[220:221], v[0:1], v[220:221]
	ds_read2_b64 v[0:3], v49 offset0:13 offset1:14
	s_waitcnt lgkmcnt(0)
	v_fma_f64 v[162:163], -v[220:221], v[0:1], v[162:163]
	v_fma_f64 v[218:219], -v[220:221], v[2:3], v[218:219]
	ds_read2_b64 v[0:3], v49 offset0:15 offset1:16
	s_waitcnt lgkmcnt(0)
	v_fma_f64 v[160:161], -v[220:221], v[0:1], v[160:161]
	v_fma_f64 v[216:217], -v[220:221], v[2:3], v[216:217]
	;; [unrolled: 4-line block ×21, first 2 shown]
	ds_read2_b64 v[0:3], v49 offset0:55 offset1:56
	s_waitcnt lgkmcnt(0)
	v_fma_f64 v[120:121], -v[220:221], v[0:1], v[120:121]
	ds_read_b64 v[0:1], v49 offset:456
	v_fma_f64 v[176:177], -v[220:221], v[2:3], v[176:177]
	s_waitcnt lgkmcnt(0)
	v_fma_f64 v[232:233], -v[220:221], v[0:1], v[232:233]
.LBB115_66:
	s_or_b64 exec, exec, s[2:3]
	v_cmp_eq_u32_e32 vcc, 13, v50
	s_waitcnt vmcnt(63) expcnt(7) lgkmcnt(15)
	s_barrier
	s_and_saveexec_b64 s[2:3], vcc
	s_cbranch_execz .LBB115_69
; %bb.67:
	v_mov_b32_e32 v0, v218
	v_mov_b32_e32 v1, v219
	;; [unrolled: 1-line block ×4, first 2 shown]
	ds_write_b64 v48, v[162:163]
	ds_write2_b64 v49, v[0:1], v[2:3] offset0:14 offset1:15
	v_mov_b32_e32 v0, v216
	v_mov_b32_e32 v1, v217
	v_mov_b32_e32 v2, v158
	v_mov_b32_e32 v3, v159
	ds_write2_b64 v49, v[0:1], v[2:3] offset0:16 offset1:17
	v_mov_b32_e32 v0, v214
	v_mov_b32_e32 v1, v215
	v_mov_b32_e32 v2, v156
	v_mov_b32_e32 v3, v157
	ds_write2_b64 v49, v[0:1], v[2:3] offset0:18 offset1:19
	v_mov_b32_e32 v0, v212
	v_mov_b32_e32 v1, v213
	v_mov_b32_e32 v2, v154
	v_mov_b32_e32 v3, v155
	ds_write2_b64 v49, v[0:1], v[2:3] offset0:20 offset1:21
	v_mov_b32_e32 v0, v210
	v_mov_b32_e32 v1, v211
	v_mov_b32_e32 v2, v152
	v_mov_b32_e32 v3, v153
	ds_write2_b64 v49, v[0:1], v[2:3] offset0:22 offset1:23
	v_mov_b32_e32 v0, v208
	v_mov_b32_e32 v1, v209
	v_mov_b32_e32 v2, v150
	v_mov_b32_e32 v3, v151
	ds_write2_b64 v49, v[0:1], v[2:3] offset0:24 offset1:25
	v_mov_b32_e32 v0, v206
	v_mov_b32_e32 v1, v207
	v_mov_b32_e32 v2, v148
	v_mov_b32_e32 v3, v149
	ds_write2_b64 v49, v[0:1], v[2:3] offset0:26 offset1:27
	v_mov_b32_e32 v0, v204
	v_mov_b32_e32 v1, v205
	v_mov_b32_e32 v2, v146
	v_mov_b32_e32 v3, v147
	ds_write2_b64 v49, v[0:1], v[2:3] offset0:28 offset1:29
	v_mov_b32_e32 v0, v202
	v_mov_b32_e32 v1, v203
	v_mov_b32_e32 v2, v144
	v_mov_b32_e32 v3, v145
	ds_write2_b64 v49, v[0:1], v[2:3] offset0:30 offset1:31
	v_mov_b32_e32 v0, v200
	v_mov_b32_e32 v1, v201
	v_mov_b32_e32 v2, v142
	v_mov_b32_e32 v3, v143
	ds_write2_b64 v49, v[0:1], v[2:3] offset0:32 offset1:33
	v_mov_b32_e32 v0, v198
	v_mov_b32_e32 v1, v199
	v_mov_b32_e32 v2, v140
	v_mov_b32_e32 v3, v141
	ds_write2_b64 v49, v[0:1], v[2:3] offset0:34 offset1:35
	v_mov_b32_e32 v0, v196
	v_mov_b32_e32 v1, v197
	v_mov_b32_e32 v2, v138
	v_mov_b32_e32 v3, v139
	ds_write2_b64 v49, v[0:1], v[2:3] offset0:36 offset1:37
	v_mov_b32_e32 v0, v194
	v_mov_b32_e32 v1, v195
	v_mov_b32_e32 v2, v136
	v_mov_b32_e32 v3, v137
	ds_write2_b64 v49, v[0:1], v[2:3] offset0:38 offset1:39
	v_mov_b32_e32 v0, v192
	v_mov_b32_e32 v1, v193
	v_mov_b32_e32 v2, v134
	v_mov_b32_e32 v3, v135
	ds_write2_b64 v49, v[0:1], v[2:3] offset0:40 offset1:41
	v_mov_b32_e32 v0, v190
	v_mov_b32_e32 v1, v191
	v_mov_b32_e32 v2, v132
	v_mov_b32_e32 v3, v133
	ds_write2_b64 v49, v[0:1], v[2:3] offset0:42 offset1:43
	v_mov_b32_e32 v0, v188
	v_mov_b32_e32 v1, v189
	s_waitcnt vmcnt(62)
	v_mov_b32_e32 v2, v130
	v_mov_b32_e32 v3, v131
	ds_write2_b64 v49, v[0:1], v[2:3] offset0:44 offset1:45
	s_waitcnt vmcnt(59)
	v_mov_b32_e32 v0, v186
	v_mov_b32_e32 v1, v187
	s_waitcnt vmcnt(56)
	v_mov_b32_e32 v2, v128
	v_mov_b32_e32 v3, v129
	ds_write2_b64 v49, v[0:1], v[2:3] offset0:46 offset1:47
	s_waitcnt vmcnt(53)
	;; [unrolled: 7-line block ×6, first 2 shown]
	v_mov_b32_e32 v0, v176
	v_mov_b32_e32 v1, v177
	s_waitcnt vmcnt(26)
	ds_write2_b64 v49, v[0:1], v[232:233] offset0:56 offset1:57
	ds_read_b64 v[0:1], v48
	s_waitcnt lgkmcnt(0)
	v_cmp_neq_f64_e32 vcc, 0, v[0:1]
	s_and_b64 exec, exec, vcc
	s_cbranch_execz .LBB115_69
; %bb.68:
	v_div_scale_f64 v[2:3], s[6:7], v[0:1], v[0:1], 1.0
	v_rcp_f64_e32 v[4:5], v[2:3]
	v_div_scale_f64 v[6:7], vcc, 1.0, v[0:1], 1.0
	v_fma_f64 v[8:9], -v[2:3], v[4:5], 1.0
	v_fmac_f64_e32 v[4:5], v[4:5], v[8:9]
	v_fma_f64 v[8:9], -v[2:3], v[4:5], 1.0
	v_fmac_f64_e32 v[4:5], v[4:5], v[8:9]
	v_mul_f64 v[8:9], v[6:7], v[4:5]
	v_fma_f64 v[2:3], -v[2:3], v[8:9], v[6:7]
	v_div_fmas_f64 v[2:3], v[2:3], v[4:5], v[8:9]
	v_div_fixup_f64 v[0:1], v[2:3], v[0:1], 1.0
	ds_write_b64 v48, v[0:1]
.LBB115_69:
	s_or_b64 exec, exec, s[2:3]
	s_waitcnt lgkmcnt(0)
	s_barrier
	ds_read_b64 v[0:1], v48
	v_cmp_lt_u32_e32 vcc, 13, v50
	s_waitcnt lgkmcnt(0)
	buffer_store_dword v0, off, s[16:19], 0 offset:240 ; 4-byte Folded Spill
	s_nop 0
	buffer_store_dword v1, off, s[16:19], 0 offset:244 ; 4-byte Folded Spill
	s_and_saveexec_b64 s[2:3], vcc
	s_cbranch_execz .LBB115_71
; %bb.70:
	buffer_load_dword v0, off, s[16:19], 0 offset:240 ; 4-byte Folded Reload
	buffer_load_dword v1, off, s[16:19], 0 offset:244 ; 4-byte Folded Reload
	s_waitcnt vmcnt(0)
	v_mul_f64 v[162:163], v[0:1], v[162:163]
	ds_read2_b64 v[0:3], v49 offset0:14 offset1:15
	s_waitcnt lgkmcnt(0)
	v_fma_f64 v[218:219], -v[162:163], v[0:1], v[218:219]
	v_fma_f64 v[160:161], -v[162:163], v[2:3], v[160:161]
	ds_read2_b64 v[0:3], v49 offset0:16 offset1:17
	s_waitcnt lgkmcnt(0)
	v_fma_f64 v[216:217], -v[162:163], v[0:1], v[216:217]
	v_fma_f64 v[158:159], -v[162:163], v[2:3], v[158:159]
	;; [unrolled: 4-line block ×22, first 2 shown]
.LBB115_71:
	s_or_b64 exec, exec, s[2:3]
	v_cmp_eq_u32_e32 vcc, 14, v50
	s_waitcnt vmcnt(63) expcnt(7) lgkmcnt(15)
	s_barrier
	s_and_saveexec_b64 s[2:3], vcc
	s_cbranch_execz .LBB115_74
; %bb.72:
	ds_write_b64 v48, v[218:219]
	ds_write2_b64 v49, v[160:161], v[216:217] offset0:15 offset1:16
	ds_write2_b64 v49, v[158:159], v[214:215] offset0:17 offset1:18
	;; [unrolled: 1-line block ×15, first 2 shown]
	s_waitcnt vmcnt(61)
	ds_write2_b64 v49, v[130:131], v[186:187] offset0:45 offset1:46
	s_waitcnt vmcnt(55)
	ds_write2_b64 v49, v[128:129], v[184:185] offset0:47 offset1:48
	;; [unrolled: 2-line block ×6, first 2 shown]
	s_waitcnt vmcnt(28)
	ds_write_b64 v49, v[232:233] offset:456
	ds_read_b64 v[0:1], v48
	s_waitcnt lgkmcnt(0)
	v_cmp_neq_f64_e32 vcc, 0, v[0:1]
	s_and_b64 exec, exec, vcc
	s_cbranch_execz .LBB115_74
; %bb.73:
	v_div_scale_f64 v[2:3], s[6:7], v[0:1], v[0:1], 1.0
	v_rcp_f64_e32 v[4:5], v[2:3]
	v_div_scale_f64 v[6:7], vcc, 1.0, v[0:1], 1.0
	v_fma_f64 v[8:9], -v[2:3], v[4:5], 1.0
	v_fmac_f64_e32 v[4:5], v[4:5], v[8:9]
	v_fma_f64 v[8:9], -v[2:3], v[4:5], 1.0
	v_fmac_f64_e32 v[4:5], v[4:5], v[8:9]
	v_mul_f64 v[8:9], v[6:7], v[4:5]
	v_fma_f64 v[2:3], -v[2:3], v[8:9], v[6:7]
	v_div_fmas_f64 v[2:3], v[2:3], v[4:5], v[8:9]
	v_div_fixup_f64 v[0:1], v[2:3], v[0:1], 1.0
	ds_write_b64 v48, v[0:1]
.LBB115_74:
	s_or_b64 exec, exec, s[2:3]
	s_waitcnt lgkmcnt(0)
	s_barrier
	ds_read_b64 v[0:1], v48
	v_cmp_lt_u32_e32 vcc, 14, v50
	s_waitcnt lgkmcnt(0)
	buffer_store_dword v0, off, s[16:19], 0 offset:248 ; 4-byte Folded Spill
	s_nop 0
	buffer_store_dword v1, off, s[16:19], 0 offset:252 ; 4-byte Folded Spill
	s_and_saveexec_b64 s[2:3], vcc
	s_cbranch_execz .LBB115_76
; %bb.75:
	buffer_load_dword v0, off, s[16:19], 0 offset:248 ; 4-byte Folded Reload
	buffer_load_dword v1, off, s[16:19], 0 offset:252 ; 4-byte Folded Reload
	s_waitcnt vmcnt(0)
	v_mul_f64 v[218:219], v[0:1], v[218:219]
	ds_read2_b64 v[0:3], v49 offset0:15 offset1:16
	s_waitcnt lgkmcnt(0)
	v_fma_f64 v[160:161], -v[218:219], v[0:1], v[160:161]
	v_fma_f64 v[216:217], -v[218:219], v[2:3], v[216:217]
	ds_read2_b64 v[0:3], v49 offset0:17 offset1:18
	s_waitcnt lgkmcnt(0)
	v_fma_f64 v[158:159], -v[218:219], v[0:1], v[158:159]
	v_fma_f64 v[214:215], -v[218:219], v[2:3], v[214:215]
	;; [unrolled: 4-line block ×20, first 2 shown]
	ds_read2_b64 v[0:3], v49 offset0:55 offset1:56
	s_waitcnt lgkmcnt(0)
	v_fma_f64 v[120:121], -v[218:219], v[0:1], v[120:121]
	ds_read_b64 v[0:1], v49 offset:456
	v_fma_f64 v[176:177], -v[218:219], v[2:3], v[176:177]
	s_waitcnt lgkmcnt(0)
	v_fma_f64 v[232:233], -v[218:219], v[0:1], v[232:233]
.LBB115_76:
	s_or_b64 exec, exec, s[2:3]
	v_cmp_eq_u32_e32 vcc, 15, v50
	s_waitcnt vmcnt(63) expcnt(7) lgkmcnt(15)
	s_barrier
	s_and_saveexec_b64 s[2:3], vcc
	s_cbranch_execz .LBB115_79
; %bb.77:
	v_mov_b32_e32 v0, v216
	v_mov_b32_e32 v1, v217
	;; [unrolled: 1-line block ×4, first 2 shown]
	ds_write_b64 v48, v[160:161]
	ds_write2_b64 v49, v[0:1], v[2:3] offset0:16 offset1:17
	v_mov_b32_e32 v0, v214
	v_mov_b32_e32 v1, v215
	v_mov_b32_e32 v2, v156
	v_mov_b32_e32 v3, v157
	ds_write2_b64 v49, v[0:1], v[2:3] offset0:18 offset1:19
	v_mov_b32_e32 v0, v212
	v_mov_b32_e32 v1, v213
	v_mov_b32_e32 v2, v154
	v_mov_b32_e32 v3, v155
	;; [unrolled: 5-line block ×14, first 2 shown]
	ds_write2_b64 v49, v[0:1], v[2:3] offset0:44 offset1:45
	v_mov_b32_e32 v0, v186
	v_mov_b32_e32 v1, v187
	s_waitcnt vmcnt(60)
	v_mov_b32_e32 v2, v128
	v_mov_b32_e32 v3, v129
	ds_write2_b64 v49, v[0:1], v[2:3] offset0:46 offset1:47
	s_waitcnt vmcnt(57)
	v_mov_b32_e32 v0, v184
	v_mov_b32_e32 v1, v185
	s_waitcnt vmcnt(54)
	v_mov_b32_e32 v2, v126
	v_mov_b32_e32 v3, v127
	ds_write2_b64 v49, v[0:1], v[2:3] offset0:48 offset1:49
	s_waitcnt vmcnt(51)
	;; [unrolled: 7-line block ×5, first 2 shown]
	v_mov_b32_e32 v0, v176
	v_mov_b32_e32 v1, v177
	s_waitcnt vmcnt(30)
	ds_write2_b64 v49, v[0:1], v[232:233] offset0:56 offset1:57
	ds_read_b64 v[0:1], v48
	s_waitcnt lgkmcnt(0)
	v_cmp_neq_f64_e32 vcc, 0, v[0:1]
	s_and_b64 exec, exec, vcc
	s_cbranch_execz .LBB115_79
; %bb.78:
	v_div_scale_f64 v[2:3], s[6:7], v[0:1], v[0:1], 1.0
	v_rcp_f64_e32 v[4:5], v[2:3]
	v_div_scale_f64 v[6:7], vcc, 1.0, v[0:1], 1.0
	v_fma_f64 v[8:9], -v[2:3], v[4:5], 1.0
	v_fmac_f64_e32 v[4:5], v[4:5], v[8:9]
	v_fma_f64 v[8:9], -v[2:3], v[4:5], 1.0
	v_fmac_f64_e32 v[4:5], v[4:5], v[8:9]
	v_mul_f64 v[8:9], v[6:7], v[4:5]
	v_fma_f64 v[2:3], -v[2:3], v[8:9], v[6:7]
	v_div_fmas_f64 v[2:3], v[2:3], v[4:5], v[8:9]
	v_div_fixup_f64 v[0:1], v[2:3], v[0:1], 1.0
	ds_write_b64 v48, v[0:1]
.LBB115_79:
	s_or_b64 exec, exec, s[2:3]
	s_waitcnt lgkmcnt(0)
	s_barrier
	ds_read_b64 v[0:1], v48
	v_cmp_lt_u32_e32 vcc, 15, v50
	s_waitcnt lgkmcnt(0)
	buffer_store_dword v0, off, s[16:19], 0 offset:256 ; 4-byte Folded Spill
	s_nop 0
	buffer_store_dword v1, off, s[16:19], 0 offset:260 ; 4-byte Folded Spill
	s_and_saveexec_b64 s[2:3], vcc
	s_cbranch_execz .LBB115_81
; %bb.80:
	buffer_load_dword v0, off, s[16:19], 0 offset:256 ; 4-byte Folded Reload
	buffer_load_dword v1, off, s[16:19], 0 offset:260 ; 4-byte Folded Reload
	s_waitcnt vmcnt(0)
	v_mul_f64 v[160:161], v[0:1], v[160:161]
	ds_read2_b64 v[0:3], v49 offset0:16 offset1:17
	s_waitcnt lgkmcnt(0)
	v_fma_f64 v[216:217], -v[160:161], v[0:1], v[216:217]
	v_fma_f64 v[158:159], -v[160:161], v[2:3], v[158:159]
	ds_read2_b64 v[0:3], v49 offset0:18 offset1:19
	s_waitcnt lgkmcnt(0)
	v_fma_f64 v[214:215], -v[160:161], v[0:1], v[214:215]
	v_fma_f64 v[156:157], -v[160:161], v[2:3], v[156:157]
	;; [unrolled: 4-line block ×21, first 2 shown]
.LBB115_81:
	s_or_b64 exec, exec, s[2:3]
	v_cmp_eq_u32_e32 vcc, 16, v50
	s_waitcnt vmcnt(63) expcnt(7) lgkmcnt(15)
	s_barrier
	s_and_saveexec_b64 s[2:3], vcc
	s_cbranch_execz .LBB115_84
; %bb.82:
	ds_write_b64 v48, v[216:217]
	ds_write2_b64 v49, v[158:159], v[214:215] offset0:17 offset1:18
	ds_write2_b64 v49, v[156:157], v[212:213] offset0:19 offset1:20
	;; [unrolled: 1-line block ×15, first 2 shown]
	s_waitcnt vmcnt(59)
	ds_write2_b64 v49, v[128:129], v[184:185] offset0:47 offset1:48
	s_waitcnt vmcnt(53)
	ds_write2_b64 v49, v[126:127], v[182:183] offset0:49 offset1:50
	;; [unrolled: 2-line block ×5, first 2 shown]
	s_waitcnt vmcnt(32)
	ds_write_b64 v49, v[232:233] offset:456
	ds_read_b64 v[0:1], v48
	s_waitcnt lgkmcnt(0)
	v_cmp_neq_f64_e32 vcc, 0, v[0:1]
	s_and_b64 exec, exec, vcc
	s_cbranch_execz .LBB115_84
; %bb.83:
	v_div_scale_f64 v[2:3], s[6:7], v[0:1], v[0:1], 1.0
	v_rcp_f64_e32 v[4:5], v[2:3]
	v_div_scale_f64 v[6:7], vcc, 1.0, v[0:1], 1.0
	v_fma_f64 v[8:9], -v[2:3], v[4:5], 1.0
	v_fmac_f64_e32 v[4:5], v[4:5], v[8:9]
	v_fma_f64 v[8:9], -v[2:3], v[4:5], 1.0
	v_fmac_f64_e32 v[4:5], v[4:5], v[8:9]
	v_mul_f64 v[8:9], v[6:7], v[4:5]
	v_fma_f64 v[2:3], -v[2:3], v[8:9], v[6:7]
	v_div_fmas_f64 v[2:3], v[2:3], v[4:5], v[8:9]
	v_div_fixup_f64 v[0:1], v[2:3], v[0:1], 1.0
	ds_write_b64 v48, v[0:1]
.LBB115_84:
	s_or_b64 exec, exec, s[2:3]
	s_waitcnt lgkmcnt(0)
	s_barrier
	ds_read_b64 v[0:1], v48
	v_cmp_lt_u32_e32 vcc, 16, v50
	s_waitcnt lgkmcnt(0)
	buffer_store_dword v0, off, s[16:19], 0 offset:264 ; 4-byte Folded Spill
	s_nop 0
	buffer_store_dword v1, off, s[16:19], 0 offset:268 ; 4-byte Folded Spill
	s_and_saveexec_b64 s[2:3], vcc
	s_cbranch_execz .LBB115_86
; %bb.85:
	buffer_load_dword v0, off, s[16:19], 0 offset:264 ; 4-byte Folded Reload
	buffer_load_dword v1, off, s[16:19], 0 offset:268 ; 4-byte Folded Reload
	s_waitcnt vmcnt(0)
	v_mul_f64 v[216:217], v[0:1], v[216:217]
	ds_read2_b64 v[0:3], v49 offset0:17 offset1:18
	s_waitcnt lgkmcnt(0)
	v_fma_f64 v[158:159], -v[216:217], v[0:1], v[158:159]
	v_fma_f64 v[214:215], -v[216:217], v[2:3], v[214:215]
	ds_read2_b64 v[0:3], v49 offset0:19 offset1:20
	s_waitcnt lgkmcnt(0)
	v_fma_f64 v[156:157], -v[216:217], v[0:1], v[156:157]
	v_fma_f64 v[212:213], -v[216:217], v[2:3], v[212:213]
	;; [unrolled: 4-line block ×19, first 2 shown]
	ds_read2_b64 v[0:3], v49 offset0:55 offset1:56
	s_waitcnt lgkmcnt(0)
	v_fma_f64 v[120:121], -v[216:217], v[0:1], v[120:121]
	ds_read_b64 v[0:1], v49 offset:456
	v_fma_f64 v[176:177], -v[216:217], v[2:3], v[176:177]
	s_waitcnt lgkmcnt(0)
	v_fma_f64 v[232:233], -v[216:217], v[0:1], v[232:233]
.LBB115_86:
	s_or_b64 exec, exec, s[2:3]
	v_cmp_eq_u32_e32 vcc, 17, v50
	s_waitcnt vmcnt(63) expcnt(7) lgkmcnt(15)
	s_barrier
	s_and_saveexec_b64 s[2:3], vcc
	s_cbranch_execz .LBB115_89
; %bb.87:
	v_mov_b32_e32 v0, v214
	v_mov_b32_e32 v1, v215
	;; [unrolled: 1-line block ×4, first 2 shown]
	ds_write_b64 v48, v[158:159]
	ds_write2_b64 v49, v[0:1], v[2:3] offset0:18 offset1:19
	v_mov_b32_e32 v0, v212
	v_mov_b32_e32 v1, v213
	v_mov_b32_e32 v2, v154
	v_mov_b32_e32 v3, v155
	ds_write2_b64 v49, v[0:1], v[2:3] offset0:20 offset1:21
	v_mov_b32_e32 v0, v210
	v_mov_b32_e32 v1, v211
	v_mov_b32_e32 v2, v152
	v_mov_b32_e32 v3, v153
	;; [unrolled: 5-line block ×14, first 2 shown]
	ds_write2_b64 v49, v[0:1], v[2:3] offset0:46 offset1:47
	s_waitcnt vmcnt(61)
	v_mov_b32_e32 v0, v184
	v_mov_b32_e32 v1, v185
	s_waitcnt vmcnt(58)
	v_mov_b32_e32 v2, v126
	v_mov_b32_e32 v3, v127
	ds_write2_b64 v49, v[0:1], v[2:3] offset0:48 offset1:49
	s_waitcnt vmcnt(55)
	v_mov_b32_e32 v0, v182
	v_mov_b32_e32 v1, v183
	s_waitcnt vmcnt(52)
	v_mov_b32_e32 v2, v124
	v_mov_b32_e32 v3, v125
	;; [unrolled: 7-line block ×4, first 2 shown]
	ds_write2_b64 v49, v[0:1], v[2:3] offset0:54 offset1:55
	s_waitcnt vmcnt(37)
	v_mov_b32_e32 v0, v176
	v_mov_b32_e32 v1, v177
	s_waitcnt vmcnt(34)
	ds_write2_b64 v49, v[0:1], v[232:233] offset0:56 offset1:57
	ds_read_b64 v[0:1], v48
	s_waitcnt lgkmcnt(0)
	v_cmp_neq_f64_e32 vcc, 0, v[0:1]
	s_and_b64 exec, exec, vcc
	s_cbranch_execz .LBB115_89
; %bb.88:
	v_div_scale_f64 v[2:3], s[6:7], v[0:1], v[0:1], 1.0
	v_rcp_f64_e32 v[4:5], v[2:3]
	v_div_scale_f64 v[6:7], vcc, 1.0, v[0:1], 1.0
	v_fma_f64 v[8:9], -v[2:3], v[4:5], 1.0
	v_fmac_f64_e32 v[4:5], v[4:5], v[8:9]
	v_fma_f64 v[8:9], -v[2:3], v[4:5], 1.0
	v_fmac_f64_e32 v[4:5], v[4:5], v[8:9]
	v_mul_f64 v[8:9], v[6:7], v[4:5]
	v_fma_f64 v[2:3], -v[2:3], v[8:9], v[6:7]
	v_div_fmas_f64 v[2:3], v[2:3], v[4:5], v[8:9]
	v_div_fixup_f64 v[0:1], v[2:3], v[0:1], 1.0
	ds_write_b64 v48, v[0:1]
.LBB115_89:
	s_or_b64 exec, exec, s[2:3]
	s_waitcnt lgkmcnt(0)
	s_barrier
	ds_read_b64 v[0:1], v48
	v_cmp_lt_u32_e32 vcc, 17, v50
	s_waitcnt lgkmcnt(0)
	buffer_store_dword v0, off, s[16:19], 0 offset:272 ; 4-byte Folded Spill
	s_nop 0
	buffer_store_dword v1, off, s[16:19], 0 offset:276 ; 4-byte Folded Spill
	s_and_saveexec_b64 s[2:3], vcc
	s_cbranch_execz .LBB115_91
; %bb.90:
	buffer_load_dword v0, off, s[16:19], 0 offset:272 ; 4-byte Folded Reload
	buffer_load_dword v1, off, s[16:19], 0 offset:276 ; 4-byte Folded Reload
	s_waitcnt vmcnt(0)
	v_mul_f64 v[158:159], v[0:1], v[158:159]
	ds_read2_b64 v[0:3], v49 offset0:18 offset1:19
	s_waitcnt lgkmcnt(0)
	v_fma_f64 v[214:215], -v[158:159], v[0:1], v[214:215]
	v_fma_f64 v[156:157], -v[158:159], v[2:3], v[156:157]
	ds_read2_b64 v[0:3], v49 offset0:20 offset1:21
	s_waitcnt lgkmcnt(0)
	v_fma_f64 v[212:213], -v[158:159], v[0:1], v[212:213]
	v_fma_f64 v[154:155], -v[158:159], v[2:3], v[154:155]
	;; [unrolled: 4-line block ×20, first 2 shown]
.LBB115_91:
	s_or_b64 exec, exec, s[2:3]
	v_cmp_eq_u32_e32 vcc, 18, v50
	s_waitcnt vmcnt(63) expcnt(7) lgkmcnt(15)
	s_barrier
	s_and_saveexec_b64 s[2:3], vcc
	s_cbranch_execz .LBB115_94
; %bb.92:
	ds_write_b64 v48, v[214:215]
	ds_write2_b64 v49, v[156:157], v[212:213] offset0:19 offset1:20
	ds_write2_b64 v49, v[154:155], v[210:211] offset0:21 offset1:22
	;; [unrolled: 1-line block ×15, first 2 shown]
	s_waitcnt vmcnt(57)
	ds_write2_b64 v49, v[126:127], v[182:183] offset0:49 offset1:50
	s_waitcnt vmcnt(51)
	ds_write2_b64 v49, v[124:125], v[180:181] offset0:51 offset1:52
	;; [unrolled: 2-line block ×4, first 2 shown]
	s_waitcnt vmcnt(36)
	ds_write_b64 v49, v[232:233] offset:456
	ds_read_b64 v[0:1], v48
	s_waitcnt lgkmcnt(0)
	v_cmp_neq_f64_e32 vcc, 0, v[0:1]
	s_and_b64 exec, exec, vcc
	s_cbranch_execz .LBB115_94
; %bb.93:
	v_div_scale_f64 v[2:3], s[6:7], v[0:1], v[0:1], 1.0
	v_rcp_f64_e32 v[4:5], v[2:3]
	v_div_scale_f64 v[6:7], vcc, 1.0, v[0:1], 1.0
	v_fma_f64 v[8:9], -v[2:3], v[4:5], 1.0
	v_fmac_f64_e32 v[4:5], v[4:5], v[8:9]
	v_fma_f64 v[8:9], -v[2:3], v[4:5], 1.0
	v_fmac_f64_e32 v[4:5], v[4:5], v[8:9]
	v_mul_f64 v[8:9], v[6:7], v[4:5]
	v_fma_f64 v[2:3], -v[2:3], v[8:9], v[6:7]
	v_div_fmas_f64 v[2:3], v[2:3], v[4:5], v[8:9]
	v_div_fixup_f64 v[0:1], v[2:3], v[0:1], 1.0
	ds_write_b64 v48, v[0:1]
.LBB115_94:
	s_or_b64 exec, exec, s[2:3]
	s_waitcnt lgkmcnt(0)
	s_barrier
	ds_read_b64 v[0:1], v48
	v_cmp_lt_u32_e32 vcc, 18, v50
	s_waitcnt lgkmcnt(0)
	buffer_store_dword v0, off, s[16:19], 0 offset:280 ; 4-byte Folded Spill
	s_nop 0
	buffer_store_dword v1, off, s[16:19], 0 offset:284 ; 4-byte Folded Spill
	s_and_saveexec_b64 s[2:3], vcc
	s_cbranch_execz .LBB115_96
; %bb.95:
	buffer_load_dword v0, off, s[16:19], 0 offset:280 ; 4-byte Folded Reload
	buffer_load_dword v1, off, s[16:19], 0 offset:284 ; 4-byte Folded Reload
	s_waitcnt vmcnt(0)
	v_mul_f64 v[214:215], v[0:1], v[214:215]
	ds_read2_b64 v[0:3], v49 offset0:19 offset1:20
	s_waitcnt lgkmcnt(0)
	v_fma_f64 v[156:157], -v[214:215], v[0:1], v[156:157]
	v_fma_f64 v[212:213], -v[214:215], v[2:3], v[212:213]
	ds_read2_b64 v[0:3], v49 offset0:21 offset1:22
	s_waitcnt lgkmcnt(0)
	v_fma_f64 v[154:155], -v[214:215], v[0:1], v[154:155]
	v_fma_f64 v[210:211], -v[214:215], v[2:3], v[210:211]
	;; [unrolled: 4-line block ×18, first 2 shown]
	ds_read2_b64 v[0:3], v49 offset0:55 offset1:56
	s_waitcnt lgkmcnt(0)
	v_fma_f64 v[120:121], -v[214:215], v[0:1], v[120:121]
	ds_read_b64 v[0:1], v49 offset:456
	v_fma_f64 v[176:177], -v[214:215], v[2:3], v[176:177]
	s_waitcnt lgkmcnt(0)
	v_fma_f64 v[232:233], -v[214:215], v[0:1], v[232:233]
.LBB115_96:
	s_or_b64 exec, exec, s[2:3]
	v_cmp_eq_u32_e32 vcc, 19, v50
	s_waitcnt vmcnt(63) expcnt(7) lgkmcnt(15)
	s_barrier
	s_and_saveexec_b64 s[2:3], vcc
	s_cbranch_execz .LBB115_99
; %bb.97:
	v_mov_b32_e32 v0, v212
	v_mov_b32_e32 v1, v213
	;; [unrolled: 1-line block ×4, first 2 shown]
	ds_write_b64 v48, v[156:157]
	ds_write2_b64 v49, v[0:1], v[2:3] offset0:20 offset1:21
	v_mov_b32_e32 v0, v210
	v_mov_b32_e32 v1, v211
	v_mov_b32_e32 v2, v152
	v_mov_b32_e32 v3, v153
	ds_write2_b64 v49, v[0:1], v[2:3] offset0:22 offset1:23
	v_mov_b32_e32 v0, v208
	v_mov_b32_e32 v1, v209
	v_mov_b32_e32 v2, v150
	v_mov_b32_e32 v3, v151
	;; [unrolled: 5-line block ×13, first 2 shown]
	ds_write2_b64 v49, v[0:1], v[2:3] offset0:46 offset1:47
	v_mov_b32_e32 v0, v184
	v_mov_b32_e32 v1, v185
	s_waitcnt vmcnt(62)
	v_mov_b32_e32 v2, v126
	v_mov_b32_e32 v3, v127
	ds_write2_b64 v49, v[0:1], v[2:3] offset0:48 offset1:49
	s_waitcnt vmcnt(59)
	v_mov_b32_e32 v0, v182
	v_mov_b32_e32 v1, v183
	s_waitcnt vmcnt(56)
	v_mov_b32_e32 v2, v124
	v_mov_b32_e32 v3, v125
	ds_write2_b64 v49, v[0:1], v[2:3] offset0:50 offset1:51
	s_waitcnt vmcnt(53)
	;; [unrolled: 7-line block ×4, first 2 shown]
	v_mov_b32_e32 v0, v176
	v_mov_b32_e32 v1, v177
	s_waitcnt vmcnt(38)
	ds_write2_b64 v49, v[0:1], v[232:233] offset0:56 offset1:57
	ds_read_b64 v[0:1], v48
	s_waitcnt lgkmcnt(0)
	v_cmp_neq_f64_e32 vcc, 0, v[0:1]
	s_and_b64 exec, exec, vcc
	s_cbranch_execz .LBB115_99
; %bb.98:
	v_div_scale_f64 v[2:3], s[6:7], v[0:1], v[0:1], 1.0
	v_rcp_f64_e32 v[4:5], v[2:3]
	v_div_scale_f64 v[6:7], vcc, 1.0, v[0:1], 1.0
	v_fma_f64 v[8:9], -v[2:3], v[4:5], 1.0
	v_fmac_f64_e32 v[4:5], v[4:5], v[8:9]
	v_fma_f64 v[8:9], -v[2:3], v[4:5], 1.0
	v_fmac_f64_e32 v[4:5], v[4:5], v[8:9]
	v_mul_f64 v[8:9], v[6:7], v[4:5]
	v_fma_f64 v[2:3], -v[2:3], v[8:9], v[6:7]
	v_div_fmas_f64 v[2:3], v[2:3], v[4:5], v[8:9]
	v_div_fixup_f64 v[0:1], v[2:3], v[0:1], 1.0
	ds_write_b64 v48, v[0:1]
.LBB115_99:
	s_or_b64 exec, exec, s[2:3]
	s_waitcnt lgkmcnt(0)
	s_barrier
	ds_read_b64 v[0:1], v48
	v_cmp_lt_u32_e32 vcc, 19, v50
	s_waitcnt lgkmcnt(0)
	buffer_store_dword v0, off, s[16:19], 0 offset:288 ; 4-byte Folded Spill
	s_nop 0
	buffer_store_dword v1, off, s[16:19], 0 offset:292 ; 4-byte Folded Spill
	s_and_saveexec_b64 s[2:3], vcc
	s_cbranch_execz .LBB115_101
; %bb.100:
	buffer_load_dword v0, off, s[16:19], 0 offset:288 ; 4-byte Folded Reload
	buffer_load_dword v1, off, s[16:19], 0 offset:292 ; 4-byte Folded Reload
	s_waitcnt vmcnt(0)
	v_mul_f64 v[156:157], v[0:1], v[156:157]
	ds_read2_b64 v[0:3], v49 offset0:20 offset1:21
	s_waitcnt lgkmcnt(0)
	v_fma_f64 v[212:213], -v[156:157], v[0:1], v[212:213]
	v_fma_f64 v[154:155], -v[156:157], v[2:3], v[154:155]
	ds_read2_b64 v[0:3], v49 offset0:22 offset1:23
	s_waitcnt lgkmcnt(0)
	v_fma_f64 v[210:211], -v[156:157], v[0:1], v[210:211]
	v_fma_f64 v[152:153], -v[156:157], v[2:3], v[152:153]
	;; [unrolled: 4-line block ×19, first 2 shown]
.LBB115_101:
	s_or_b64 exec, exec, s[2:3]
	v_cmp_eq_u32_e32 vcc, 20, v50
	s_waitcnt vmcnt(63) expcnt(7) lgkmcnt(15)
	s_barrier
	s_and_saveexec_b64 s[2:3], vcc
	s_cbranch_execz .LBB115_104
; %bb.102:
	ds_write_b64 v48, v[212:213]
	ds_write2_b64 v49, v[154:155], v[210:211] offset0:21 offset1:22
	ds_write2_b64 v49, v[152:153], v[208:209] offset0:23 offset1:24
	;; [unrolled: 1-line block ×14, first 2 shown]
	s_waitcnt vmcnt(61)
	ds_write2_b64 v49, v[126:127], v[182:183] offset0:49 offset1:50
	s_waitcnt vmcnt(55)
	ds_write2_b64 v49, v[124:125], v[180:181] offset0:51 offset1:52
	;; [unrolled: 2-line block ×4, first 2 shown]
	s_waitcnt vmcnt(40)
	ds_write_b64 v49, v[232:233] offset:456
	ds_read_b64 v[0:1], v48
	s_waitcnt lgkmcnt(0)
	v_cmp_neq_f64_e32 vcc, 0, v[0:1]
	s_and_b64 exec, exec, vcc
	s_cbranch_execz .LBB115_104
; %bb.103:
	v_div_scale_f64 v[2:3], s[6:7], v[0:1], v[0:1], 1.0
	v_rcp_f64_e32 v[4:5], v[2:3]
	v_div_scale_f64 v[6:7], vcc, 1.0, v[0:1], 1.0
	v_fma_f64 v[8:9], -v[2:3], v[4:5], 1.0
	v_fmac_f64_e32 v[4:5], v[4:5], v[8:9]
	v_fma_f64 v[8:9], -v[2:3], v[4:5], 1.0
	v_fmac_f64_e32 v[4:5], v[4:5], v[8:9]
	v_mul_f64 v[8:9], v[6:7], v[4:5]
	v_fma_f64 v[2:3], -v[2:3], v[8:9], v[6:7]
	v_div_fmas_f64 v[2:3], v[2:3], v[4:5], v[8:9]
	v_div_fixup_f64 v[0:1], v[2:3], v[0:1], 1.0
	ds_write_b64 v48, v[0:1]
.LBB115_104:
	s_or_b64 exec, exec, s[2:3]
	s_waitcnt lgkmcnt(0)
	s_barrier
	ds_read_b64 v[0:1], v48
	v_cmp_lt_u32_e32 vcc, 20, v50
	s_waitcnt lgkmcnt(0)
	buffer_store_dword v0, off, s[16:19], 0 offset:296 ; 4-byte Folded Spill
	s_nop 0
	buffer_store_dword v1, off, s[16:19], 0 offset:300 ; 4-byte Folded Spill
	s_and_saveexec_b64 s[2:3], vcc
	s_cbranch_execz .LBB115_106
; %bb.105:
	buffer_load_dword v0, off, s[16:19], 0 offset:296 ; 4-byte Folded Reload
	buffer_load_dword v1, off, s[16:19], 0 offset:300 ; 4-byte Folded Reload
	s_waitcnt vmcnt(0)
	v_mul_f64 v[212:213], v[0:1], v[212:213]
	ds_read2_b64 v[0:3], v49 offset0:21 offset1:22
	s_waitcnt lgkmcnt(0)
	v_fma_f64 v[154:155], -v[212:213], v[0:1], v[154:155]
	v_fma_f64 v[210:211], -v[212:213], v[2:3], v[210:211]
	ds_read2_b64 v[0:3], v49 offset0:23 offset1:24
	s_waitcnt lgkmcnt(0)
	v_fma_f64 v[152:153], -v[212:213], v[0:1], v[152:153]
	v_fma_f64 v[208:209], -v[212:213], v[2:3], v[208:209]
	;; [unrolled: 4-line block ×17, first 2 shown]
	ds_read2_b64 v[0:3], v49 offset0:55 offset1:56
	s_waitcnt lgkmcnt(0)
	v_fma_f64 v[120:121], -v[212:213], v[0:1], v[120:121]
	ds_read_b64 v[0:1], v49 offset:456
	v_fma_f64 v[176:177], -v[212:213], v[2:3], v[176:177]
	s_waitcnt lgkmcnt(0)
	v_fma_f64 v[232:233], -v[212:213], v[0:1], v[232:233]
.LBB115_106:
	s_or_b64 exec, exec, s[2:3]
	v_cmp_eq_u32_e32 vcc, 21, v50
	s_waitcnt vmcnt(63) expcnt(7) lgkmcnt(15)
	s_barrier
	s_and_saveexec_b64 s[2:3], vcc
	s_cbranch_execz .LBB115_109
; %bb.107:
	v_mov_b32_e32 v0, v210
	v_mov_b32_e32 v1, v211
	;; [unrolled: 1-line block ×4, first 2 shown]
	ds_write_b64 v48, v[154:155]
	ds_write2_b64 v49, v[0:1], v[2:3] offset0:22 offset1:23
	v_mov_b32_e32 v0, v208
	v_mov_b32_e32 v1, v209
	v_mov_b32_e32 v2, v150
	v_mov_b32_e32 v3, v151
	ds_write2_b64 v49, v[0:1], v[2:3] offset0:24 offset1:25
	v_mov_b32_e32 v0, v206
	v_mov_b32_e32 v1, v207
	v_mov_b32_e32 v2, v148
	v_mov_b32_e32 v3, v149
	;; [unrolled: 5-line block ×13, first 2 shown]
	ds_write2_b64 v49, v[0:1], v[2:3] offset0:48 offset1:49
	v_mov_b32_e32 v0, v182
	v_mov_b32_e32 v1, v183
	s_waitcnt vmcnt(60)
	v_mov_b32_e32 v2, v124
	v_mov_b32_e32 v3, v125
	ds_write2_b64 v49, v[0:1], v[2:3] offset0:50 offset1:51
	s_waitcnt vmcnt(57)
	v_mov_b32_e32 v0, v180
	v_mov_b32_e32 v1, v181
	s_waitcnt vmcnt(54)
	v_mov_b32_e32 v2, v122
	v_mov_b32_e32 v3, v123
	ds_write2_b64 v49, v[0:1], v[2:3] offset0:52 offset1:53
	s_waitcnt vmcnt(51)
	;; [unrolled: 7-line block ×3, first 2 shown]
	v_mov_b32_e32 v0, v176
	v_mov_b32_e32 v1, v177
	s_waitcnt vmcnt(42)
	ds_write2_b64 v49, v[0:1], v[232:233] offset0:56 offset1:57
	ds_read_b64 v[0:1], v48
	s_waitcnt lgkmcnt(0)
	v_cmp_neq_f64_e32 vcc, 0, v[0:1]
	s_and_b64 exec, exec, vcc
	s_cbranch_execz .LBB115_109
; %bb.108:
	v_div_scale_f64 v[2:3], s[6:7], v[0:1], v[0:1], 1.0
	v_rcp_f64_e32 v[4:5], v[2:3]
	v_div_scale_f64 v[6:7], vcc, 1.0, v[0:1], 1.0
	v_fma_f64 v[8:9], -v[2:3], v[4:5], 1.0
	v_fmac_f64_e32 v[4:5], v[4:5], v[8:9]
	v_fma_f64 v[8:9], -v[2:3], v[4:5], 1.0
	v_fmac_f64_e32 v[4:5], v[4:5], v[8:9]
	v_mul_f64 v[8:9], v[6:7], v[4:5]
	v_fma_f64 v[2:3], -v[2:3], v[8:9], v[6:7]
	v_div_fmas_f64 v[2:3], v[2:3], v[4:5], v[8:9]
	v_div_fixup_f64 v[0:1], v[2:3], v[0:1], 1.0
	ds_write_b64 v48, v[0:1]
.LBB115_109:
	s_or_b64 exec, exec, s[2:3]
	s_waitcnt lgkmcnt(0)
	s_barrier
	ds_read_b64 v[0:1], v48
	v_cmp_lt_u32_e32 vcc, 21, v50
	s_waitcnt lgkmcnt(0)
	buffer_store_dword v0, off, s[16:19], 0 offset:304 ; 4-byte Folded Spill
	s_nop 0
	buffer_store_dword v1, off, s[16:19], 0 offset:308 ; 4-byte Folded Spill
	s_and_saveexec_b64 s[2:3], vcc
	s_cbranch_execz .LBB115_111
; %bb.110:
	buffer_load_dword v0, off, s[16:19], 0 offset:304 ; 4-byte Folded Reload
	buffer_load_dword v1, off, s[16:19], 0 offset:308 ; 4-byte Folded Reload
	s_waitcnt vmcnt(0)
	v_mul_f64 v[154:155], v[0:1], v[154:155]
	ds_read2_b64 v[0:3], v49 offset0:22 offset1:23
	s_waitcnt lgkmcnt(0)
	v_fma_f64 v[210:211], -v[154:155], v[0:1], v[210:211]
	v_fma_f64 v[152:153], -v[154:155], v[2:3], v[152:153]
	ds_read2_b64 v[0:3], v49 offset0:24 offset1:25
	s_waitcnt lgkmcnt(0)
	v_fma_f64 v[208:209], -v[154:155], v[0:1], v[208:209]
	v_fma_f64 v[150:151], -v[154:155], v[2:3], v[150:151]
	;; [unrolled: 4-line block ×18, first 2 shown]
.LBB115_111:
	s_or_b64 exec, exec, s[2:3]
	v_cmp_eq_u32_e32 vcc, 22, v50
	s_waitcnt vmcnt(63) expcnt(7) lgkmcnt(15)
	s_barrier
	s_and_saveexec_b64 s[2:3], vcc
	s_cbranch_execz .LBB115_114
; %bb.112:
	ds_write_b64 v48, v[210:211]
	ds_write2_b64 v49, v[152:153], v[208:209] offset0:23 offset1:24
	ds_write2_b64 v49, v[150:151], v[206:207] offset0:25 offset1:26
	ds_write2_b64 v49, v[148:149], v[204:205] offset0:27 offset1:28
	ds_write2_b64 v49, v[146:147], v[202:203] offset0:29 offset1:30
	ds_write2_b64 v49, v[144:145], v[200:201] offset0:31 offset1:32
	ds_write2_b64 v49, v[142:143], v[198:199] offset0:33 offset1:34
	ds_write2_b64 v49, v[140:141], v[196:197] offset0:35 offset1:36
	ds_write2_b64 v49, v[138:139], v[194:195] offset0:37 offset1:38
	ds_write2_b64 v49, v[136:137], v[192:193] offset0:39 offset1:40
	ds_write2_b64 v49, v[134:135], v[190:191] offset0:41 offset1:42
	ds_write2_b64 v49, v[132:133], v[188:189] offset0:43 offset1:44
	ds_write2_b64 v49, v[130:131], v[186:187] offset0:45 offset1:46
	ds_write2_b64 v49, v[128:129], v[184:185] offset0:47 offset1:48
	ds_write2_b64 v49, v[126:127], v[182:183] offset0:49 offset1:50
	s_waitcnt vmcnt(59)
	ds_write2_b64 v49, v[124:125], v[180:181] offset0:51 offset1:52
	s_waitcnt vmcnt(53)
	ds_write2_b64 v49, v[122:123], v[178:179] offset0:53 offset1:54
	;; [unrolled: 2-line block ×3, first 2 shown]
	s_waitcnt vmcnt(44)
	ds_write_b64 v49, v[232:233] offset:456
	ds_read_b64 v[0:1], v48
	s_waitcnt lgkmcnt(0)
	v_cmp_neq_f64_e32 vcc, 0, v[0:1]
	s_and_b64 exec, exec, vcc
	s_cbranch_execz .LBB115_114
; %bb.113:
	v_div_scale_f64 v[2:3], s[6:7], v[0:1], v[0:1], 1.0
	v_rcp_f64_e32 v[4:5], v[2:3]
	v_div_scale_f64 v[6:7], vcc, 1.0, v[0:1], 1.0
	v_fma_f64 v[8:9], -v[2:3], v[4:5], 1.0
	v_fmac_f64_e32 v[4:5], v[4:5], v[8:9]
	v_fma_f64 v[8:9], -v[2:3], v[4:5], 1.0
	v_fmac_f64_e32 v[4:5], v[4:5], v[8:9]
	v_mul_f64 v[8:9], v[6:7], v[4:5]
	v_fma_f64 v[2:3], -v[2:3], v[8:9], v[6:7]
	v_div_fmas_f64 v[2:3], v[2:3], v[4:5], v[8:9]
	v_div_fixup_f64 v[0:1], v[2:3], v[0:1], 1.0
	ds_write_b64 v48, v[0:1]
.LBB115_114:
	s_or_b64 exec, exec, s[2:3]
	s_waitcnt lgkmcnt(0)
	s_barrier
	ds_read_b64 v[0:1], v48
	v_cmp_lt_u32_e32 vcc, 22, v50
	s_waitcnt lgkmcnt(0)
	buffer_store_dword v0, off, s[16:19], 0 offset:312 ; 4-byte Folded Spill
	s_nop 0
	buffer_store_dword v1, off, s[16:19], 0 offset:316 ; 4-byte Folded Spill
	s_and_saveexec_b64 s[2:3], vcc
	s_cbranch_execz .LBB115_116
; %bb.115:
	buffer_load_dword v0, off, s[16:19], 0 offset:312 ; 4-byte Folded Reload
	buffer_load_dword v1, off, s[16:19], 0 offset:316 ; 4-byte Folded Reload
	s_waitcnt vmcnt(0)
	v_mul_f64 v[210:211], v[0:1], v[210:211]
	ds_read2_b64 v[0:3], v49 offset0:23 offset1:24
	s_waitcnt lgkmcnt(0)
	v_fma_f64 v[152:153], -v[210:211], v[0:1], v[152:153]
	v_fma_f64 v[208:209], -v[210:211], v[2:3], v[208:209]
	ds_read2_b64 v[0:3], v49 offset0:25 offset1:26
	s_waitcnt lgkmcnt(0)
	v_fma_f64 v[150:151], -v[210:211], v[0:1], v[150:151]
	v_fma_f64 v[206:207], -v[210:211], v[2:3], v[206:207]
	;; [unrolled: 4-line block ×16, first 2 shown]
	ds_read2_b64 v[0:3], v49 offset0:55 offset1:56
	s_waitcnt lgkmcnt(0)
	v_fma_f64 v[120:121], -v[210:211], v[0:1], v[120:121]
	ds_read_b64 v[0:1], v49 offset:456
	v_fma_f64 v[176:177], -v[210:211], v[2:3], v[176:177]
	s_waitcnt lgkmcnt(0)
	v_fma_f64 v[232:233], -v[210:211], v[0:1], v[232:233]
.LBB115_116:
	s_or_b64 exec, exec, s[2:3]
	v_cmp_eq_u32_e32 vcc, 23, v50
	s_waitcnt vmcnt(63) expcnt(7) lgkmcnt(15)
	s_barrier
	s_and_saveexec_b64 s[2:3], vcc
	s_cbranch_execz .LBB115_119
; %bb.117:
	v_mov_b32_e32 v0, v208
	v_mov_b32_e32 v1, v209
	;; [unrolled: 1-line block ×4, first 2 shown]
	ds_write_b64 v48, v[152:153]
	ds_write2_b64 v49, v[0:1], v[2:3] offset0:24 offset1:25
	v_mov_b32_e32 v0, v206
	v_mov_b32_e32 v1, v207
	v_mov_b32_e32 v2, v148
	v_mov_b32_e32 v3, v149
	ds_write2_b64 v49, v[0:1], v[2:3] offset0:26 offset1:27
	v_mov_b32_e32 v0, v204
	v_mov_b32_e32 v1, v205
	v_mov_b32_e32 v2, v146
	v_mov_b32_e32 v3, v147
	;; [unrolled: 5-line block ×13, first 2 shown]
	ds_write2_b64 v49, v[0:1], v[2:3] offset0:50 offset1:51
	s_waitcnt vmcnt(61)
	v_mov_b32_e32 v0, v180
	v_mov_b32_e32 v1, v181
	s_waitcnt vmcnt(58)
	v_mov_b32_e32 v2, v122
	v_mov_b32_e32 v3, v123
	ds_write2_b64 v49, v[0:1], v[2:3] offset0:52 offset1:53
	s_waitcnt vmcnt(55)
	v_mov_b32_e32 v0, v178
	v_mov_b32_e32 v1, v179
	s_waitcnt vmcnt(52)
	v_mov_b32_e32 v2, v120
	v_mov_b32_e32 v3, v121
	ds_write2_b64 v49, v[0:1], v[2:3] offset0:54 offset1:55
	s_waitcnt vmcnt(49)
	v_mov_b32_e32 v0, v176
	v_mov_b32_e32 v1, v177
	s_waitcnt vmcnt(46)
	ds_write2_b64 v49, v[0:1], v[232:233] offset0:56 offset1:57
	ds_read_b64 v[0:1], v48
	s_waitcnt lgkmcnt(0)
	v_cmp_neq_f64_e32 vcc, 0, v[0:1]
	s_and_b64 exec, exec, vcc
	s_cbranch_execz .LBB115_119
; %bb.118:
	v_div_scale_f64 v[2:3], s[6:7], v[0:1], v[0:1], 1.0
	v_rcp_f64_e32 v[4:5], v[2:3]
	v_div_scale_f64 v[6:7], vcc, 1.0, v[0:1], 1.0
	v_fma_f64 v[8:9], -v[2:3], v[4:5], 1.0
	v_fmac_f64_e32 v[4:5], v[4:5], v[8:9]
	v_fma_f64 v[8:9], -v[2:3], v[4:5], 1.0
	v_fmac_f64_e32 v[4:5], v[4:5], v[8:9]
	v_mul_f64 v[8:9], v[6:7], v[4:5]
	v_fma_f64 v[2:3], -v[2:3], v[8:9], v[6:7]
	v_div_fmas_f64 v[2:3], v[2:3], v[4:5], v[8:9]
	v_div_fixup_f64 v[0:1], v[2:3], v[0:1], 1.0
	ds_write_b64 v48, v[0:1]
.LBB115_119:
	s_or_b64 exec, exec, s[2:3]
	s_waitcnt lgkmcnt(0)
	s_barrier
	ds_read_b64 v[0:1], v48
	v_cmp_lt_u32_e32 vcc, 23, v50
	s_waitcnt lgkmcnt(0)
	buffer_store_dword v0, off, s[16:19], 0 offset:320 ; 4-byte Folded Spill
	s_nop 0
	buffer_store_dword v1, off, s[16:19], 0 offset:324 ; 4-byte Folded Spill
	s_and_saveexec_b64 s[2:3], vcc
	s_cbranch_execz .LBB115_121
; %bb.120:
	buffer_load_dword v0, off, s[16:19], 0 offset:320 ; 4-byte Folded Reload
	buffer_load_dword v1, off, s[16:19], 0 offset:324 ; 4-byte Folded Reload
	s_waitcnt vmcnt(0)
	v_mul_f64 v[152:153], v[0:1], v[152:153]
	ds_read2_b64 v[0:3], v49 offset0:24 offset1:25
	s_waitcnt lgkmcnt(0)
	v_fma_f64 v[208:209], -v[152:153], v[0:1], v[208:209]
	v_fma_f64 v[150:151], -v[152:153], v[2:3], v[150:151]
	ds_read2_b64 v[0:3], v49 offset0:26 offset1:27
	s_waitcnt lgkmcnt(0)
	v_fma_f64 v[206:207], -v[152:153], v[0:1], v[206:207]
	v_fma_f64 v[148:149], -v[152:153], v[2:3], v[148:149]
	;; [unrolled: 4-line block ×17, first 2 shown]
.LBB115_121:
	s_or_b64 exec, exec, s[2:3]
	v_cmp_eq_u32_e32 vcc, 24, v50
	s_waitcnt vmcnt(63) expcnt(7) lgkmcnt(15)
	s_barrier
	s_and_saveexec_b64 s[2:3], vcc
	s_cbranch_execz .LBB115_124
; %bb.122:
	ds_write_b64 v48, v[208:209]
	ds_write2_b64 v49, v[150:151], v[206:207] offset0:25 offset1:26
	ds_write2_b64 v49, v[148:149], v[204:205] offset0:27 offset1:28
	;; [unrolled: 1-line block ×14, first 2 shown]
	s_waitcnt vmcnt(57)
	ds_write2_b64 v49, v[122:123], v[178:179] offset0:53 offset1:54
	s_waitcnt vmcnt(51)
	ds_write2_b64 v49, v[120:121], v[176:177] offset0:55 offset1:56
	s_waitcnt vmcnt(48)
	ds_write_b64 v49, v[232:233] offset:456
	ds_read_b64 v[0:1], v48
	s_waitcnt lgkmcnt(0)
	v_cmp_neq_f64_e32 vcc, 0, v[0:1]
	s_and_b64 exec, exec, vcc
	s_cbranch_execz .LBB115_124
; %bb.123:
	v_div_scale_f64 v[2:3], s[6:7], v[0:1], v[0:1], 1.0
	v_rcp_f64_e32 v[4:5], v[2:3]
	v_div_scale_f64 v[6:7], vcc, 1.0, v[0:1], 1.0
	v_fma_f64 v[8:9], -v[2:3], v[4:5], 1.0
	v_fmac_f64_e32 v[4:5], v[4:5], v[8:9]
	v_fma_f64 v[8:9], -v[2:3], v[4:5], 1.0
	v_fmac_f64_e32 v[4:5], v[4:5], v[8:9]
	v_mul_f64 v[8:9], v[6:7], v[4:5]
	v_fma_f64 v[2:3], -v[2:3], v[8:9], v[6:7]
	v_div_fmas_f64 v[2:3], v[2:3], v[4:5], v[8:9]
	v_div_fixup_f64 v[0:1], v[2:3], v[0:1], 1.0
	ds_write_b64 v48, v[0:1]
.LBB115_124:
	s_or_b64 exec, exec, s[2:3]
	s_waitcnt lgkmcnt(0)
	s_barrier
	ds_read_b64 v[0:1], v48
	v_cmp_lt_u32_e32 vcc, 24, v50
	s_waitcnt lgkmcnt(0)
	buffer_store_dword v0, off, s[16:19], 0 offset:328 ; 4-byte Folded Spill
	s_nop 0
	buffer_store_dword v1, off, s[16:19], 0 offset:332 ; 4-byte Folded Spill
	s_and_saveexec_b64 s[2:3], vcc
	s_cbranch_execz .LBB115_126
; %bb.125:
	buffer_load_dword v0, off, s[16:19], 0 offset:328 ; 4-byte Folded Reload
	buffer_load_dword v1, off, s[16:19], 0 offset:332 ; 4-byte Folded Reload
	s_waitcnt vmcnt(0)
	v_mul_f64 v[208:209], v[0:1], v[208:209]
	ds_read2_b64 v[0:3], v49 offset0:25 offset1:26
	s_waitcnt lgkmcnt(0)
	v_fma_f64 v[150:151], -v[208:209], v[0:1], v[150:151]
	v_fma_f64 v[206:207], -v[208:209], v[2:3], v[206:207]
	ds_read2_b64 v[0:3], v49 offset0:27 offset1:28
	s_waitcnt lgkmcnt(0)
	v_fma_f64 v[148:149], -v[208:209], v[0:1], v[148:149]
	v_fma_f64 v[204:205], -v[208:209], v[2:3], v[204:205]
	;; [unrolled: 4-line block ×15, first 2 shown]
	ds_read2_b64 v[0:3], v49 offset0:55 offset1:56
	s_waitcnt lgkmcnt(0)
	v_fma_f64 v[120:121], -v[208:209], v[0:1], v[120:121]
	ds_read_b64 v[0:1], v49 offset:456
	v_fma_f64 v[176:177], -v[208:209], v[2:3], v[176:177]
	s_waitcnt lgkmcnt(0)
	v_fma_f64 v[232:233], -v[208:209], v[0:1], v[232:233]
.LBB115_126:
	s_or_b64 exec, exec, s[2:3]
	v_cmp_eq_u32_e32 vcc, 25, v50
	s_waitcnt vmcnt(63) expcnt(7) lgkmcnt(15)
	s_barrier
	s_and_saveexec_b64 s[2:3], vcc
	s_cbranch_execz .LBB115_129
; %bb.127:
	v_mov_b32_e32 v0, v206
	v_mov_b32_e32 v1, v207
	;; [unrolled: 1-line block ×4, first 2 shown]
	ds_write_b64 v48, v[150:151]
	ds_write2_b64 v49, v[0:1], v[2:3] offset0:26 offset1:27
	v_mov_b32_e32 v0, v204
	v_mov_b32_e32 v1, v205
	v_mov_b32_e32 v2, v146
	v_mov_b32_e32 v3, v147
	ds_write2_b64 v49, v[0:1], v[2:3] offset0:28 offset1:29
	v_mov_b32_e32 v0, v202
	v_mov_b32_e32 v1, v203
	v_mov_b32_e32 v2, v144
	v_mov_b32_e32 v3, v145
	;; [unrolled: 5-line block ×12, first 2 shown]
	ds_write2_b64 v49, v[0:1], v[2:3] offset0:50 offset1:51
	v_mov_b32_e32 v0, v180
	v_mov_b32_e32 v1, v181
	s_waitcnt vmcnt(62)
	v_mov_b32_e32 v2, v122
	v_mov_b32_e32 v3, v123
	ds_write2_b64 v49, v[0:1], v[2:3] offset0:52 offset1:53
	s_waitcnt vmcnt(59)
	v_mov_b32_e32 v0, v178
	v_mov_b32_e32 v1, v179
	s_waitcnt vmcnt(56)
	v_mov_b32_e32 v2, v120
	v_mov_b32_e32 v3, v121
	ds_write2_b64 v49, v[0:1], v[2:3] offset0:54 offset1:55
	s_waitcnt vmcnt(53)
	v_mov_b32_e32 v0, v176
	v_mov_b32_e32 v1, v177
	s_waitcnt vmcnt(50)
	ds_write2_b64 v49, v[0:1], v[232:233] offset0:56 offset1:57
	ds_read_b64 v[0:1], v48
	s_waitcnt lgkmcnt(0)
	v_cmp_neq_f64_e32 vcc, 0, v[0:1]
	s_and_b64 exec, exec, vcc
	s_cbranch_execz .LBB115_129
; %bb.128:
	v_div_scale_f64 v[2:3], s[6:7], v[0:1], v[0:1], 1.0
	v_rcp_f64_e32 v[4:5], v[2:3]
	v_div_scale_f64 v[6:7], vcc, 1.0, v[0:1], 1.0
	v_fma_f64 v[8:9], -v[2:3], v[4:5], 1.0
	v_fmac_f64_e32 v[4:5], v[4:5], v[8:9]
	v_fma_f64 v[8:9], -v[2:3], v[4:5], 1.0
	v_fmac_f64_e32 v[4:5], v[4:5], v[8:9]
	v_mul_f64 v[8:9], v[6:7], v[4:5]
	v_fma_f64 v[2:3], -v[2:3], v[8:9], v[6:7]
	v_div_fmas_f64 v[2:3], v[2:3], v[4:5], v[8:9]
	v_div_fixup_f64 v[0:1], v[2:3], v[0:1], 1.0
	ds_write_b64 v48, v[0:1]
.LBB115_129:
	s_or_b64 exec, exec, s[2:3]
	s_waitcnt lgkmcnt(0)
	s_barrier
	ds_read_b64 v[0:1], v48
	v_cmp_lt_u32_e32 vcc, 25, v50
	s_waitcnt lgkmcnt(0)
	buffer_store_dword v0, off, s[16:19], 0 offset:336 ; 4-byte Folded Spill
	s_nop 0
	buffer_store_dword v1, off, s[16:19], 0 offset:340 ; 4-byte Folded Spill
	s_and_saveexec_b64 s[2:3], vcc
	s_cbranch_execz .LBB115_131
; %bb.130:
	buffer_load_dword v0, off, s[16:19], 0 offset:336 ; 4-byte Folded Reload
	buffer_load_dword v1, off, s[16:19], 0 offset:340 ; 4-byte Folded Reload
	s_waitcnt vmcnt(0)
	v_mul_f64 v[150:151], v[0:1], v[150:151]
	ds_read2_b64 v[0:3], v49 offset0:26 offset1:27
	s_waitcnt lgkmcnt(0)
	v_fma_f64 v[206:207], -v[150:151], v[0:1], v[206:207]
	v_fma_f64 v[148:149], -v[150:151], v[2:3], v[148:149]
	ds_read2_b64 v[0:3], v49 offset0:28 offset1:29
	s_waitcnt lgkmcnt(0)
	v_fma_f64 v[204:205], -v[150:151], v[0:1], v[204:205]
	v_fma_f64 v[146:147], -v[150:151], v[2:3], v[146:147]
	;; [unrolled: 4-line block ×16, first 2 shown]
.LBB115_131:
	s_or_b64 exec, exec, s[2:3]
	v_cmp_eq_u32_e32 vcc, 26, v50
	s_waitcnt vmcnt(63) expcnt(7) lgkmcnt(15)
	s_barrier
	s_and_saveexec_b64 s[2:3], vcc
	s_cbranch_execz .LBB115_134
; %bb.132:
	ds_write_b64 v48, v[206:207]
	ds_write2_b64 v49, v[148:149], v[204:205] offset0:27 offset1:28
	ds_write2_b64 v49, v[146:147], v[202:203] offset0:29 offset1:30
	;; [unrolled: 1-line block ×13, first 2 shown]
	s_waitcnt vmcnt(61)
	ds_write2_b64 v49, v[122:123], v[178:179] offset0:53 offset1:54
	s_waitcnt vmcnt(55)
	ds_write2_b64 v49, v[120:121], v[176:177] offset0:55 offset1:56
	s_waitcnt vmcnt(52)
	ds_write_b64 v49, v[232:233] offset:456
	ds_read_b64 v[0:1], v48
	s_waitcnt lgkmcnt(0)
	v_cmp_neq_f64_e32 vcc, 0, v[0:1]
	s_and_b64 exec, exec, vcc
	s_cbranch_execz .LBB115_134
; %bb.133:
	v_div_scale_f64 v[2:3], s[6:7], v[0:1], v[0:1], 1.0
	v_rcp_f64_e32 v[4:5], v[2:3]
	v_div_scale_f64 v[6:7], vcc, 1.0, v[0:1], 1.0
	v_fma_f64 v[8:9], -v[2:3], v[4:5], 1.0
	v_fmac_f64_e32 v[4:5], v[4:5], v[8:9]
	v_fma_f64 v[8:9], -v[2:3], v[4:5], 1.0
	v_fmac_f64_e32 v[4:5], v[4:5], v[8:9]
	v_mul_f64 v[8:9], v[6:7], v[4:5]
	v_fma_f64 v[2:3], -v[2:3], v[8:9], v[6:7]
	v_div_fmas_f64 v[2:3], v[2:3], v[4:5], v[8:9]
	v_div_fixup_f64 v[0:1], v[2:3], v[0:1], 1.0
	ds_write_b64 v48, v[0:1]
.LBB115_134:
	s_or_b64 exec, exec, s[2:3]
	s_waitcnt lgkmcnt(0)
	s_barrier
	ds_read_b64 v[0:1], v48
	v_cmp_lt_u32_e32 vcc, 26, v50
	s_waitcnt lgkmcnt(0)
	buffer_store_dword v0, off, s[16:19], 0 offset:344 ; 4-byte Folded Spill
	s_nop 0
	buffer_store_dword v1, off, s[16:19], 0 offset:348 ; 4-byte Folded Spill
	s_and_saveexec_b64 s[2:3], vcc
	s_cbranch_execz .LBB115_136
; %bb.135:
	buffer_load_dword v0, off, s[16:19], 0 offset:344 ; 4-byte Folded Reload
	buffer_load_dword v1, off, s[16:19], 0 offset:348 ; 4-byte Folded Reload
	s_waitcnt vmcnt(0)
	v_mul_f64 v[206:207], v[0:1], v[206:207]
	ds_read2_b64 v[0:3], v49 offset0:27 offset1:28
	s_waitcnt lgkmcnt(0)
	v_fma_f64 v[148:149], -v[206:207], v[0:1], v[148:149]
	v_fma_f64 v[204:205], -v[206:207], v[2:3], v[204:205]
	ds_read2_b64 v[0:3], v49 offset0:29 offset1:30
	s_waitcnt lgkmcnt(0)
	v_fma_f64 v[146:147], -v[206:207], v[0:1], v[146:147]
	v_fma_f64 v[202:203], -v[206:207], v[2:3], v[202:203]
	;; [unrolled: 4-line block ×14, first 2 shown]
	ds_read2_b64 v[0:3], v49 offset0:55 offset1:56
	s_waitcnt lgkmcnt(0)
	v_fma_f64 v[120:121], -v[206:207], v[0:1], v[120:121]
	ds_read_b64 v[0:1], v49 offset:456
	v_fma_f64 v[176:177], -v[206:207], v[2:3], v[176:177]
	s_waitcnt lgkmcnt(0)
	v_fma_f64 v[232:233], -v[206:207], v[0:1], v[232:233]
.LBB115_136:
	s_or_b64 exec, exec, s[2:3]
	v_cmp_eq_u32_e32 vcc, 27, v50
	s_waitcnt vmcnt(63) expcnt(7) lgkmcnt(15)
	s_barrier
	s_and_saveexec_b64 s[2:3], vcc
	s_cbranch_execz .LBB115_139
; %bb.137:
	v_mov_b32_e32 v0, v204
	v_mov_b32_e32 v1, v205
	;; [unrolled: 1-line block ×4, first 2 shown]
	ds_write_b64 v48, v[148:149]
	ds_write2_b64 v49, v[0:1], v[2:3] offset0:28 offset1:29
	v_mov_b32_e32 v0, v202
	v_mov_b32_e32 v1, v203
	v_mov_b32_e32 v2, v144
	v_mov_b32_e32 v3, v145
	ds_write2_b64 v49, v[0:1], v[2:3] offset0:30 offset1:31
	v_mov_b32_e32 v0, v200
	v_mov_b32_e32 v1, v201
	v_mov_b32_e32 v2, v142
	v_mov_b32_e32 v3, v143
	;; [unrolled: 5-line block ×12, first 2 shown]
	ds_write2_b64 v49, v[0:1], v[2:3] offset0:52 offset1:53
	v_mov_b32_e32 v0, v178
	v_mov_b32_e32 v1, v179
	s_waitcnt vmcnt(60)
	v_mov_b32_e32 v2, v120
	v_mov_b32_e32 v3, v121
	ds_write2_b64 v49, v[0:1], v[2:3] offset0:54 offset1:55
	s_waitcnt vmcnt(57)
	v_mov_b32_e32 v0, v176
	v_mov_b32_e32 v1, v177
	s_waitcnt vmcnt(54)
	ds_write2_b64 v49, v[0:1], v[232:233] offset0:56 offset1:57
	ds_read_b64 v[0:1], v48
	s_waitcnt lgkmcnt(0)
	v_cmp_neq_f64_e32 vcc, 0, v[0:1]
	s_and_b64 exec, exec, vcc
	s_cbranch_execz .LBB115_139
; %bb.138:
	v_div_scale_f64 v[2:3], s[6:7], v[0:1], v[0:1], 1.0
	v_rcp_f64_e32 v[4:5], v[2:3]
	v_div_scale_f64 v[6:7], vcc, 1.0, v[0:1], 1.0
	v_fma_f64 v[8:9], -v[2:3], v[4:5], 1.0
	v_fmac_f64_e32 v[4:5], v[4:5], v[8:9]
	v_fma_f64 v[8:9], -v[2:3], v[4:5], 1.0
	v_fmac_f64_e32 v[4:5], v[4:5], v[8:9]
	v_mul_f64 v[8:9], v[6:7], v[4:5]
	v_fma_f64 v[2:3], -v[2:3], v[8:9], v[6:7]
	v_div_fmas_f64 v[2:3], v[2:3], v[4:5], v[8:9]
	v_div_fixup_f64 v[0:1], v[2:3], v[0:1], 1.0
	ds_write_b64 v48, v[0:1]
.LBB115_139:
	s_or_b64 exec, exec, s[2:3]
	s_waitcnt lgkmcnt(0)
	s_barrier
	ds_read_b64 v[0:1], v48
	v_cmp_lt_u32_e32 vcc, 27, v50
	s_and_saveexec_b64 s[2:3], vcc
	s_cbranch_execz .LBB115_141
; %bb.140:
	ds_read2_b64 v[4:7], v49 offset0:28 offset1:29
	s_waitcnt lgkmcnt(1)
	v_mul_f64 v[148:149], v[0:1], v[148:149]
	s_waitcnt lgkmcnt(0)
	v_fma_f64 v[204:205], -v[148:149], v[4:5], v[204:205]
	v_fma_f64 v[146:147], -v[148:149], v[6:7], v[146:147]
	ds_read2_b64 v[4:7], v49 offset0:30 offset1:31
	s_waitcnt lgkmcnt(0)
	v_fma_f64 v[202:203], -v[148:149], v[4:5], v[202:203]
	v_fma_f64 v[144:145], -v[148:149], v[6:7], v[144:145]
	ds_read2_b64 v[4:7], v49 offset0:32 offset1:33
	;; [unrolled: 4-line block ×13, first 2 shown]
	s_waitcnt lgkmcnt(0)
	v_fma_f64 v[178:179], -v[148:149], v[4:5], v[178:179]
	s_waitcnt vmcnt(60)
	v_fma_f64 v[120:121], -v[148:149], v[6:7], v[120:121]
	ds_read2_b64 v[4:7], v49 offset0:56 offset1:57
	s_waitcnt vmcnt(57) lgkmcnt(0)
	v_fma_f64 v[176:177], -v[148:149], v[4:5], v[176:177]
	s_waitcnt vmcnt(54)
	v_fma_f64 v[232:233], -v[148:149], v[6:7], v[232:233]
.LBB115_141:
	s_or_b64 exec, exec, s[2:3]
	v_cmp_eq_u32_e32 vcc, 28, v50
	s_waitcnt lgkmcnt(0)
	buffer_store_dword v0, off, s[16:19], 0 offset:384 ; 4-byte Folded Spill
	s_nop 0
	buffer_store_dword v1, off, s[16:19], 0 offset:388 ; 4-byte Folded Spill
	s_waitcnt vmcnt(63) expcnt(7) lgkmcnt(15)
	s_barrier
	s_and_saveexec_b64 s[2:3], vcc
	s_cbranch_execz .LBB115_144
; %bb.142:
	ds_write_b64 v48, v[204:205]
	ds_write2_b64 v49, v[146:147], v[202:203] offset0:29 offset1:30
	ds_write2_b64 v49, v[144:145], v[200:201] offset0:31 offset1:32
	;; [unrolled: 1-line block ×13, first 2 shown]
	s_waitcnt vmcnt(59)
	ds_write2_b64 v49, v[120:121], v[176:177] offset0:55 offset1:56
	s_waitcnt vmcnt(56)
	ds_write_b64 v49, v[232:233] offset:456
	ds_read_b64 v[0:1], v48
	s_waitcnt lgkmcnt(0)
	v_cmp_neq_f64_e32 vcc, 0, v[0:1]
	s_and_b64 exec, exec, vcc
	s_cbranch_execz .LBB115_144
; %bb.143:
	v_div_scale_f64 v[4:5], s[6:7], v[0:1], v[0:1], 1.0
	v_rcp_f64_e32 v[6:7], v[4:5]
	v_div_scale_f64 v[8:9], vcc, 1.0, v[0:1], 1.0
	v_fma_f64 v[10:11], -v[4:5], v[6:7], 1.0
	v_fmac_f64_e32 v[6:7], v[6:7], v[10:11]
	v_fma_f64 v[10:11], -v[4:5], v[6:7], 1.0
	v_fmac_f64_e32 v[6:7], v[6:7], v[10:11]
	v_mul_f64 v[10:11], v[8:9], v[6:7]
	v_fma_f64 v[4:5], -v[4:5], v[10:11], v[8:9]
	v_div_fmas_f64 v[4:5], v[4:5], v[6:7], v[10:11]
	v_div_fixup_f64 v[0:1], v[4:5], v[0:1], 1.0
	ds_write_b64 v48, v[0:1]
.LBB115_144:
	s_or_b64 exec, exec, s[2:3]
	s_waitcnt lgkmcnt(0)
	s_barrier
	ds_read_b64 v[0:1], v48
	v_cmp_lt_u32_e32 vcc, 28, v50
	s_waitcnt lgkmcnt(0)
	buffer_store_dword v0, off, s[16:19], 0 offset:352 ; 4-byte Folded Spill
	s_nop 0
	buffer_store_dword v1, off, s[16:19], 0 offset:356 ; 4-byte Folded Spill
	s_and_saveexec_b64 s[2:3], vcc
	s_cbranch_execz .LBB115_146
; %bb.145:
	buffer_load_dword v0, off, s[16:19], 0 offset:352 ; 4-byte Folded Reload
	buffer_load_dword v1, off, s[16:19], 0 offset:356 ; 4-byte Folded Reload
	ds_read2_b64 v[4:7], v49 offset0:29 offset1:30
	s_waitcnt vmcnt(0)
	v_mul_f64 v[204:205], v[0:1], v[204:205]
	ds_read_b64 v[0:1], v49 offset:456
	s_waitcnt lgkmcnt(1)
	v_fma_f64 v[146:147], -v[204:205], v[4:5], v[146:147]
	v_fma_f64 v[202:203], -v[204:205], v[6:7], v[202:203]
	ds_read2_b64 v[4:7], v49 offset0:31 offset1:32
	s_waitcnt lgkmcnt(1)
	v_fma_f64 v[232:233], -v[204:205], v[0:1], v[232:233]
	s_waitcnt lgkmcnt(0)
	v_fma_f64 v[144:145], -v[204:205], v[4:5], v[144:145]
	v_fma_f64 v[200:201], -v[204:205], v[6:7], v[200:201]
	ds_read2_b64 v[4:7], v49 offset0:33 offset1:34
	s_waitcnt lgkmcnt(0)
	v_fma_f64 v[142:143], -v[204:205], v[4:5], v[142:143]
	v_fma_f64 v[198:199], -v[204:205], v[6:7], v[198:199]
	ds_read2_b64 v[4:7], v49 offset0:35 offset1:36
	;; [unrolled: 4-line block ×12, first 2 shown]
	s_waitcnt lgkmcnt(0)
	v_fma_f64 v[120:121], -v[204:205], v[4:5], v[120:121]
	v_fma_f64 v[176:177], -v[204:205], v[6:7], v[176:177]
.LBB115_146:
	s_or_b64 exec, exec, s[2:3]
	v_cmp_eq_u32_e32 vcc, 29, v50
	s_waitcnt vmcnt(63) expcnt(7) lgkmcnt(15)
	s_barrier
	s_and_saveexec_b64 s[2:3], vcc
	s_cbranch_execz .LBB115_149
; %bb.147:
	v_mov_b32_e32 v0, v202
	v_mov_b32_e32 v1, v203
	;; [unrolled: 1-line block ×4, first 2 shown]
	ds_write_b64 v48, v[146:147]
	ds_write2_b64 v49, v[0:1], v[4:5] offset0:30 offset1:31
	v_mov_b32_e32 v0, v200
	v_mov_b32_e32 v1, v201
	v_mov_b32_e32 v4, v142
	v_mov_b32_e32 v5, v143
	ds_write2_b64 v49, v[0:1], v[4:5] offset0:32 offset1:33
	v_mov_b32_e32 v0, v198
	v_mov_b32_e32 v1, v199
	v_mov_b32_e32 v4, v140
	v_mov_b32_e32 v5, v141
	;; [unrolled: 5-line block ×12, first 2 shown]
	ds_write2_b64 v49, v[0:1], v[4:5] offset0:54 offset1:55
	s_waitcnt vmcnt(61)
	v_mov_b32_e32 v0, v176
	v_mov_b32_e32 v1, v177
	s_waitcnt vmcnt(58)
	ds_write2_b64 v49, v[0:1], v[232:233] offset0:56 offset1:57
	ds_read_b64 v[0:1], v48
	s_waitcnt lgkmcnt(0)
	v_cmp_neq_f64_e32 vcc, 0, v[0:1]
	s_and_b64 exec, exec, vcc
	s_cbranch_execz .LBB115_149
; %bb.148:
	v_div_scale_f64 v[4:5], s[6:7], v[0:1], v[0:1], 1.0
	v_rcp_f64_e32 v[6:7], v[4:5]
	v_div_scale_f64 v[8:9], vcc, 1.0, v[0:1], 1.0
	v_fma_f64 v[10:11], -v[4:5], v[6:7], 1.0
	v_fmac_f64_e32 v[6:7], v[6:7], v[10:11]
	v_fma_f64 v[10:11], -v[4:5], v[6:7], 1.0
	v_fmac_f64_e32 v[6:7], v[6:7], v[10:11]
	v_mul_f64 v[10:11], v[8:9], v[6:7]
	v_fma_f64 v[4:5], -v[4:5], v[10:11], v[8:9]
	v_div_fmas_f64 v[4:5], v[4:5], v[6:7], v[10:11]
	v_div_fixup_f64 v[0:1], v[4:5], v[0:1], 1.0
	ds_write_b64 v48, v[0:1]
.LBB115_149:
	s_or_b64 exec, exec, s[2:3]
	s_waitcnt lgkmcnt(0)
	s_barrier
	ds_read_b64 v[0:1], v48
	v_cmp_lt_u32_e32 vcc, 29, v50
	s_and_saveexec_b64 s[2:3], vcc
	s_cbranch_execz .LBB115_151
; %bb.150:
	ds_read2_b64 v[4:7], v49 offset0:30 offset1:31
	s_waitcnt lgkmcnt(1)
	v_mul_f64 v[146:147], v[0:1], v[146:147]
	s_waitcnt lgkmcnt(0)
	v_fma_f64 v[202:203], -v[146:147], v[4:5], v[202:203]
	v_fma_f64 v[144:145], -v[146:147], v[6:7], v[144:145]
	ds_read2_b64 v[4:7], v49 offset0:32 offset1:33
	s_waitcnt lgkmcnt(0)
	v_fma_f64 v[200:201], -v[146:147], v[4:5], v[200:201]
	v_fma_f64 v[142:143], -v[146:147], v[6:7], v[142:143]
	ds_read2_b64 v[4:7], v49 offset0:34 offset1:35
	;; [unrolled: 4-line block ×13, first 2 shown]
	s_waitcnt vmcnt(61) lgkmcnt(0)
	v_fma_f64 v[176:177], -v[146:147], v[4:5], v[176:177]
	s_waitcnt vmcnt(58)
	v_fma_f64 v[232:233], -v[146:147], v[6:7], v[232:233]
.LBB115_151:
	s_or_b64 exec, exec, s[2:3]
	v_cmp_eq_u32_e32 vcc, 30, v50
	s_waitcnt lgkmcnt(0)
	buffer_store_dword v0, off, s[16:19], 0 offset:392 ; 4-byte Folded Spill
	s_nop 0
	buffer_store_dword v1, off, s[16:19], 0 offset:396 ; 4-byte Folded Spill
	s_waitcnt vmcnt(63) expcnt(7) lgkmcnt(15)
	s_barrier
	s_and_saveexec_b64 s[2:3], vcc
	s_cbranch_execz .LBB115_154
; %bb.152:
	ds_write_b64 v48, v[202:203]
	ds_write2_b64 v49, v[144:145], v[200:201] offset0:31 offset1:32
	ds_write2_b64 v49, v[142:143], v[198:199] offset0:33 offset1:34
	;; [unrolled: 1-line block ×13, first 2 shown]
	s_waitcnt vmcnt(60)
	ds_write_b64 v49, v[232:233] offset:456
	ds_read_b64 v[0:1], v48
	s_waitcnt lgkmcnt(0)
	v_cmp_neq_f64_e32 vcc, 0, v[0:1]
	s_and_b64 exec, exec, vcc
	s_cbranch_execz .LBB115_154
; %bb.153:
	v_div_scale_f64 v[4:5], s[6:7], v[0:1], v[0:1], 1.0
	v_rcp_f64_e32 v[6:7], v[4:5]
	v_div_scale_f64 v[8:9], vcc, 1.0, v[0:1], 1.0
	v_fma_f64 v[10:11], -v[4:5], v[6:7], 1.0
	v_fmac_f64_e32 v[6:7], v[6:7], v[10:11]
	v_fma_f64 v[10:11], -v[4:5], v[6:7], 1.0
	v_fmac_f64_e32 v[6:7], v[6:7], v[10:11]
	v_mul_f64 v[10:11], v[8:9], v[6:7]
	v_fma_f64 v[4:5], -v[4:5], v[10:11], v[8:9]
	v_div_fmas_f64 v[4:5], v[4:5], v[6:7], v[10:11]
	v_div_fixup_f64 v[0:1], v[4:5], v[0:1], 1.0
	ds_write_b64 v48, v[0:1]
.LBB115_154:
	s_or_b64 exec, exec, s[2:3]
	s_waitcnt lgkmcnt(0)
	s_barrier
	ds_read_b64 v[0:1], v48
	v_cmp_lt_u32_e32 vcc, 30, v50
	s_waitcnt lgkmcnt(0)
	buffer_store_dword v0, off, s[16:19], 0 offset:360 ; 4-byte Folded Spill
	s_nop 0
	buffer_store_dword v1, off, s[16:19], 0 offset:364 ; 4-byte Folded Spill
	s_and_saveexec_b64 s[2:3], vcc
	s_cbranch_execz .LBB115_156
; %bb.155:
	buffer_load_dword v0, off, s[16:19], 0 offset:360 ; 4-byte Folded Reload
	buffer_load_dword v1, off, s[16:19], 0 offset:364 ; 4-byte Folded Reload
	ds_read2_b64 v[4:7], v49 offset0:31 offset1:32
	s_waitcnt vmcnt(0)
	v_mul_f64 v[202:203], v[0:1], v[202:203]
	ds_read_b64 v[0:1], v49 offset:456
	s_waitcnt lgkmcnt(1)
	v_fma_f64 v[144:145], -v[202:203], v[4:5], v[144:145]
	v_fma_f64 v[200:201], -v[202:203], v[6:7], v[200:201]
	ds_read2_b64 v[4:7], v49 offset0:33 offset1:34
	s_waitcnt lgkmcnt(1)
	v_fma_f64 v[232:233], -v[202:203], v[0:1], v[232:233]
	s_waitcnt lgkmcnt(0)
	v_fma_f64 v[142:143], -v[202:203], v[4:5], v[142:143]
	v_fma_f64 v[198:199], -v[202:203], v[6:7], v[198:199]
	ds_read2_b64 v[4:7], v49 offset0:35 offset1:36
	s_waitcnt lgkmcnt(0)
	v_fma_f64 v[140:141], -v[202:203], v[4:5], v[140:141]
	v_fma_f64 v[196:197], -v[202:203], v[6:7], v[196:197]
	ds_read2_b64 v[4:7], v49 offset0:37 offset1:38
	s_waitcnt lgkmcnt(0)
	v_fma_f64 v[138:139], -v[202:203], v[4:5], v[138:139]
	v_fma_f64 v[194:195], -v[202:203], v[6:7], v[194:195]
	ds_read2_b64 v[4:7], v49 offset0:39 offset1:40
	s_waitcnt lgkmcnt(0)
	v_fma_f64 v[136:137], -v[202:203], v[4:5], v[136:137]
	v_fma_f64 v[192:193], -v[202:203], v[6:7], v[192:193]
	ds_read2_b64 v[4:7], v49 offset0:41 offset1:42
	s_waitcnt lgkmcnt(0)
	v_fma_f64 v[134:135], -v[202:203], v[4:5], v[134:135]
	v_fma_f64 v[190:191], -v[202:203], v[6:7], v[190:191]
	ds_read2_b64 v[4:7], v49 offset0:43 offset1:44
	s_waitcnt lgkmcnt(0)
	v_fma_f64 v[132:133], -v[202:203], v[4:5], v[132:133]
	v_fma_f64 v[188:189], -v[202:203], v[6:7], v[188:189]
	ds_read2_b64 v[4:7], v49 offset0:45 offset1:46
	s_waitcnt lgkmcnt(0)
	v_fma_f64 v[130:131], -v[202:203], v[4:5], v[130:131]
	v_fma_f64 v[186:187], -v[202:203], v[6:7], v[186:187]
	ds_read2_b64 v[4:7], v49 offset0:47 offset1:48
	s_waitcnt lgkmcnt(0)
	v_fma_f64 v[128:129], -v[202:203], v[4:5], v[128:129]
	v_fma_f64 v[184:185], -v[202:203], v[6:7], v[184:185]
	ds_read2_b64 v[4:7], v49 offset0:49 offset1:50
	s_waitcnt lgkmcnt(0)
	v_fma_f64 v[126:127], -v[202:203], v[4:5], v[126:127]
	v_fma_f64 v[182:183], -v[202:203], v[6:7], v[182:183]
	ds_read2_b64 v[4:7], v49 offset0:51 offset1:52
	s_waitcnt lgkmcnt(0)
	v_fma_f64 v[124:125], -v[202:203], v[4:5], v[124:125]
	v_fma_f64 v[180:181], -v[202:203], v[6:7], v[180:181]
	ds_read2_b64 v[4:7], v49 offset0:53 offset1:54
	s_waitcnt lgkmcnt(0)
	v_fma_f64 v[122:123], -v[202:203], v[4:5], v[122:123]
	v_fma_f64 v[178:179], -v[202:203], v[6:7], v[178:179]
	ds_read2_b64 v[4:7], v49 offset0:55 offset1:56
	s_waitcnt lgkmcnt(0)
	v_fma_f64 v[120:121], -v[202:203], v[4:5], v[120:121]
	v_fma_f64 v[176:177], -v[202:203], v[6:7], v[176:177]
.LBB115_156:
	s_or_b64 exec, exec, s[2:3]
	v_cmp_eq_u32_e32 vcc, 31, v50
	s_waitcnt vmcnt(63) expcnt(7) lgkmcnt(15)
	s_barrier
	s_and_saveexec_b64 s[2:3], vcc
	s_cbranch_execz .LBB115_159
; %bb.157:
	v_mov_b32_e32 v0, v200
	v_mov_b32_e32 v1, v201
	;; [unrolled: 1-line block ×4, first 2 shown]
	ds_write_b64 v48, v[144:145]
	ds_write2_b64 v49, v[0:1], v[4:5] offset0:32 offset1:33
	v_mov_b32_e32 v0, v198
	v_mov_b32_e32 v1, v199
	v_mov_b32_e32 v4, v140
	v_mov_b32_e32 v5, v141
	ds_write2_b64 v49, v[0:1], v[4:5] offset0:34 offset1:35
	v_mov_b32_e32 v0, v196
	v_mov_b32_e32 v1, v197
	v_mov_b32_e32 v4, v138
	v_mov_b32_e32 v5, v139
	;; [unrolled: 5-line block ×11, first 2 shown]
	ds_write2_b64 v49, v[0:1], v[4:5] offset0:54 offset1:55
	v_mov_b32_e32 v0, v176
	v_mov_b32_e32 v1, v177
	s_waitcnt vmcnt(62)
	ds_write2_b64 v49, v[0:1], v[232:233] offset0:56 offset1:57
	ds_read_b64 v[0:1], v48
	s_waitcnt lgkmcnt(0)
	v_cmp_neq_f64_e32 vcc, 0, v[0:1]
	s_and_b64 exec, exec, vcc
	s_cbranch_execz .LBB115_159
; %bb.158:
	v_div_scale_f64 v[4:5], s[6:7], v[0:1], v[0:1], 1.0
	v_rcp_f64_e32 v[6:7], v[4:5]
	v_div_scale_f64 v[8:9], vcc, 1.0, v[0:1], 1.0
	v_fma_f64 v[10:11], -v[4:5], v[6:7], 1.0
	v_fmac_f64_e32 v[6:7], v[6:7], v[10:11]
	v_fma_f64 v[10:11], -v[4:5], v[6:7], 1.0
	v_fmac_f64_e32 v[6:7], v[6:7], v[10:11]
	v_mul_f64 v[10:11], v[8:9], v[6:7]
	v_fma_f64 v[4:5], -v[4:5], v[10:11], v[8:9]
	v_div_fmas_f64 v[4:5], v[4:5], v[6:7], v[10:11]
	v_div_fixup_f64 v[0:1], v[4:5], v[0:1], 1.0
	ds_write_b64 v48, v[0:1]
.LBB115_159:
	s_or_b64 exec, exec, s[2:3]
	s_waitcnt lgkmcnt(0)
	s_barrier
	ds_read_b64 v[0:1], v48
	v_cmp_lt_u32_e32 vcc, 31, v50
	s_and_saveexec_b64 s[2:3], vcc
	s_cbranch_execz .LBB115_161
; %bb.160:
	ds_read2_b64 v[4:7], v49 offset0:32 offset1:33
	s_waitcnt lgkmcnt(1)
	v_mul_f64 v[144:145], v[0:1], v[144:145]
	s_waitcnt lgkmcnt(0)
	v_fma_f64 v[200:201], -v[144:145], v[4:5], v[200:201]
	v_fma_f64 v[142:143], -v[144:145], v[6:7], v[142:143]
	ds_read2_b64 v[4:7], v49 offset0:34 offset1:35
	s_waitcnt lgkmcnt(0)
	v_fma_f64 v[198:199], -v[144:145], v[4:5], v[198:199]
	v_fma_f64 v[140:141], -v[144:145], v[6:7], v[140:141]
	ds_read2_b64 v[4:7], v49 offset0:36 offset1:37
	;; [unrolled: 4-line block ×12, first 2 shown]
	s_waitcnt lgkmcnt(0)
	v_fma_f64 v[176:177], -v[144:145], v[4:5], v[176:177]
	s_waitcnt vmcnt(62)
	v_fma_f64 v[232:233], -v[144:145], v[6:7], v[232:233]
.LBB115_161:
	s_or_b64 exec, exec, s[2:3]
	v_cmp_eq_u32_e32 vcc, 32, v50
	s_waitcnt lgkmcnt(0)
	buffer_store_dword v0, off, s[16:19], 0 offset:400 ; 4-byte Folded Spill
	s_nop 0
	buffer_store_dword v1, off, s[16:19], 0 offset:404 ; 4-byte Folded Spill
	s_waitcnt vmcnt(63) expcnt(7) lgkmcnt(15)
	s_barrier
	s_and_saveexec_b64 s[2:3], vcc
	s_cbranch_execz .LBB115_164
; %bb.162:
	ds_write_b64 v48, v[200:201]
	ds_write2_b64 v49, v[142:143], v[198:199] offset0:33 offset1:34
	ds_write2_b64 v49, v[140:141], v[196:197] offset0:35 offset1:36
	ds_write2_b64 v49, v[138:139], v[194:195] offset0:37 offset1:38
	ds_write2_b64 v49, v[136:137], v[192:193] offset0:39 offset1:40
	ds_write2_b64 v49, v[134:135], v[190:191] offset0:41 offset1:42
	ds_write2_b64 v49, v[132:133], v[188:189] offset0:43 offset1:44
	ds_write2_b64 v49, v[130:131], v[186:187] offset0:45 offset1:46
	ds_write2_b64 v49, v[128:129], v[184:185] offset0:47 offset1:48
	ds_write2_b64 v49, v[126:127], v[182:183] offset0:49 offset1:50
	ds_write2_b64 v49, v[124:125], v[180:181] offset0:51 offset1:52
	ds_write2_b64 v49, v[122:123], v[178:179] offset0:53 offset1:54
	ds_write2_b64 v49, v[120:121], v[176:177] offset0:55 offset1:56
	ds_write_b64 v49, v[232:233] offset:456
	ds_read_b64 v[0:1], v48
	s_waitcnt lgkmcnt(0)
	v_cmp_neq_f64_e32 vcc, 0, v[0:1]
	s_and_b64 exec, exec, vcc
	s_cbranch_execz .LBB115_164
; %bb.163:
	v_div_scale_f64 v[4:5], s[6:7], v[0:1], v[0:1], 1.0
	v_rcp_f64_e32 v[6:7], v[4:5]
	v_div_scale_f64 v[8:9], vcc, 1.0, v[0:1], 1.0
	v_fma_f64 v[10:11], -v[4:5], v[6:7], 1.0
	v_fmac_f64_e32 v[6:7], v[6:7], v[10:11]
	v_fma_f64 v[10:11], -v[4:5], v[6:7], 1.0
	v_fmac_f64_e32 v[6:7], v[6:7], v[10:11]
	v_mul_f64 v[10:11], v[8:9], v[6:7]
	v_fma_f64 v[4:5], -v[4:5], v[10:11], v[8:9]
	v_div_fmas_f64 v[4:5], v[4:5], v[6:7], v[10:11]
	v_div_fixup_f64 v[0:1], v[4:5], v[0:1], 1.0
	ds_write_b64 v48, v[0:1]
.LBB115_164:
	s_or_b64 exec, exec, s[2:3]
	s_waitcnt lgkmcnt(0)
	s_barrier
	ds_read_b64 v[0:1], v48
	v_cmp_lt_u32_e32 vcc, 32, v50
	s_waitcnt lgkmcnt(0)
	buffer_store_dword v0, off, s[16:19], 0 offset:368 ; 4-byte Folded Spill
	s_nop 0
	buffer_store_dword v1, off, s[16:19], 0 offset:372 ; 4-byte Folded Spill
	s_and_saveexec_b64 s[2:3], vcc
	s_cbranch_execz .LBB115_166
; %bb.165:
	buffer_load_dword v0, off, s[16:19], 0 offset:368 ; 4-byte Folded Reload
	buffer_load_dword v1, off, s[16:19], 0 offset:372 ; 4-byte Folded Reload
	ds_read2_b64 v[4:7], v49 offset0:33 offset1:34
	s_waitcnt vmcnt(0)
	v_mul_f64 v[200:201], v[0:1], v[200:201]
	ds_read_b64 v[0:1], v49 offset:456
	s_waitcnt lgkmcnt(1)
	v_fma_f64 v[142:143], -v[200:201], v[4:5], v[142:143]
	v_fma_f64 v[198:199], -v[200:201], v[6:7], v[198:199]
	ds_read2_b64 v[4:7], v49 offset0:35 offset1:36
	s_waitcnt lgkmcnt(1)
	v_fma_f64 v[232:233], -v[200:201], v[0:1], v[232:233]
	s_waitcnt lgkmcnt(0)
	v_fma_f64 v[140:141], -v[200:201], v[4:5], v[140:141]
	v_fma_f64 v[196:197], -v[200:201], v[6:7], v[196:197]
	ds_read2_b64 v[4:7], v49 offset0:37 offset1:38
	s_waitcnt lgkmcnt(0)
	v_fma_f64 v[138:139], -v[200:201], v[4:5], v[138:139]
	v_fma_f64 v[194:195], -v[200:201], v[6:7], v[194:195]
	ds_read2_b64 v[4:7], v49 offset0:39 offset1:40
	;; [unrolled: 4-line block ×10, first 2 shown]
	s_waitcnt lgkmcnt(0)
	v_fma_f64 v[120:121], -v[200:201], v[4:5], v[120:121]
	v_fma_f64 v[176:177], -v[200:201], v[6:7], v[176:177]
.LBB115_166:
	s_or_b64 exec, exec, s[2:3]
	v_cmp_eq_u32_e32 vcc, 33, v50
	s_waitcnt vmcnt(63) expcnt(7) lgkmcnt(15)
	s_barrier
	s_and_saveexec_b64 s[2:3], vcc
	s_cbranch_execz .LBB115_169
; %bb.167:
	v_mov_b32_e32 v0, v198
	v_mov_b32_e32 v1, v199
	;; [unrolled: 1-line block ×4, first 2 shown]
	ds_write_b64 v48, v[142:143]
	ds_write2_b64 v49, v[0:1], v[4:5] offset0:34 offset1:35
	v_mov_b32_e32 v0, v196
	v_mov_b32_e32 v1, v197
	v_mov_b32_e32 v4, v138
	v_mov_b32_e32 v5, v139
	ds_write2_b64 v49, v[0:1], v[4:5] offset0:36 offset1:37
	v_mov_b32_e32 v0, v194
	v_mov_b32_e32 v1, v195
	v_mov_b32_e32 v4, v136
	v_mov_b32_e32 v5, v137
	;; [unrolled: 5-line block ×10, first 2 shown]
	ds_write2_b64 v49, v[0:1], v[4:5] offset0:54 offset1:55
	v_mov_b32_e32 v0, v176
	v_mov_b32_e32 v1, v177
	ds_write2_b64 v49, v[0:1], v[232:233] offset0:56 offset1:57
	ds_read_b64 v[0:1], v48
	s_waitcnt lgkmcnt(0)
	v_cmp_neq_f64_e32 vcc, 0, v[0:1]
	s_and_b64 exec, exec, vcc
	s_cbranch_execz .LBB115_169
; %bb.168:
	v_div_scale_f64 v[4:5], s[6:7], v[0:1], v[0:1], 1.0
	v_rcp_f64_e32 v[6:7], v[4:5]
	v_div_scale_f64 v[8:9], vcc, 1.0, v[0:1], 1.0
	v_fma_f64 v[10:11], -v[4:5], v[6:7], 1.0
	v_fmac_f64_e32 v[6:7], v[6:7], v[10:11]
	v_fma_f64 v[10:11], -v[4:5], v[6:7], 1.0
	v_fmac_f64_e32 v[6:7], v[6:7], v[10:11]
	v_mul_f64 v[10:11], v[8:9], v[6:7]
	v_fma_f64 v[4:5], -v[4:5], v[10:11], v[8:9]
	v_div_fmas_f64 v[4:5], v[4:5], v[6:7], v[10:11]
	v_div_fixup_f64 v[0:1], v[4:5], v[0:1], 1.0
	ds_write_b64 v48, v[0:1]
.LBB115_169:
	s_or_b64 exec, exec, s[2:3]
	s_waitcnt lgkmcnt(0)
	s_barrier
	ds_read_b64 v[0:1], v48
	v_cmp_lt_u32_e32 vcc, 33, v50
	s_and_saveexec_b64 s[2:3], vcc
	s_cbranch_execz .LBB115_171
; %bb.170:
	ds_read2_b64 v[4:7], v49 offset0:34 offset1:35
	s_waitcnt lgkmcnt(1)
	v_mul_f64 v[142:143], v[0:1], v[142:143]
	s_waitcnt lgkmcnt(0)
	v_fma_f64 v[198:199], -v[142:143], v[4:5], v[198:199]
	v_fma_f64 v[140:141], -v[142:143], v[6:7], v[140:141]
	ds_read2_b64 v[4:7], v49 offset0:36 offset1:37
	s_waitcnt lgkmcnt(0)
	v_fma_f64 v[196:197], -v[142:143], v[4:5], v[196:197]
	v_fma_f64 v[138:139], -v[142:143], v[6:7], v[138:139]
	ds_read2_b64 v[4:7], v49 offset0:38 offset1:39
	;; [unrolled: 4-line block ×11, first 2 shown]
	s_waitcnt lgkmcnt(0)
	v_fma_f64 v[176:177], -v[142:143], v[4:5], v[176:177]
	v_fma_f64 v[232:233], -v[142:143], v[6:7], v[232:233]
.LBB115_171:
	s_or_b64 exec, exec, s[2:3]
	v_cmp_eq_u32_e32 vcc, 34, v50
	s_waitcnt lgkmcnt(0)
	buffer_store_dword v0, off, s[16:19], 0 offset:408 ; 4-byte Folded Spill
	s_nop 0
	buffer_store_dword v1, off, s[16:19], 0 offset:412 ; 4-byte Folded Spill
	s_waitcnt vmcnt(63) expcnt(7) lgkmcnt(15)
	s_barrier
	s_and_saveexec_b64 s[2:3], vcc
	s_cbranch_execz .LBB115_174
; %bb.172:
	ds_write_b64 v48, v[198:199]
	ds_write2_b64 v49, v[140:141], v[196:197] offset0:35 offset1:36
	ds_write2_b64 v49, v[138:139], v[194:195] offset0:37 offset1:38
	;; [unrolled: 1-line block ×11, first 2 shown]
	ds_write_b64 v49, v[232:233] offset:456
	ds_read_b64 v[0:1], v48
	s_waitcnt lgkmcnt(0)
	v_cmp_neq_f64_e32 vcc, 0, v[0:1]
	s_and_b64 exec, exec, vcc
	s_cbranch_execz .LBB115_174
; %bb.173:
	v_div_scale_f64 v[4:5], s[6:7], v[0:1], v[0:1], 1.0
	v_rcp_f64_e32 v[6:7], v[4:5]
	v_div_scale_f64 v[8:9], vcc, 1.0, v[0:1], 1.0
	v_fma_f64 v[10:11], -v[4:5], v[6:7], 1.0
	v_fmac_f64_e32 v[6:7], v[6:7], v[10:11]
	v_fma_f64 v[10:11], -v[4:5], v[6:7], 1.0
	v_fmac_f64_e32 v[6:7], v[6:7], v[10:11]
	v_mul_f64 v[10:11], v[8:9], v[6:7]
	v_fma_f64 v[4:5], -v[4:5], v[10:11], v[8:9]
	v_div_fmas_f64 v[4:5], v[4:5], v[6:7], v[10:11]
	v_div_fixup_f64 v[0:1], v[4:5], v[0:1], 1.0
	ds_write_b64 v48, v[0:1]
.LBB115_174:
	s_or_b64 exec, exec, s[2:3]
	s_waitcnt lgkmcnt(0)
	s_barrier
	ds_read_b64 v[0:1], v48
	v_cmp_lt_u32_e32 vcc, 34, v50
	s_waitcnt lgkmcnt(0)
	buffer_store_dword v0, off, s[16:19], 0 offset:376 ; 4-byte Folded Spill
	s_nop 0
	buffer_store_dword v1, off, s[16:19], 0 offset:380 ; 4-byte Folded Spill
	s_and_saveexec_b64 s[2:3], vcc
	s_cbranch_execz .LBB115_176
; %bb.175:
	buffer_load_dword v0, off, s[16:19], 0 offset:376 ; 4-byte Folded Reload
	buffer_load_dword v1, off, s[16:19], 0 offset:380 ; 4-byte Folded Reload
	ds_read2_b64 v[4:7], v49 offset0:35 offset1:36
	s_waitcnt vmcnt(0)
	v_mul_f64 v[198:199], v[0:1], v[198:199]
	s_waitcnt lgkmcnt(0)
	v_fma_f64 v[140:141], -v[198:199], v[4:5], v[140:141]
	v_fma_f64 v[196:197], -v[198:199], v[6:7], v[196:197]
	ds_read2_b64 v[4:7], v49 offset0:37 offset1:38
	s_waitcnt lgkmcnt(0)
	v_fma_f64 v[138:139], -v[198:199], v[4:5], v[138:139]
	v_fma_f64 v[194:195], -v[198:199], v[6:7], v[194:195]
	ds_read2_b64 v[4:7], v49 offset0:39 offset1:40
	;; [unrolled: 4-line block ×10, first 2 shown]
	s_waitcnt lgkmcnt(0)
	v_fma_f64 v[120:121], -v[198:199], v[4:5], v[120:121]
	ds_read_b64 v[4:5], v49 offset:456
	v_fma_f64 v[176:177], -v[198:199], v[6:7], v[176:177]
	s_waitcnt lgkmcnt(0)
	v_fma_f64 v[232:233], -v[198:199], v[4:5], v[232:233]
.LBB115_176:
	s_or_b64 exec, exec, s[2:3]
	v_cmp_eq_u32_e32 vcc, 35, v50
	s_waitcnt vmcnt(63) expcnt(7) lgkmcnt(15)
	s_barrier
	s_and_saveexec_b64 s[2:3], vcc
	s_cbranch_execz .LBB115_179
; %bb.177:
	v_mov_b32_e32 v4, v196
	v_mov_b32_e32 v5, v197
	;; [unrolled: 1-line block ×4, first 2 shown]
	ds_write_b64 v48, v[140:141]
	ds_write2_b64 v49, v[4:5], v[6:7] offset0:36 offset1:37
	v_mov_b32_e32 v4, v194
	v_mov_b32_e32 v5, v195
	v_mov_b32_e32 v6, v136
	v_mov_b32_e32 v7, v137
	ds_write2_b64 v49, v[4:5], v[6:7] offset0:38 offset1:39
	v_mov_b32_e32 v4, v192
	v_mov_b32_e32 v5, v193
	v_mov_b32_e32 v6, v134
	v_mov_b32_e32 v7, v135
	;; [unrolled: 5-line block ×9, first 2 shown]
	ds_write2_b64 v49, v[4:5], v[6:7] offset0:54 offset1:55
	v_mov_b32_e32 v4, v176
	v_mov_b32_e32 v5, v177
	ds_write2_b64 v49, v[4:5], v[232:233] offset0:56 offset1:57
	ds_read_b64 v[4:5], v48
	s_waitcnt lgkmcnt(0)
	v_cmp_neq_f64_e32 vcc, 0, v[4:5]
	s_and_b64 exec, exec, vcc
	s_cbranch_execz .LBB115_179
; %bb.178:
	v_div_scale_f64 v[6:7], s[6:7], v[4:5], v[4:5], 1.0
	v_rcp_f64_e32 v[8:9], v[6:7]
	v_div_scale_f64 v[10:11], vcc, 1.0, v[4:5], 1.0
	v_fma_f64 v[12:13], -v[6:7], v[8:9], 1.0
	v_fmac_f64_e32 v[8:9], v[8:9], v[12:13]
	v_fma_f64 v[12:13], -v[6:7], v[8:9], 1.0
	v_fmac_f64_e32 v[8:9], v[8:9], v[12:13]
	v_mul_f64 v[12:13], v[10:11], v[8:9]
	v_fma_f64 v[6:7], -v[6:7], v[12:13], v[10:11]
	v_div_fmas_f64 v[6:7], v[6:7], v[8:9], v[12:13]
	v_div_fixup_f64 v[4:5], v[6:7], v[4:5], 1.0
	ds_write_b64 v48, v[4:5]
.LBB115_179:
	s_or_b64 exec, exec, s[2:3]
	s_waitcnt lgkmcnt(0)
	s_barrier
	ds_read_b64 v[4:5], v48
	v_cmp_lt_u32_e32 vcc, 35, v50
	s_and_saveexec_b64 s[2:3], vcc
	s_cbranch_execz .LBB115_181
; %bb.180:
	ds_read2_b64 v[6:9], v49 offset0:36 offset1:37
	s_waitcnt lgkmcnt(1)
	v_mul_f64 v[140:141], v[4:5], v[140:141]
	s_waitcnt lgkmcnt(0)
	v_fma_f64 v[196:197], -v[140:141], v[6:7], v[196:197]
	v_fma_f64 v[138:139], -v[140:141], v[8:9], v[138:139]
	ds_read2_b64 v[6:9], v49 offset0:38 offset1:39
	s_waitcnt lgkmcnt(0)
	v_fma_f64 v[194:195], -v[140:141], v[6:7], v[194:195]
	v_fma_f64 v[136:137], -v[140:141], v[8:9], v[136:137]
	ds_read2_b64 v[6:9], v49 offset0:40 offset1:41
	;; [unrolled: 4-line block ×10, first 2 shown]
	s_waitcnt lgkmcnt(0)
	v_fma_f64 v[176:177], -v[140:141], v[6:7], v[176:177]
	v_fma_f64 v[232:233], -v[140:141], v[8:9], v[232:233]
.LBB115_181:
	s_or_b64 exec, exec, s[2:3]
	v_cmp_eq_u32_e32 vcc, 36, v50
	s_waitcnt lgkmcnt(0)
	s_barrier
	s_and_saveexec_b64 s[2:3], vcc
	s_cbranch_execz .LBB115_184
; %bb.182:
	ds_write_b64 v48, v[196:197]
	ds_write2_b64 v49, v[138:139], v[194:195] offset0:37 offset1:38
	ds_write2_b64 v49, v[136:137], v[192:193] offset0:39 offset1:40
	;; [unrolled: 1-line block ×10, first 2 shown]
	ds_write_b64 v49, v[232:233] offset:456
	ds_read_b64 v[6:7], v48
	s_waitcnt lgkmcnt(0)
	v_cmp_neq_f64_e32 vcc, 0, v[6:7]
	s_and_b64 exec, exec, vcc
	s_cbranch_execz .LBB115_184
; %bb.183:
	v_div_scale_f64 v[8:9], s[6:7], v[6:7], v[6:7], 1.0
	v_rcp_f64_e32 v[10:11], v[8:9]
	v_div_scale_f64 v[12:13], vcc, 1.0, v[6:7], 1.0
	v_fma_f64 v[14:15], -v[8:9], v[10:11], 1.0
	v_fmac_f64_e32 v[10:11], v[10:11], v[14:15]
	v_fma_f64 v[14:15], -v[8:9], v[10:11], 1.0
	v_fmac_f64_e32 v[10:11], v[10:11], v[14:15]
	v_mul_f64 v[14:15], v[12:13], v[10:11]
	v_fma_f64 v[8:9], -v[8:9], v[14:15], v[12:13]
	v_div_fmas_f64 v[8:9], v[8:9], v[10:11], v[14:15]
	v_div_fixup_f64 v[6:7], v[8:9], v[6:7], 1.0
	ds_write_b64 v48, v[6:7]
.LBB115_184:
	s_or_b64 exec, exec, s[2:3]
	s_waitcnt lgkmcnt(0)
	s_barrier
	ds_read_b64 v[6:7], v48
	v_cmp_lt_u32_e32 vcc, 36, v50
	s_and_saveexec_b64 s[2:3], vcc
	s_cbranch_execz .LBB115_186
; %bb.185:
	ds_read2_b64 v[8:11], v49 offset0:37 offset1:38
	s_waitcnt lgkmcnt(1)
	v_mul_f64 v[196:197], v[6:7], v[196:197]
	s_waitcnt lgkmcnt(0)
	v_fma_f64 v[138:139], -v[196:197], v[8:9], v[138:139]
	v_fma_f64 v[194:195], -v[196:197], v[10:11], v[194:195]
	ds_read2_b64 v[8:11], v49 offset0:39 offset1:40
	s_waitcnt lgkmcnt(0)
	v_fma_f64 v[136:137], -v[196:197], v[8:9], v[136:137]
	v_fma_f64 v[192:193], -v[196:197], v[10:11], v[192:193]
	ds_read2_b64 v[8:11], v49 offset0:41 offset1:42
	;; [unrolled: 4-line block ×9, first 2 shown]
	s_waitcnt lgkmcnt(0)
	v_fma_f64 v[120:121], -v[196:197], v[8:9], v[120:121]
	ds_read_b64 v[8:9], v49 offset:456
	v_fma_f64 v[176:177], -v[196:197], v[10:11], v[176:177]
	s_waitcnt lgkmcnt(0)
	v_fma_f64 v[232:233], -v[196:197], v[8:9], v[232:233]
.LBB115_186:
	s_or_b64 exec, exec, s[2:3]
	v_cmp_eq_u32_e32 vcc, 37, v50
	s_waitcnt lgkmcnt(0)
	s_barrier
	s_and_saveexec_b64 s[2:3], vcc
	s_cbranch_execz .LBB115_189
; %bb.187:
	v_mov_b32_e32 v8, v194
	v_mov_b32_e32 v9, v195
	;; [unrolled: 1-line block ×4, first 2 shown]
	ds_write_b64 v48, v[138:139]
	ds_write2_b64 v49, v[8:9], v[10:11] offset0:38 offset1:39
	v_mov_b32_e32 v8, v192
	v_mov_b32_e32 v9, v193
	v_mov_b32_e32 v10, v134
	v_mov_b32_e32 v11, v135
	ds_write2_b64 v49, v[8:9], v[10:11] offset0:40 offset1:41
	v_mov_b32_e32 v8, v190
	v_mov_b32_e32 v9, v191
	v_mov_b32_e32 v10, v132
	v_mov_b32_e32 v11, v133
	;; [unrolled: 5-line block ×8, first 2 shown]
	ds_write2_b64 v49, v[8:9], v[10:11] offset0:54 offset1:55
	v_mov_b32_e32 v8, v176
	v_mov_b32_e32 v9, v177
	ds_write2_b64 v49, v[8:9], v[232:233] offset0:56 offset1:57
	ds_read_b64 v[8:9], v48
	s_waitcnt lgkmcnt(0)
	v_cmp_neq_f64_e32 vcc, 0, v[8:9]
	s_and_b64 exec, exec, vcc
	s_cbranch_execz .LBB115_189
; %bb.188:
	v_div_scale_f64 v[10:11], s[6:7], v[8:9], v[8:9], 1.0
	v_rcp_f64_e32 v[12:13], v[10:11]
	v_div_scale_f64 v[14:15], vcc, 1.0, v[8:9], 1.0
	v_fma_f64 v[16:17], -v[10:11], v[12:13], 1.0
	v_fmac_f64_e32 v[12:13], v[12:13], v[16:17]
	v_fma_f64 v[16:17], -v[10:11], v[12:13], 1.0
	v_fmac_f64_e32 v[12:13], v[12:13], v[16:17]
	v_mul_f64 v[16:17], v[14:15], v[12:13]
	v_fma_f64 v[10:11], -v[10:11], v[16:17], v[14:15]
	v_div_fmas_f64 v[10:11], v[10:11], v[12:13], v[16:17]
	v_div_fixup_f64 v[8:9], v[10:11], v[8:9], 1.0
	ds_write_b64 v48, v[8:9]
.LBB115_189:
	s_or_b64 exec, exec, s[2:3]
	s_waitcnt lgkmcnt(0)
	s_barrier
	ds_read_b64 v[8:9], v48
	v_cmp_lt_u32_e32 vcc, 37, v50
	s_and_saveexec_b64 s[2:3], vcc
	s_cbranch_execz .LBB115_191
; %bb.190:
	ds_read2_b64 v[10:13], v49 offset0:38 offset1:39
	s_waitcnt lgkmcnt(1)
	v_mul_f64 v[138:139], v[8:9], v[138:139]
	s_waitcnt lgkmcnt(0)
	v_fma_f64 v[194:195], -v[138:139], v[10:11], v[194:195]
	v_fma_f64 v[136:137], -v[138:139], v[12:13], v[136:137]
	ds_read2_b64 v[10:13], v49 offset0:40 offset1:41
	s_waitcnt lgkmcnt(0)
	v_fma_f64 v[192:193], -v[138:139], v[10:11], v[192:193]
	v_fma_f64 v[134:135], -v[138:139], v[12:13], v[134:135]
	ds_read2_b64 v[10:13], v49 offset0:42 offset1:43
	;; [unrolled: 4-line block ×9, first 2 shown]
	s_waitcnt lgkmcnt(0)
	v_fma_f64 v[176:177], -v[138:139], v[10:11], v[176:177]
	v_fma_f64 v[232:233], -v[138:139], v[12:13], v[232:233]
.LBB115_191:
	s_or_b64 exec, exec, s[2:3]
	v_cmp_eq_u32_e32 vcc, 38, v50
	s_waitcnt lgkmcnt(0)
	s_barrier
	s_and_saveexec_b64 s[2:3], vcc
	s_cbranch_execz .LBB115_194
; %bb.192:
	ds_write_b64 v48, v[194:195]
	ds_write2_b64 v49, v[136:137], v[192:193] offset0:39 offset1:40
	ds_write2_b64 v49, v[134:135], v[190:191] offset0:41 offset1:42
	;; [unrolled: 1-line block ×9, first 2 shown]
	ds_write_b64 v49, v[232:233] offset:456
	ds_read_b64 v[10:11], v48
	s_waitcnt lgkmcnt(0)
	v_cmp_neq_f64_e32 vcc, 0, v[10:11]
	s_and_b64 exec, exec, vcc
	s_cbranch_execz .LBB115_194
; %bb.193:
	v_div_scale_f64 v[12:13], s[6:7], v[10:11], v[10:11], 1.0
	v_rcp_f64_e32 v[14:15], v[12:13]
	v_div_scale_f64 v[16:17], vcc, 1.0, v[10:11], 1.0
	v_fma_f64 v[18:19], -v[12:13], v[14:15], 1.0
	v_fmac_f64_e32 v[14:15], v[14:15], v[18:19]
	v_fma_f64 v[18:19], -v[12:13], v[14:15], 1.0
	v_fmac_f64_e32 v[14:15], v[14:15], v[18:19]
	v_mul_f64 v[18:19], v[16:17], v[14:15]
	v_fma_f64 v[12:13], -v[12:13], v[18:19], v[16:17]
	v_div_fmas_f64 v[12:13], v[12:13], v[14:15], v[18:19]
	v_div_fixup_f64 v[10:11], v[12:13], v[10:11], 1.0
	ds_write_b64 v48, v[10:11]
.LBB115_194:
	s_or_b64 exec, exec, s[2:3]
	s_waitcnt lgkmcnt(0)
	s_barrier
	ds_read_b64 v[10:11], v48
	v_cmp_lt_u32_e32 vcc, 38, v50
	s_and_saveexec_b64 s[2:3], vcc
	s_cbranch_execz .LBB115_196
; %bb.195:
	ds_read2_b64 v[12:15], v49 offset0:39 offset1:40
	s_waitcnt lgkmcnt(1)
	v_mul_f64 v[194:195], v[10:11], v[194:195]
	s_waitcnt lgkmcnt(0)
	v_fma_f64 v[136:137], -v[194:195], v[12:13], v[136:137]
	v_fma_f64 v[192:193], -v[194:195], v[14:15], v[192:193]
	ds_read2_b64 v[12:15], v49 offset0:41 offset1:42
	s_waitcnt lgkmcnt(0)
	v_fma_f64 v[134:135], -v[194:195], v[12:13], v[134:135]
	v_fma_f64 v[190:191], -v[194:195], v[14:15], v[190:191]
	ds_read2_b64 v[12:15], v49 offset0:43 offset1:44
	;; [unrolled: 4-line block ×8, first 2 shown]
	s_waitcnt lgkmcnt(0)
	v_fma_f64 v[120:121], -v[194:195], v[12:13], v[120:121]
	ds_read_b64 v[12:13], v49 offset:456
	v_fma_f64 v[176:177], -v[194:195], v[14:15], v[176:177]
	s_waitcnt lgkmcnt(0)
	v_fma_f64 v[232:233], -v[194:195], v[12:13], v[232:233]
.LBB115_196:
	s_or_b64 exec, exec, s[2:3]
	v_cmp_eq_u32_e32 vcc, 39, v50
	s_waitcnt lgkmcnt(0)
	s_barrier
	s_and_saveexec_b64 s[2:3], vcc
	s_cbranch_execz .LBB115_199
; %bb.197:
	v_mov_b32_e32 v12, v192
	v_mov_b32_e32 v13, v193
	;; [unrolled: 1-line block ×4, first 2 shown]
	ds_write_b64 v48, v[136:137]
	ds_write2_b64 v49, v[12:13], v[14:15] offset0:40 offset1:41
	v_mov_b32_e32 v12, v190
	v_mov_b32_e32 v13, v191
	v_mov_b32_e32 v14, v132
	v_mov_b32_e32 v15, v133
	ds_write2_b64 v49, v[12:13], v[14:15] offset0:42 offset1:43
	v_mov_b32_e32 v12, v188
	v_mov_b32_e32 v13, v189
	v_mov_b32_e32 v14, v130
	v_mov_b32_e32 v15, v131
	;; [unrolled: 5-line block ×7, first 2 shown]
	ds_write2_b64 v49, v[12:13], v[14:15] offset0:54 offset1:55
	v_mov_b32_e32 v12, v176
	v_mov_b32_e32 v13, v177
	ds_write2_b64 v49, v[12:13], v[232:233] offset0:56 offset1:57
	ds_read_b64 v[12:13], v48
	s_waitcnt lgkmcnt(0)
	v_cmp_neq_f64_e32 vcc, 0, v[12:13]
	s_and_b64 exec, exec, vcc
	s_cbranch_execz .LBB115_199
; %bb.198:
	v_div_scale_f64 v[14:15], s[6:7], v[12:13], v[12:13], 1.0
	v_rcp_f64_e32 v[16:17], v[14:15]
	v_div_scale_f64 v[18:19], vcc, 1.0, v[12:13], 1.0
	v_fma_f64 v[20:21], -v[14:15], v[16:17], 1.0
	v_fmac_f64_e32 v[16:17], v[16:17], v[20:21]
	v_fma_f64 v[20:21], -v[14:15], v[16:17], 1.0
	v_fmac_f64_e32 v[16:17], v[16:17], v[20:21]
	v_mul_f64 v[20:21], v[18:19], v[16:17]
	v_fma_f64 v[14:15], -v[14:15], v[20:21], v[18:19]
	v_div_fmas_f64 v[14:15], v[14:15], v[16:17], v[20:21]
	v_div_fixup_f64 v[12:13], v[14:15], v[12:13], 1.0
	ds_write_b64 v48, v[12:13]
.LBB115_199:
	s_or_b64 exec, exec, s[2:3]
	s_waitcnt lgkmcnt(0)
	s_barrier
	ds_read_b64 v[12:13], v48
	v_cmp_lt_u32_e32 vcc, 39, v50
	s_and_saveexec_b64 s[2:3], vcc
	s_cbranch_execz .LBB115_201
; %bb.200:
	ds_read2_b64 v[14:17], v49 offset0:40 offset1:41
	s_waitcnt lgkmcnt(1)
	v_mul_f64 v[136:137], v[12:13], v[136:137]
	s_waitcnt lgkmcnt(0)
	v_fma_f64 v[192:193], -v[136:137], v[14:15], v[192:193]
	v_fma_f64 v[134:135], -v[136:137], v[16:17], v[134:135]
	ds_read2_b64 v[14:17], v49 offset0:42 offset1:43
	s_waitcnt lgkmcnt(0)
	v_fma_f64 v[190:191], -v[136:137], v[14:15], v[190:191]
	v_fma_f64 v[132:133], -v[136:137], v[16:17], v[132:133]
	ds_read2_b64 v[14:17], v49 offset0:44 offset1:45
	;; [unrolled: 4-line block ×8, first 2 shown]
	s_waitcnt lgkmcnt(0)
	v_fma_f64 v[176:177], -v[136:137], v[14:15], v[176:177]
	v_fma_f64 v[232:233], -v[136:137], v[16:17], v[232:233]
.LBB115_201:
	s_or_b64 exec, exec, s[2:3]
	v_cmp_eq_u32_e32 vcc, 40, v50
	s_waitcnt lgkmcnt(0)
	s_barrier
	s_and_saveexec_b64 s[2:3], vcc
	s_cbranch_execz .LBB115_204
; %bb.202:
	ds_write_b64 v48, v[192:193]
	ds_write2_b64 v49, v[134:135], v[190:191] offset0:41 offset1:42
	ds_write2_b64 v49, v[132:133], v[188:189] offset0:43 offset1:44
	;; [unrolled: 1-line block ×8, first 2 shown]
	ds_write_b64 v49, v[232:233] offset:456
	ds_read_b64 v[14:15], v48
	s_waitcnt lgkmcnt(0)
	v_cmp_neq_f64_e32 vcc, 0, v[14:15]
	s_and_b64 exec, exec, vcc
	s_cbranch_execz .LBB115_204
; %bb.203:
	v_div_scale_f64 v[16:17], s[6:7], v[14:15], v[14:15], 1.0
	v_rcp_f64_e32 v[18:19], v[16:17]
	v_div_scale_f64 v[20:21], vcc, 1.0, v[14:15], 1.0
	v_fma_f64 v[22:23], -v[16:17], v[18:19], 1.0
	v_fmac_f64_e32 v[18:19], v[18:19], v[22:23]
	v_fma_f64 v[22:23], -v[16:17], v[18:19], 1.0
	v_fmac_f64_e32 v[18:19], v[18:19], v[22:23]
	v_mul_f64 v[22:23], v[20:21], v[18:19]
	v_fma_f64 v[16:17], -v[16:17], v[22:23], v[20:21]
	v_div_fmas_f64 v[16:17], v[16:17], v[18:19], v[22:23]
	v_div_fixup_f64 v[14:15], v[16:17], v[14:15], 1.0
	ds_write_b64 v48, v[14:15]
.LBB115_204:
	s_or_b64 exec, exec, s[2:3]
	s_waitcnt lgkmcnt(0)
	s_barrier
	ds_read_b64 v[14:15], v48
	v_cmp_lt_u32_e32 vcc, 40, v50
	s_and_saveexec_b64 s[2:3], vcc
	s_cbranch_execz .LBB115_206
; %bb.205:
	ds_read2_b64 v[16:19], v49 offset0:41 offset1:42
	s_waitcnt lgkmcnt(1)
	v_mul_f64 v[192:193], v[14:15], v[192:193]
	s_waitcnt lgkmcnt(0)
	v_fma_f64 v[134:135], -v[192:193], v[16:17], v[134:135]
	v_fma_f64 v[190:191], -v[192:193], v[18:19], v[190:191]
	ds_read2_b64 v[16:19], v49 offset0:43 offset1:44
	s_waitcnt lgkmcnt(0)
	v_fma_f64 v[132:133], -v[192:193], v[16:17], v[132:133]
	v_fma_f64 v[188:189], -v[192:193], v[18:19], v[188:189]
	ds_read2_b64 v[16:19], v49 offset0:45 offset1:46
	;; [unrolled: 4-line block ×7, first 2 shown]
	s_waitcnt lgkmcnt(0)
	v_fma_f64 v[120:121], -v[192:193], v[16:17], v[120:121]
	ds_read_b64 v[16:17], v49 offset:456
	v_fma_f64 v[176:177], -v[192:193], v[18:19], v[176:177]
	s_waitcnt lgkmcnt(0)
	v_fma_f64 v[232:233], -v[192:193], v[16:17], v[232:233]
.LBB115_206:
	s_or_b64 exec, exec, s[2:3]
	v_cmp_eq_u32_e32 vcc, 41, v50
	s_waitcnt lgkmcnt(0)
	s_barrier
	s_and_saveexec_b64 s[2:3], vcc
	s_cbranch_execz .LBB115_209
; %bb.207:
	v_mov_b32_e32 v16, v190
	v_mov_b32_e32 v17, v191
	v_mov_b32_e32 v18, v132
	v_mov_b32_e32 v19, v133
	ds_write_b64 v48, v[134:135]
	ds_write2_b64 v49, v[16:17], v[18:19] offset0:42 offset1:43
	v_mov_b32_e32 v16, v188
	v_mov_b32_e32 v17, v189
	v_mov_b32_e32 v18, v130
	v_mov_b32_e32 v19, v131
	ds_write2_b64 v49, v[16:17], v[18:19] offset0:44 offset1:45
	v_mov_b32_e32 v16, v186
	v_mov_b32_e32 v17, v187
	v_mov_b32_e32 v18, v128
	v_mov_b32_e32 v19, v129
	;; [unrolled: 5-line block ×6, first 2 shown]
	ds_write2_b64 v49, v[16:17], v[18:19] offset0:54 offset1:55
	v_mov_b32_e32 v16, v176
	v_mov_b32_e32 v17, v177
	ds_write2_b64 v49, v[16:17], v[232:233] offset0:56 offset1:57
	ds_read_b64 v[16:17], v48
	s_waitcnt lgkmcnt(0)
	v_cmp_neq_f64_e32 vcc, 0, v[16:17]
	s_and_b64 exec, exec, vcc
	s_cbranch_execz .LBB115_209
; %bb.208:
	v_div_scale_f64 v[18:19], s[6:7], v[16:17], v[16:17], 1.0
	v_rcp_f64_e32 v[20:21], v[18:19]
	v_div_scale_f64 v[22:23], vcc, 1.0, v[16:17], 1.0
	v_fma_f64 v[24:25], -v[18:19], v[20:21], 1.0
	v_fmac_f64_e32 v[20:21], v[20:21], v[24:25]
	v_fma_f64 v[24:25], -v[18:19], v[20:21], 1.0
	v_fmac_f64_e32 v[20:21], v[20:21], v[24:25]
	v_mul_f64 v[24:25], v[22:23], v[20:21]
	v_fma_f64 v[18:19], -v[18:19], v[24:25], v[22:23]
	v_div_fmas_f64 v[18:19], v[18:19], v[20:21], v[24:25]
	v_div_fixup_f64 v[16:17], v[18:19], v[16:17], 1.0
	ds_write_b64 v48, v[16:17]
.LBB115_209:
	s_or_b64 exec, exec, s[2:3]
	s_waitcnt lgkmcnt(0)
	s_barrier
	ds_read_b64 v[16:17], v48
	v_cmp_lt_u32_e32 vcc, 41, v50
	s_and_saveexec_b64 s[2:3], vcc
	s_cbranch_execz .LBB115_211
; %bb.210:
	ds_read2_b64 v[18:21], v49 offset0:42 offset1:43
	s_waitcnt lgkmcnt(1)
	v_mul_f64 v[134:135], v[16:17], v[134:135]
	s_waitcnt lgkmcnt(0)
	v_fma_f64 v[190:191], -v[134:135], v[18:19], v[190:191]
	v_fma_f64 v[132:133], -v[134:135], v[20:21], v[132:133]
	ds_read2_b64 v[18:21], v49 offset0:44 offset1:45
	s_waitcnt lgkmcnt(0)
	v_fma_f64 v[188:189], -v[134:135], v[18:19], v[188:189]
	v_fma_f64 v[130:131], -v[134:135], v[20:21], v[130:131]
	ds_read2_b64 v[18:21], v49 offset0:46 offset1:47
	s_waitcnt lgkmcnt(0)
	v_fma_f64 v[186:187], -v[134:135], v[18:19], v[186:187]
	v_fma_f64 v[128:129], -v[134:135], v[20:21], v[128:129]
	ds_read2_b64 v[18:21], v49 offset0:48 offset1:49
	s_waitcnt lgkmcnt(0)
	v_fma_f64 v[184:185], -v[134:135], v[18:19], v[184:185]
	v_fma_f64 v[126:127], -v[134:135], v[20:21], v[126:127]
	ds_read2_b64 v[18:21], v49 offset0:50 offset1:51
	s_waitcnt lgkmcnt(0)
	v_fma_f64 v[182:183], -v[134:135], v[18:19], v[182:183]
	v_fma_f64 v[124:125], -v[134:135], v[20:21], v[124:125]
	ds_read2_b64 v[18:21], v49 offset0:52 offset1:53
	s_waitcnt lgkmcnt(0)
	v_fma_f64 v[180:181], -v[134:135], v[18:19], v[180:181]
	v_fma_f64 v[122:123], -v[134:135], v[20:21], v[122:123]
	ds_read2_b64 v[18:21], v49 offset0:54 offset1:55
	s_waitcnt lgkmcnt(0)
	v_fma_f64 v[178:179], -v[134:135], v[18:19], v[178:179]
	v_fma_f64 v[120:121], -v[134:135], v[20:21], v[120:121]
	ds_read2_b64 v[18:21], v49 offset0:56 offset1:57
	s_waitcnt lgkmcnt(0)
	v_fma_f64 v[176:177], -v[134:135], v[18:19], v[176:177]
	v_fma_f64 v[232:233], -v[134:135], v[20:21], v[232:233]
.LBB115_211:
	s_or_b64 exec, exec, s[2:3]
	v_cmp_eq_u32_e32 vcc, 42, v50
	s_waitcnt lgkmcnt(0)
	s_barrier
	s_and_saveexec_b64 s[2:3], vcc
	s_cbranch_execz .LBB115_214
; %bb.212:
	ds_write_b64 v48, v[190:191]
	ds_write2_b64 v49, v[132:133], v[188:189] offset0:43 offset1:44
	ds_write2_b64 v49, v[130:131], v[186:187] offset0:45 offset1:46
	;; [unrolled: 1-line block ×7, first 2 shown]
	ds_write_b64 v49, v[232:233] offset:456
	ds_read_b64 v[18:19], v48
	s_waitcnt lgkmcnt(0)
	v_cmp_neq_f64_e32 vcc, 0, v[18:19]
	s_and_b64 exec, exec, vcc
	s_cbranch_execz .LBB115_214
; %bb.213:
	v_div_scale_f64 v[20:21], s[6:7], v[18:19], v[18:19], 1.0
	v_rcp_f64_e32 v[22:23], v[20:21]
	v_div_scale_f64 v[24:25], vcc, 1.0, v[18:19], 1.0
	v_fma_f64 v[26:27], -v[20:21], v[22:23], 1.0
	v_fmac_f64_e32 v[22:23], v[22:23], v[26:27]
	v_fma_f64 v[26:27], -v[20:21], v[22:23], 1.0
	v_fmac_f64_e32 v[22:23], v[22:23], v[26:27]
	v_mul_f64 v[26:27], v[24:25], v[22:23]
	v_fma_f64 v[20:21], -v[20:21], v[26:27], v[24:25]
	v_div_fmas_f64 v[20:21], v[20:21], v[22:23], v[26:27]
	v_div_fixup_f64 v[18:19], v[20:21], v[18:19], 1.0
	ds_write_b64 v48, v[18:19]
.LBB115_214:
	s_or_b64 exec, exec, s[2:3]
	s_waitcnt lgkmcnt(0)
	s_barrier
	ds_read_b64 v[18:19], v48
	v_cmp_lt_u32_e32 vcc, 42, v50
	s_and_saveexec_b64 s[2:3], vcc
	s_cbranch_execz .LBB115_216
; %bb.215:
	ds_read2_b64 v[20:23], v49 offset0:43 offset1:44
	s_waitcnt lgkmcnt(1)
	v_mul_f64 v[190:191], v[18:19], v[190:191]
	s_waitcnt lgkmcnt(0)
	v_fma_f64 v[132:133], -v[190:191], v[20:21], v[132:133]
	v_fma_f64 v[188:189], -v[190:191], v[22:23], v[188:189]
	ds_read2_b64 v[20:23], v49 offset0:45 offset1:46
	s_waitcnt lgkmcnt(0)
	v_fma_f64 v[130:131], -v[190:191], v[20:21], v[130:131]
	v_fma_f64 v[186:187], -v[190:191], v[22:23], v[186:187]
	ds_read2_b64 v[20:23], v49 offset0:47 offset1:48
	;; [unrolled: 4-line block ×6, first 2 shown]
	s_waitcnt lgkmcnt(0)
	v_fma_f64 v[120:121], -v[190:191], v[20:21], v[120:121]
	ds_read_b64 v[20:21], v49 offset:456
	v_fma_f64 v[176:177], -v[190:191], v[22:23], v[176:177]
	s_waitcnt lgkmcnt(0)
	v_fma_f64 v[232:233], -v[190:191], v[20:21], v[232:233]
.LBB115_216:
	s_or_b64 exec, exec, s[2:3]
	v_cmp_eq_u32_e32 vcc, 43, v50
	s_waitcnt lgkmcnt(0)
	s_barrier
	s_and_saveexec_b64 s[2:3], vcc
	s_cbranch_execz .LBB115_219
; %bb.217:
	v_mov_b32_e32 v20, v188
	v_mov_b32_e32 v21, v189
	;; [unrolled: 1-line block ×4, first 2 shown]
	ds_write_b64 v48, v[132:133]
	ds_write2_b64 v49, v[20:21], v[22:23] offset0:44 offset1:45
	v_mov_b32_e32 v20, v186
	v_mov_b32_e32 v21, v187
	v_mov_b32_e32 v22, v128
	v_mov_b32_e32 v23, v129
	ds_write2_b64 v49, v[20:21], v[22:23] offset0:46 offset1:47
	v_mov_b32_e32 v20, v184
	v_mov_b32_e32 v21, v185
	v_mov_b32_e32 v22, v126
	v_mov_b32_e32 v23, v127
	;; [unrolled: 5-line block ×5, first 2 shown]
	ds_write2_b64 v49, v[20:21], v[22:23] offset0:54 offset1:55
	v_mov_b32_e32 v20, v176
	v_mov_b32_e32 v21, v177
	ds_write2_b64 v49, v[20:21], v[232:233] offset0:56 offset1:57
	ds_read_b64 v[20:21], v48
	s_waitcnt lgkmcnt(0)
	v_cmp_neq_f64_e32 vcc, 0, v[20:21]
	s_and_b64 exec, exec, vcc
	s_cbranch_execz .LBB115_219
; %bb.218:
	v_div_scale_f64 v[22:23], s[6:7], v[20:21], v[20:21], 1.0
	v_rcp_f64_e32 v[24:25], v[22:23]
	v_div_scale_f64 v[26:27], vcc, 1.0, v[20:21], 1.0
	v_fma_f64 v[28:29], -v[22:23], v[24:25], 1.0
	v_fmac_f64_e32 v[24:25], v[24:25], v[28:29]
	v_fma_f64 v[28:29], -v[22:23], v[24:25], 1.0
	v_fmac_f64_e32 v[24:25], v[24:25], v[28:29]
	v_mul_f64 v[28:29], v[26:27], v[24:25]
	v_fma_f64 v[22:23], -v[22:23], v[28:29], v[26:27]
	v_div_fmas_f64 v[22:23], v[22:23], v[24:25], v[28:29]
	v_div_fixup_f64 v[20:21], v[22:23], v[20:21], 1.0
	ds_write_b64 v48, v[20:21]
.LBB115_219:
	s_or_b64 exec, exec, s[2:3]
	s_waitcnt lgkmcnt(0)
	s_barrier
	ds_read_b64 v[20:21], v48
	v_cmp_lt_u32_e32 vcc, 43, v50
	s_and_saveexec_b64 s[2:3], vcc
	s_cbranch_execz .LBB115_221
; %bb.220:
	ds_read2_b64 v[22:25], v49 offset0:44 offset1:45
	s_waitcnt lgkmcnt(1)
	v_mul_f64 v[132:133], v[20:21], v[132:133]
	s_waitcnt lgkmcnt(0)
	v_fma_f64 v[188:189], -v[132:133], v[22:23], v[188:189]
	v_fma_f64 v[130:131], -v[132:133], v[24:25], v[130:131]
	ds_read2_b64 v[22:25], v49 offset0:46 offset1:47
	s_waitcnt lgkmcnt(0)
	v_fma_f64 v[186:187], -v[132:133], v[22:23], v[186:187]
	v_fma_f64 v[128:129], -v[132:133], v[24:25], v[128:129]
	ds_read2_b64 v[22:25], v49 offset0:48 offset1:49
	;; [unrolled: 4-line block ×6, first 2 shown]
	s_waitcnt lgkmcnt(0)
	v_fma_f64 v[176:177], -v[132:133], v[22:23], v[176:177]
	v_fma_f64 v[232:233], -v[132:133], v[24:25], v[232:233]
.LBB115_221:
	s_or_b64 exec, exec, s[2:3]
	v_cmp_eq_u32_e32 vcc, 44, v50
	s_waitcnt lgkmcnt(0)
	s_barrier
	s_and_saveexec_b64 s[2:3], vcc
	s_cbranch_execz .LBB115_224
; %bb.222:
	ds_write_b64 v48, v[188:189]
	ds_write2_b64 v49, v[130:131], v[186:187] offset0:45 offset1:46
	ds_write2_b64 v49, v[128:129], v[184:185] offset0:47 offset1:48
	;; [unrolled: 1-line block ×6, first 2 shown]
	ds_write_b64 v49, v[232:233] offset:456
	ds_read_b64 v[22:23], v48
	s_waitcnt lgkmcnt(0)
	v_cmp_neq_f64_e32 vcc, 0, v[22:23]
	s_and_b64 exec, exec, vcc
	s_cbranch_execz .LBB115_224
; %bb.223:
	v_div_scale_f64 v[24:25], s[6:7], v[22:23], v[22:23], 1.0
	v_rcp_f64_e32 v[26:27], v[24:25]
	v_div_scale_f64 v[28:29], vcc, 1.0, v[22:23], 1.0
	v_fma_f64 v[30:31], -v[24:25], v[26:27], 1.0
	v_fmac_f64_e32 v[26:27], v[26:27], v[30:31]
	v_fma_f64 v[30:31], -v[24:25], v[26:27], 1.0
	v_fmac_f64_e32 v[26:27], v[26:27], v[30:31]
	v_mul_f64 v[30:31], v[28:29], v[26:27]
	v_fma_f64 v[24:25], -v[24:25], v[30:31], v[28:29]
	v_div_fmas_f64 v[24:25], v[24:25], v[26:27], v[30:31]
	v_div_fixup_f64 v[22:23], v[24:25], v[22:23], 1.0
	ds_write_b64 v48, v[22:23]
.LBB115_224:
	s_or_b64 exec, exec, s[2:3]
	s_waitcnt lgkmcnt(0)
	s_barrier
	ds_read_b64 v[22:23], v48
	v_cmp_lt_u32_e32 vcc, 44, v50
	s_and_saveexec_b64 s[2:3], vcc
	s_cbranch_execz .LBB115_226
; %bb.225:
	ds_read2_b64 v[24:27], v49 offset0:45 offset1:46
	s_waitcnt lgkmcnt(1)
	v_mul_f64 v[188:189], v[22:23], v[188:189]
	s_waitcnt lgkmcnt(0)
	v_fma_f64 v[130:131], -v[188:189], v[24:25], v[130:131]
	v_fma_f64 v[186:187], -v[188:189], v[26:27], v[186:187]
	ds_read2_b64 v[24:27], v49 offset0:47 offset1:48
	s_waitcnt lgkmcnt(0)
	v_fma_f64 v[128:129], -v[188:189], v[24:25], v[128:129]
	v_fma_f64 v[184:185], -v[188:189], v[26:27], v[184:185]
	ds_read2_b64 v[24:27], v49 offset0:49 offset1:50
	s_waitcnt lgkmcnt(0)
	v_fma_f64 v[126:127], -v[188:189], v[24:25], v[126:127]
	v_fma_f64 v[182:183], -v[188:189], v[26:27], v[182:183]
	ds_read2_b64 v[24:27], v49 offset0:51 offset1:52
	s_waitcnt lgkmcnt(0)
	v_fma_f64 v[124:125], -v[188:189], v[24:25], v[124:125]
	v_fma_f64 v[180:181], -v[188:189], v[26:27], v[180:181]
	ds_read2_b64 v[24:27], v49 offset0:53 offset1:54
	s_waitcnt lgkmcnt(0)
	v_fma_f64 v[122:123], -v[188:189], v[24:25], v[122:123]
	v_fma_f64 v[178:179], -v[188:189], v[26:27], v[178:179]
	ds_read2_b64 v[24:27], v49 offset0:55 offset1:56
	s_waitcnt lgkmcnt(0)
	v_fma_f64 v[120:121], -v[188:189], v[24:25], v[120:121]
	ds_read_b64 v[24:25], v49 offset:456
	v_fma_f64 v[176:177], -v[188:189], v[26:27], v[176:177]
	s_waitcnt lgkmcnt(0)
	v_fma_f64 v[232:233], -v[188:189], v[24:25], v[232:233]
.LBB115_226:
	s_or_b64 exec, exec, s[2:3]
	v_cmp_eq_u32_e32 vcc, 45, v50
	s_waitcnt lgkmcnt(0)
	s_barrier
	s_and_saveexec_b64 s[2:3], vcc
	s_cbranch_execz .LBB115_229
; %bb.227:
	v_mov_b32_e32 v24, v186
	v_mov_b32_e32 v25, v187
	;; [unrolled: 1-line block ×4, first 2 shown]
	ds_write_b64 v48, v[130:131]
	ds_write2_b64 v49, v[24:25], v[26:27] offset0:46 offset1:47
	v_mov_b32_e32 v24, v184
	v_mov_b32_e32 v25, v185
	v_mov_b32_e32 v26, v126
	v_mov_b32_e32 v27, v127
	ds_write2_b64 v49, v[24:25], v[26:27] offset0:48 offset1:49
	v_mov_b32_e32 v24, v182
	v_mov_b32_e32 v25, v183
	v_mov_b32_e32 v26, v124
	v_mov_b32_e32 v27, v125
	;; [unrolled: 5-line block ×4, first 2 shown]
	ds_write2_b64 v49, v[24:25], v[26:27] offset0:54 offset1:55
	v_mov_b32_e32 v24, v176
	v_mov_b32_e32 v25, v177
	ds_write2_b64 v49, v[24:25], v[232:233] offset0:56 offset1:57
	ds_read_b64 v[24:25], v48
	s_waitcnt lgkmcnt(0)
	v_cmp_neq_f64_e32 vcc, 0, v[24:25]
	s_and_b64 exec, exec, vcc
	s_cbranch_execz .LBB115_229
; %bb.228:
	v_div_scale_f64 v[26:27], s[6:7], v[24:25], v[24:25], 1.0
	v_rcp_f64_e32 v[28:29], v[26:27]
	v_div_scale_f64 v[30:31], vcc, 1.0, v[24:25], 1.0
	v_fma_f64 v[32:33], -v[26:27], v[28:29], 1.0
	v_fmac_f64_e32 v[28:29], v[28:29], v[32:33]
	v_fma_f64 v[32:33], -v[26:27], v[28:29], 1.0
	v_fmac_f64_e32 v[28:29], v[28:29], v[32:33]
	v_mul_f64 v[32:33], v[30:31], v[28:29]
	v_fma_f64 v[26:27], -v[26:27], v[32:33], v[30:31]
	v_div_fmas_f64 v[26:27], v[26:27], v[28:29], v[32:33]
	v_div_fixup_f64 v[24:25], v[26:27], v[24:25], 1.0
	ds_write_b64 v48, v[24:25]
.LBB115_229:
	s_or_b64 exec, exec, s[2:3]
	s_waitcnt lgkmcnt(0)
	s_barrier
	ds_read_b64 v[24:25], v48
	v_cmp_lt_u32_e32 vcc, 45, v50
	s_and_saveexec_b64 s[2:3], vcc
	s_cbranch_execz .LBB115_231
; %bb.230:
	ds_read2_b64 v[26:29], v49 offset0:46 offset1:47
	s_waitcnt lgkmcnt(1)
	v_mul_f64 v[130:131], v[24:25], v[130:131]
	s_waitcnt lgkmcnt(0)
	v_fma_f64 v[186:187], -v[130:131], v[26:27], v[186:187]
	v_fma_f64 v[128:129], -v[130:131], v[28:29], v[128:129]
	ds_read2_b64 v[26:29], v49 offset0:48 offset1:49
	s_waitcnt lgkmcnt(0)
	v_fma_f64 v[184:185], -v[130:131], v[26:27], v[184:185]
	v_fma_f64 v[126:127], -v[130:131], v[28:29], v[126:127]
	ds_read2_b64 v[26:29], v49 offset0:50 offset1:51
	;; [unrolled: 4-line block ×5, first 2 shown]
	s_waitcnt lgkmcnt(0)
	v_fma_f64 v[176:177], -v[130:131], v[26:27], v[176:177]
	v_fma_f64 v[232:233], -v[130:131], v[28:29], v[232:233]
.LBB115_231:
	s_or_b64 exec, exec, s[2:3]
	v_cmp_eq_u32_e32 vcc, 46, v50
	s_waitcnt lgkmcnt(0)
	s_barrier
	s_and_saveexec_b64 s[2:3], vcc
	s_cbranch_execz .LBB115_234
; %bb.232:
	ds_write_b64 v48, v[186:187]
	ds_write2_b64 v49, v[128:129], v[184:185] offset0:47 offset1:48
	ds_write2_b64 v49, v[126:127], v[182:183] offset0:49 offset1:50
	;; [unrolled: 1-line block ×5, first 2 shown]
	ds_write_b64 v49, v[232:233] offset:456
	ds_read_b64 v[26:27], v48
	s_waitcnt lgkmcnt(0)
	v_cmp_neq_f64_e32 vcc, 0, v[26:27]
	s_and_b64 exec, exec, vcc
	s_cbranch_execz .LBB115_234
; %bb.233:
	v_div_scale_f64 v[28:29], s[6:7], v[26:27], v[26:27], 1.0
	v_rcp_f64_e32 v[30:31], v[28:29]
	v_div_scale_f64 v[32:33], vcc, 1.0, v[26:27], 1.0
	v_fma_f64 v[34:35], -v[28:29], v[30:31], 1.0
	v_fmac_f64_e32 v[30:31], v[30:31], v[34:35]
	v_fma_f64 v[34:35], -v[28:29], v[30:31], 1.0
	v_fmac_f64_e32 v[30:31], v[30:31], v[34:35]
	v_mul_f64 v[34:35], v[32:33], v[30:31]
	v_fma_f64 v[28:29], -v[28:29], v[34:35], v[32:33]
	v_div_fmas_f64 v[28:29], v[28:29], v[30:31], v[34:35]
	v_div_fixup_f64 v[26:27], v[28:29], v[26:27], 1.0
	ds_write_b64 v48, v[26:27]
.LBB115_234:
	s_or_b64 exec, exec, s[2:3]
	s_waitcnt lgkmcnt(0)
	s_barrier
	ds_read_b64 v[26:27], v48
	v_cmp_lt_u32_e32 vcc, 46, v50
	s_and_saveexec_b64 s[2:3], vcc
	s_cbranch_execz .LBB115_236
; %bb.235:
	ds_read2_b64 v[28:31], v49 offset0:47 offset1:48
	s_waitcnt lgkmcnt(1)
	v_mul_f64 v[186:187], v[26:27], v[186:187]
	s_waitcnt lgkmcnt(0)
	v_fma_f64 v[128:129], -v[186:187], v[28:29], v[128:129]
	v_fma_f64 v[184:185], -v[186:187], v[30:31], v[184:185]
	ds_read2_b64 v[28:31], v49 offset0:49 offset1:50
	s_waitcnt lgkmcnt(0)
	v_fma_f64 v[126:127], -v[186:187], v[28:29], v[126:127]
	v_fma_f64 v[182:183], -v[186:187], v[30:31], v[182:183]
	ds_read2_b64 v[28:31], v49 offset0:51 offset1:52
	s_waitcnt lgkmcnt(0)
	v_fma_f64 v[124:125], -v[186:187], v[28:29], v[124:125]
	v_fma_f64 v[180:181], -v[186:187], v[30:31], v[180:181]
	ds_read2_b64 v[28:31], v49 offset0:53 offset1:54
	s_waitcnt lgkmcnt(0)
	v_fma_f64 v[122:123], -v[186:187], v[28:29], v[122:123]
	v_fma_f64 v[178:179], -v[186:187], v[30:31], v[178:179]
	ds_read2_b64 v[28:31], v49 offset0:55 offset1:56
	s_waitcnt lgkmcnt(0)
	v_fma_f64 v[120:121], -v[186:187], v[28:29], v[120:121]
	ds_read_b64 v[28:29], v49 offset:456
	v_fma_f64 v[176:177], -v[186:187], v[30:31], v[176:177]
	s_waitcnt lgkmcnt(0)
	v_fma_f64 v[232:233], -v[186:187], v[28:29], v[232:233]
.LBB115_236:
	s_or_b64 exec, exec, s[2:3]
	v_cmp_eq_u32_e32 vcc, 47, v50
	s_waitcnt lgkmcnt(0)
	s_barrier
	s_and_saveexec_b64 s[2:3], vcc
	s_cbranch_execz .LBB115_239
; %bb.237:
	v_mov_b32_e32 v28, v184
	v_mov_b32_e32 v29, v185
	;; [unrolled: 1-line block ×4, first 2 shown]
	ds_write_b64 v48, v[128:129]
	ds_write2_b64 v49, v[28:29], v[30:31] offset0:48 offset1:49
	v_mov_b32_e32 v28, v182
	v_mov_b32_e32 v29, v183
	v_mov_b32_e32 v30, v124
	v_mov_b32_e32 v31, v125
	ds_write2_b64 v49, v[28:29], v[30:31] offset0:50 offset1:51
	v_mov_b32_e32 v28, v180
	v_mov_b32_e32 v29, v181
	v_mov_b32_e32 v30, v122
	v_mov_b32_e32 v31, v123
	;; [unrolled: 5-line block ×3, first 2 shown]
	ds_write2_b64 v49, v[28:29], v[30:31] offset0:54 offset1:55
	v_mov_b32_e32 v28, v176
	v_mov_b32_e32 v29, v177
	ds_write2_b64 v49, v[28:29], v[232:233] offset0:56 offset1:57
	ds_read_b64 v[28:29], v48
	s_waitcnt lgkmcnt(0)
	v_cmp_neq_f64_e32 vcc, 0, v[28:29]
	s_and_b64 exec, exec, vcc
	s_cbranch_execz .LBB115_239
; %bb.238:
	v_div_scale_f64 v[30:31], s[6:7], v[28:29], v[28:29], 1.0
	v_rcp_f64_e32 v[32:33], v[30:31]
	v_div_scale_f64 v[34:35], vcc, 1.0, v[28:29], 1.0
	v_fma_f64 v[36:37], -v[30:31], v[32:33], 1.0
	v_fmac_f64_e32 v[32:33], v[32:33], v[36:37]
	v_fma_f64 v[36:37], -v[30:31], v[32:33], 1.0
	v_fmac_f64_e32 v[32:33], v[32:33], v[36:37]
	v_mul_f64 v[36:37], v[34:35], v[32:33]
	v_fma_f64 v[30:31], -v[30:31], v[36:37], v[34:35]
	v_div_fmas_f64 v[30:31], v[30:31], v[32:33], v[36:37]
	v_div_fixup_f64 v[28:29], v[30:31], v[28:29], 1.0
	ds_write_b64 v48, v[28:29]
.LBB115_239:
	s_or_b64 exec, exec, s[2:3]
	s_waitcnt lgkmcnt(0)
	s_barrier
	ds_read_b64 v[28:29], v48
	v_cmp_lt_u32_e32 vcc, 47, v50
	s_and_saveexec_b64 s[2:3], vcc
	s_cbranch_execz .LBB115_241
; %bb.240:
	ds_read2_b64 v[30:33], v49 offset0:48 offset1:49
	s_waitcnt lgkmcnt(1)
	v_mul_f64 v[128:129], v[28:29], v[128:129]
	s_waitcnt lgkmcnt(0)
	v_fma_f64 v[184:185], -v[128:129], v[30:31], v[184:185]
	v_fma_f64 v[126:127], -v[128:129], v[32:33], v[126:127]
	ds_read2_b64 v[30:33], v49 offset0:50 offset1:51
	s_waitcnt lgkmcnt(0)
	v_fma_f64 v[182:183], -v[128:129], v[30:31], v[182:183]
	v_fma_f64 v[124:125], -v[128:129], v[32:33], v[124:125]
	ds_read2_b64 v[30:33], v49 offset0:52 offset1:53
	;; [unrolled: 4-line block ×4, first 2 shown]
	s_waitcnt lgkmcnt(0)
	v_fma_f64 v[176:177], -v[128:129], v[30:31], v[176:177]
	v_fma_f64 v[232:233], -v[128:129], v[32:33], v[232:233]
.LBB115_241:
	s_or_b64 exec, exec, s[2:3]
	v_cmp_eq_u32_e32 vcc, 48, v50
	s_waitcnt lgkmcnt(0)
	s_barrier
	s_and_saveexec_b64 s[2:3], vcc
	s_cbranch_execz .LBB115_244
; %bb.242:
	ds_write_b64 v48, v[184:185]
	ds_write2_b64 v49, v[126:127], v[182:183] offset0:49 offset1:50
	ds_write2_b64 v49, v[124:125], v[180:181] offset0:51 offset1:52
	;; [unrolled: 1-line block ×4, first 2 shown]
	ds_write_b64 v49, v[232:233] offset:456
	ds_read_b64 v[30:31], v48
	s_waitcnt lgkmcnt(0)
	v_cmp_neq_f64_e32 vcc, 0, v[30:31]
	s_and_b64 exec, exec, vcc
	s_cbranch_execz .LBB115_244
; %bb.243:
	v_div_scale_f64 v[32:33], s[6:7], v[30:31], v[30:31], 1.0
	v_rcp_f64_e32 v[34:35], v[32:33]
	v_div_scale_f64 v[36:37], vcc, 1.0, v[30:31], 1.0
	v_fma_f64 v[38:39], -v[32:33], v[34:35], 1.0
	v_fmac_f64_e32 v[34:35], v[34:35], v[38:39]
	v_fma_f64 v[38:39], -v[32:33], v[34:35], 1.0
	v_fmac_f64_e32 v[34:35], v[34:35], v[38:39]
	v_mul_f64 v[38:39], v[36:37], v[34:35]
	v_fma_f64 v[32:33], -v[32:33], v[38:39], v[36:37]
	v_div_fmas_f64 v[32:33], v[32:33], v[34:35], v[38:39]
	v_div_fixup_f64 v[30:31], v[32:33], v[30:31], 1.0
	ds_write_b64 v48, v[30:31]
.LBB115_244:
	s_or_b64 exec, exec, s[2:3]
	s_waitcnt lgkmcnt(0)
	s_barrier
	ds_read_b64 v[30:31], v48
	v_cmp_lt_u32_e32 vcc, 48, v50
	s_and_saveexec_b64 s[2:3], vcc
	s_cbranch_execz .LBB115_246
; %bb.245:
	ds_read2_b64 v[32:35], v49 offset0:49 offset1:50
	s_waitcnt lgkmcnt(1)
	v_mul_f64 v[184:185], v[30:31], v[184:185]
	s_waitcnt lgkmcnt(0)
	v_fma_f64 v[126:127], -v[184:185], v[32:33], v[126:127]
	v_fma_f64 v[182:183], -v[184:185], v[34:35], v[182:183]
	ds_read2_b64 v[32:35], v49 offset0:51 offset1:52
	s_waitcnt lgkmcnt(0)
	v_fma_f64 v[124:125], -v[184:185], v[32:33], v[124:125]
	v_fma_f64 v[180:181], -v[184:185], v[34:35], v[180:181]
	ds_read2_b64 v[32:35], v49 offset0:53 offset1:54
	;; [unrolled: 4-line block ×3, first 2 shown]
	s_waitcnt lgkmcnt(0)
	v_fma_f64 v[120:121], -v[184:185], v[32:33], v[120:121]
	ds_read_b64 v[32:33], v49 offset:456
	v_fma_f64 v[176:177], -v[184:185], v[34:35], v[176:177]
	s_waitcnt lgkmcnt(0)
	v_fma_f64 v[232:233], -v[184:185], v[32:33], v[232:233]
.LBB115_246:
	s_or_b64 exec, exec, s[2:3]
	v_cmp_eq_u32_e32 vcc, 49, v50
	s_waitcnt lgkmcnt(0)
	s_barrier
	s_and_saveexec_b64 s[2:3], vcc
	s_cbranch_execz .LBB115_249
; %bb.247:
	v_mov_b32_e32 v32, v182
	v_mov_b32_e32 v33, v183
	;; [unrolled: 1-line block ×4, first 2 shown]
	ds_write_b64 v48, v[126:127]
	ds_write2_b64 v49, v[32:33], v[34:35] offset0:50 offset1:51
	v_mov_b32_e32 v32, v180
	v_mov_b32_e32 v33, v181
	;; [unrolled: 1-line block ×4, first 2 shown]
	ds_write2_b64 v49, v[32:33], v[34:35] offset0:52 offset1:53
	v_mov_b32_e32 v32, v178
	v_mov_b32_e32 v33, v179
	;; [unrolled: 1-line block ×4, first 2 shown]
	ds_write2_b64 v49, v[32:33], v[34:35] offset0:54 offset1:55
	v_mov_b32_e32 v32, v176
	v_mov_b32_e32 v33, v177
	ds_write2_b64 v49, v[32:33], v[232:233] offset0:56 offset1:57
	ds_read_b64 v[32:33], v48
	s_waitcnt lgkmcnt(0)
	v_cmp_neq_f64_e32 vcc, 0, v[32:33]
	s_and_b64 exec, exec, vcc
	s_cbranch_execz .LBB115_249
; %bb.248:
	v_div_scale_f64 v[34:35], s[6:7], v[32:33], v[32:33], 1.0
	v_rcp_f64_e32 v[36:37], v[34:35]
	v_div_scale_f64 v[38:39], vcc, 1.0, v[32:33], 1.0
	v_fma_f64 v[40:41], -v[34:35], v[36:37], 1.0
	v_fmac_f64_e32 v[36:37], v[36:37], v[40:41]
	v_fma_f64 v[40:41], -v[34:35], v[36:37], 1.0
	v_fmac_f64_e32 v[36:37], v[36:37], v[40:41]
	v_mul_f64 v[40:41], v[38:39], v[36:37]
	v_fma_f64 v[34:35], -v[34:35], v[40:41], v[38:39]
	v_div_fmas_f64 v[34:35], v[34:35], v[36:37], v[40:41]
	v_div_fixup_f64 v[32:33], v[34:35], v[32:33], 1.0
	ds_write_b64 v48, v[32:33]
.LBB115_249:
	s_or_b64 exec, exec, s[2:3]
	s_waitcnt lgkmcnt(0)
	s_barrier
	ds_read_b64 v[32:33], v48
	v_cmp_lt_u32_e32 vcc, 49, v50
	s_and_saveexec_b64 s[2:3], vcc
	s_cbranch_execz .LBB115_251
; %bb.250:
	ds_read2_b64 v[34:37], v49 offset0:50 offset1:51
	s_waitcnt lgkmcnt(1)
	v_mul_f64 v[126:127], v[32:33], v[126:127]
	s_waitcnt lgkmcnt(0)
	v_fma_f64 v[182:183], -v[126:127], v[34:35], v[182:183]
	v_fma_f64 v[124:125], -v[126:127], v[36:37], v[124:125]
	ds_read2_b64 v[34:37], v49 offset0:52 offset1:53
	s_waitcnt lgkmcnt(0)
	v_fma_f64 v[180:181], -v[126:127], v[34:35], v[180:181]
	v_fma_f64 v[122:123], -v[126:127], v[36:37], v[122:123]
	ds_read2_b64 v[34:37], v49 offset0:54 offset1:55
	;; [unrolled: 4-line block ×3, first 2 shown]
	s_waitcnt lgkmcnt(0)
	v_fma_f64 v[176:177], -v[126:127], v[34:35], v[176:177]
	v_fma_f64 v[232:233], -v[126:127], v[36:37], v[232:233]
.LBB115_251:
	s_or_b64 exec, exec, s[2:3]
	v_cmp_eq_u32_e32 vcc, 50, v50
	s_waitcnt lgkmcnt(0)
	s_barrier
	s_and_saveexec_b64 s[2:3], vcc
	s_cbranch_execz .LBB115_254
; %bb.252:
	ds_write_b64 v48, v[182:183]
	ds_write2_b64 v49, v[124:125], v[180:181] offset0:51 offset1:52
	ds_write2_b64 v49, v[122:123], v[178:179] offset0:53 offset1:54
	;; [unrolled: 1-line block ×3, first 2 shown]
	ds_write_b64 v49, v[232:233] offset:456
	ds_read_b64 v[34:35], v48
	s_waitcnt lgkmcnt(0)
	v_cmp_neq_f64_e32 vcc, 0, v[34:35]
	s_and_b64 exec, exec, vcc
	s_cbranch_execz .LBB115_254
; %bb.253:
	v_div_scale_f64 v[36:37], s[6:7], v[34:35], v[34:35], 1.0
	v_rcp_f64_e32 v[38:39], v[36:37]
	v_div_scale_f64 v[40:41], vcc, 1.0, v[34:35], 1.0
	v_fma_f64 v[42:43], -v[36:37], v[38:39], 1.0
	v_fmac_f64_e32 v[38:39], v[38:39], v[42:43]
	v_fma_f64 v[42:43], -v[36:37], v[38:39], 1.0
	v_fmac_f64_e32 v[38:39], v[38:39], v[42:43]
	v_mul_f64 v[42:43], v[40:41], v[38:39]
	v_fma_f64 v[36:37], -v[36:37], v[42:43], v[40:41]
	v_div_fmas_f64 v[36:37], v[36:37], v[38:39], v[42:43]
	v_div_fixup_f64 v[34:35], v[36:37], v[34:35], 1.0
	ds_write_b64 v48, v[34:35]
.LBB115_254:
	s_or_b64 exec, exec, s[2:3]
	s_waitcnt lgkmcnt(0)
	s_barrier
	ds_read_b64 v[34:35], v48
	v_cmp_lt_u32_e32 vcc, 50, v50
	s_and_saveexec_b64 s[2:3], vcc
	s_cbranch_execz .LBB115_256
; %bb.255:
	ds_read2_b64 v[36:39], v49 offset0:51 offset1:52
	s_waitcnt lgkmcnt(1)
	v_mul_f64 v[182:183], v[34:35], v[182:183]
	s_waitcnt lgkmcnt(0)
	v_fma_f64 v[124:125], -v[182:183], v[36:37], v[124:125]
	v_fma_f64 v[180:181], -v[182:183], v[38:39], v[180:181]
	ds_read2_b64 v[36:39], v49 offset0:53 offset1:54
	s_waitcnt lgkmcnt(0)
	v_fma_f64 v[122:123], -v[182:183], v[36:37], v[122:123]
	v_fma_f64 v[178:179], -v[182:183], v[38:39], v[178:179]
	ds_read2_b64 v[36:39], v49 offset0:55 offset1:56
	s_waitcnt lgkmcnt(0)
	v_fma_f64 v[120:121], -v[182:183], v[36:37], v[120:121]
	ds_read_b64 v[36:37], v49 offset:456
	v_fma_f64 v[176:177], -v[182:183], v[38:39], v[176:177]
	s_waitcnt lgkmcnt(0)
	v_fma_f64 v[232:233], -v[182:183], v[36:37], v[232:233]
.LBB115_256:
	s_or_b64 exec, exec, s[2:3]
	v_cmp_eq_u32_e32 vcc, 51, v50
	s_waitcnt lgkmcnt(0)
	s_barrier
	s_and_saveexec_b64 s[2:3], vcc
	s_cbranch_execz .LBB115_259
; %bb.257:
	v_mov_b32_e32 v36, v180
	v_mov_b32_e32 v37, v181
	;; [unrolled: 1-line block ×4, first 2 shown]
	ds_write_b64 v48, v[124:125]
	ds_write2_b64 v49, v[36:37], v[38:39] offset0:52 offset1:53
	v_mov_b32_e32 v36, v178
	v_mov_b32_e32 v37, v179
	v_mov_b32_e32 v38, v120
	v_mov_b32_e32 v39, v121
	ds_write2_b64 v49, v[36:37], v[38:39] offset0:54 offset1:55
	v_mov_b32_e32 v36, v176
	v_mov_b32_e32 v37, v177
	ds_write2_b64 v49, v[36:37], v[232:233] offset0:56 offset1:57
	ds_read_b64 v[36:37], v48
	s_waitcnt lgkmcnt(0)
	v_cmp_neq_f64_e32 vcc, 0, v[36:37]
	s_and_b64 exec, exec, vcc
	s_cbranch_execz .LBB115_259
; %bb.258:
	v_div_scale_f64 v[38:39], s[6:7], v[36:37], v[36:37], 1.0
	v_rcp_f64_e32 v[40:41], v[38:39]
	v_div_scale_f64 v[42:43], vcc, 1.0, v[36:37], 1.0
	v_fma_f64 v[44:45], -v[38:39], v[40:41], 1.0
	v_fmac_f64_e32 v[40:41], v[40:41], v[44:45]
	v_fma_f64 v[44:45], -v[38:39], v[40:41], 1.0
	v_fmac_f64_e32 v[40:41], v[40:41], v[44:45]
	v_mul_f64 v[44:45], v[42:43], v[40:41]
	v_fma_f64 v[38:39], -v[38:39], v[44:45], v[42:43]
	v_div_fmas_f64 v[38:39], v[38:39], v[40:41], v[44:45]
	v_div_fixup_f64 v[36:37], v[38:39], v[36:37], 1.0
	ds_write_b64 v48, v[36:37]
.LBB115_259:
	s_or_b64 exec, exec, s[2:3]
	s_waitcnt lgkmcnt(0)
	s_barrier
	ds_read_b64 v[36:37], v48
	v_cmp_lt_u32_e32 vcc, 51, v50
	s_and_saveexec_b64 s[2:3], vcc
	s_cbranch_execz .LBB115_261
; %bb.260:
	ds_read2_b64 v[38:41], v49 offset0:52 offset1:53
	s_waitcnt lgkmcnt(1)
	v_mul_f64 v[124:125], v[36:37], v[124:125]
	s_waitcnt lgkmcnt(0)
	v_fma_f64 v[180:181], -v[124:125], v[38:39], v[180:181]
	v_fma_f64 v[122:123], -v[124:125], v[40:41], v[122:123]
	ds_read2_b64 v[38:41], v49 offset0:54 offset1:55
	s_waitcnt lgkmcnt(0)
	v_fma_f64 v[178:179], -v[124:125], v[38:39], v[178:179]
	v_fma_f64 v[120:121], -v[124:125], v[40:41], v[120:121]
	ds_read2_b64 v[38:41], v49 offset0:56 offset1:57
	s_waitcnt lgkmcnt(0)
	v_fma_f64 v[176:177], -v[124:125], v[38:39], v[176:177]
	v_fma_f64 v[232:233], -v[124:125], v[40:41], v[232:233]
.LBB115_261:
	s_or_b64 exec, exec, s[2:3]
	v_cmp_eq_u32_e32 vcc, 52, v50
	s_waitcnt lgkmcnt(0)
	s_barrier
	s_and_saveexec_b64 s[2:3], vcc
	s_cbranch_execz .LBB115_264
; %bb.262:
	ds_write_b64 v48, v[180:181]
	ds_write2_b64 v49, v[122:123], v[178:179] offset0:53 offset1:54
	ds_write2_b64 v49, v[120:121], v[176:177] offset0:55 offset1:56
	ds_write_b64 v49, v[232:233] offset:456
	ds_read_b64 v[38:39], v48
	s_waitcnt lgkmcnt(0)
	v_cmp_neq_f64_e32 vcc, 0, v[38:39]
	s_and_b64 exec, exec, vcc
	s_cbranch_execz .LBB115_264
; %bb.263:
	v_div_scale_f64 v[40:41], s[6:7], v[38:39], v[38:39], 1.0
	v_rcp_f64_e32 v[42:43], v[40:41]
	v_div_scale_f64 v[44:45], vcc, 1.0, v[38:39], 1.0
	v_fma_f64 v[46:47], -v[40:41], v[42:43], 1.0
	v_fmac_f64_e32 v[42:43], v[42:43], v[46:47]
	v_fma_f64 v[46:47], -v[40:41], v[42:43], 1.0
	v_fmac_f64_e32 v[42:43], v[42:43], v[46:47]
	v_mul_f64 v[46:47], v[44:45], v[42:43]
	v_fma_f64 v[40:41], -v[40:41], v[46:47], v[44:45]
	v_div_fmas_f64 v[40:41], v[40:41], v[42:43], v[46:47]
	v_div_fixup_f64 v[38:39], v[40:41], v[38:39], 1.0
	ds_write_b64 v48, v[38:39]
.LBB115_264:
	s_or_b64 exec, exec, s[2:3]
	s_waitcnt lgkmcnt(0)
	s_barrier
	ds_read_b64 v[38:39], v48
	v_cmp_lt_u32_e32 vcc, 52, v50
	s_and_saveexec_b64 s[2:3], vcc
	s_cbranch_execz .LBB115_266
; %bb.265:
	ds_read2_b64 v[40:43], v49 offset0:53 offset1:54
	s_waitcnt lgkmcnt(1)
	v_mul_f64 v[180:181], v[38:39], v[180:181]
	s_waitcnt lgkmcnt(0)
	v_fma_f64 v[122:123], -v[180:181], v[40:41], v[122:123]
	v_fma_f64 v[178:179], -v[180:181], v[42:43], v[178:179]
	ds_read2_b64 v[40:43], v49 offset0:55 offset1:56
	s_waitcnt lgkmcnt(0)
	v_fma_f64 v[120:121], -v[180:181], v[40:41], v[120:121]
	ds_read_b64 v[40:41], v49 offset:456
	v_fma_f64 v[176:177], -v[180:181], v[42:43], v[176:177]
	s_waitcnt lgkmcnt(0)
	v_fma_f64 v[232:233], -v[180:181], v[40:41], v[232:233]
.LBB115_266:
	s_or_b64 exec, exec, s[2:3]
	v_cmp_eq_u32_e32 vcc, 53, v50
	s_waitcnt lgkmcnt(0)
	s_barrier
	s_and_saveexec_b64 s[2:3], vcc
	s_cbranch_execz .LBB115_269
; %bb.267:
	v_mov_b32_e32 v40, v178
	v_mov_b32_e32 v41, v179
	;; [unrolled: 1-line block ×4, first 2 shown]
	ds_write_b64 v48, v[122:123]
	ds_write2_b64 v49, v[40:41], v[42:43] offset0:54 offset1:55
	v_mov_b32_e32 v40, v176
	v_mov_b32_e32 v41, v177
	ds_write2_b64 v49, v[40:41], v[232:233] offset0:56 offset1:57
	ds_read_b64 v[40:41], v48
	s_waitcnt lgkmcnt(0)
	v_cmp_neq_f64_e32 vcc, 0, v[40:41]
	s_and_b64 exec, exec, vcc
	s_cbranch_execz .LBB115_269
; %bb.268:
	v_div_scale_f64 v[42:43], s[6:7], v[40:41], v[40:41], 1.0
	v_rcp_f64_e32 v[44:45], v[42:43]
	v_div_scale_f64 v[46:47], vcc, 1.0, v[40:41], 1.0
	v_fma_f64 v[52:53], -v[42:43], v[44:45], 1.0
	v_fmac_f64_e32 v[44:45], v[44:45], v[52:53]
	v_fma_f64 v[52:53], -v[42:43], v[44:45], 1.0
	v_fmac_f64_e32 v[44:45], v[44:45], v[52:53]
	v_mul_f64 v[52:53], v[46:47], v[44:45]
	v_fma_f64 v[42:43], -v[42:43], v[52:53], v[46:47]
	v_div_fmas_f64 v[42:43], v[42:43], v[44:45], v[52:53]
	v_div_fixup_f64 v[40:41], v[42:43], v[40:41], 1.0
	ds_write_b64 v48, v[40:41]
.LBB115_269:
	s_or_b64 exec, exec, s[2:3]
	s_waitcnt lgkmcnt(0)
	s_barrier
	ds_read_b64 v[40:41], v48
	v_cmp_lt_u32_e32 vcc, 53, v50
	s_and_saveexec_b64 s[2:3], vcc
	s_cbranch_execz .LBB115_271
; %bb.270:
	ds_read2_b64 v[42:45], v49 offset0:54 offset1:55
	s_waitcnt lgkmcnt(1)
	v_mul_f64 v[122:123], v[40:41], v[122:123]
	s_waitcnt lgkmcnt(0)
	v_fma_f64 v[178:179], -v[122:123], v[42:43], v[178:179]
	v_fma_f64 v[120:121], -v[122:123], v[44:45], v[120:121]
	ds_read2_b64 v[42:45], v49 offset0:56 offset1:57
	s_waitcnt lgkmcnt(0)
	v_fma_f64 v[176:177], -v[122:123], v[42:43], v[176:177]
	v_fma_f64 v[232:233], -v[122:123], v[44:45], v[232:233]
.LBB115_271:
	s_or_b64 exec, exec, s[2:3]
	v_cmp_eq_u32_e32 vcc, 54, v50
	s_waitcnt lgkmcnt(0)
	s_barrier
	s_and_saveexec_b64 s[2:3], vcc
	s_cbranch_execz .LBB115_274
; %bb.272:
	ds_write_b64 v48, v[178:179]
	ds_write2_b64 v49, v[120:121], v[176:177] offset0:55 offset1:56
	ds_write_b64 v49, v[232:233] offset:456
	ds_read_b64 v[42:43], v48
	s_waitcnt lgkmcnt(0)
	v_cmp_neq_f64_e32 vcc, 0, v[42:43]
	s_and_b64 exec, exec, vcc
	s_cbranch_execz .LBB115_274
; %bb.273:
	v_div_scale_f64 v[44:45], s[6:7], v[42:43], v[42:43], 1.0
	v_rcp_f64_e32 v[46:47], v[44:45]
	v_div_scale_f64 v[52:53], vcc, 1.0, v[42:43], 1.0
	v_fma_f64 v[54:55], -v[44:45], v[46:47], 1.0
	v_fmac_f64_e32 v[46:47], v[46:47], v[54:55]
	v_fma_f64 v[54:55], -v[44:45], v[46:47], 1.0
	v_fmac_f64_e32 v[46:47], v[46:47], v[54:55]
	v_mul_f64 v[54:55], v[52:53], v[46:47]
	v_fma_f64 v[44:45], -v[44:45], v[54:55], v[52:53]
	v_div_fmas_f64 v[44:45], v[44:45], v[46:47], v[54:55]
	v_div_fixup_f64 v[42:43], v[44:45], v[42:43], 1.0
	ds_write_b64 v48, v[42:43]
.LBB115_274:
	s_or_b64 exec, exec, s[2:3]
	s_waitcnt lgkmcnt(0)
	s_barrier
	ds_read_b64 v[42:43], v48
	v_cmp_lt_u32_e32 vcc, 54, v50
	s_and_saveexec_b64 s[2:3], vcc
	s_cbranch_execz .LBB115_276
; %bb.275:
	ds_read2_b64 v[44:47], v49 offset0:55 offset1:56
	s_waitcnt lgkmcnt(1)
	v_mul_f64 v[178:179], v[42:43], v[178:179]
	s_waitcnt lgkmcnt(0)
	v_fma_f64 v[120:121], -v[178:179], v[44:45], v[120:121]
	ds_read_b64 v[44:45], v49 offset:456
	v_fma_f64 v[176:177], -v[178:179], v[46:47], v[176:177]
	s_waitcnt lgkmcnt(0)
	v_fma_f64 v[232:233], -v[178:179], v[44:45], v[232:233]
.LBB115_276:
	s_or_b64 exec, exec, s[2:3]
	v_cmp_eq_u32_e32 vcc, 55, v50
	s_waitcnt lgkmcnt(0)
	s_barrier
	s_and_saveexec_b64 s[2:3], vcc
	s_cbranch_execz .LBB115_279
; %bb.277:
	v_mov_b32_e32 v44, v176
	v_mov_b32_e32 v45, v177
	ds_write_b64 v48, v[120:121]
	ds_write2_b64 v49, v[44:45], v[232:233] offset0:56 offset1:57
	ds_read_b64 v[44:45], v48
	s_waitcnt lgkmcnt(0)
	v_cmp_neq_f64_e32 vcc, 0, v[44:45]
	s_and_b64 exec, exec, vcc
	s_cbranch_execz .LBB115_279
; %bb.278:
	v_div_scale_f64 v[46:47], s[6:7], v[44:45], v[44:45], 1.0
	v_rcp_f64_e32 v[52:53], v[46:47]
	v_pk_mov_b32 v[2:3], v[56:57], v[56:57] op_sel:[0,1]
	v_div_scale_f64 v[54:55], vcc, 1.0, v[44:45], 1.0
	v_fma_f64 v[56:57], -v[46:47], v[52:53], 1.0
	v_fmac_f64_e32 v[52:53], v[52:53], v[56:57]
	v_fma_f64 v[56:57], -v[46:47], v[52:53], 1.0
	v_fmac_f64_e32 v[52:53], v[52:53], v[56:57]
	v_mul_f64 v[56:57], v[54:55], v[52:53]
	v_fma_f64 v[46:47], -v[46:47], v[56:57], v[54:55]
	v_div_fmas_f64 v[46:47], v[46:47], v[52:53], v[56:57]
	v_pk_mov_b32 v[56:57], v[2:3], v[2:3] op_sel:[0,1]
	v_div_fixup_f64 v[44:45], v[46:47], v[44:45], 1.0
	ds_write_b64 v48, v[44:45]
.LBB115_279:
	s_or_b64 exec, exec, s[2:3]
	s_waitcnt lgkmcnt(0)
	s_barrier
	ds_read_b64 v[44:45], v48
	v_cmp_lt_u32_e32 vcc, 55, v50
	s_and_saveexec_b64 s[2:3], vcc
	s_cbranch_execz .LBB115_281
; %bb.280:
	ds_read2_b64 v[52:55], v49 offset0:56 offset1:57
	s_waitcnt lgkmcnt(1)
	v_mul_f64 v[120:121], v[44:45], v[120:121]
	s_waitcnt lgkmcnt(0)
	v_fma_f64 v[176:177], -v[120:121], v[52:53], v[176:177]
	v_fma_f64 v[232:233], -v[120:121], v[54:55], v[232:233]
.LBB115_281:
	s_or_b64 exec, exec, s[2:3]
	v_cmp_eq_u32_e32 vcc, 56, v50
	s_waitcnt lgkmcnt(0)
	s_barrier
	s_and_saveexec_b64 s[2:3], vcc
	s_cbranch_execz .LBB115_284
; %bb.282:
	ds_write_b64 v48, v[176:177]
	ds_write_b64 v49, v[232:233] offset:456
	ds_read_b64 v[46:47], v48
	s_waitcnt lgkmcnt(0)
	v_cmp_neq_f64_e32 vcc, 0, v[46:47]
	s_and_b64 exec, exec, vcc
	s_cbranch_execz .LBB115_284
; %bb.283:
	v_div_scale_f64 v[52:53], s[6:7], v[46:47], v[46:47], 1.0
	v_rcp_f64_e32 v[54:55], v[52:53]
	v_pk_mov_b32 v[2:3], v[242:243], v[242:243] op_sel:[0,1]
	v_pk_mov_b32 v[242:243], v[240:241], v[240:241] op_sel:[0,1]
	;; [unrolled: 1-line block ×33, first 2 shown]
	v_fma_f64 v[58:59], -v[52:53], v[54:55], 1.0
	v_fmac_f64_e32 v[54:55], v[54:55], v[58:59]
	v_fma_f64 v[58:59], -v[52:53], v[54:55], 1.0
	v_pk_mov_b32 v[0:1], v[254:255], v[254:255] op_sel:[0,1]
	v_pk_mov_b32 v[254:255], v[252:253], v[252:253] op_sel:[0,1]
	;; [unrolled: 1-line block ×8, first 2 shown]
	v_div_scale_f64 v[56:57], vcc, 1.0, v[46:47], 1.0
	v_fmac_f64_e32 v[54:55], v[54:55], v[58:59]
	v_mul_f64 v[58:59], v[56:57], v[54:55]
	v_fma_f64 v[52:53], -v[52:53], v[58:59], v[56:57]
	s_nop 0
	v_div_fmas_f64 v[52:53], v[52:53], v[54:55], v[58:59]
	v_pk_mov_b32 v[56:57], v[244:245], v[244:245] op_sel:[0,1]
	v_pk_mov_b32 v[244:245], v[114:115], v[114:115] op_sel:[0,1]
	;; [unrolled: 1-line block ×41, first 2 shown]
	v_div_fixup_f64 v[46:47], v[52:53], v[46:47], 1.0
	ds_write_b64 v48, v[46:47]
.LBB115_284:
	s_or_b64 exec, exec, s[2:3]
	s_waitcnt lgkmcnt(0)
	s_barrier
	ds_read_b64 v[46:47], v48
	v_cmp_lt_u32_e32 vcc, 56, v50
	s_and_saveexec_b64 s[2:3], vcc
	s_cbranch_execz .LBB115_286
; %bb.285:
	ds_read_b64 v[52:53], v49 offset:456
	s_waitcnt lgkmcnt(1)
	v_mul_f64 v[176:177], v[46:47], v[176:177]
	s_waitcnt lgkmcnt(0)
	v_fma_f64 v[232:233], -v[176:177], v[52:53], v[232:233]
.LBB115_286:
	s_or_b64 exec, exec, s[2:3]
	v_cmp_eq_u32_e32 vcc, 57, v50
	s_waitcnt lgkmcnt(0)
	s_barrier
	s_and_saveexec_b64 s[2:3], vcc
	s_cbranch_execz .LBB115_289
; %bb.287:
	v_cmp_neq_f64_e32 vcc, 0, v[232:233]
	ds_write_b64 v48, v[232:233]
	s_and_b64 exec, exec, vcc
	s_cbranch_execz .LBB115_289
; %bb.288:
	v_div_scale_f64 v[52:53], s[6:7], v[232:233], v[232:233], 1.0
	v_rcp_f64_e32 v[54:55], v[52:53]
	v_pk_mov_b32 v[2:3], v[242:243], v[242:243] op_sel:[0,1]
	v_pk_mov_b32 v[242:243], v[240:241], v[240:241] op_sel:[0,1]
	v_pk_mov_b32 v[240:241], v[238:239], v[238:239] op_sel:[0,1]
	v_pk_mov_b32 v[238:239], v[236:237], v[236:237] op_sel:[0,1]
	v_pk_mov_b32 v[236:237], v[116:117], v[116:117] op_sel:[0,1]
	v_pk_mov_b32 v[116:117], v[112:113], v[112:113] op_sel:[0,1]
	v_pk_mov_b32 v[112:113], v[110:111], v[110:111] op_sel:[0,1]
	v_pk_mov_b32 v[110:111], v[108:109], v[108:109] op_sel:[0,1]
	v_pk_mov_b32 v[108:109], v[106:107], v[106:107] op_sel:[0,1]
	v_pk_mov_b32 v[106:107], v[104:105], v[104:105] op_sel:[0,1]
	v_pk_mov_b32 v[104:105], v[102:103], v[102:103] op_sel:[0,1]
	v_pk_mov_b32 v[102:103], v[100:101], v[100:101] op_sel:[0,1]
	v_pk_mov_b32 v[100:101], v[98:99], v[98:99] op_sel:[0,1]
	v_pk_mov_b32 v[98:99], v[96:97], v[96:97] op_sel:[0,1]
	v_pk_mov_b32 v[96:97], v[94:95], v[94:95] op_sel:[0,1]
	v_pk_mov_b32 v[94:95], v[92:93], v[92:93] op_sel:[0,1]
	v_pk_mov_b32 v[92:93], v[90:91], v[90:91] op_sel:[0,1]
	v_pk_mov_b32 v[90:91], v[88:89], v[88:89] op_sel:[0,1]
	v_pk_mov_b32 v[88:89], v[86:87], v[86:87] op_sel:[0,1]
	v_pk_mov_b32 v[86:87], v[84:85], v[84:85] op_sel:[0,1]
	v_pk_mov_b32 v[84:85], v[82:83], v[82:83] op_sel:[0,1]
	v_pk_mov_b32 v[82:83], v[80:81], v[80:81] op_sel:[0,1]
	v_pk_mov_b32 v[80:81], v[78:79], v[78:79] op_sel:[0,1]
	v_pk_mov_b32 v[78:79], v[76:77], v[76:77] op_sel:[0,1]
	v_pk_mov_b32 v[76:77], v[74:75], v[74:75] op_sel:[0,1]
	v_pk_mov_b32 v[74:75], v[72:73], v[72:73] op_sel:[0,1]
	v_pk_mov_b32 v[72:73], v[70:71], v[70:71] op_sel:[0,1]
	v_pk_mov_b32 v[70:71], v[68:69], v[68:69] op_sel:[0,1]
	v_pk_mov_b32 v[68:69], v[66:67], v[66:67] op_sel:[0,1]
	v_pk_mov_b32 v[66:67], v[64:65], v[64:65] op_sel:[0,1]
	v_pk_mov_b32 v[64:65], v[62:63], v[62:63] op_sel:[0,1]
	v_pk_mov_b32 v[62:63], v[60:61], v[60:61] op_sel:[0,1]
	v_pk_mov_b32 v[60:61], v[234:235], v[234:235] op_sel:[0,1]
	v_pk_mov_b32 v[234:235], v[58:59], v[58:59] op_sel:[0,1]
	v_fma_f64 v[58:59], -v[52:53], v[54:55], 1.0
	v_fmac_f64_e32 v[54:55], v[54:55], v[58:59]
	v_fma_f64 v[58:59], -v[52:53], v[54:55], 1.0
	v_pk_mov_b32 v[0:1], v[254:255], v[254:255] op_sel:[0,1]
	v_pk_mov_b32 v[254:255], v[252:253], v[252:253] op_sel:[0,1]
	;; [unrolled: 1-line block ×8, first 2 shown]
	v_div_scale_f64 v[56:57], vcc, 1.0, v[232:233], 1.0
	v_fmac_f64_e32 v[54:55], v[54:55], v[58:59]
	v_mul_f64 v[58:59], v[56:57], v[54:55]
	v_fma_f64 v[52:53], -v[52:53], v[58:59], v[56:57]
	s_nop 0
	v_div_fmas_f64 v[52:53], v[52:53], v[54:55], v[58:59]
	v_pk_mov_b32 v[56:57], v[244:245], v[244:245] op_sel:[0,1]
	v_pk_mov_b32 v[244:245], v[114:115], v[114:115] op_sel:[0,1]
	v_pk_mov_b32 v[114:115], v[246:247], v[246:247] op_sel:[0,1]
	v_pk_mov_b32 v[246:247], v[248:249], v[248:249] op_sel:[0,1]
	v_pk_mov_b32 v[248:249], v[250:251], v[250:251] op_sel:[0,1]
	v_pk_mov_b32 v[250:251], v[252:253], v[252:253] op_sel:[0,1]
	v_pk_mov_b32 v[252:253], v[254:255], v[254:255] op_sel:[0,1]
	v_pk_mov_b32 v[254:255], v[0:1], v[0:1] op_sel:[0,1]
	v_pk_mov_b32 v[58:59], v[234:235], v[234:235] op_sel:[0,1]
	v_pk_mov_b32 v[234:235], v[60:61], v[60:61] op_sel:[0,1]
	v_pk_mov_b32 v[60:61], v[62:63], v[62:63] op_sel:[0,1]
	v_pk_mov_b32 v[62:63], v[64:65], v[64:65] op_sel:[0,1]
	v_pk_mov_b32 v[64:65], v[66:67], v[66:67] op_sel:[0,1]
	v_pk_mov_b32 v[66:67], v[68:69], v[68:69] op_sel:[0,1]
	v_pk_mov_b32 v[68:69], v[70:71], v[70:71] op_sel:[0,1]
	v_pk_mov_b32 v[70:71], v[72:73], v[72:73] op_sel:[0,1]
	v_pk_mov_b32 v[72:73], v[74:75], v[74:75] op_sel:[0,1]
	v_pk_mov_b32 v[74:75], v[76:77], v[76:77] op_sel:[0,1]
	v_pk_mov_b32 v[76:77], v[78:79], v[78:79] op_sel:[0,1]
	v_pk_mov_b32 v[78:79], v[80:81], v[80:81] op_sel:[0,1]
	v_pk_mov_b32 v[80:81], v[82:83], v[82:83] op_sel:[0,1]
	v_pk_mov_b32 v[82:83], v[84:85], v[84:85] op_sel:[0,1]
	v_pk_mov_b32 v[84:85], v[86:87], v[86:87] op_sel:[0,1]
	v_pk_mov_b32 v[86:87], v[88:89], v[88:89] op_sel:[0,1]
	v_pk_mov_b32 v[88:89], v[90:91], v[90:91] op_sel:[0,1]
	v_pk_mov_b32 v[90:91], v[92:93], v[92:93] op_sel:[0,1]
	v_pk_mov_b32 v[92:93], v[94:95], v[94:95] op_sel:[0,1]
	v_pk_mov_b32 v[94:95], v[96:97], v[96:97] op_sel:[0,1]
	v_pk_mov_b32 v[96:97], v[98:99], v[98:99] op_sel:[0,1]
	v_pk_mov_b32 v[98:99], v[100:101], v[100:101] op_sel:[0,1]
	v_pk_mov_b32 v[100:101], v[102:103], v[102:103] op_sel:[0,1]
	v_pk_mov_b32 v[102:103], v[104:105], v[104:105] op_sel:[0,1]
	v_pk_mov_b32 v[104:105], v[106:107], v[106:107] op_sel:[0,1]
	v_pk_mov_b32 v[106:107], v[108:109], v[108:109] op_sel:[0,1]
	v_pk_mov_b32 v[108:109], v[110:111], v[110:111] op_sel:[0,1]
	v_pk_mov_b32 v[110:111], v[112:113], v[112:113] op_sel:[0,1]
	v_pk_mov_b32 v[112:113], v[116:117], v[116:117] op_sel:[0,1]
	v_pk_mov_b32 v[116:117], v[236:237], v[236:237] op_sel:[0,1]
	v_pk_mov_b32 v[236:237], v[238:239], v[238:239] op_sel:[0,1]
	v_pk_mov_b32 v[238:239], v[240:241], v[240:241] op_sel:[0,1]
	v_pk_mov_b32 v[240:241], v[242:243], v[242:243] op_sel:[0,1]
	v_pk_mov_b32 v[242:243], v[2:3], v[2:3] op_sel:[0,1]
	v_div_fixup_f64 v[52:53], v[52:53], v[232:233], 1.0
	ds_write_b64 v48, v[52:53]
.LBB115_289:
	s_or_b64 exec, exec, s[2:3]
	s_waitcnt lgkmcnt(0)
	s_barrier
	ds_read_b64 v[48:49], v48
	s_waitcnt lgkmcnt(0)
	s_barrier
	s_and_saveexec_b64 s[2:3], s[0:1]
	s_cbranch_execz .LBB115_292
; %bb.290:
	buffer_load_dword v0, off, s[16:19], 0 offset:136 ; 4-byte Folded Reload
	buffer_load_dword v1, off, s[16:19], 0 offset:140 ; 4-byte Folded Reload
	s_load_dwordx2 s[4:5], s[4:5], 0x28
	s_waitcnt lgkmcnt(0)
	v_mov_b32_e32 v3, s5
	s_waitcnt vmcnt(0)
	v_cmp_eq_f64_e32 vcc, 0, v[0:1]
	buffer_load_dword v0, off, s[16:19], 0 offset:144 ; 4-byte Folded Reload
	buffer_load_dword v1, off, s[16:19], 0 offset:148 ; 4-byte Folded Reload
	v_cndmask_b32_e64 v51, 0, 1, vcc
	s_waitcnt vmcnt(0)
	v_cmp_neq_f64_e64 s[0:1], 0, v[0:1]
	buffer_load_dword v0, off, s[16:19], 0 offset:152 ; 4-byte Folded Reload
	buffer_load_dword v1, off, s[16:19], 0 offset:156 ; 4-byte Folded Reload
	s_or_b64 vcc, s[0:1], vcc
	v_cndmask_b32_e32 v51, 2, v51, vcc
	v_cmp_eq_u32_e64 s[0:1], 0, v51
	s_waitcnt vmcnt(0)
	v_cmp_eq_f64_e32 vcc, 0, v[0:1]
	buffer_load_dword v0, off, s[16:19], 0 offset:160 ; 4-byte Folded Reload
	buffer_load_dword v1, off, s[16:19], 0 offset:164 ; 4-byte Folded Reload
	s_and_b64 s[0:1], vcc, s[0:1]
	v_cndmask_b32_e64 v51, v51, 3, s[0:1]
	v_cmp_eq_u32_e64 s[0:1], 0, v51
	s_waitcnt vmcnt(0)
	v_cmp_eq_f64_e32 vcc, 0, v[0:1]
	buffer_load_dword v0, off, s[16:19], 0 offset:168 ; 4-byte Folded Reload
	buffer_load_dword v1, off, s[16:19], 0 offset:172 ; 4-byte Folded Reload
	s_and_b64 s[0:1], vcc, s[0:1]
	v_cndmask_b32_e64 v51, v51, 4, s[0:1]
	v_cmp_eq_u32_e64 s[0:1], 0, v51
	s_waitcnt vmcnt(0)
	v_cmp_eq_f64_e32 vcc, 0, v[0:1]
	buffer_load_dword v0, off, s[16:19], 0 offset:176 ; 4-byte Folded Reload
	buffer_load_dword v1, off, s[16:19], 0 offset:180 ; 4-byte Folded Reload
	s_and_b64 s[0:1], vcc, s[0:1]
	v_cndmask_b32_e64 v51, v51, 5, s[0:1]
	v_cmp_eq_u32_e64 s[0:1], 0, v51
	s_waitcnt vmcnt(0)
	v_cmp_eq_f64_e32 vcc, 0, v[0:1]
	buffer_load_dword v0, off, s[16:19], 0 offset:184 ; 4-byte Folded Reload
	buffer_load_dword v1, off, s[16:19], 0 offset:188 ; 4-byte Folded Reload
	s_and_b64 s[0:1], vcc, s[0:1]
	v_cndmask_b32_e64 v51, v51, 6, s[0:1]
	v_cmp_eq_u32_e64 s[0:1], 0, v51
	s_waitcnt vmcnt(0)
	v_cmp_eq_f64_e32 vcc, 0, v[0:1]
	buffer_load_dword v0, off, s[16:19], 0 offset:192 ; 4-byte Folded Reload
	buffer_load_dword v1, off, s[16:19], 0 offset:196 ; 4-byte Folded Reload
	s_and_b64 s[0:1], vcc, s[0:1]
	v_cndmask_b32_e64 v51, v51, 7, s[0:1]
	v_cmp_eq_u32_e64 s[0:1], 0, v51
	s_waitcnt vmcnt(0)
	v_cmp_eq_f64_e32 vcc, 0, v[0:1]
	buffer_load_dword v0, off, s[16:19], 0 offset:200 ; 4-byte Folded Reload
	buffer_load_dword v1, off, s[16:19], 0 offset:204 ; 4-byte Folded Reload
	s_and_b64 s[0:1], vcc, s[0:1]
	v_cndmask_b32_e64 v51, v51, 8, s[0:1]
	v_cmp_eq_u32_e64 s[0:1], 0, v51
	s_waitcnt vmcnt(0)
	v_cmp_eq_f64_e32 vcc, 0, v[0:1]
	buffer_load_dword v0, off, s[16:19], 0 offset:208 ; 4-byte Folded Reload
	buffer_load_dword v1, off, s[16:19], 0 offset:212 ; 4-byte Folded Reload
	s_and_b64 s[0:1], vcc, s[0:1]
	v_cndmask_b32_e64 v51, v51, 9, s[0:1]
	v_cmp_eq_u32_e64 s[0:1], 0, v51
	s_waitcnt vmcnt(0)
	v_cmp_eq_f64_e32 vcc, 0, v[0:1]
	buffer_load_dword v0, off, s[16:19], 0 offset:216 ; 4-byte Folded Reload
	buffer_load_dword v1, off, s[16:19], 0 offset:220 ; 4-byte Folded Reload
	s_and_b64 s[0:1], vcc, s[0:1]
	v_cndmask_b32_e64 v51, v51, 10, s[0:1]
	v_cmp_eq_u32_e64 s[0:1], 0, v51
	s_waitcnt vmcnt(0)
	v_cmp_eq_f64_e32 vcc, 0, v[0:1]
	buffer_load_dword v0, off, s[16:19], 0 offset:224 ; 4-byte Folded Reload
	buffer_load_dword v1, off, s[16:19], 0 offset:228 ; 4-byte Folded Reload
	s_and_b64 s[0:1], vcc, s[0:1]
	v_cndmask_b32_e64 v51, v51, 11, s[0:1]
	v_cmp_eq_u32_e64 s[0:1], 0, v51
	s_waitcnt vmcnt(0)
	v_cmp_eq_f64_e32 vcc, 0, v[0:1]
	buffer_load_dword v0, off, s[16:19], 0 offset:232 ; 4-byte Folded Reload
	buffer_load_dword v1, off, s[16:19], 0 offset:236 ; 4-byte Folded Reload
	s_and_b64 s[0:1], vcc, s[0:1]
	v_cndmask_b32_e64 v51, v51, 12, s[0:1]
	v_cmp_eq_u32_e64 s[0:1], 0, v51
	s_waitcnt vmcnt(0)
	v_cmp_eq_f64_e32 vcc, 0, v[0:1]
	buffer_load_dword v0, off, s[16:19], 0 offset:240 ; 4-byte Folded Reload
	buffer_load_dword v1, off, s[16:19], 0 offset:244 ; 4-byte Folded Reload
	s_and_b64 s[0:1], vcc, s[0:1]
	v_cndmask_b32_e64 v51, v51, 13, s[0:1]
	v_cmp_eq_u32_e64 s[0:1], 0, v51
	s_waitcnt vmcnt(0)
	v_cmp_eq_f64_e32 vcc, 0, v[0:1]
	buffer_load_dword v0, off, s[16:19], 0 offset:248 ; 4-byte Folded Reload
	buffer_load_dword v1, off, s[16:19], 0 offset:252 ; 4-byte Folded Reload
	s_and_b64 s[0:1], vcc, s[0:1]
	v_cndmask_b32_e64 v51, v51, 14, s[0:1]
	v_cmp_eq_u32_e64 s[0:1], 0, v51
	s_waitcnt vmcnt(0)
	v_cmp_eq_f64_e32 vcc, 0, v[0:1]
	buffer_load_dword v0, off, s[16:19], 0 offset:256 ; 4-byte Folded Reload
	buffer_load_dword v1, off, s[16:19], 0 offset:260 ; 4-byte Folded Reload
	s_and_b64 s[0:1], vcc, s[0:1]
	v_cndmask_b32_e64 v51, v51, 15, s[0:1]
	v_cmp_eq_u32_e64 s[0:1], 0, v51
	s_waitcnt vmcnt(0)
	v_cmp_eq_f64_e32 vcc, 0, v[0:1]
	buffer_load_dword v0, off, s[16:19], 0 offset:264 ; 4-byte Folded Reload
	buffer_load_dword v1, off, s[16:19], 0 offset:268 ; 4-byte Folded Reload
	s_and_b64 s[0:1], vcc, s[0:1]
	v_cndmask_b32_e64 v51, v51, 16, s[0:1]
	v_cmp_eq_u32_e64 s[0:1], 0, v51
	s_waitcnt vmcnt(0)
	v_cmp_eq_f64_e32 vcc, 0, v[0:1]
	buffer_load_dword v0, off, s[16:19], 0 offset:272 ; 4-byte Folded Reload
	buffer_load_dword v1, off, s[16:19], 0 offset:276 ; 4-byte Folded Reload
	s_and_b64 s[0:1], vcc, s[0:1]
	v_cndmask_b32_e64 v51, v51, 17, s[0:1]
	v_cmp_eq_u32_e64 s[0:1], 0, v51
	s_waitcnt vmcnt(0)
	v_cmp_eq_f64_e32 vcc, 0, v[0:1]
	buffer_load_dword v0, off, s[16:19], 0 offset:280 ; 4-byte Folded Reload
	buffer_load_dword v1, off, s[16:19], 0 offset:284 ; 4-byte Folded Reload
	s_and_b64 s[0:1], vcc, s[0:1]
	v_cndmask_b32_e64 v51, v51, 18, s[0:1]
	v_cmp_eq_u32_e64 s[0:1], 0, v51
	s_waitcnt vmcnt(0)
	v_cmp_eq_f64_e32 vcc, 0, v[0:1]
	buffer_load_dword v0, off, s[16:19], 0 offset:288 ; 4-byte Folded Reload
	buffer_load_dword v1, off, s[16:19], 0 offset:292 ; 4-byte Folded Reload
	s_and_b64 s[0:1], vcc, s[0:1]
	v_cndmask_b32_e64 v51, v51, 19, s[0:1]
	v_cmp_eq_u32_e64 s[0:1], 0, v51
	s_waitcnt vmcnt(0)
	v_cmp_eq_f64_e32 vcc, 0, v[0:1]
	buffer_load_dword v0, off, s[16:19], 0 offset:296 ; 4-byte Folded Reload
	buffer_load_dword v1, off, s[16:19], 0 offset:300 ; 4-byte Folded Reload
	s_and_b64 s[0:1], vcc, s[0:1]
	v_cndmask_b32_e64 v51, v51, 20, s[0:1]
	v_cmp_eq_u32_e64 s[0:1], 0, v51
	s_waitcnt vmcnt(0)
	v_cmp_eq_f64_e32 vcc, 0, v[0:1]
	buffer_load_dword v0, off, s[16:19], 0 offset:304 ; 4-byte Folded Reload
	buffer_load_dword v1, off, s[16:19], 0 offset:308 ; 4-byte Folded Reload
	s_and_b64 s[0:1], vcc, s[0:1]
	v_cndmask_b32_e64 v51, v51, 21, s[0:1]
	v_cmp_eq_u32_e64 s[0:1], 0, v51
	s_waitcnt vmcnt(0)
	v_cmp_eq_f64_e32 vcc, 0, v[0:1]
	buffer_load_dword v0, off, s[16:19], 0 offset:312 ; 4-byte Folded Reload
	buffer_load_dword v1, off, s[16:19], 0 offset:316 ; 4-byte Folded Reload
	s_and_b64 s[0:1], vcc, s[0:1]
	v_cndmask_b32_e64 v51, v51, 22, s[0:1]
	v_cmp_eq_u32_e64 s[0:1], 0, v51
	s_waitcnt vmcnt(0)
	v_cmp_eq_f64_e32 vcc, 0, v[0:1]
	buffer_load_dword v0, off, s[16:19], 0 offset:320 ; 4-byte Folded Reload
	buffer_load_dword v1, off, s[16:19], 0 offset:324 ; 4-byte Folded Reload
	s_and_b64 s[0:1], vcc, s[0:1]
	v_cndmask_b32_e64 v51, v51, 23, s[0:1]
	v_cmp_eq_u32_e64 s[0:1], 0, v51
	s_waitcnt vmcnt(0)
	v_cmp_eq_f64_e32 vcc, 0, v[0:1]
	buffer_load_dword v0, off, s[16:19], 0 offset:328 ; 4-byte Folded Reload
	buffer_load_dword v1, off, s[16:19], 0 offset:332 ; 4-byte Folded Reload
	s_and_b64 s[0:1], vcc, s[0:1]
	v_cndmask_b32_e64 v51, v51, 24, s[0:1]
	v_cmp_eq_u32_e64 s[0:1], 0, v51
	s_waitcnt vmcnt(0)
	v_cmp_eq_f64_e32 vcc, 0, v[0:1]
	buffer_load_dword v0, off, s[16:19], 0 offset:336 ; 4-byte Folded Reload
	buffer_load_dword v1, off, s[16:19], 0 offset:340 ; 4-byte Folded Reload
	s_and_b64 s[0:1], vcc, s[0:1]
	v_cndmask_b32_e64 v51, v51, 25, s[0:1]
	v_cmp_eq_u32_e64 s[0:1], 0, v51
	s_waitcnt vmcnt(0)
	v_cmp_eq_f64_e32 vcc, 0, v[0:1]
	buffer_load_dword v0, off, s[16:19], 0 offset:344 ; 4-byte Folded Reload
	buffer_load_dword v1, off, s[16:19], 0 offset:348 ; 4-byte Folded Reload
	s_and_b64 s[0:1], vcc, s[0:1]
	v_cndmask_b32_e64 v51, v51, 26, s[0:1]
	v_cmp_eq_u32_e64 s[0:1], 0, v51
	s_waitcnt vmcnt(0)
	v_cmp_eq_f64_e32 vcc, 0, v[0:1]
	buffer_load_dword v0, off, s[16:19], 0 offset:384 ; 4-byte Folded Reload
	buffer_load_dword v1, off, s[16:19], 0 offset:388 ; 4-byte Folded Reload
	s_and_b64 s[0:1], vcc, s[0:1]
	v_cndmask_b32_e64 v51, v51, 27, s[0:1]
	v_cmp_eq_u32_e64 s[0:1], 0, v51
	s_waitcnt vmcnt(0)
	v_cmp_eq_f64_e32 vcc, 0, v[0:1]
	buffer_load_dword v0, off, s[16:19], 0 offset:352 ; 4-byte Folded Reload
	buffer_load_dword v1, off, s[16:19], 0 offset:356 ; 4-byte Folded Reload
	s_and_b64 s[0:1], vcc, s[0:1]
	v_cndmask_b32_e64 v2, v51, 28, s[0:1]
	v_cmp_eq_u32_e64 s[0:1], 0, v2
	s_waitcnt vmcnt(0)
	v_cmp_eq_f64_e32 vcc, 0, v[0:1]
	buffer_load_dword v0, off, s[16:19], 0 offset:392 ; 4-byte Folded Reload
	buffer_load_dword v1, off, s[16:19], 0 offset:396 ; 4-byte Folded Reload
	s_and_b64 s[0:1], vcc, s[0:1]
	v_cndmask_b32_e64 v2, v2, 29, s[0:1]
	v_cmp_eq_u32_e64 s[0:1], 0, v2
	s_waitcnt vmcnt(0)
	v_cmp_eq_f64_e32 vcc, 0, v[0:1]
	buffer_load_dword v0, off, s[16:19], 0 offset:360 ; 4-byte Folded Reload
	buffer_load_dword v1, off, s[16:19], 0 offset:364 ; 4-byte Folded Reload
	s_and_b64 s[0:1], vcc, s[0:1]
	v_cndmask_b32_e64 v2, v2, 30, s[0:1]
	v_cmp_eq_u32_e64 s[0:1], 0, v2
	s_waitcnt vmcnt(0)
	v_cmp_eq_f64_e32 vcc, 0, v[0:1]
	buffer_load_dword v0, off, s[16:19], 0 offset:400 ; 4-byte Folded Reload
	buffer_load_dword v1, off, s[16:19], 0 offset:404 ; 4-byte Folded Reload
	s_and_b64 s[0:1], vcc, s[0:1]
	v_cndmask_b32_e64 v2, v2, 31, s[0:1]
	v_cmp_eq_u32_e64 s[0:1], 0, v2
	s_waitcnt vmcnt(0)
	v_cmp_eq_f64_e32 vcc, 0, v[0:1]
	buffer_load_dword v0, off, s[16:19], 0 offset:368 ; 4-byte Folded Reload
	buffer_load_dword v1, off, s[16:19], 0 offset:372 ; 4-byte Folded Reload
	s_and_b64 s[0:1], vcc, s[0:1]
	v_cndmask_b32_e64 v2, v2, 32, s[0:1]
	v_cmp_eq_u32_e64 s[0:1], 0, v2
	s_waitcnt vmcnt(0)
	v_cmp_eq_f64_e32 vcc, 0, v[0:1]
	buffer_load_dword v0, off, s[16:19], 0 offset:408 ; 4-byte Folded Reload
	buffer_load_dword v1, off, s[16:19], 0 offset:412 ; 4-byte Folded Reload
	s_and_b64 s[0:1], vcc, s[0:1]
	v_cndmask_b32_e64 v2, v2, 33, s[0:1]
	v_cmp_eq_u32_e64 s[0:1], 0, v2
	s_waitcnt vmcnt(0)
	v_cmp_eq_f64_e32 vcc, 0, v[0:1]
	buffer_load_dword v0, off, s[16:19], 0 offset:376 ; 4-byte Folded Reload
	buffer_load_dword v1, off, s[16:19], 0 offset:380 ; 4-byte Folded Reload
	s_and_b64 s[0:1], vcc, s[0:1]
	v_cndmask_b32_e64 v2, v2, 34, s[0:1]
	v_cmp_eq_u32_e64 s[0:1], 0, v2
	s_waitcnt vmcnt(0)
	v_cmp_eq_f64_e32 vcc, 0, v[0:1]
	s_and_b64 s[0:1], vcc, s[0:1]
	v_cndmask_b32_e64 v0, v2, 35, s[0:1]
	v_cmp_eq_f64_e32 vcc, 0, v[4:5]
	v_cmp_eq_u32_e64 s[0:1], 0, v0
	s_and_b64 s[0:1], vcc, s[0:1]
	v_cndmask_b32_e64 v0, v0, 36, s[0:1]
	v_cmp_eq_f64_e32 vcc, 0, v[6:7]
	v_cmp_eq_u32_e64 s[0:1], 0, v0
	;; [unrolled: 4-line block ×3, first 2 shown]
	s_and_b64 s[0:1], vcc, s[0:1]
	v_cndmask_b32_e64 v2, v0, 38, s[0:1]
	v_lshlrev_b64 v[0:1], 2, v[58:59]
	v_add_co_u32_e64 v0, s[0:1], s4, v0
	v_addc_co_u32_e64 v1, s[0:1], v3, v1, s[0:1]
	global_load_dword v3, v[0:1], off
	v_cmp_eq_f64_e32 vcc, 0, v[10:11]
	v_cmp_eq_u32_e64 s[0:1], 0, v2
	s_and_b64 s[0:1], vcc, s[0:1]
	v_cndmask_b32_e64 v2, v2, 39, s[0:1]
	v_cmp_eq_f64_e32 vcc, 0, v[12:13]
	v_cmp_eq_u32_e64 s[0:1], 0, v2
	s_and_b64 s[0:1], vcc, s[0:1]
	v_cndmask_b32_e64 v2, v2, 40, s[0:1]
	;; [unrolled: 4-line block ×20, first 2 shown]
	s_waitcnt vmcnt(0)
	v_cmp_eq_u32_e32 vcc, 0, v3
	v_cmp_ne_u32_e64 s[0:1], 0, v2
	s_and_b64 s[0:1], vcc, s[0:1]
	s_and_b64 exec, exec, s[0:1]
	s_cbranch_execz .LBB115_292
; %bb.291:
	v_add_u32_e32 v2, s9, v2
	global_store_dword v[0:1], v2, off
.LBB115_292:
	s_or_b64 exec, exec, s[2:3]
	buffer_load_dword v2, off, s[16:19], 0 offset:120 ; 4-byte Folded Reload
	buffer_load_dword v3, off, s[16:19], 0 offset:124 ; 4-byte Folded Reload
	v_mul_f64 v[0:1], v[48:49], v[232:233]
	v_cmp_lt_u32_e32 vcc, 57, v50
	v_cndmask_b32_e32 v1, v233, v1, vcc
	v_cndmask_b32_e32 v0, v232, v0, vcc
	s_waitcnt vmcnt(0)
	global_store_dwordx2 v[2:3], v[118:119], off
	buffer_load_dword v2, off, s[16:19], 0 offset:128 ; 4-byte Folded Reload
	s_nop 0
	buffer_load_dword v3, off, s[16:19], 0 offset:132 ; 4-byte Folded Reload
	s_waitcnt vmcnt(0)
	global_store_dwordx2 v[2:3], v[174:175], off
	global_store_dwordx2 v[234:235], v[230:231], off
	;; [unrolled: 1-line block ×42, first 2 shown]
	buffer_load_dword v2, off, s[16:19], 0  ; 4-byte Folded Reload
	buffer_load_dword v3, off, s[16:19], 0 offset:4 ; 4-byte Folded Reload
	s_waitcnt vmcnt(0)
	global_store_dwordx2 v[2:3], v[132:133], off
	buffer_load_dword v2, off, s[16:19], 0 offset:8 ; 4-byte Folded Reload
	s_nop 0
	buffer_load_dword v3, off, s[16:19], 0 offset:12 ; 4-byte Folded Reload
	s_waitcnt vmcnt(0)
	global_store_dwordx2 v[2:3], v[188:189], off
	buffer_load_dword v2, off, s[16:19], 0 offset:16 ; 4-byte Folded Reload
	s_nop 0
	buffer_load_dword v3, off, s[16:19], 0 offset:20 ; 4-byte Folded Reload
	s_waitcnt vmcnt(0)
	global_store_dwordx2 v[2:3], v[130:131], off
	buffer_load_dword v2, off, s[16:19], 0 offset:24 ; 4-byte Folded Reload
	s_nop 0
	buffer_load_dword v3, off, s[16:19], 0 offset:28 ; 4-byte Folded Reload
	s_waitcnt vmcnt(0)
	global_store_dwordx2 v[2:3], v[186:187], off
	buffer_load_dword v2, off, s[16:19], 0 offset:32 ; 4-byte Folded Reload
	s_nop 0
	buffer_load_dword v3, off, s[16:19], 0 offset:36 ; 4-byte Folded Reload
	s_waitcnt vmcnt(0)
	global_store_dwordx2 v[2:3], v[128:129], off
	buffer_load_dword v2, off, s[16:19], 0 offset:40 ; 4-byte Folded Reload
	s_nop 0
	buffer_load_dword v3, off, s[16:19], 0 offset:44 ; 4-byte Folded Reload
	s_waitcnt vmcnt(0)
	global_store_dwordx2 v[2:3], v[184:185], off
	buffer_load_dword v2, off, s[16:19], 0 offset:48 ; 4-byte Folded Reload
	s_nop 0
	buffer_load_dword v3, off, s[16:19], 0 offset:52 ; 4-byte Folded Reload
	s_waitcnt vmcnt(0)
	global_store_dwordx2 v[2:3], v[126:127], off
	buffer_load_dword v2, off, s[16:19], 0 offset:56 ; 4-byte Folded Reload
	s_nop 0
	buffer_load_dword v3, off, s[16:19], 0 offset:60 ; 4-byte Folded Reload
	s_waitcnt vmcnt(0)
	global_store_dwordx2 v[2:3], v[182:183], off
	buffer_load_dword v2, off, s[16:19], 0 offset:64 ; 4-byte Folded Reload
	s_nop 0
	buffer_load_dword v3, off, s[16:19], 0 offset:68 ; 4-byte Folded Reload
	s_waitcnt vmcnt(0)
	global_store_dwordx2 v[2:3], v[124:125], off
	buffer_load_dword v2, off, s[16:19], 0 offset:72 ; 4-byte Folded Reload
	s_nop 0
	buffer_load_dword v3, off, s[16:19], 0 offset:76 ; 4-byte Folded Reload
	s_waitcnt vmcnt(0)
	global_store_dwordx2 v[2:3], v[180:181], off
	buffer_load_dword v2, off, s[16:19], 0 offset:80 ; 4-byte Folded Reload
	s_nop 0
	buffer_load_dword v3, off, s[16:19], 0 offset:84 ; 4-byte Folded Reload
	s_waitcnt vmcnt(0)
	global_store_dwordx2 v[2:3], v[122:123], off
	buffer_load_dword v2, off, s[16:19], 0 offset:88 ; 4-byte Folded Reload
	s_nop 0
	buffer_load_dword v3, off, s[16:19], 0 offset:92 ; 4-byte Folded Reload
	s_waitcnt vmcnt(0)
	global_store_dwordx2 v[2:3], v[178:179], off
	buffer_load_dword v2, off, s[16:19], 0 offset:96 ; 4-byte Folded Reload
	s_nop 0
	buffer_load_dword v3, off, s[16:19], 0 offset:100 ; 4-byte Folded Reload
	s_waitcnt vmcnt(0)
	global_store_dwordx2 v[2:3], v[120:121], off
	buffer_load_dword v2, off, s[16:19], 0 offset:104 ; 4-byte Folded Reload
	s_nop 0
	buffer_load_dword v3, off, s[16:19], 0 offset:108 ; 4-byte Folded Reload
	s_waitcnt vmcnt(0)
	global_store_dwordx2 v[2:3], v[176:177], off
	buffer_load_dword v2, off, s[16:19], 0 offset:112 ; 4-byte Folded Reload
	s_nop 0
	buffer_load_dword v3, off, s[16:19], 0 offset:116 ; 4-byte Folded Reload
	s_waitcnt vmcnt(0)
	global_store_dwordx2 v[2:3], v[0:1], off
.LBB115_293:
	s_endpgm
	.section	.rodata,"a",@progbits
	.p2align	6, 0x0
	.amdhsa_kernel _ZN9rocsolver6v33100L23getf2_npvt_small_kernelILi58EdiiPKPdEEvT1_T3_lS5_lPT2_S5_S5_
		.amdhsa_group_segment_fixed_size 0
		.amdhsa_private_segment_fixed_size 420
		.amdhsa_kernarg_size 312
		.amdhsa_user_sgpr_count 6
		.amdhsa_user_sgpr_private_segment_buffer 1
		.amdhsa_user_sgpr_dispatch_ptr 0
		.amdhsa_user_sgpr_queue_ptr 0
		.amdhsa_user_sgpr_kernarg_segment_ptr 1
		.amdhsa_user_sgpr_dispatch_id 0
		.amdhsa_user_sgpr_flat_scratch_init 0
		.amdhsa_user_sgpr_kernarg_preload_length 0
		.amdhsa_user_sgpr_kernarg_preload_offset 0
		.amdhsa_user_sgpr_private_segment_size 0
		.amdhsa_uses_dynamic_stack 0
		.amdhsa_system_sgpr_private_segment_wavefront_offset 1
		.amdhsa_system_sgpr_workgroup_id_x 1
		.amdhsa_system_sgpr_workgroup_id_y 1
		.amdhsa_system_sgpr_workgroup_id_z 0
		.amdhsa_system_sgpr_workgroup_info 0
		.amdhsa_system_vgpr_workitem_id 1
		.amdhsa_next_free_vgpr 256
		.amdhsa_next_free_sgpr 20
		.amdhsa_accum_offset 256
		.amdhsa_reserve_vcc 1
		.amdhsa_reserve_flat_scratch 0
		.amdhsa_float_round_mode_32 0
		.amdhsa_float_round_mode_16_64 0
		.amdhsa_float_denorm_mode_32 3
		.amdhsa_float_denorm_mode_16_64 3
		.amdhsa_dx10_clamp 1
		.amdhsa_ieee_mode 1
		.amdhsa_fp16_overflow 0
		.amdhsa_tg_split 0
		.amdhsa_exception_fp_ieee_invalid_op 0
		.amdhsa_exception_fp_denorm_src 0
		.amdhsa_exception_fp_ieee_div_zero 0
		.amdhsa_exception_fp_ieee_overflow 0
		.amdhsa_exception_fp_ieee_underflow 0
		.amdhsa_exception_fp_ieee_inexact 0
		.amdhsa_exception_int_div_zero 0
	.end_amdhsa_kernel
	.section	.text._ZN9rocsolver6v33100L23getf2_npvt_small_kernelILi58EdiiPKPdEEvT1_T3_lS5_lPT2_S5_S5_,"axG",@progbits,_ZN9rocsolver6v33100L23getf2_npvt_small_kernelILi58EdiiPKPdEEvT1_T3_lS5_lPT2_S5_S5_,comdat
.Lfunc_end115:
	.size	_ZN9rocsolver6v33100L23getf2_npvt_small_kernelILi58EdiiPKPdEEvT1_T3_lS5_lPT2_S5_S5_, .Lfunc_end115-_ZN9rocsolver6v33100L23getf2_npvt_small_kernelILi58EdiiPKPdEEvT1_T3_lS5_lPT2_S5_S5_
                                        ; -- End function
	.section	.AMDGPU.csdata,"",@progbits
; Kernel info:
; codeLenInByte = 56396
; NumSgprs: 24
; NumVgprs: 256
; NumAgprs: 0
; TotalNumVgprs: 256
; ScratchSize: 420
; MemoryBound: 0
; FloatMode: 240
; IeeeMode: 1
; LDSByteSize: 0 bytes/workgroup (compile time only)
; SGPRBlocks: 2
; VGPRBlocks: 31
; NumSGPRsForWavesPerEU: 24
; NumVGPRsForWavesPerEU: 256
; AccumOffset: 256
; Occupancy: 2
; WaveLimiterHint : 1
; COMPUTE_PGM_RSRC2:SCRATCH_EN: 1
; COMPUTE_PGM_RSRC2:USER_SGPR: 6
; COMPUTE_PGM_RSRC2:TRAP_HANDLER: 0
; COMPUTE_PGM_RSRC2:TGID_X_EN: 1
; COMPUTE_PGM_RSRC2:TGID_Y_EN: 1
; COMPUTE_PGM_RSRC2:TGID_Z_EN: 0
; COMPUTE_PGM_RSRC2:TIDIG_COMP_CNT: 1
; COMPUTE_PGM_RSRC3_GFX90A:ACCUM_OFFSET: 63
; COMPUTE_PGM_RSRC3_GFX90A:TG_SPLIT: 0
	.section	.text._ZN9rocsolver6v33100L18getf2_small_kernelILi59EdiiPKPdEEvT1_T3_lS5_lPS5_llPT2_S5_S5_S7_l,"axG",@progbits,_ZN9rocsolver6v33100L18getf2_small_kernelILi59EdiiPKPdEEvT1_T3_lS5_lPS5_llPT2_S5_S5_S7_l,comdat
	.globl	_ZN9rocsolver6v33100L18getf2_small_kernelILi59EdiiPKPdEEvT1_T3_lS5_lPS5_llPT2_S5_S5_S7_l ; -- Begin function _ZN9rocsolver6v33100L18getf2_small_kernelILi59EdiiPKPdEEvT1_T3_lS5_lPS5_llPT2_S5_S5_S7_l
	.p2align	8
	.type	_ZN9rocsolver6v33100L18getf2_small_kernelILi59EdiiPKPdEEvT1_T3_lS5_lPS5_llPT2_S5_S5_S7_l,@function
_ZN9rocsolver6v33100L18getf2_small_kernelILi59EdiiPKPdEEvT1_T3_lS5_lPS5_llPT2_S5_S5_S7_l: ; @_ZN9rocsolver6v33100L18getf2_small_kernelILi59EdiiPKPdEEvT1_T3_lS5_lPS5_llPT2_S5_S5_S7_l
; %bb.0:
	s_load_dword s0, s[4:5], 0x6c
	s_load_dwordx2 s[12:13], s[4:5], 0x48
	v_bfe_u32 v122, v0, 10, 10
	s_waitcnt lgkmcnt(0)
	s_lshr_b32 s0, s0, 16
	s_mul_i32 s7, s7, s0
	v_add_u32_e32 v2, s7, v122
	v_cmp_gt_i32_e32 vcc, s12, v2
	s_and_saveexec_b64 s[0:1], vcc
	s_cbranch_execz .LBB116_1000
; %bb.1:
	s_load_dwordx4 s[0:3], s[4:5], 0x8
	s_load_dwordx4 s[8:11], s[4:5], 0x50
	v_ashrrev_i32_e32 v3, 31, v2
	v_lshlrev_b64 v[4:5], 3, v[2:3]
	s_waitcnt lgkmcnt(0)
	v_mov_b32_e32 v1, s1
	v_add_co_u32_e32 v4, vcc, s0, v4
	v_addc_co_u32_e32 v5, vcc, v1, v5, vcc
	global_load_dwordx2 v[6:7], v[4:5], off
	s_cmp_eq_u64 s[8:9], 0
	s_cselect_b64 s[6:7], -1, 0
	s_and_b64 vcc, exec, s[6:7]
	v_pk_mov_b32 v[4:5], 0, 0
	s_cbranch_vccnz .LBB116_3
; %bb.2:
	v_mul_lo_u32 v1, v3, s10
	v_mul_lo_u32 v8, v2, s11
	v_mad_u64_u32 v[4:5], s[0:1], v2, s10, 0
	v_add3_u32 v5, v5, v8, v1
	v_lshlrev_b64 v[4:5], 2, v[4:5]
	v_mov_b32_e32 v1, s9
	v_add_co_u32_e32 v4, vcc, s8, v4
	v_addc_co_u32_e32 v5, vcc, v1, v5, vcc
.LBB116_3:
	s_load_dword s8, s[4:5], 0x18
	s_load_dword s18, s[4:5], 0x0
	s_lshl_b64 s[0:1], s[2:3], 3
	v_and_b32_e32 v130, 0x3ff, v0
	v_mov_b32_e32 v1, s1
	s_waitcnt lgkmcnt(0)
	s_add_i32 s12, s8, s8
	s_waitcnt vmcnt(0)
	v_add_co_u32_e32 v128, vcc, s0, v6
	v_add_u32_e32 v6, s12, v130
	v_addc_co_u32_e32 v129, vcc, v7, v1, vcc
	v_ashrrev_i32_e32 v7, 31, v6
	v_lshlrev_b64 v[0:1], 3, v[6:7]
	v_add_u32_e32 v8, s8, v6
	v_add_co_u32_e32 v0, vcc, v128, v0
	v_ashrrev_i32_e32 v9, 31, v8
	v_addc_co_u32_e32 v1, vcc, v129, v1, vcc
	v_lshlrev_b64 v[6:7], 3, v[8:9]
	v_add_u32_e32 v10, s8, v8
	v_add_co_u32_e32 v6, vcc, v128, v6
	v_ashrrev_i32_e32 v11, 31, v10
	v_addc_co_u32_e32 v7, vcc, v129, v7, vcc
	;; [unrolled: 5-line block ×56, first 2 shown]
	v_lshlrev_b64 v[28:29], 3, v[28:29]
	v_add_co_u32_e32 v182, vcc, v128, v28
	v_addc_co_u32_e32 v183, vcc, v129, v29, vcc
	v_lshlrev_b32_e32 v123, 3, v130
	v_add_co_u32_e32 v28, vcc, v128, v123
	s_ashr_i32 s9, s8, 31
	v_addc_co_u32_e32 v29, vcc, 0, v129, vcc
	s_lshl_b64 s[10:11], s[8:9], 3
	v_mov_b32_e32 v63, s11
	v_add_co_u32_e32 v62, vcc, s10, v28
	v_addc_co_u32_e32 v63, vcc, v29, v63, vcc
	global_load_dwordx2 v[116:117], v[28:29], off
	global_load_dwordx2 v[118:119], v[62:63], off
	global_load_dwordx2 v[114:115], v[0:1], off
	global_load_dwordx2 v[112:113], v[6:7], off
	global_load_dwordx2 v[110:111], v[8:9], off
	global_load_dwordx2 v[108:109], v[10:11], off
	global_load_dwordx2 v[106:107], v[12:13], off
	global_load_dwordx2 v[104:105], v[14:15], off
	global_load_dwordx2 v[102:103], v[16:17], off
	global_load_dwordx2 v[100:101], v[18:19], off
	global_load_dwordx2 v[98:99], v[20:21], off
	global_load_dwordx2 v[96:97], v[22:23], off
	global_load_dwordx2 v[94:95], v[24:25], off
	global_load_dwordx2 v[92:93], v[26:27], off
	global_load_dwordx2 v[90:91], v[30:31], off
	global_load_dwordx2 v[88:89], v[32:33], off
	global_load_dwordx2 v[86:87], v[34:35], off
	global_load_dwordx2 v[84:85], v[36:37], off
	global_load_dwordx2 v[82:83], v[38:39], off
	global_load_dwordx2 v[80:81], v[40:41], off
	global_load_dwordx2 v[78:79], v[42:43], off
	global_load_dwordx2 v[76:77], v[44:45], off
	global_load_dwordx2 v[74:75], v[46:47], off
	global_load_dwordx2 v[72:73], v[48:49], off
	global_load_dwordx2 v[70:71], v[50:51], off
	global_load_dwordx2 v[68:69], v[52:53], off
	global_load_dwordx2 v[66:67], v[54:55], off
	global_load_dwordx2 v[64:65], v[56:57], off
	global_load_dwordx2 v[62:63], v[58:59], off
	s_nop 0
	global_load_dwordx2 v[60:61], v[60:61], off
	s_nop 0
	global_load_dwordx2 v[58:59], v[120:121], off
	global_load_dwordx2 v[56:57], v[124:125], off
	;; [unrolled: 1-line block ×29, first 2 shown]
	s_max_i32 s0, s18, 59
	v_mul_lo_u32 v124, s0, v122
	v_lshl_add_u32 v126, v124, 3, 0
	v_add_u32_e32 v122, v126, v123
	s_cmp_lt_i32 s18, 2
	v_lshlrev_b32_e32 v131, 3, v124
	v_mov_b32_e32 v124, 0
	s_waitcnt vmcnt(58)
	ds_write_b64 v122, v[116:117]
	s_waitcnt lgkmcnt(0)
	s_barrier
	ds_read_b64 v[122:123], v126
	s_cbranch_scc1 .LBB116_6
; %bb.4:
	v_add3_u32 v125, v131, 0, 8
	s_mov_b32 s0, 1
	v_mov_b32_e32 v124, 0
.LBB116_5:                              ; =>This Inner Loop Header: Depth=1
	ds_read_b64 v[132:133], v125
	v_mov_b32_e32 v127, s0
	s_add_i32 s0, s0, 1
	v_add_u32_e32 v125, 8, v125
	s_cmp_eq_u32 s18, s0
	s_waitcnt lgkmcnt(0)
	v_cmp_lt_f64_e64 vcc, |v[122:123]|, |v[132:133]|
	v_cndmask_b32_e32 v123, v123, v133, vcc
	v_cndmask_b32_e32 v122, v122, v132, vcc
	;; [unrolled: 1-line block ×3, first 2 shown]
	s_cbranch_scc0 .LBB116_5
.LBB116_6:
	v_cmp_ne_u32_e32 vcc, v130, v124
                                        ; implicit-def: $vgpr127
	s_and_saveexec_b64 s[0:1], vcc
	s_xor_b64 s[0:1], exec, s[0:1]
	s_cbranch_execz .LBB116_12
; %bb.7:
	v_cmp_eq_u32_e32 vcc, 0, v130
	s_and_saveexec_b64 s[2:3], vcc
	s_cbranch_execz .LBB116_11
; %bb.8:
	v_cmp_ne_u32_e32 vcc, 0, v124
	s_xor_b64 s[14:15], s[6:7], -1
	s_and_b64 s[16:17], s[14:15], vcc
	s_and_saveexec_b64 s[14:15], s[16:17]
	s_cbranch_execz .LBB116_10
; %bb.9:
	v_ashrrev_i32_e32 v125, 31, v124
	v_lshlrev_b64 v[132:133], 2, v[124:125]
	v_add_co_u32_e32 v132, vcc, v4, v132
	v_addc_co_u32_e32 v133, vcc, v5, v133, vcc
	flat_load_dword v125, v[132:133]
	flat_load_dword v127, v[4:5]
	s_waitcnt vmcnt(0) lgkmcnt(0)
	flat_store_dword v[4:5], v125
	flat_store_dword v[132:133], v127
.LBB116_10:
	s_or_b64 exec, exec, s[14:15]
	v_mov_b32_e32 v130, v124
.LBB116_11:
	s_or_b64 exec, exec, s[2:3]
	v_mov_b32_e32 v127, v130
                                        ; implicit-def: $vgpr130
.LBB116_12:
	s_or_saveexec_b64 s[0:1], s[0:1]
	v_mov_b32_e32 v125, v127
	s_xor_b64 exec, exec, s[0:1]
	s_cbranch_execz .LBB116_14
; %bb.13:
	v_mov_b32_e32 v127, 0
	v_mov_b32_e32 v125, v130
	s_waitcnt vmcnt(0)
	ds_write2_b64 v126, v[118:119], v[114:115] offset0:1 offset1:2
	ds_write2_b64 v126, v[112:113], v[110:111] offset0:3 offset1:4
	;; [unrolled: 1-line block ×29, first 2 shown]
.LBB116_14:
	s_or_b64 exec, exec, s[0:1]
	s_waitcnt lgkmcnt(0)
	v_cmp_eq_f64_e64 s[0:1], 0, v[122:123]
	v_cmp_lt_i32_e32 vcc, 0, v127
	s_barrier
	s_and_saveexec_b64 s[2:3], vcc
	s_cbranch_execz .LBB116_16
; %bb.15:
	v_div_scale_f64 v[132:133], s[14:15], v[122:123], v[122:123], 1.0
	v_rcp_f64_e32 v[134:135], v[132:133]
	v_div_scale_f64 v[136:137], vcc, 1.0, v[122:123], 1.0
	ds_read2_b64 v[140:143], v126 offset0:5 offset1:6
	v_fma_f64 v[138:139], -v[132:133], v[134:135], 1.0
	v_fmac_f64_e32 v[134:135], v[134:135], v[138:139]
	v_fma_f64 v[138:139], -v[132:133], v[134:135], 1.0
	v_fmac_f64_e32 v[134:135], v[134:135], v[138:139]
	v_mul_f64 v[138:139], v[136:137], v[134:135]
	v_fma_f64 v[132:133], -v[132:133], v[138:139], v[136:137]
	v_div_fmas_f64 v[132:133], v[132:133], v[134:135], v[138:139]
	v_div_fixup_f64 v[136:137], v[132:133], v[122:123], 1.0
	ds_read2_b64 v[132:135], v126 offset0:1 offset1:2
	v_cndmask_b32_e64 v123, v137, v123, s[0:1]
	v_cndmask_b32_e64 v122, v136, v122, s[0:1]
	ds_read2_b64 v[136:139], v126 offset0:3 offset1:4
	v_mul_f64 v[116:117], v[122:123], v[116:117]
	s_waitcnt vmcnt(0) lgkmcnt(0)
	v_fma_f64 v[118:119], -v[116:117], v[132:133], v[118:119]
	v_fma_f64 v[114:115], -v[116:117], v[134:135], v[114:115]
	ds_read2_b64 v[132:135], v126 offset0:7 offset1:8
	v_fma_f64 v[112:113], -v[116:117], v[136:137], v[112:113]
	v_fma_f64 v[110:111], -v[116:117], v[138:139], v[110:111]
	ds_read2_b64 v[136:139], v126 offset0:9 offset1:10
	;; [unrolled: 3-line block ×3, first 2 shown]
	s_waitcnt lgkmcnt(2)
	v_fma_f64 v[104:105], -v[116:117], v[132:133], v[104:105]
	v_fma_f64 v[102:103], -v[116:117], v[134:135], v[102:103]
	s_waitcnt lgkmcnt(1)
	v_fma_f64 v[100:101], -v[116:117], v[136:137], v[100:101]
	ds_read2_b64 v[132:135], v126 offset0:13 offset1:14
	v_fma_f64 v[98:99], -v[116:117], v[138:139], v[98:99]
	ds_read2_b64 v[136:139], v126 offset0:15 offset1:16
	s_waitcnt lgkmcnt(2)
	v_fma_f64 v[96:97], -v[116:117], v[140:141], v[96:97]
	v_fma_f64 v[94:95], -v[116:117], v[142:143], v[94:95]
	s_waitcnt lgkmcnt(1)
	v_fma_f64 v[92:93], -v[116:117], v[132:133], v[92:93]
	ds_read2_b64 v[140:143], v126 offset0:17 offset1:18
	v_fma_f64 v[90:91], -v[116:117], v[134:135], v[90:91]
	ds_read2_b64 v[132:135], v126 offset0:19 offset1:20
	s_waitcnt lgkmcnt(2)
	v_fma_f64 v[88:89], -v[116:117], v[136:137], v[88:89]
	v_fma_f64 v[86:87], -v[116:117], v[138:139], v[86:87]
	ds_read2_b64 v[136:139], v126 offset0:21 offset1:22
	s_waitcnt lgkmcnt(2)
	v_fma_f64 v[84:85], -v[116:117], v[140:141], v[84:85]
	v_fma_f64 v[82:83], -v[116:117], v[142:143], v[82:83]
	ds_read2_b64 v[140:143], v126 offset0:23 offset1:24
	s_waitcnt lgkmcnt(2)
	v_fma_f64 v[80:81], -v[116:117], v[132:133], v[80:81]
	v_fma_f64 v[78:79], -v[116:117], v[134:135], v[78:79]
	s_waitcnt lgkmcnt(1)
	v_fma_f64 v[76:77], -v[116:117], v[136:137], v[76:77]
	ds_read2_b64 v[132:135], v126 offset0:25 offset1:26
	v_fma_f64 v[74:75], -v[116:117], v[138:139], v[74:75]
	ds_read2_b64 v[136:139], v126 offset0:27 offset1:28
	s_waitcnt lgkmcnt(2)
	v_fma_f64 v[72:73], -v[116:117], v[140:141], v[72:73]
	v_fma_f64 v[70:71], -v[116:117], v[142:143], v[70:71]
	s_waitcnt lgkmcnt(1)
	v_fma_f64 v[68:69], -v[116:117], v[132:133], v[68:69]
	ds_read2_b64 v[140:143], v126 offset0:29 offset1:30
	v_fma_f64 v[66:67], -v[116:117], v[134:135], v[66:67]
	ds_read2_b64 v[132:135], v126 offset0:31 offset1:32
	s_waitcnt lgkmcnt(2)
	v_fma_f64 v[64:65], -v[116:117], v[136:137], v[64:65]
	v_fma_f64 v[62:63], -v[116:117], v[138:139], v[62:63]
	ds_read2_b64 v[136:139], v126 offset0:33 offset1:34
	s_waitcnt lgkmcnt(2)
	v_fma_f64 v[60:61], -v[116:117], v[140:141], v[60:61]
	v_fma_f64 v[58:59], -v[116:117], v[142:143], v[58:59]
	ds_read2_b64 v[140:143], v126 offset0:35 offset1:36
	s_waitcnt lgkmcnt(2)
	v_fma_f64 v[56:57], -v[116:117], v[132:133], v[56:57]
	v_fma_f64 v[54:55], -v[116:117], v[134:135], v[54:55]
	s_waitcnt lgkmcnt(1)
	v_fma_f64 v[52:53], -v[116:117], v[136:137], v[52:53]
	ds_read2_b64 v[132:135], v126 offset0:37 offset1:38
	v_fma_f64 v[50:51], -v[116:117], v[138:139], v[50:51]
	ds_read2_b64 v[136:139], v126 offset0:39 offset1:40
	s_waitcnt lgkmcnt(2)
	v_fma_f64 v[48:49], -v[116:117], v[140:141], v[48:49]
	v_fma_f64 v[46:47], -v[116:117], v[142:143], v[46:47]
	s_waitcnt lgkmcnt(1)
	v_fma_f64 v[44:45], -v[116:117], v[132:133], v[44:45]
	ds_read2_b64 v[140:143], v126 offset0:41 offset1:42
	v_fma_f64 v[42:43], -v[116:117], v[134:135], v[42:43]
	ds_read2_b64 v[132:135], v126 offset0:43 offset1:44
	s_waitcnt lgkmcnt(2)
	v_fma_f64 v[40:41], -v[116:117], v[136:137], v[40:41]
	v_fma_f64 v[38:39], -v[116:117], v[138:139], v[38:39]
	ds_read2_b64 v[136:139], v126 offset0:45 offset1:46
	s_waitcnt lgkmcnt(2)
	v_fma_f64 v[36:37], -v[116:117], v[140:141], v[36:37]
	v_fma_f64 v[34:35], -v[116:117], v[142:143], v[34:35]
	ds_read2_b64 v[140:143], v126 offset0:47 offset1:48
	s_waitcnt lgkmcnt(2)
	v_fma_f64 v[32:33], -v[116:117], v[132:133], v[32:33]
	v_fma_f64 v[30:31], -v[116:117], v[134:135], v[30:31]
	s_waitcnt lgkmcnt(1)
	v_fma_f64 v[28:29], -v[116:117], v[136:137], v[28:29]
	ds_read2_b64 v[132:135], v126 offset0:49 offset1:50
	v_fma_f64 v[26:27], -v[116:117], v[138:139], v[26:27]
	ds_read2_b64 v[136:139], v126 offset0:51 offset1:52
	s_waitcnt lgkmcnt(2)
	v_fma_f64 v[24:25], -v[116:117], v[140:141], v[24:25]
	v_fma_f64 v[22:23], -v[116:117], v[142:143], v[22:23]
	s_waitcnt lgkmcnt(1)
	v_fma_f64 v[20:21], -v[116:117], v[132:133], v[20:21]
	v_fma_f64 v[18:19], -v[116:117], v[134:135], v[18:19]
	ds_read2_b64 v[132:135], v126 offset0:53 offset1:54
	ds_read2_b64 v[140:143], v126 offset0:55 offset1:56
	s_waitcnt lgkmcnt(2)
	v_fma_f64 v[16:17], -v[116:117], v[136:137], v[16:17]
	v_fma_f64 v[14:15], -v[116:117], v[138:139], v[14:15]
	ds_read2_b64 v[136:139], v126 offset0:57 offset1:58
	s_waitcnt lgkmcnt(2)
	v_fma_f64 v[12:13], -v[116:117], v[132:133], v[12:13]
	v_fma_f64 v[10:11], -v[116:117], v[134:135], v[10:11]
	s_waitcnt lgkmcnt(1)
	v_fma_f64 v[8:9], -v[116:117], v[140:141], v[8:9]
	v_fma_f64 v[6:7], -v[116:117], v[142:143], v[6:7]
	;; [unrolled: 3-line block ×3, first 2 shown]
.LBB116_16:
	s_or_b64 exec, exec, s[2:3]
	v_lshl_add_u32 v122, v127, 3, v126
	s_barrier
	s_waitcnt vmcnt(0)
	ds_write_b64 v122, v[118:119]
	s_waitcnt lgkmcnt(0)
	s_barrier
	ds_read_b64 v[122:123], v126 offset:8
	s_cmp_lt_i32 s18, 3
	v_mov_b32_e32 v124, 1
	s_cbranch_scc1 .LBB116_19
; %bb.17:
	v_add3_u32 v130, v131, 0, 16
	s_mov_b32 s2, 2
	v_mov_b32_e32 v124, 1
.LBB116_18:                             ; =>This Inner Loop Header: Depth=1
	ds_read_b64 v[132:133], v130
	v_mov_b32_e32 v134, s2
	s_add_i32 s2, s2, 1
	v_add_u32_e32 v130, 8, v130
	s_cmp_lg_u32 s18, s2
	s_waitcnt lgkmcnt(0)
	v_cmp_lt_f64_e64 vcc, |v[122:123]|, |v[132:133]|
	v_cndmask_b32_e32 v123, v123, v133, vcc
	v_cndmask_b32_e32 v122, v122, v132, vcc
	;; [unrolled: 1-line block ×3, first 2 shown]
	s_cbranch_scc1 .LBB116_18
.LBB116_19:
	v_cmp_ne_u32_e32 vcc, v127, v124
	s_and_saveexec_b64 s[2:3], vcc
	s_xor_b64 s[2:3], exec, s[2:3]
	s_cbranch_execz .LBB116_25
; %bb.20:
	v_cmp_eq_u32_e32 vcc, 1, v127
	s_and_saveexec_b64 s[14:15], vcc
	s_cbranch_execz .LBB116_24
; %bb.21:
	v_cmp_ne_u32_e32 vcc, 1, v124
	s_xor_b64 s[16:17], s[6:7], -1
	s_and_b64 s[20:21], s[16:17], vcc
	s_and_saveexec_b64 s[16:17], s[20:21]
	s_cbranch_execz .LBB116_23
; %bb.22:
	v_ashrrev_i32_e32 v125, 31, v124
	v_lshlrev_b64 v[132:133], 2, v[124:125]
	v_add_co_u32_e32 v132, vcc, v4, v132
	v_addc_co_u32_e32 v133, vcc, v5, v133, vcc
	flat_load_dword v125, v[132:133]
	flat_load_dword v127, v[4:5] offset:4
	s_waitcnt vmcnt(0) lgkmcnt(0)
	flat_store_dword v[4:5], v125 offset:4
	flat_store_dword v[132:133], v127
.LBB116_23:
	s_or_b64 exec, exec, s[16:17]
	v_mov_b32_e32 v125, v124
	v_mov_b32_e32 v127, v124
.LBB116_24:
	s_or_b64 exec, exec, s[14:15]
.LBB116_25:
	s_andn2_saveexec_b64 s[2:3], s[2:3]
	s_cbranch_execz .LBB116_27
; %bb.26:
	v_mov_b32_e32 v132, v114
	v_mov_b32_e32 v133, v115
	v_mov_b32_e32 v134, v112
	v_mov_b32_e32 v135, v113
	ds_write2_b64 v126, v[132:133], v[134:135] offset0:2 offset1:3
	v_mov_b32_e32 v132, v110
	v_mov_b32_e32 v133, v111
	v_mov_b32_e32 v134, v108
	v_mov_b32_e32 v135, v109
	ds_write2_b64 v126, v[132:133], v[134:135] offset0:4 offset1:5
	;; [unrolled: 5-line block ×27, first 2 shown]
	v_mov_b32_e32 v132, v6
	v_mov_b32_e32 v133, v7
	v_mov_b32_e32 v134, v0
	v_mov_b32_e32 v135, v1
	v_mov_b32_e32 v127, 1
	ds_write2_b64 v126, v[132:133], v[134:135] offset0:56 offset1:57
	ds_write_b64 v126, v[120:121] offset:464
.LBB116_27:
	s_or_b64 exec, exec, s[2:3]
	s_waitcnt lgkmcnt(0)
	v_cmp_neq_f64_e64 s[2:3], 0, v[122:123]
	v_cmp_lt_i32_e32 vcc, 1, v127
	s_barrier
	s_and_saveexec_b64 s[14:15], vcc
	s_cbranch_execz .LBB116_29
; %bb.28:
	v_div_scale_f64 v[132:133], s[16:17], v[122:123], v[122:123], 1.0
	v_rcp_f64_e32 v[134:135], v[132:133]
	v_div_scale_f64 v[136:137], vcc, 1.0, v[122:123], 1.0
	ds_read2_b64 v[140:143], v126 offset0:6 offset1:7
	v_fma_f64 v[138:139], -v[132:133], v[134:135], 1.0
	v_fmac_f64_e32 v[134:135], v[134:135], v[138:139]
	v_fma_f64 v[138:139], -v[132:133], v[134:135], 1.0
	v_fmac_f64_e32 v[134:135], v[134:135], v[138:139]
	v_mul_f64 v[138:139], v[136:137], v[134:135]
	v_fma_f64 v[132:133], -v[132:133], v[138:139], v[136:137]
	v_div_fmas_f64 v[132:133], v[132:133], v[134:135], v[138:139]
	v_div_fixup_f64 v[136:137], v[132:133], v[122:123], 1.0
	ds_read2_b64 v[132:135], v126 offset0:2 offset1:3
	v_cndmask_b32_e64 v123, v123, v137, s[2:3]
	v_cndmask_b32_e64 v122, v122, v136, s[2:3]
	ds_read2_b64 v[136:139], v126 offset0:4 offset1:5
	v_mul_f64 v[118:119], v[122:123], v[118:119]
	s_waitcnt lgkmcnt(0)
	v_fma_f64 v[114:115], -v[118:119], v[132:133], v[114:115]
	v_fma_f64 v[112:113], -v[118:119], v[134:135], v[112:113]
	ds_read2_b64 v[132:135], v126 offset0:8 offset1:9
	v_fma_f64 v[110:111], -v[118:119], v[136:137], v[110:111]
	v_fma_f64 v[108:109], -v[118:119], v[138:139], v[108:109]
	;; [unrolled: 1-line block ×3, first 2 shown]
	ds_read2_b64 v[136:139], v126 offset0:10 offset1:11
	v_fma_f64 v[104:105], -v[118:119], v[142:143], v[104:105]
	ds_read2_b64 v[140:143], v126 offset0:12 offset1:13
	s_waitcnt lgkmcnt(0)
	v_fma_f64 v[102:103], -v[118:119], v[132:133], v[102:103]
	v_fma_f64 v[100:101], -v[118:119], v[134:135], v[100:101]
	ds_read2_b64 v[132:135], v126 offset0:14 offset1:15
	v_fma_f64 v[98:99], -v[118:119], v[136:137], v[98:99]
	v_fma_f64 v[96:97], -v[118:119], v[138:139], v[96:97]
	ds_read2_b64 v[136:139], v126 offset0:16 offset1:17
	v_fma_f64 v[94:95], -v[118:119], v[140:141], v[94:95]
	v_fma_f64 v[92:93], -v[118:119], v[142:143], v[92:93]
	s_waitcnt lgkmcnt(0)
	v_fma_f64 v[90:91], -v[118:119], v[132:133], v[90:91]
	ds_read2_b64 v[140:143], v126 offset0:18 offset1:19
	v_fma_f64 v[88:89], -v[118:119], v[134:135], v[88:89]
	ds_read2_b64 v[132:135], v126 offset0:20 offset1:21
	v_fma_f64 v[86:87], -v[118:119], v[136:137], v[86:87]
	v_fma_f64 v[84:85], -v[118:119], v[138:139], v[84:85]
	s_waitcnt lgkmcnt(0)
	v_fma_f64 v[82:83], -v[118:119], v[140:141], v[82:83]
	ds_read2_b64 v[136:139], v126 offset0:22 offset1:23
	v_fma_f64 v[80:81], -v[118:119], v[142:143], v[80:81]
	ds_read2_b64 v[140:143], v126 offset0:24 offset1:25
	v_fma_f64 v[78:79], -v[118:119], v[132:133], v[78:79]
	v_fma_f64 v[76:77], -v[118:119], v[134:135], v[76:77]
	ds_read2_b64 v[132:135], v126 offset0:26 offset1:27
	s_waitcnt lgkmcnt(0)
	v_fma_f64 v[74:75], -v[118:119], v[136:137], v[74:75]
	v_fma_f64 v[72:73], -v[118:119], v[138:139], v[72:73]
	ds_read2_b64 v[136:139], v126 offset0:28 offset1:29
	v_fma_f64 v[70:71], -v[118:119], v[140:141], v[70:71]
	v_fma_f64 v[68:69], -v[118:119], v[142:143], v[68:69]
	;; [unrolled: 1-line block ×3, first 2 shown]
	ds_read2_b64 v[140:143], v126 offset0:30 offset1:31
	v_fma_f64 v[64:65], -v[118:119], v[134:135], v[64:65]
	ds_read2_b64 v[132:135], v126 offset0:32 offset1:33
	s_waitcnt lgkmcnt(0)
	v_fma_f64 v[62:63], -v[118:119], v[136:137], v[62:63]
	v_fma_f64 v[60:61], -v[118:119], v[138:139], v[60:61]
	;; [unrolled: 1-line block ×3, first 2 shown]
	ds_read2_b64 v[136:139], v126 offset0:34 offset1:35
	v_fma_f64 v[56:57], -v[118:119], v[142:143], v[56:57]
	ds_read2_b64 v[140:143], v126 offset0:36 offset1:37
	v_fma_f64 v[54:55], -v[118:119], v[132:133], v[54:55]
	v_fma_f64 v[52:53], -v[118:119], v[134:135], v[52:53]
	ds_read2_b64 v[132:135], v126 offset0:38 offset1:39
	s_waitcnt lgkmcnt(0)
	v_fma_f64 v[50:51], -v[118:119], v[136:137], v[50:51]
	v_fma_f64 v[48:49], -v[118:119], v[138:139], v[48:49]
	ds_read2_b64 v[136:139], v126 offset0:40 offset1:41
	v_fma_f64 v[46:47], -v[118:119], v[140:141], v[46:47]
	v_fma_f64 v[44:45], -v[118:119], v[142:143], v[44:45]
	;; [unrolled: 1-line block ×3, first 2 shown]
	ds_read2_b64 v[140:143], v126 offset0:42 offset1:43
	v_fma_f64 v[40:41], -v[118:119], v[134:135], v[40:41]
	ds_read2_b64 v[132:135], v126 offset0:44 offset1:45
	s_waitcnt lgkmcnt(0)
	v_fma_f64 v[38:39], -v[118:119], v[136:137], v[38:39]
	v_fma_f64 v[36:37], -v[118:119], v[138:139], v[36:37]
	;; [unrolled: 1-line block ×3, first 2 shown]
	ds_read2_b64 v[136:139], v126 offset0:46 offset1:47
	v_fma_f64 v[32:33], -v[118:119], v[142:143], v[32:33]
	ds_read2_b64 v[140:143], v126 offset0:48 offset1:49
	v_fma_f64 v[30:31], -v[118:119], v[132:133], v[30:31]
	v_fma_f64 v[28:29], -v[118:119], v[134:135], v[28:29]
	ds_read2_b64 v[132:135], v126 offset0:50 offset1:51
	s_waitcnt lgkmcnt(0)
	v_fma_f64 v[26:27], -v[118:119], v[136:137], v[26:27]
	v_fma_f64 v[24:25], -v[118:119], v[138:139], v[24:25]
	ds_read2_b64 v[136:139], v126 offset0:52 offset1:53
	v_fma_f64 v[22:23], -v[118:119], v[140:141], v[22:23]
	v_fma_f64 v[20:21], -v[118:119], v[142:143], v[20:21]
	;; [unrolled: 1-line block ×4, first 2 shown]
	ds_read2_b64 v[132:135], v126 offset0:54 offset1:55
	ds_read2_b64 v[140:143], v126 offset0:56 offset1:57
	ds_read_b64 v[122:123], v126 offset:464
	s_waitcnt lgkmcnt(0)
	v_fma_f64 v[14:15], -v[118:119], v[136:137], v[14:15]
	v_fma_f64 v[12:13], -v[118:119], v[138:139], v[12:13]
	;; [unrolled: 1-line block ×7, first 2 shown]
.LBB116_29:
	s_or_b64 exec, exec, s[14:15]
	v_lshl_add_u32 v122, v127, 3, v126
	s_barrier
	ds_write_b64 v122, v[114:115]
	s_waitcnt lgkmcnt(0)
	s_barrier
	ds_read_b64 v[122:123], v126 offset:16
	s_mov_b32 s9, 3
	s_cmp_lt_i32 s18, 4
	v_mov_b32_e32 v124, 2
	s_cbranch_scc1 .LBB116_32
; %bb.30:
	v_add3_u32 v130, v131, 0, 24
	v_mov_b32_e32 v124, 2
.LBB116_31:                             ; =>This Inner Loop Header: Depth=1
	ds_read_b64 v[132:133], v130
	v_mov_b32_e32 v134, s9
	s_add_i32 s9, s9, 1
	v_add_u32_e32 v130, 8, v130
	s_cmp_lg_u32 s18, s9
	s_waitcnt lgkmcnt(0)
	v_cmp_lt_f64_e64 vcc, |v[122:123]|, |v[132:133]|
	v_cndmask_b32_e32 v123, v123, v133, vcc
	v_cndmask_b32_e32 v122, v122, v132, vcc
	;; [unrolled: 1-line block ×3, first 2 shown]
	s_cbranch_scc1 .LBB116_31
.LBB116_32:
	v_cndmask_b32_e64 v130, 2, 1, s[0:1]
	v_cndmask_b32_e64 v132, 0, 1, s[0:1]
	;; [unrolled: 1-line block ×3, first 2 shown]
	s_waitcnt lgkmcnt(0)
	v_cmp_eq_f64_e32 vcc, 0, v[122:123]
	s_and_saveexec_b64 s[0:1], vcc
	s_xor_b64 s[0:1], exec, s[0:1]
; %bb.33:
	v_cmp_ne_u32_e32 vcc, 0, v130
	v_cndmask_b32_e32 v130, 3, v130, vcc
; %bb.34:
	s_andn2_saveexec_b64 s[0:1], s[0:1]
; %bb.35:
	v_div_scale_f64 v[132:133], s[2:3], v[122:123], v[122:123], 1.0
	v_rcp_f64_e32 v[134:135], v[132:133]
	v_div_scale_f64 v[136:137], vcc, 1.0, v[122:123], 1.0
	v_fma_f64 v[138:139], -v[132:133], v[134:135], 1.0
	v_fmac_f64_e32 v[134:135], v[134:135], v[138:139]
	v_fma_f64 v[138:139], -v[132:133], v[134:135], 1.0
	v_fmac_f64_e32 v[134:135], v[134:135], v[138:139]
	v_mul_f64 v[138:139], v[136:137], v[134:135]
	v_fma_f64 v[132:133], -v[132:133], v[138:139], v[136:137]
	v_div_fmas_f64 v[132:133], v[132:133], v[134:135], v[138:139]
	v_div_fixup_f64 v[122:123], v[132:133], v[122:123], 1.0
; %bb.36:
	s_or_b64 exec, exec, s[0:1]
	v_cmp_ne_u32_e32 vcc, v127, v124
	s_and_saveexec_b64 s[0:1], vcc
	s_xor_b64 s[0:1], exec, s[0:1]
	s_cbranch_execz .LBB116_42
; %bb.37:
	v_cmp_eq_u32_e32 vcc, 2, v127
	s_and_saveexec_b64 s[2:3], vcc
	s_cbranch_execz .LBB116_41
; %bb.38:
	v_cmp_ne_u32_e32 vcc, 2, v124
	s_xor_b64 s[14:15], s[6:7], -1
	s_and_b64 s[16:17], s[14:15], vcc
	s_and_saveexec_b64 s[14:15], s[16:17]
	s_cbranch_execz .LBB116_40
; %bb.39:
	v_ashrrev_i32_e32 v125, 31, v124
	v_lshlrev_b64 v[132:133], 2, v[124:125]
	v_add_co_u32_e32 v132, vcc, v4, v132
	v_addc_co_u32_e32 v133, vcc, v5, v133, vcc
	flat_load_dword v125, v[132:133]
	flat_load_dword v127, v[4:5] offset:8
	s_waitcnt vmcnt(0) lgkmcnt(0)
	flat_store_dword v[4:5], v125 offset:8
	flat_store_dword v[132:133], v127
.LBB116_40:
	s_or_b64 exec, exec, s[14:15]
	v_mov_b32_e32 v125, v124
	v_mov_b32_e32 v127, v124
.LBB116_41:
	s_or_b64 exec, exec, s[2:3]
.LBB116_42:
	s_andn2_saveexec_b64 s[0:1], s[0:1]
	s_cbranch_execz .LBB116_44
; %bb.43:
	v_mov_b32_e32 v127, 2
	ds_write2_b64 v126, v[112:113], v[110:111] offset0:3 offset1:4
	ds_write2_b64 v126, v[108:109], v[106:107] offset0:5 offset1:6
	;; [unrolled: 1-line block ×28, first 2 shown]
.LBB116_44:
	s_or_b64 exec, exec, s[0:1]
	v_cmp_lt_i32_e32 vcc, 2, v127
	s_waitcnt lgkmcnt(0)
	s_barrier
	s_and_saveexec_b64 s[0:1], vcc
	s_cbranch_execz .LBB116_46
; %bb.45:
	ds_read2_b64 v[132:135], v126 offset0:3 offset1:4
	ds_read2_b64 v[136:139], v126 offset0:5 offset1:6
	v_mul_f64 v[114:115], v[122:123], v[114:115]
	ds_read2_b64 v[140:143], v126 offset0:7 offset1:8
	s_waitcnt lgkmcnt(0)
	v_fma_f64 v[112:113], -v[114:115], v[132:133], v[112:113]
	v_fma_f64 v[110:111], -v[114:115], v[134:135], v[110:111]
	ds_read2_b64 v[132:135], v126 offset0:9 offset1:10
	v_fma_f64 v[108:109], -v[114:115], v[136:137], v[108:109]
	v_fma_f64 v[106:107], -v[114:115], v[138:139], v[106:107]
	;; [unrolled: 1-line block ×3, first 2 shown]
	ds_read2_b64 v[136:139], v126 offset0:11 offset1:12
	v_fma_f64 v[102:103], -v[114:115], v[142:143], v[102:103]
	ds_read2_b64 v[140:143], v126 offset0:13 offset1:14
	s_waitcnt lgkmcnt(0)
	v_fma_f64 v[100:101], -v[114:115], v[132:133], v[100:101]
	v_fma_f64 v[98:99], -v[114:115], v[134:135], v[98:99]
	ds_read2_b64 v[132:135], v126 offset0:15 offset1:16
	v_fma_f64 v[96:97], -v[114:115], v[136:137], v[96:97]
	v_fma_f64 v[94:95], -v[114:115], v[138:139], v[94:95]
	ds_read2_b64 v[136:139], v126 offset0:17 offset1:18
	v_fma_f64 v[92:93], -v[114:115], v[140:141], v[92:93]
	v_fma_f64 v[90:91], -v[114:115], v[142:143], v[90:91]
	s_waitcnt lgkmcnt(0)
	v_fma_f64 v[88:89], -v[114:115], v[132:133], v[88:89]
	ds_read2_b64 v[140:143], v126 offset0:19 offset1:20
	v_fma_f64 v[86:87], -v[114:115], v[134:135], v[86:87]
	ds_read2_b64 v[132:135], v126 offset0:21 offset1:22
	v_fma_f64 v[84:85], -v[114:115], v[136:137], v[84:85]
	v_fma_f64 v[82:83], -v[114:115], v[138:139], v[82:83]
	s_waitcnt lgkmcnt(0)
	v_fma_f64 v[80:81], -v[114:115], v[140:141], v[80:81]
	ds_read2_b64 v[136:139], v126 offset0:23 offset1:24
	v_fma_f64 v[78:79], -v[114:115], v[142:143], v[78:79]
	ds_read2_b64 v[140:143], v126 offset0:25 offset1:26
	v_fma_f64 v[76:77], -v[114:115], v[132:133], v[76:77]
	v_fma_f64 v[74:75], -v[114:115], v[134:135], v[74:75]
	ds_read2_b64 v[132:135], v126 offset0:27 offset1:28
	s_waitcnt lgkmcnt(0)
	v_fma_f64 v[72:73], -v[114:115], v[136:137], v[72:73]
	v_fma_f64 v[70:71], -v[114:115], v[138:139], v[70:71]
	ds_read2_b64 v[136:139], v126 offset0:29 offset1:30
	v_fma_f64 v[68:69], -v[114:115], v[140:141], v[68:69]
	v_fma_f64 v[66:67], -v[114:115], v[142:143], v[66:67]
	v_fma_f64 v[64:65], -v[114:115], v[132:133], v[64:65]
	ds_read2_b64 v[140:143], v126 offset0:31 offset1:32
	v_fma_f64 v[62:63], -v[114:115], v[134:135], v[62:63]
	ds_read2_b64 v[132:135], v126 offset0:33 offset1:34
	s_waitcnt lgkmcnt(0)
	v_fma_f64 v[60:61], -v[114:115], v[136:137], v[60:61]
	v_fma_f64 v[58:59], -v[114:115], v[138:139], v[58:59]
	v_fma_f64 v[56:57], -v[114:115], v[140:141], v[56:57]
	ds_read2_b64 v[136:139], v126 offset0:35 offset1:36
	v_fma_f64 v[54:55], -v[114:115], v[142:143], v[54:55]
	ds_read2_b64 v[140:143], v126 offset0:37 offset1:38
	v_fma_f64 v[52:53], -v[114:115], v[132:133], v[52:53]
	v_fma_f64 v[50:51], -v[114:115], v[134:135], v[50:51]
	ds_read2_b64 v[132:135], v126 offset0:39 offset1:40
	s_waitcnt lgkmcnt(0)
	v_fma_f64 v[48:49], -v[114:115], v[136:137], v[48:49]
	v_fma_f64 v[46:47], -v[114:115], v[138:139], v[46:47]
	ds_read2_b64 v[136:139], v126 offset0:41 offset1:42
	v_fma_f64 v[44:45], -v[114:115], v[140:141], v[44:45]
	v_fma_f64 v[42:43], -v[114:115], v[142:143], v[42:43]
	v_fma_f64 v[40:41], -v[114:115], v[132:133], v[40:41]
	ds_read2_b64 v[140:143], v126 offset0:43 offset1:44
	v_fma_f64 v[38:39], -v[114:115], v[134:135], v[38:39]
	ds_read2_b64 v[132:135], v126 offset0:45 offset1:46
	s_waitcnt lgkmcnt(0)
	v_fma_f64 v[36:37], -v[114:115], v[136:137], v[36:37]
	v_fma_f64 v[34:35], -v[114:115], v[138:139], v[34:35]
	;; [unrolled: 20-line block ×3, first 2 shown]
	v_fma_f64 v[8:9], -v[114:115], v[140:141], v[8:9]
	v_fma_f64 v[6:7], -v[114:115], v[142:143], v[6:7]
	;; [unrolled: 1-line block ×4, first 2 shown]
.LBB116_46:
	s_or_b64 exec, exec, s[0:1]
	v_lshl_add_u32 v122, v127, 3, v126
	s_barrier
	ds_write_b64 v122, v[112:113]
	s_waitcnt lgkmcnt(0)
	s_barrier
	ds_read_b64 v[122:123], v126 offset:24
	s_cmp_lt_i32 s18, 5
	v_mov_b32_e32 v124, 3
	s_cbranch_scc1 .LBB116_49
; %bb.47:
	v_add3_u32 v132, v131, 0, 32
	s_mov_b32 s0, 4
	v_mov_b32_e32 v124, 3
.LBB116_48:                             ; =>This Inner Loop Header: Depth=1
	ds_read_b64 v[134:135], v132
	v_mov_b32_e32 v133, s0
	s_add_i32 s0, s0, 1
	v_add_u32_e32 v132, 8, v132
	s_cmp_lg_u32 s18, s0
	s_waitcnt lgkmcnt(0)
	v_cmp_lt_f64_e64 vcc, |v[122:123]|, |v[134:135]|
	v_cndmask_b32_e32 v123, v123, v135, vcc
	v_cndmask_b32_e32 v122, v122, v134, vcc
	;; [unrolled: 1-line block ×3, first 2 shown]
	s_cbranch_scc1 .LBB116_48
.LBB116_49:
	s_waitcnt lgkmcnt(0)
	v_cmp_eq_f64_e32 vcc, 0, v[122:123]
	s_and_saveexec_b64 s[0:1], vcc
	s_xor_b64 s[0:1], exec, s[0:1]
; %bb.50:
	v_cmp_ne_u32_e32 vcc, 0, v130
	v_cndmask_b32_e32 v130, 4, v130, vcc
; %bb.51:
	s_andn2_saveexec_b64 s[0:1], s[0:1]
; %bb.52:
	v_div_scale_f64 v[132:133], s[2:3], v[122:123], v[122:123], 1.0
	v_rcp_f64_e32 v[134:135], v[132:133]
	v_div_scale_f64 v[136:137], vcc, 1.0, v[122:123], 1.0
	v_fma_f64 v[138:139], -v[132:133], v[134:135], 1.0
	v_fmac_f64_e32 v[134:135], v[134:135], v[138:139]
	v_fma_f64 v[138:139], -v[132:133], v[134:135], 1.0
	v_fmac_f64_e32 v[134:135], v[134:135], v[138:139]
	v_mul_f64 v[138:139], v[136:137], v[134:135]
	v_fma_f64 v[132:133], -v[132:133], v[138:139], v[136:137]
	v_div_fmas_f64 v[132:133], v[132:133], v[134:135], v[138:139]
	v_div_fixup_f64 v[122:123], v[132:133], v[122:123], 1.0
; %bb.53:
	s_or_b64 exec, exec, s[0:1]
	v_cmp_ne_u32_e32 vcc, v127, v124
	s_and_saveexec_b64 s[0:1], vcc
	s_xor_b64 s[0:1], exec, s[0:1]
	s_cbranch_execz .LBB116_59
; %bb.54:
	v_cmp_eq_u32_e32 vcc, 3, v127
	s_and_saveexec_b64 s[2:3], vcc
	s_cbranch_execz .LBB116_58
; %bb.55:
	v_cmp_ne_u32_e32 vcc, 3, v124
	s_xor_b64 s[14:15], s[6:7], -1
	s_and_b64 s[16:17], s[14:15], vcc
	s_and_saveexec_b64 s[14:15], s[16:17]
	s_cbranch_execz .LBB116_57
; %bb.56:
	v_ashrrev_i32_e32 v125, 31, v124
	v_lshlrev_b64 v[132:133], 2, v[124:125]
	v_add_co_u32_e32 v132, vcc, v4, v132
	v_addc_co_u32_e32 v133, vcc, v5, v133, vcc
	flat_load_dword v125, v[132:133]
	flat_load_dword v127, v[4:5] offset:12
	s_waitcnt vmcnt(0) lgkmcnt(0)
	flat_store_dword v[4:5], v125 offset:12
	flat_store_dword v[132:133], v127
.LBB116_57:
	s_or_b64 exec, exec, s[14:15]
	v_mov_b32_e32 v125, v124
	v_mov_b32_e32 v127, v124
.LBB116_58:
	s_or_b64 exec, exec, s[2:3]
.LBB116_59:
	s_andn2_saveexec_b64 s[0:1], s[0:1]
	s_cbranch_execz .LBB116_61
; %bb.60:
	v_mov_b32_e32 v132, v110
	v_mov_b32_e32 v133, v111
	v_mov_b32_e32 v134, v108
	v_mov_b32_e32 v135, v109
	ds_write2_b64 v126, v[132:133], v[134:135] offset0:4 offset1:5
	v_mov_b32_e32 v132, v106
	v_mov_b32_e32 v133, v107
	v_mov_b32_e32 v134, v104
	v_mov_b32_e32 v135, v105
	ds_write2_b64 v126, v[132:133], v[134:135] offset0:6 offset1:7
	;; [unrolled: 5-line block ×26, first 2 shown]
	v_mov_b32_e32 v132, v6
	v_mov_b32_e32 v133, v7
	;; [unrolled: 1-line block ×5, first 2 shown]
	ds_write2_b64 v126, v[132:133], v[134:135] offset0:56 offset1:57
	ds_write_b64 v126, v[120:121] offset:464
.LBB116_61:
	s_or_b64 exec, exec, s[0:1]
	v_cmp_lt_i32_e32 vcc, 3, v127
	s_waitcnt lgkmcnt(0)
	s_barrier
	s_and_saveexec_b64 s[0:1], vcc
	s_cbranch_execz .LBB116_63
; %bb.62:
	ds_read2_b64 v[132:135], v126 offset0:4 offset1:5
	ds_read2_b64 v[136:139], v126 offset0:6 offset1:7
	;; [unrolled: 1-line block ×3, first 2 shown]
	v_mul_f64 v[112:113], v[122:123], v[112:113]
	ds_read_b64 v[122:123], v126 offset:464
	s_waitcnt lgkmcnt(0)
	v_fma_f64 v[110:111], -v[112:113], v[132:133], v[110:111]
	v_fma_f64 v[108:109], -v[112:113], v[134:135], v[108:109]
	ds_read2_b64 v[132:135], v126 offset0:10 offset1:11
	v_fma_f64 v[106:107], -v[112:113], v[136:137], v[106:107]
	v_fma_f64 v[104:105], -v[112:113], v[138:139], v[104:105]
	v_fma_f64 v[102:103], -v[112:113], v[140:141], v[102:103]
	ds_read2_b64 v[136:139], v126 offset0:12 offset1:13
	v_fma_f64 v[100:101], -v[112:113], v[142:143], v[100:101]
	ds_read2_b64 v[140:143], v126 offset0:14 offset1:15
	s_waitcnt lgkmcnt(0)
	v_fma_f64 v[98:99], -v[112:113], v[132:133], v[98:99]
	v_fma_f64 v[96:97], -v[112:113], v[134:135], v[96:97]
	v_fma_f64 v[94:95], -v[112:113], v[136:137], v[94:95]
	ds_read2_b64 v[132:135], v126 offset0:16 offset1:17
	v_fma_f64 v[92:93], -v[112:113], v[138:139], v[92:93]
	ds_read2_b64 v[136:139], v126 offset0:18 offset1:19
	v_fma_f64 v[90:91], -v[112:113], v[140:141], v[90:91]
	v_fma_f64 v[88:89], -v[112:113], v[142:143], v[88:89]
	ds_read2_b64 v[140:143], v126 offset0:20 offset1:21
	s_waitcnt lgkmcnt(0)
	v_fma_f64 v[86:87], -v[112:113], v[132:133], v[86:87]
	v_fma_f64 v[84:85], -v[112:113], v[134:135], v[84:85]
	ds_read2_b64 v[132:135], v126 offset0:22 offset1:23
	v_fma_f64 v[82:83], -v[112:113], v[136:137], v[82:83]
	v_fma_f64 v[80:81], -v[112:113], v[138:139], v[80:81]
	v_fma_f64 v[78:79], -v[112:113], v[140:141], v[78:79]
	ds_read2_b64 v[136:139], v126 offset0:24 offset1:25
	v_fma_f64 v[76:77], -v[112:113], v[142:143], v[76:77]
	ds_read2_b64 v[140:143], v126 offset0:26 offset1:27
	s_waitcnt lgkmcnt(0)
	v_fma_f64 v[74:75], -v[112:113], v[132:133], v[74:75]
	v_fma_f64 v[72:73], -v[112:113], v[134:135], v[72:73]
	v_fma_f64 v[70:71], -v[112:113], v[136:137], v[70:71]
	ds_read2_b64 v[132:135], v126 offset0:28 offset1:29
	v_fma_f64 v[68:69], -v[112:113], v[138:139], v[68:69]
	ds_read2_b64 v[136:139], v126 offset0:30 offset1:31
	v_fma_f64 v[66:67], -v[112:113], v[140:141], v[66:67]
	v_fma_f64 v[64:65], -v[112:113], v[142:143], v[64:65]
	ds_read2_b64 v[140:143], v126 offset0:32 offset1:33
	;; [unrolled: 20-line block ×4, first 2 shown]
	s_waitcnt lgkmcnt(0)
	v_fma_f64 v[14:15], -v[112:113], v[132:133], v[14:15]
	v_fma_f64 v[12:13], -v[112:113], v[134:135], v[12:13]
	;; [unrolled: 1-line block ×7, first 2 shown]
.LBB116_63:
	s_or_b64 exec, exec, s[0:1]
	v_lshl_add_u32 v122, v127, 3, v126
	s_barrier
	ds_write_b64 v122, v[110:111]
	s_waitcnt lgkmcnt(0)
	s_barrier
	ds_read_b64 v[122:123], v126 offset:32
	s_cmp_lt_i32 s18, 6
	v_mov_b32_e32 v124, 4
	s_cbranch_scc1 .LBB116_66
; %bb.64:
	v_add3_u32 v132, v131, 0, 40
	s_mov_b32 s0, 5
	v_mov_b32_e32 v124, 4
.LBB116_65:                             ; =>This Inner Loop Header: Depth=1
	ds_read_b64 v[134:135], v132
	v_mov_b32_e32 v133, s0
	s_add_i32 s0, s0, 1
	v_add_u32_e32 v132, 8, v132
	s_cmp_lg_u32 s18, s0
	s_waitcnt lgkmcnt(0)
	v_cmp_lt_f64_e64 vcc, |v[122:123]|, |v[134:135]|
	v_cndmask_b32_e32 v123, v123, v135, vcc
	v_cndmask_b32_e32 v122, v122, v134, vcc
	;; [unrolled: 1-line block ×3, first 2 shown]
	s_cbranch_scc1 .LBB116_65
.LBB116_66:
	s_waitcnt lgkmcnt(0)
	v_cmp_eq_f64_e32 vcc, 0, v[122:123]
	s_and_saveexec_b64 s[0:1], vcc
	s_xor_b64 s[0:1], exec, s[0:1]
; %bb.67:
	v_cmp_ne_u32_e32 vcc, 0, v130
	v_cndmask_b32_e32 v130, 5, v130, vcc
; %bb.68:
	s_andn2_saveexec_b64 s[0:1], s[0:1]
; %bb.69:
	v_div_scale_f64 v[132:133], s[2:3], v[122:123], v[122:123], 1.0
	v_rcp_f64_e32 v[134:135], v[132:133]
	v_div_scale_f64 v[136:137], vcc, 1.0, v[122:123], 1.0
	v_fma_f64 v[138:139], -v[132:133], v[134:135], 1.0
	v_fmac_f64_e32 v[134:135], v[134:135], v[138:139]
	v_fma_f64 v[138:139], -v[132:133], v[134:135], 1.0
	v_fmac_f64_e32 v[134:135], v[134:135], v[138:139]
	v_mul_f64 v[138:139], v[136:137], v[134:135]
	v_fma_f64 v[132:133], -v[132:133], v[138:139], v[136:137]
	v_div_fmas_f64 v[132:133], v[132:133], v[134:135], v[138:139]
	v_div_fixup_f64 v[122:123], v[132:133], v[122:123], 1.0
; %bb.70:
	s_or_b64 exec, exec, s[0:1]
	v_cmp_ne_u32_e32 vcc, v127, v124
	s_and_saveexec_b64 s[0:1], vcc
	s_xor_b64 s[0:1], exec, s[0:1]
	s_cbranch_execz .LBB116_76
; %bb.71:
	v_cmp_eq_u32_e32 vcc, 4, v127
	s_and_saveexec_b64 s[2:3], vcc
	s_cbranch_execz .LBB116_75
; %bb.72:
	v_cmp_ne_u32_e32 vcc, 4, v124
	s_xor_b64 s[14:15], s[6:7], -1
	s_and_b64 s[16:17], s[14:15], vcc
	s_and_saveexec_b64 s[14:15], s[16:17]
	s_cbranch_execz .LBB116_74
; %bb.73:
	v_ashrrev_i32_e32 v125, 31, v124
	v_lshlrev_b64 v[132:133], 2, v[124:125]
	v_add_co_u32_e32 v132, vcc, v4, v132
	v_addc_co_u32_e32 v133, vcc, v5, v133, vcc
	flat_load_dword v125, v[132:133]
	flat_load_dword v127, v[4:5] offset:16
	s_waitcnt vmcnt(0) lgkmcnt(0)
	flat_store_dword v[4:5], v125 offset:16
	flat_store_dword v[132:133], v127
.LBB116_74:
	s_or_b64 exec, exec, s[14:15]
	v_mov_b32_e32 v125, v124
	v_mov_b32_e32 v127, v124
.LBB116_75:
	s_or_b64 exec, exec, s[2:3]
.LBB116_76:
	s_andn2_saveexec_b64 s[0:1], s[0:1]
	s_cbranch_execz .LBB116_78
; %bb.77:
	v_mov_b32_e32 v127, 4
	ds_write2_b64 v126, v[108:109], v[106:107] offset0:5 offset1:6
	ds_write2_b64 v126, v[104:105], v[102:103] offset0:7 offset1:8
	ds_write2_b64 v126, v[100:101], v[98:99] offset0:9 offset1:10
	ds_write2_b64 v126, v[96:97], v[94:95] offset0:11 offset1:12
	ds_write2_b64 v126, v[92:93], v[90:91] offset0:13 offset1:14
	ds_write2_b64 v126, v[88:89], v[86:87] offset0:15 offset1:16
	ds_write2_b64 v126, v[84:85], v[82:83] offset0:17 offset1:18
	ds_write2_b64 v126, v[80:81], v[78:79] offset0:19 offset1:20
	ds_write2_b64 v126, v[76:77], v[74:75] offset0:21 offset1:22
	ds_write2_b64 v126, v[72:73], v[70:71] offset0:23 offset1:24
	ds_write2_b64 v126, v[68:69], v[66:67] offset0:25 offset1:26
	ds_write2_b64 v126, v[64:65], v[62:63] offset0:27 offset1:28
	ds_write2_b64 v126, v[60:61], v[58:59] offset0:29 offset1:30
	ds_write2_b64 v126, v[56:57], v[54:55] offset0:31 offset1:32
	ds_write2_b64 v126, v[52:53], v[50:51] offset0:33 offset1:34
	ds_write2_b64 v126, v[48:49], v[46:47] offset0:35 offset1:36
	ds_write2_b64 v126, v[44:45], v[42:43] offset0:37 offset1:38
	ds_write2_b64 v126, v[40:41], v[38:39] offset0:39 offset1:40
	ds_write2_b64 v126, v[36:37], v[34:35] offset0:41 offset1:42
	ds_write2_b64 v126, v[32:33], v[30:31] offset0:43 offset1:44
	ds_write2_b64 v126, v[28:29], v[26:27] offset0:45 offset1:46
	ds_write2_b64 v126, v[24:25], v[22:23] offset0:47 offset1:48
	ds_write2_b64 v126, v[20:21], v[18:19] offset0:49 offset1:50
	ds_write2_b64 v126, v[16:17], v[14:15] offset0:51 offset1:52
	ds_write2_b64 v126, v[12:13], v[10:11] offset0:53 offset1:54
	ds_write2_b64 v126, v[8:9], v[6:7] offset0:55 offset1:56
	ds_write2_b64 v126, v[0:1], v[120:121] offset0:57 offset1:58
.LBB116_78:
	s_or_b64 exec, exec, s[0:1]
	v_cmp_lt_i32_e32 vcc, 4, v127
	s_waitcnt lgkmcnt(0)
	s_barrier
	s_and_saveexec_b64 s[0:1], vcc
	s_cbranch_execz .LBB116_80
; %bb.79:
	ds_read2_b64 v[132:135], v126 offset0:5 offset1:6
	ds_read2_b64 v[136:139], v126 offset0:7 offset1:8
	;; [unrolled: 1-line block ×3, first 2 shown]
	v_mul_f64 v[110:111], v[122:123], v[110:111]
	s_waitcnt lgkmcnt(0)
	v_fma_f64 v[108:109], -v[110:111], v[132:133], v[108:109]
	v_fma_f64 v[106:107], -v[110:111], v[134:135], v[106:107]
	ds_read2_b64 v[132:135], v126 offset0:11 offset1:12
	v_fma_f64 v[104:105], -v[110:111], v[136:137], v[104:105]
	v_fma_f64 v[102:103], -v[110:111], v[138:139], v[102:103]
	v_fma_f64 v[100:101], -v[110:111], v[140:141], v[100:101]
	ds_read2_b64 v[136:139], v126 offset0:13 offset1:14
	v_fma_f64 v[98:99], -v[110:111], v[142:143], v[98:99]
	ds_read2_b64 v[140:143], v126 offset0:15 offset1:16
	s_waitcnt lgkmcnt(0)
	v_fma_f64 v[96:97], -v[110:111], v[132:133], v[96:97]
	v_fma_f64 v[94:95], -v[110:111], v[134:135], v[94:95]
	v_fma_f64 v[92:93], -v[110:111], v[136:137], v[92:93]
	ds_read2_b64 v[132:135], v126 offset0:17 offset1:18
	v_fma_f64 v[90:91], -v[110:111], v[138:139], v[90:91]
	ds_read2_b64 v[136:139], v126 offset0:19 offset1:20
	v_fma_f64 v[88:89], -v[110:111], v[140:141], v[88:89]
	v_fma_f64 v[86:87], -v[110:111], v[142:143], v[86:87]
	ds_read2_b64 v[140:143], v126 offset0:21 offset1:22
	s_waitcnt lgkmcnt(0)
	v_fma_f64 v[84:85], -v[110:111], v[132:133], v[84:85]
	v_fma_f64 v[82:83], -v[110:111], v[134:135], v[82:83]
	ds_read2_b64 v[132:135], v126 offset0:23 offset1:24
	v_fma_f64 v[80:81], -v[110:111], v[136:137], v[80:81]
	v_fma_f64 v[78:79], -v[110:111], v[138:139], v[78:79]
	v_fma_f64 v[76:77], -v[110:111], v[140:141], v[76:77]
	ds_read2_b64 v[136:139], v126 offset0:25 offset1:26
	v_fma_f64 v[74:75], -v[110:111], v[142:143], v[74:75]
	ds_read2_b64 v[140:143], v126 offset0:27 offset1:28
	s_waitcnt lgkmcnt(0)
	v_fma_f64 v[72:73], -v[110:111], v[132:133], v[72:73]
	v_fma_f64 v[70:71], -v[110:111], v[134:135], v[70:71]
	v_fma_f64 v[68:69], -v[110:111], v[136:137], v[68:69]
	ds_read2_b64 v[132:135], v126 offset0:29 offset1:30
	v_fma_f64 v[66:67], -v[110:111], v[138:139], v[66:67]
	ds_read2_b64 v[136:139], v126 offset0:31 offset1:32
	v_fma_f64 v[64:65], -v[110:111], v[140:141], v[64:65]
	v_fma_f64 v[62:63], -v[110:111], v[142:143], v[62:63]
	ds_read2_b64 v[140:143], v126 offset0:33 offset1:34
	s_waitcnt lgkmcnt(0)
	v_fma_f64 v[60:61], -v[110:111], v[132:133], v[60:61]
	v_fma_f64 v[58:59], -v[110:111], v[134:135], v[58:59]
	ds_read2_b64 v[132:135], v126 offset0:35 offset1:36
	v_fma_f64 v[56:57], -v[110:111], v[136:137], v[56:57]
	v_fma_f64 v[54:55], -v[110:111], v[138:139], v[54:55]
	v_fma_f64 v[52:53], -v[110:111], v[140:141], v[52:53]
	ds_read2_b64 v[136:139], v126 offset0:37 offset1:38
	v_fma_f64 v[50:51], -v[110:111], v[142:143], v[50:51]
	ds_read2_b64 v[140:143], v126 offset0:39 offset1:40
	s_waitcnt lgkmcnt(0)
	v_fma_f64 v[48:49], -v[110:111], v[132:133], v[48:49]
	v_fma_f64 v[46:47], -v[110:111], v[134:135], v[46:47]
	v_fma_f64 v[44:45], -v[110:111], v[136:137], v[44:45]
	ds_read2_b64 v[132:135], v126 offset0:41 offset1:42
	v_fma_f64 v[42:43], -v[110:111], v[138:139], v[42:43]
	ds_read2_b64 v[136:139], v126 offset0:43 offset1:44
	v_fma_f64 v[40:41], -v[110:111], v[140:141], v[40:41]
	v_fma_f64 v[38:39], -v[110:111], v[142:143], v[38:39]
	ds_read2_b64 v[140:143], v126 offset0:45 offset1:46
	s_waitcnt lgkmcnt(0)
	v_fma_f64 v[36:37], -v[110:111], v[132:133], v[36:37]
	v_fma_f64 v[34:35], -v[110:111], v[134:135], v[34:35]
	ds_read2_b64 v[132:135], v126 offset0:47 offset1:48
	v_fma_f64 v[32:33], -v[110:111], v[136:137], v[32:33]
	v_fma_f64 v[30:31], -v[110:111], v[138:139], v[30:31]
	;; [unrolled: 1-line block ×3, first 2 shown]
	ds_read2_b64 v[136:139], v126 offset0:49 offset1:50
	v_fma_f64 v[26:27], -v[110:111], v[142:143], v[26:27]
	ds_read2_b64 v[140:143], v126 offset0:51 offset1:52
	s_waitcnt lgkmcnt(0)
	v_fma_f64 v[24:25], -v[110:111], v[132:133], v[24:25]
	v_fma_f64 v[22:23], -v[110:111], v[134:135], v[22:23]
	;; [unrolled: 1-line block ×4, first 2 shown]
	ds_read2_b64 v[132:135], v126 offset0:53 offset1:54
	ds_read2_b64 v[136:139], v126 offset0:55 offset1:56
	v_fma_f64 v[16:17], -v[110:111], v[140:141], v[16:17]
	v_fma_f64 v[14:15], -v[110:111], v[142:143], v[14:15]
	ds_read2_b64 v[140:143], v126 offset0:57 offset1:58
	s_waitcnt lgkmcnt(0)
	v_fma_f64 v[12:13], -v[110:111], v[132:133], v[12:13]
	v_fma_f64 v[10:11], -v[110:111], v[134:135], v[10:11]
	;; [unrolled: 1-line block ×6, first 2 shown]
.LBB116_80:
	s_or_b64 exec, exec, s[0:1]
	v_lshl_add_u32 v122, v127, 3, v126
	s_barrier
	ds_write_b64 v122, v[108:109]
	s_waitcnt lgkmcnt(0)
	s_barrier
	ds_read_b64 v[122:123], v126 offset:40
	s_cmp_lt_i32 s18, 7
	v_mov_b32_e32 v124, 5
	s_cbranch_scc1 .LBB116_83
; %bb.81:
	v_add3_u32 v132, v131, 0, 48
	s_mov_b32 s0, 6
	v_mov_b32_e32 v124, 5
.LBB116_82:                             ; =>This Inner Loop Header: Depth=1
	ds_read_b64 v[134:135], v132
	v_mov_b32_e32 v133, s0
	s_add_i32 s0, s0, 1
	v_add_u32_e32 v132, 8, v132
	s_cmp_lg_u32 s18, s0
	s_waitcnt lgkmcnt(0)
	v_cmp_lt_f64_e64 vcc, |v[122:123]|, |v[134:135]|
	v_cndmask_b32_e32 v123, v123, v135, vcc
	v_cndmask_b32_e32 v122, v122, v134, vcc
	;; [unrolled: 1-line block ×3, first 2 shown]
	s_cbranch_scc1 .LBB116_82
.LBB116_83:
	s_waitcnt lgkmcnt(0)
	v_cmp_eq_f64_e32 vcc, 0, v[122:123]
	s_and_saveexec_b64 s[0:1], vcc
	s_xor_b64 s[0:1], exec, s[0:1]
; %bb.84:
	v_cmp_ne_u32_e32 vcc, 0, v130
	v_cndmask_b32_e32 v130, 6, v130, vcc
; %bb.85:
	s_andn2_saveexec_b64 s[0:1], s[0:1]
; %bb.86:
	v_div_scale_f64 v[132:133], s[2:3], v[122:123], v[122:123], 1.0
	v_rcp_f64_e32 v[134:135], v[132:133]
	v_div_scale_f64 v[136:137], vcc, 1.0, v[122:123], 1.0
	v_fma_f64 v[138:139], -v[132:133], v[134:135], 1.0
	v_fmac_f64_e32 v[134:135], v[134:135], v[138:139]
	v_fma_f64 v[138:139], -v[132:133], v[134:135], 1.0
	v_fmac_f64_e32 v[134:135], v[134:135], v[138:139]
	v_mul_f64 v[138:139], v[136:137], v[134:135]
	v_fma_f64 v[132:133], -v[132:133], v[138:139], v[136:137]
	v_div_fmas_f64 v[132:133], v[132:133], v[134:135], v[138:139]
	v_div_fixup_f64 v[122:123], v[132:133], v[122:123], 1.0
; %bb.87:
	s_or_b64 exec, exec, s[0:1]
	v_cmp_ne_u32_e32 vcc, v127, v124
	s_and_saveexec_b64 s[0:1], vcc
	s_xor_b64 s[0:1], exec, s[0:1]
	s_cbranch_execz .LBB116_93
; %bb.88:
	v_cmp_eq_u32_e32 vcc, 5, v127
	s_and_saveexec_b64 s[2:3], vcc
	s_cbranch_execz .LBB116_92
; %bb.89:
	v_cmp_ne_u32_e32 vcc, 5, v124
	s_xor_b64 s[14:15], s[6:7], -1
	s_and_b64 s[16:17], s[14:15], vcc
	s_and_saveexec_b64 s[14:15], s[16:17]
	s_cbranch_execz .LBB116_91
; %bb.90:
	v_ashrrev_i32_e32 v125, 31, v124
	v_lshlrev_b64 v[132:133], 2, v[124:125]
	v_add_co_u32_e32 v132, vcc, v4, v132
	v_addc_co_u32_e32 v133, vcc, v5, v133, vcc
	flat_load_dword v125, v[132:133]
	flat_load_dword v127, v[4:5] offset:20
	s_waitcnt vmcnt(0) lgkmcnt(0)
	flat_store_dword v[4:5], v125 offset:20
	flat_store_dword v[132:133], v127
.LBB116_91:
	s_or_b64 exec, exec, s[14:15]
	v_mov_b32_e32 v125, v124
	v_mov_b32_e32 v127, v124
.LBB116_92:
	s_or_b64 exec, exec, s[2:3]
.LBB116_93:
	s_andn2_saveexec_b64 s[0:1], s[0:1]
	s_cbranch_execz .LBB116_95
; %bb.94:
	v_mov_b32_e32 v132, v106
	v_mov_b32_e32 v133, v107
	v_mov_b32_e32 v134, v104
	v_mov_b32_e32 v135, v105
	ds_write2_b64 v126, v[132:133], v[134:135] offset0:6 offset1:7
	v_mov_b32_e32 v132, v102
	v_mov_b32_e32 v133, v103
	v_mov_b32_e32 v134, v100
	v_mov_b32_e32 v135, v101
	ds_write2_b64 v126, v[132:133], v[134:135] offset0:8 offset1:9
	;; [unrolled: 5-line block ×25, first 2 shown]
	v_mov_b32_e32 v132, v6
	v_mov_b32_e32 v133, v7
	;; [unrolled: 1-line block ×5, first 2 shown]
	ds_write2_b64 v126, v[132:133], v[134:135] offset0:56 offset1:57
	ds_write_b64 v126, v[120:121] offset:464
.LBB116_95:
	s_or_b64 exec, exec, s[0:1]
	v_cmp_lt_i32_e32 vcc, 5, v127
	s_waitcnt lgkmcnt(0)
	s_barrier
	s_and_saveexec_b64 s[0:1], vcc
	s_cbranch_execz .LBB116_97
; %bb.96:
	ds_read2_b64 v[132:135], v126 offset0:6 offset1:7
	ds_read2_b64 v[136:139], v126 offset0:8 offset1:9
	v_mul_f64 v[108:109], v[122:123], v[108:109]
	ds_read2_b64 v[140:143], v126 offset0:10 offset1:11
	ds_read_b64 v[122:123], v126 offset:464
	s_waitcnt lgkmcnt(0)
	v_fma_f64 v[106:107], -v[108:109], v[132:133], v[106:107]
	v_fma_f64 v[104:105], -v[108:109], v[134:135], v[104:105]
	ds_read2_b64 v[132:135], v126 offset0:12 offset1:13
	v_fma_f64 v[102:103], -v[108:109], v[136:137], v[102:103]
	v_fma_f64 v[100:101], -v[108:109], v[138:139], v[100:101]
	ds_read2_b64 v[136:139], v126 offset0:14 offset1:15
	;; [unrolled: 3-line block ×3, first 2 shown]
	s_waitcnt lgkmcnt(0)
	v_fma_f64 v[94:95], -v[108:109], v[132:133], v[94:95]
	v_fma_f64 v[92:93], -v[108:109], v[134:135], v[92:93]
	;; [unrolled: 1-line block ×3, first 2 shown]
	ds_read2_b64 v[132:135], v126 offset0:18 offset1:19
	v_fma_f64 v[88:89], -v[108:109], v[138:139], v[88:89]
	ds_read2_b64 v[136:139], v126 offset0:20 offset1:21
	v_fma_f64 v[86:87], -v[108:109], v[140:141], v[86:87]
	v_fma_f64 v[84:85], -v[108:109], v[142:143], v[84:85]
	s_waitcnt lgkmcnt(0)
	v_fma_f64 v[82:83], -v[108:109], v[132:133], v[82:83]
	ds_read2_b64 v[140:143], v126 offset0:22 offset1:23
	v_fma_f64 v[80:81], -v[108:109], v[134:135], v[80:81]
	ds_read2_b64 v[132:135], v126 offset0:24 offset1:25
	v_fma_f64 v[78:79], -v[108:109], v[136:137], v[78:79]
	v_fma_f64 v[76:77], -v[108:109], v[138:139], v[76:77]
	ds_read2_b64 v[136:139], v126 offset0:26 offset1:27
	s_waitcnt lgkmcnt(0)
	v_fma_f64 v[74:75], -v[108:109], v[140:141], v[74:75]
	v_fma_f64 v[72:73], -v[108:109], v[142:143], v[72:73]
	ds_read2_b64 v[140:143], v126 offset0:28 offset1:29
	v_fma_f64 v[70:71], -v[108:109], v[132:133], v[70:71]
	v_fma_f64 v[68:69], -v[108:109], v[134:135], v[68:69]
	;; [unrolled: 1-line block ×3, first 2 shown]
	ds_read2_b64 v[132:135], v126 offset0:30 offset1:31
	v_fma_f64 v[64:65], -v[108:109], v[138:139], v[64:65]
	ds_read2_b64 v[136:139], v126 offset0:32 offset1:33
	s_waitcnt lgkmcnt(0)
	v_fma_f64 v[62:63], -v[108:109], v[140:141], v[62:63]
	v_fma_f64 v[60:61], -v[108:109], v[142:143], v[60:61]
	;; [unrolled: 1-line block ×3, first 2 shown]
	ds_read2_b64 v[140:143], v126 offset0:34 offset1:35
	v_fma_f64 v[56:57], -v[108:109], v[134:135], v[56:57]
	ds_read2_b64 v[132:135], v126 offset0:36 offset1:37
	v_fma_f64 v[54:55], -v[108:109], v[136:137], v[54:55]
	v_fma_f64 v[52:53], -v[108:109], v[138:139], v[52:53]
	ds_read2_b64 v[136:139], v126 offset0:38 offset1:39
	s_waitcnt lgkmcnt(0)
	v_fma_f64 v[50:51], -v[108:109], v[140:141], v[50:51]
	v_fma_f64 v[48:49], -v[108:109], v[142:143], v[48:49]
	ds_read2_b64 v[140:143], v126 offset0:40 offset1:41
	v_fma_f64 v[46:47], -v[108:109], v[132:133], v[46:47]
	v_fma_f64 v[44:45], -v[108:109], v[134:135], v[44:45]
	;; [unrolled: 1-line block ×3, first 2 shown]
	ds_read2_b64 v[132:135], v126 offset0:42 offset1:43
	v_fma_f64 v[40:41], -v[108:109], v[138:139], v[40:41]
	ds_read2_b64 v[136:139], v126 offset0:44 offset1:45
	s_waitcnt lgkmcnt(0)
	v_fma_f64 v[38:39], -v[108:109], v[140:141], v[38:39]
	v_fma_f64 v[36:37], -v[108:109], v[142:143], v[36:37]
	;; [unrolled: 1-line block ×3, first 2 shown]
	ds_read2_b64 v[140:143], v126 offset0:46 offset1:47
	v_fma_f64 v[32:33], -v[108:109], v[134:135], v[32:33]
	ds_read2_b64 v[132:135], v126 offset0:48 offset1:49
	v_fma_f64 v[30:31], -v[108:109], v[136:137], v[30:31]
	v_fma_f64 v[28:29], -v[108:109], v[138:139], v[28:29]
	ds_read2_b64 v[136:139], v126 offset0:50 offset1:51
	s_waitcnt lgkmcnt(0)
	v_fma_f64 v[26:27], -v[108:109], v[140:141], v[26:27]
	v_fma_f64 v[24:25], -v[108:109], v[142:143], v[24:25]
	ds_read2_b64 v[140:143], v126 offset0:52 offset1:53
	v_fma_f64 v[22:23], -v[108:109], v[132:133], v[22:23]
	v_fma_f64 v[20:21], -v[108:109], v[134:135], v[20:21]
	;; [unrolled: 1-line block ×4, first 2 shown]
	ds_read2_b64 v[132:135], v126 offset0:54 offset1:55
	ds_read2_b64 v[136:139], v126 offset0:56 offset1:57
	s_waitcnt lgkmcnt(0)
	v_fma_f64 v[14:15], -v[108:109], v[140:141], v[14:15]
	v_fma_f64 v[12:13], -v[108:109], v[142:143], v[12:13]
	;; [unrolled: 1-line block ×7, first 2 shown]
.LBB116_97:
	s_or_b64 exec, exec, s[0:1]
	v_lshl_add_u32 v122, v127, 3, v126
	s_barrier
	ds_write_b64 v122, v[106:107]
	s_waitcnt lgkmcnt(0)
	s_barrier
	ds_read_b64 v[122:123], v126 offset:48
	s_cmp_lt_i32 s18, 8
	v_mov_b32_e32 v124, 6
	s_cbranch_scc1 .LBB116_100
; %bb.98:
	v_add3_u32 v132, v131, 0, 56
	s_mov_b32 s0, 7
	v_mov_b32_e32 v124, 6
.LBB116_99:                             ; =>This Inner Loop Header: Depth=1
	ds_read_b64 v[134:135], v132
	v_mov_b32_e32 v133, s0
	s_add_i32 s0, s0, 1
	v_add_u32_e32 v132, 8, v132
	s_cmp_lg_u32 s18, s0
	s_waitcnt lgkmcnt(0)
	v_cmp_lt_f64_e64 vcc, |v[122:123]|, |v[134:135]|
	v_cndmask_b32_e32 v123, v123, v135, vcc
	v_cndmask_b32_e32 v122, v122, v134, vcc
	;; [unrolled: 1-line block ×3, first 2 shown]
	s_cbranch_scc1 .LBB116_99
.LBB116_100:
	s_waitcnt lgkmcnt(0)
	v_cmp_eq_f64_e32 vcc, 0, v[122:123]
	s_and_saveexec_b64 s[0:1], vcc
	s_xor_b64 s[0:1], exec, s[0:1]
; %bb.101:
	v_cmp_ne_u32_e32 vcc, 0, v130
	v_cndmask_b32_e32 v130, 7, v130, vcc
; %bb.102:
	s_andn2_saveexec_b64 s[0:1], s[0:1]
; %bb.103:
	v_div_scale_f64 v[132:133], s[2:3], v[122:123], v[122:123], 1.0
	v_rcp_f64_e32 v[134:135], v[132:133]
	v_div_scale_f64 v[136:137], vcc, 1.0, v[122:123], 1.0
	v_fma_f64 v[138:139], -v[132:133], v[134:135], 1.0
	v_fmac_f64_e32 v[134:135], v[134:135], v[138:139]
	v_fma_f64 v[138:139], -v[132:133], v[134:135], 1.0
	v_fmac_f64_e32 v[134:135], v[134:135], v[138:139]
	v_mul_f64 v[138:139], v[136:137], v[134:135]
	v_fma_f64 v[132:133], -v[132:133], v[138:139], v[136:137]
	v_div_fmas_f64 v[132:133], v[132:133], v[134:135], v[138:139]
	v_div_fixup_f64 v[122:123], v[132:133], v[122:123], 1.0
; %bb.104:
	s_or_b64 exec, exec, s[0:1]
	v_cmp_ne_u32_e32 vcc, v127, v124
	s_and_saveexec_b64 s[0:1], vcc
	s_xor_b64 s[0:1], exec, s[0:1]
	s_cbranch_execz .LBB116_110
; %bb.105:
	v_cmp_eq_u32_e32 vcc, 6, v127
	s_and_saveexec_b64 s[2:3], vcc
	s_cbranch_execz .LBB116_109
; %bb.106:
	v_cmp_ne_u32_e32 vcc, 6, v124
	s_xor_b64 s[14:15], s[6:7], -1
	s_and_b64 s[16:17], s[14:15], vcc
	s_and_saveexec_b64 s[14:15], s[16:17]
	s_cbranch_execz .LBB116_108
; %bb.107:
	v_ashrrev_i32_e32 v125, 31, v124
	v_lshlrev_b64 v[132:133], 2, v[124:125]
	v_add_co_u32_e32 v132, vcc, v4, v132
	v_addc_co_u32_e32 v133, vcc, v5, v133, vcc
	flat_load_dword v125, v[132:133]
	flat_load_dword v127, v[4:5] offset:24
	s_waitcnt vmcnt(0) lgkmcnt(0)
	flat_store_dword v[4:5], v125 offset:24
	flat_store_dword v[132:133], v127
.LBB116_108:
	s_or_b64 exec, exec, s[14:15]
	v_mov_b32_e32 v125, v124
	v_mov_b32_e32 v127, v124
.LBB116_109:
	s_or_b64 exec, exec, s[2:3]
.LBB116_110:
	s_andn2_saveexec_b64 s[0:1], s[0:1]
	s_cbranch_execz .LBB116_112
; %bb.111:
	v_mov_b32_e32 v127, 6
	ds_write2_b64 v126, v[104:105], v[102:103] offset0:7 offset1:8
	ds_write2_b64 v126, v[100:101], v[98:99] offset0:9 offset1:10
	;; [unrolled: 1-line block ×26, first 2 shown]
.LBB116_112:
	s_or_b64 exec, exec, s[0:1]
	v_cmp_lt_i32_e32 vcc, 6, v127
	s_waitcnt lgkmcnt(0)
	s_barrier
	s_and_saveexec_b64 s[0:1], vcc
	s_cbranch_execz .LBB116_114
; %bb.113:
	ds_read2_b64 v[132:135], v126 offset0:7 offset1:8
	ds_read2_b64 v[136:139], v126 offset0:9 offset1:10
	v_mul_f64 v[106:107], v[122:123], v[106:107]
	ds_read2_b64 v[140:143], v126 offset0:11 offset1:12
	s_waitcnt lgkmcnt(0)
	v_fma_f64 v[104:105], -v[106:107], v[132:133], v[104:105]
	v_fma_f64 v[102:103], -v[106:107], v[134:135], v[102:103]
	ds_read2_b64 v[132:135], v126 offset0:13 offset1:14
	v_fma_f64 v[100:101], -v[106:107], v[136:137], v[100:101]
	v_fma_f64 v[98:99], -v[106:107], v[138:139], v[98:99]
	ds_read2_b64 v[136:139], v126 offset0:15 offset1:16
	v_fma_f64 v[96:97], -v[106:107], v[140:141], v[96:97]
	v_fma_f64 v[94:95], -v[106:107], v[142:143], v[94:95]
	ds_read2_b64 v[140:143], v126 offset0:17 offset1:18
	s_waitcnt lgkmcnt(0)
	v_fma_f64 v[92:93], -v[106:107], v[132:133], v[92:93]
	v_fma_f64 v[90:91], -v[106:107], v[134:135], v[90:91]
	;; [unrolled: 1-line block ×3, first 2 shown]
	ds_read2_b64 v[132:135], v126 offset0:19 offset1:20
	v_fma_f64 v[86:87], -v[106:107], v[138:139], v[86:87]
	ds_read2_b64 v[136:139], v126 offset0:21 offset1:22
	v_fma_f64 v[84:85], -v[106:107], v[140:141], v[84:85]
	v_fma_f64 v[82:83], -v[106:107], v[142:143], v[82:83]
	s_waitcnt lgkmcnt(0)
	v_fma_f64 v[80:81], -v[106:107], v[132:133], v[80:81]
	ds_read2_b64 v[140:143], v126 offset0:23 offset1:24
	v_fma_f64 v[78:79], -v[106:107], v[134:135], v[78:79]
	ds_read2_b64 v[132:135], v126 offset0:25 offset1:26
	v_fma_f64 v[76:77], -v[106:107], v[136:137], v[76:77]
	v_fma_f64 v[74:75], -v[106:107], v[138:139], v[74:75]
	ds_read2_b64 v[136:139], v126 offset0:27 offset1:28
	s_waitcnt lgkmcnt(0)
	v_fma_f64 v[72:73], -v[106:107], v[140:141], v[72:73]
	v_fma_f64 v[70:71], -v[106:107], v[142:143], v[70:71]
	ds_read2_b64 v[140:143], v126 offset0:29 offset1:30
	v_fma_f64 v[68:69], -v[106:107], v[132:133], v[68:69]
	v_fma_f64 v[66:67], -v[106:107], v[134:135], v[66:67]
	;; [unrolled: 1-line block ×3, first 2 shown]
	ds_read2_b64 v[132:135], v126 offset0:31 offset1:32
	v_fma_f64 v[62:63], -v[106:107], v[138:139], v[62:63]
	ds_read2_b64 v[136:139], v126 offset0:33 offset1:34
	s_waitcnt lgkmcnt(0)
	v_fma_f64 v[60:61], -v[106:107], v[140:141], v[60:61]
	v_fma_f64 v[58:59], -v[106:107], v[142:143], v[58:59]
	;; [unrolled: 1-line block ×3, first 2 shown]
	ds_read2_b64 v[140:143], v126 offset0:35 offset1:36
	v_fma_f64 v[54:55], -v[106:107], v[134:135], v[54:55]
	ds_read2_b64 v[132:135], v126 offset0:37 offset1:38
	v_fma_f64 v[52:53], -v[106:107], v[136:137], v[52:53]
	v_fma_f64 v[50:51], -v[106:107], v[138:139], v[50:51]
	ds_read2_b64 v[136:139], v126 offset0:39 offset1:40
	s_waitcnt lgkmcnt(0)
	v_fma_f64 v[48:49], -v[106:107], v[140:141], v[48:49]
	v_fma_f64 v[46:47], -v[106:107], v[142:143], v[46:47]
	ds_read2_b64 v[140:143], v126 offset0:41 offset1:42
	v_fma_f64 v[44:45], -v[106:107], v[132:133], v[44:45]
	v_fma_f64 v[42:43], -v[106:107], v[134:135], v[42:43]
	v_fma_f64 v[40:41], -v[106:107], v[136:137], v[40:41]
	ds_read2_b64 v[132:135], v126 offset0:43 offset1:44
	v_fma_f64 v[38:39], -v[106:107], v[138:139], v[38:39]
	ds_read2_b64 v[136:139], v126 offset0:45 offset1:46
	s_waitcnt lgkmcnt(0)
	v_fma_f64 v[36:37], -v[106:107], v[140:141], v[36:37]
	v_fma_f64 v[34:35], -v[106:107], v[142:143], v[34:35]
	;; [unrolled: 1-line block ×3, first 2 shown]
	ds_read2_b64 v[140:143], v126 offset0:47 offset1:48
	v_fma_f64 v[30:31], -v[106:107], v[134:135], v[30:31]
	ds_read2_b64 v[132:135], v126 offset0:49 offset1:50
	v_fma_f64 v[28:29], -v[106:107], v[136:137], v[28:29]
	v_fma_f64 v[26:27], -v[106:107], v[138:139], v[26:27]
	ds_read2_b64 v[136:139], v126 offset0:51 offset1:52
	s_waitcnt lgkmcnt(0)
	v_fma_f64 v[24:25], -v[106:107], v[140:141], v[24:25]
	v_fma_f64 v[22:23], -v[106:107], v[142:143], v[22:23]
	;; [unrolled: 1-line block ×4, first 2 shown]
	ds_read2_b64 v[132:135], v126 offset0:53 offset1:54
	v_fma_f64 v[16:17], -v[106:107], v[136:137], v[16:17]
	ds_read2_b64 v[140:143], v126 offset0:55 offset1:56
	v_fma_f64 v[14:15], -v[106:107], v[138:139], v[14:15]
	ds_read2_b64 v[136:139], v126 offset0:57 offset1:58
	s_waitcnt lgkmcnt(0)
	v_fma_f64 v[12:13], -v[106:107], v[132:133], v[12:13]
	v_fma_f64 v[10:11], -v[106:107], v[134:135], v[10:11]
	;; [unrolled: 1-line block ×6, first 2 shown]
.LBB116_114:
	s_or_b64 exec, exec, s[0:1]
	v_lshl_add_u32 v122, v127, 3, v126
	s_barrier
	ds_write_b64 v122, v[104:105]
	s_waitcnt lgkmcnt(0)
	s_barrier
	ds_read_b64 v[122:123], v126 offset:56
	s_cmp_lt_i32 s18, 9
	v_mov_b32_e32 v124, 7
	s_cbranch_scc1 .LBB116_117
; %bb.115:
	v_add3_u32 v131, v131, 0, 64
	s_mov_b32 s0, 8
	v_mov_b32_e32 v124, 7
.LBB116_116:                            ; =>This Inner Loop Header: Depth=1
	ds_read_b64 v[132:133], v131
	v_mov_b32_e32 v134, s0
	s_add_i32 s0, s0, 1
	v_add_u32_e32 v131, 8, v131
	s_cmp_lg_u32 s18, s0
	s_waitcnt lgkmcnt(0)
	v_cmp_lt_f64_e64 vcc, |v[122:123]|, |v[132:133]|
	v_cndmask_b32_e32 v123, v123, v133, vcc
	v_cndmask_b32_e32 v122, v122, v132, vcc
	;; [unrolled: 1-line block ×3, first 2 shown]
	s_cbranch_scc1 .LBB116_116
.LBB116_117:
	s_waitcnt lgkmcnt(0)
	v_cmp_eq_f64_e32 vcc, 0, v[122:123]
	s_and_saveexec_b64 s[0:1], vcc
	s_xor_b64 s[0:1], exec, s[0:1]
; %bb.118:
	v_cmp_ne_u32_e32 vcc, 0, v130
	v_cndmask_b32_e32 v130, 8, v130, vcc
; %bb.119:
	s_andn2_saveexec_b64 s[0:1], s[0:1]
; %bb.120:
	v_div_scale_f64 v[132:133], s[2:3], v[122:123], v[122:123], 1.0
	v_rcp_f64_e32 v[134:135], v[132:133]
	v_div_scale_f64 v[136:137], vcc, 1.0, v[122:123], 1.0
	v_fma_f64 v[138:139], -v[132:133], v[134:135], 1.0
	v_fmac_f64_e32 v[134:135], v[134:135], v[138:139]
	v_fma_f64 v[138:139], -v[132:133], v[134:135], 1.0
	v_fmac_f64_e32 v[134:135], v[134:135], v[138:139]
	v_mul_f64 v[138:139], v[136:137], v[134:135]
	v_fma_f64 v[132:133], -v[132:133], v[138:139], v[136:137]
	v_div_fmas_f64 v[132:133], v[132:133], v[134:135], v[138:139]
	v_div_fixup_f64 v[122:123], v[132:133], v[122:123], 1.0
; %bb.121:
	s_or_b64 exec, exec, s[0:1]
	v_cmp_ne_u32_e32 vcc, v127, v124
	s_and_saveexec_b64 s[0:1], vcc
	s_xor_b64 s[0:1], exec, s[0:1]
	s_cbranch_execz .LBB116_127
; %bb.122:
	v_cmp_eq_u32_e32 vcc, 7, v127
	s_and_saveexec_b64 s[2:3], vcc
	s_cbranch_execz .LBB116_126
; %bb.123:
	v_cmp_ne_u32_e32 vcc, 7, v124
	s_xor_b64 s[14:15], s[6:7], -1
	s_and_b64 s[16:17], s[14:15], vcc
	s_and_saveexec_b64 s[14:15], s[16:17]
	s_cbranch_execz .LBB116_125
; %bb.124:
	v_ashrrev_i32_e32 v125, 31, v124
	v_lshlrev_b64 v[132:133], 2, v[124:125]
	v_add_co_u32_e32 v132, vcc, v4, v132
	v_addc_co_u32_e32 v133, vcc, v5, v133, vcc
	flat_load_dword v125, v[132:133]
	flat_load_dword v127, v[4:5] offset:28
	s_waitcnt vmcnt(0) lgkmcnt(0)
	flat_store_dword v[4:5], v125 offset:28
	flat_store_dword v[132:133], v127
.LBB116_125:
	s_or_b64 exec, exec, s[14:15]
	v_mov_b32_e32 v125, v124
	v_mov_b32_e32 v127, v124
.LBB116_126:
	s_or_b64 exec, exec, s[2:3]
.LBB116_127:
	s_andn2_saveexec_b64 s[0:1], s[0:1]
	s_cbranch_execz .LBB116_129
; %bb.128:
	v_mov_b32_e32 v132, v102
	v_mov_b32_e32 v133, v103
	v_mov_b32_e32 v134, v100
	v_mov_b32_e32 v135, v101
	ds_write2_b64 v126, v[132:133], v[134:135] offset0:8 offset1:9
	v_mov_b32_e32 v132, v98
	v_mov_b32_e32 v133, v99
	v_mov_b32_e32 v134, v96
	v_mov_b32_e32 v135, v97
	ds_write2_b64 v126, v[132:133], v[134:135] offset0:10 offset1:11
	;; [unrolled: 5-line block ×24, first 2 shown]
	v_mov_b32_e32 v132, v6
	v_mov_b32_e32 v133, v7
	;; [unrolled: 1-line block ×5, first 2 shown]
	ds_write2_b64 v126, v[132:133], v[134:135] offset0:56 offset1:57
	ds_write_b64 v126, v[120:121] offset:464
.LBB116_129:
	s_or_b64 exec, exec, s[0:1]
	v_cmp_lt_i32_e32 vcc, 7, v127
	s_waitcnt lgkmcnt(0)
	s_barrier
	s_and_saveexec_b64 s[0:1], vcc
	s_cbranch_execz .LBB116_131
; %bb.130:
	ds_read2_b64 v[132:135], v126 offset0:8 offset1:9
	ds_read2_b64 v[136:139], v126 offset0:10 offset1:11
	v_mul_f64 v[104:105], v[122:123], v[104:105]
	ds_read2_b64 v[140:143], v126 offset0:12 offset1:13
	ds_read_b64 v[122:123], v126 offset:464
	s_waitcnt lgkmcnt(0)
	v_fma_f64 v[102:103], -v[104:105], v[132:133], v[102:103]
	v_fma_f64 v[100:101], -v[104:105], v[134:135], v[100:101]
	ds_read2_b64 v[132:135], v126 offset0:14 offset1:15
	v_fma_f64 v[98:99], -v[104:105], v[136:137], v[98:99]
	v_fma_f64 v[96:97], -v[104:105], v[138:139], v[96:97]
	;; [unrolled: 1-line block ×3, first 2 shown]
	ds_read2_b64 v[136:139], v126 offset0:16 offset1:17
	v_fma_f64 v[92:93], -v[104:105], v[142:143], v[92:93]
	ds_read2_b64 v[140:143], v126 offset0:18 offset1:19
	s_waitcnt lgkmcnt(0)
	v_fma_f64 v[90:91], -v[104:105], v[132:133], v[90:91]
	v_fma_f64 v[88:89], -v[104:105], v[134:135], v[88:89]
	ds_read2_b64 v[132:135], v126 offset0:20 offset1:21
	v_fma_f64 v[86:87], -v[104:105], v[136:137], v[86:87]
	v_fma_f64 v[84:85], -v[104:105], v[138:139], v[84:85]
	ds_read2_b64 v[136:139], v126 offset0:22 offset1:23
	v_fma_f64 v[82:83], -v[104:105], v[140:141], v[82:83]
	v_fma_f64 v[80:81], -v[104:105], v[142:143], v[80:81]
	s_waitcnt lgkmcnt(0)
	v_fma_f64 v[78:79], -v[104:105], v[132:133], v[78:79]
	ds_read2_b64 v[140:143], v126 offset0:24 offset1:25
	v_fma_f64 v[76:77], -v[104:105], v[134:135], v[76:77]
	ds_read2_b64 v[132:135], v126 offset0:26 offset1:27
	v_fma_f64 v[74:75], -v[104:105], v[136:137], v[74:75]
	v_fma_f64 v[72:73], -v[104:105], v[138:139], v[72:73]
	s_waitcnt lgkmcnt(0)
	v_fma_f64 v[70:71], -v[104:105], v[140:141], v[70:71]
	ds_read2_b64 v[136:139], v126 offset0:28 offset1:29
	v_fma_f64 v[68:69], -v[104:105], v[142:143], v[68:69]
	ds_read2_b64 v[140:143], v126 offset0:30 offset1:31
	v_fma_f64 v[66:67], -v[104:105], v[132:133], v[66:67]
	v_fma_f64 v[64:65], -v[104:105], v[134:135], v[64:65]
	ds_read2_b64 v[132:135], v126 offset0:32 offset1:33
	s_waitcnt lgkmcnt(0)
	v_fma_f64 v[62:63], -v[104:105], v[136:137], v[62:63]
	v_fma_f64 v[60:61], -v[104:105], v[138:139], v[60:61]
	ds_read2_b64 v[136:139], v126 offset0:34 offset1:35
	v_fma_f64 v[58:59], -v[104:105], v[140:141], v[58:59]
	v_fma_f64 v[56:57], -v[104:105], v[142:143], v[56:57]
	;; [unrolled: 1-line block ×3, first 2 shown]
	ds_read2_b64 v[140:143], v126 offset0:36 offset1:37
	v_fma_f64 v[52:53], -v[104:105], v[134:135], v[52:53]
	ds_read2_b64 v[132:135], v126 offset0:38 offset1:39
	s_waitcnt lgkmcnt(0)
	v_fma_f64 v[50:51], -v[104:105], v[136:137], v[50:51]
	v_fma_f64 v[48:49], -v[104:105], v[138:139], v[48:49]
	;; [unrolled: 1-line block ×3, first 2 shown]
	ds_read2_b64 v[136:139], v126 offset0:40 offset1:41
	v_fma_f64 v[44:45], -v[104:105], v[142:143], v[44:45]
	ds_read2_b64 v[140:143], v126 offset0:42 offset1:43
	v_fma_f64 v[42:43], -v[104:105], v[132:133], v[42:43]
	v_fma_f64 v[40:41], -v[104:105], v[134:135], v[40:41]
	ds_read2_b64 v[132:135], v126 offset0:44 offset1:45
	s_waitcnt lgkmcnt(0)
	v_fma_f64 v[38:39], -v[104:105], v[136:137], v[38:39]
	v_fma_f64 v[36:37], -v[104:105], v[138:139], v[36:37]
	ds_read2_b64 v[136:139], v126 offset0:46 offset1:47
	v_fma_f64 v[34:35], -v[104:105], v[140:141], v[34:35]
	v_fma_f64 v[32:33], -v[104:105], v[142:143], v[32:33]
	;; [unrolled: 1-line block ×3, first 2 shown]
	ds_read2_b64 v[140:143], v126 offset0:48 offset1:49
	v_fma_f64 v[28:29], -v[104:105], v[134:135], v[28:29]
	ds_read2_b64 v[132:135], v126 offset0:50 offset1:51
	s_waitcnt lgkmcnt(0)
	v_fma_f64 v[26:27], -v[104:105], v[136:137], v[26:27]
	v_fma_f64 v[24:25], -v[104:105], v[138:139], v[24:25]
	;; [unrolled: 1-line block ×3, first 2 shown]
	ds_read2_b64 v[136:139], v126 offset0:52 offset1:53
	v_fma_f64 v[20:21], -v[104:105], v[142:143], v[20:21]
	v_fma_f64 v[18:19], -v[104:105], v[132:133], v[18:19]
	;; [unrolled: 1-line block ×3, first 2 shown]
	ds_read2_b64 v[132:135], v126 offset0:54 offset1:55
	ds_read2_b64 v[140:143], v126 offset0:56 offset1:57
	s_waitcnt lgkmcnt(0)
	v_fma_f64 v[14:15], -v[104:105], v[136:137], v[14:15]
	v_fma_f64 v[12:13], -v[104:105], v[138:139], v[12:13]
	v_fma_f64 v[120:121], -v[104:105], v[122:123], v[120:121]
	v_fma_f64 v[10:11], -v[104:105], v[132:133], v[10:11]
	v_fma_f64 v[8:9], -v[104:105], v[134:135], v[8:9]
	v_fma_f64 v[6:7], -v[104:105], v[140:141], v[6:7]
	v_fma_f64 v[0:1], -v[104:105], v[142:143], v[0:1]
.LBB116_131:
	s_or_b64 exec, exec, s[0:1]
	v_lshl_add_u32 v122, v127, 3, v126
	s_barrier
	ds_write_b64 v122, v[102:103]
	s_waitcnt lgkmcnt(0)
	s_barrier
	ds_read_b64 v[122:123], v126 offset:64
	s_cmp_lt_i32 s18, 10
	v_mov_b32_e32 v124, 8
	s_cbranch_scc1 .LBB116_134
; %bb.132:
	v_add_u32_e32 v131, 0x48, v126
	s_mov_b32 s0, 9
	v_mov_b32_e32 v124, 8
.LBB116_133:                            ; =>This Inner Loop Header: Depth=1
	ds_read_b64 v[132:133], v131
	v_mov_b32_e32 v134, s0
	s_add_i32 s0, s0, 1
	v_add_u32_e32 v131, 8, v131
	s_cmp_lg_u32 s18, s0
	s_waitcnt lgkmcnt(0)
	v_cmp_lt_f64_e64 vcc, |v[122:123]|, |v[132:133]|
	v_cndmask_b32_e32 v123, v123, v133, vcc
	v_cndmask_b32_e32 v122, v122, v132, vcc
	;; [unrolled: 1-line block ×3, first 2 shown]
	s_cbranch_scc1 .LBB116_133
.LBB116_134:
	s_waitcnt lgkmcnt(0)
	v_cmp_eq_f64_e32 vcc, 0, v[122:123]
	s_and_saveexec_b64 s[0:1], vcc
	s_xor_b64 s[0:1], exec, s[0:1]
; %bb.135:
	v_cmp_ne_u32_e32 vcc, 0, v130
	v_cndmask_b32_e32 v130, 9, v130, vcc
; %bb.136:
	s_andn2_saveexec_b64 s[0:1], s[0:1]
; %bb.137:
	v_div_scale_f64 v[132:133], s[2:3], v[122:123], v[122:123], 1.0
	v_rcp_f64_e32 v[134:135], v[132:133]
	v_div_scale_f64 v[136:137], vcc, 1.0, v[122:123], 1.0
	v_fma_f64 v[138:139], -v[132:133], v[134:135], 1.0
	v_fmac_f64_e32 v[134:135], v[134:135], v[138:139]
	v_fma_f64 v[138:139], -v[132:133], v[134:135], 1.0
	v_fmac_f64_e32 v[134:135], v[134:135], v[138:139]
	v_mul_f64 v[138:139], v[136:137], v[134:135]
	v_fma_f64 v[132:133], -v[132:133], v[138:139], v[136:137]
	v_div_fmas_f64 v[132:133], v[132:133], v[134:135], v[138:139]
	v_div_fixup_f64 v[122:123], v[132:133], v[122:123], 1.0
; %bb.138:
	s_or_b64 exec, exec, s[0:1]
	v_cmp_ne_u32_e32 vcc, v127, v124
	s_and_saveexec_b64 s[0:1], vcc
	s_xor_b64 s[0:1], exec, s[0:1]
	s_cbranch_execz .LBB116_144
; %bb.139:
	v_cmp_eq_u32_e32 vcc, 8, v127
	s_and_saveexec_b64 s[2:3], vcc
	s_cbranch_execz .LBB116_143
; %bb.140:
	v_cmp_ne_u32_e32 vcc, 8, v124
	s_xor_b64 s[14:15], s[6:7], -1
	s_and_b64 s[16:17], s[14:15], vcc
	s_and_saveexec_b64 s[14:15], s[16:17]
	s_cbranch_execz .LBB116_142
; %bb.141:
	v_ashrrev_i32_e32 v125, 31, v124
	v_lshlrev_b64 v[132:133], 2, v[124:125]
	v_add_co_u32_e32 v132, vcc, v4, v132
	v_addc_co_u32_e32 v133, vcc, v5, v133, vcc
	flat_load_dword v125, v[132:133]
	flat_load_dword v127, v[4:5] offset:32
	s_waitcnt vmcnt(0) lgkmcnt(0)
	flat_store_dword v[4:5], v125 offset:32
	flat_store_dword v[132:133], v127
.LBB116_142:
	s_or_b64 exec, exec, s[14:15]
	v_mov_b32_e32 v125, v124
	v_mov_b32_e32 v127, v124
.LBB116_143:
	s_or_b64 exec, exec, s[2:3]
.LBB116_144:
	s_andn2_saveexec_b64 s[0:1], s[0:1]
	s_cbranch_execz .LBB116_146
; %bb.145:
	v_mov_b32_e32 v127, 8
	ds_write2_b64 v126, v[100:101], v[98:99] offset0:9 offset1:10
	ds_write2_b64 v126, v[96:97], v[94:95] offset0:11 offset1:12
	;; [unrolled: 1-line block ×25, first 2 shown]
.LBB116_146:
	s_or_b64 exec, exec, s[0:1]
	v_cmp_lt_i32_e32 vcc, 8, v127
	s_waitcnt lgkmcnt(0)
	s_barrier
	s_and_saveexec_b64 s[0:1], vcc
	s_cbranch_execz .LBB116_148
; %bb.147:
	ds_read2_b64 v[132:135], v126 offset0:9 offset1:10
	ds_read2_b64 v[136:139], v126 offset0:11 offset1:12
	v_mul_f64 v[102:103], v[122:123], v[102:103]
	ds_read2_b64 v[140:143], v126 offset0:13 offset1:14
	s_waitcnt lgkmcnt(0)
	v_fma_f64 v[100:101], -v[102:103], v[132:133], v[100:101]
	v_fma_f64 v[98:99], -v[102:103], v[134:135], v[98:99]
	ds_read2_b64 v[132:135], v126 offset0:15 offset1:16
	v_fma_f64 v[96:97], -v[102:103], v[136:137], v[96:97]
	v_fma_f64 v[94:95], -v[102:103], v[138:139], v[94:95]
	;; [unrolled: 1-line block ×3, first 2 shown]
	ds_read2_b64 v[136:139], v126 offset0:17 offset1:18
	v_fma_f64 v[90:91], -v[102:103], v[142:143], v[90:91]
	ds_read2_b64 v[140:143], v126 offset0:19 offset1:20
	s_waitcnt lgkmcnt(0)
	v_fma_f64 v[88:89], -v[102:103], v[132:133], v[88:89]
	v_fma_f64 v[86:87], -v[102:103], v[134:135], v[86:87]
	ds_read2_b64 v[132:135], v126 offset0:21 offset1:22
	v_fma_f64 v[84:85], -v[102:103], v[136:137], v[84:85]
	v_fma_f64 v[82:83], -v[102:103], v[138:139], v[82:83]
	ds_read2_b64 v[136:139], v126 offset0:23 offset1:24
	v_fma_f64 v[80:81], -v[102:103], v[140:141], v[80:81]
	v_fma_f64 v[78:79], -v[102:103], v[142:143], v[78:79]
	s_waitcnt lgkmcnt(0)
	v_fma_f64 v[76:77], -v[102:103], v[132:133], v[76:77]
	ds_read2_b64 v[140:143], v126 offset0:25 offset1:26
	v_fma_f64 v[74:75], -v[102:103], v[134:135], v[74:75]
	ds_read2_b64 v[132:135], v126 offset0:27 offset1:28
	v_fma_f64 v[72:73], -v[102:103], v[136:137], v[72:73]
	v_fma_f64 v[70:71], -v[102:103], v[138:139], v[70:71]
	s_waitcnt lgkmcnt(0)
	v_fma_f64 v[68:69], -v[102:103], v[140:141], v[68:69]
	ds_read2_b64 v[136:139], v126 offset0:29 offset1:30
	v_fma_f64 v[66:67], -v[102:103], v[142:143], v[66:67]
	ds_read2_b64 v[140:143], v126 offset0:31 offset1:32
	v_fma_f64 v[64:65], -v[102:103], v[132:133], v[64:65]
	v_fma_f64 v[62:63], -v[102:103], v[134:135], v[62:63]
	ds_read2_b64 v[132:135], v126 offset0:33 offset1:34
	s_waitcnt lgkmcnt(0)
	v_fma_f64 v[60:61], -v[102:103], v[136:137], v[60:61]
	v_fma_f64 v[58:59], -v[102:103], v[138:139], v[58:59]
	ds_read2_b64 v[136:139], v126 offset0:35 offset1:36
	v_fma_f64 v[56:57], -v[102:103], v[140:141], v[56:57]
	v_fma_f64 v[54:55], -v[102:103], v[142:143], v[54:55]
	;; [unrolled: 1-line block ×3, first 2 shown]
	ds_read2_b64 v[140:143], v126 offset0:37 offset1:38
	v_fma_f64 v[50:51], -v[102:103], v[134:135], v[50:51]
	ds_read2_b64 v[132:135], v126 offset0:39 offset1:40
	s_waitcnt lgkmcnt(0)
	v_fma_f64 v[48:49], -v[102:103], v[136:137], v[48:49]
	v_fma_f64 v[46:47], -v[102:103], v[138:139], v[46:47]
	;; [unrolled: 1-line block ×3, first 2 shown]
	ds_read2_b64 v[136:139], v126 offset0:41 offset1:42
	v_fma_f64 v[42:43], -v[102:103], v[142:143], v[42:43]
	ds_read2_b64 v[140:143], v126 offset0:43 offset1:44
	v_fma_f64 v[40:41], -v[102:103], v[132:133], v[40:41]
	v_fma_f64 v[38:39], -v[102:103], v[134:135], v[38:39]
	ds_read2_b64 v[132:135], v126 offset0:45 offset1:46
	s_waitcnt lgkmcnt(0)
	v_fma_f64 v[36:37], -v[102:103], v[136:137], v[36:37]
	v_fma_f64 v[34:35], -v[102:103], v[138:139], v[34:35]
	ds_read2_b64 v[136:139], v126 offset0:47 offset1:48
	v_fma_f64 v[32:33], -v[102:103], v[140:141], v[32:33]
	v_fma_f64 v[30:31], -v[102:103], v[142:143], v[30:31]
	;; [unrolled: 1-line block ×3, first 2 shown]
	ds_read2_b64 v[140:143], v126 offset0:49 offset1:50
	v_fma_f64 v[26:27], -v[102:103], v[134:135], v[26:27]
	ds_read2_b64 v[132:135], v126 offset0:51 offset1:52
	s_waitcnt lgkmcnt(0)
	v_fma_f64 v[24:25], -v[102:103], v[136:137], v[24:25]
	v_fma_f64 v[22:23], -v[102:103], v[138:139], v[22:23]
	;; [unrolled: 1-line block ×4, first 2 shown]
	ds_read2_b64 v[136:139], v126 offset0:53 offset1:54
	ds_read2_b64 v[140:143], v126 offset0:55 offset1:56
	v_fma_f64 v[16:17], -v[102:103], v[132:133], v[16:17]
	v_fma_f64 v[14:15], -v[102:103], v[134:135], v[14:15]
	ds_read2_b64 v[132:135], v126 offset0:57 offset1:58
	s_waitcnt lgkmcnt(0)
	v_fma_f64 v[12:13], -v[102:103], v[136:137], v[12:13]
	v_fma_f64 v[10:11], -v[102:103], v[138:139], v[10:11]
	;; [unrolled: 1-line block ×6, first 2 shown]
.LBB116_148:
	s_or_b64 exec, exec, s[0:1]
	v_lshl_add_u32 v122, v127, 3, v126
	s_barrier
	ds_write_b64 v122, v[100:101]
	s_waitcnt lgkmcnt(0)
	s_barrier
	ds_read_b64 v[122:123], v126 offset:72
	s_cmp_lt_i32 s18, 11
	v_mov_b32_e32 v124, 9
	s_cbranch_scc1 .LBB116_151
; %bb.149:
	v_add_u32_e32 v131, 0x50, v126
	s_mov_b32 s0, 10
	v_mov_b32_e32 v124, 9
.LBB116_150:                            ; =>This Inner Loop Header: Depth=1
	ds_read_b64 v[132:133], v131
	v_mov_b32_e32 v134, s0
	s_add_i32 s0, s0, 1
	v_add_u32_e32 v131, 8, v131
	s_cmp_lg_u32 s18, s0
	s_waitcnt lgkmcnt(0)
	v_cmp_lt_f64_e64 vcc, |v[122:123]|, |v[132:133]|
	v_cndmask_b32_e32 v123, v123, v133, vcc
	v_cndmask_b32_e32 v122, v122, v132, vcc
	;; [unrolled: 1-line block ×3, first 2 shown]
	s_cbranch_scc1 .LBB116_150
.LBB116_151:
	s_waitcnt lgkmcnt(0)
	v_cmp_eq_f64_e32 vcc, 0, v[122:123]
	s_and_saveexec_b64 s[0:1], vcc
	s_xor_b64 s[0:1], exec, s[0:1]
; %bb.152:
	v_cmp_ne_u32_e32 vcc, 0, v130
	v_cndmask_b32_e32 v130, 10, v130, vcc
; %bb.153:
	s_andn2_saveexec_b64 s[0:1], s[0:1]
; %bb.154:
	v_div_scale_f64 v[132:133], s[2:3], v[122:123], v[122:123], 1.0
	v_rcp_f64_e32 v[134:135], v[132:133]
	v_div_scale_f64 v[136:137], vcc, 1.0, v[122:123], 1.0
	v_fma_f64 v[138:139], -v[132:133], v[134:135], 1.0
	v_fmac_f64_e32 v[134:135], v[134:135], v[138:139]
	v_fma_f64 v[138:139], -v[132:133], v[134:135], 1.0
	v_fmac_f64_e32 v[134:135], v[134:135], v[138:139]
	v_mul_f64 v[138:139], v[136:137], v[134:135]
	v_fma_f64 v[132:133], -v[132:133], v[138:139], v[136:137]
	v_div_fmas_f64 v[132:133], v[132:133], v[134:135], v[138:139]
	v_div_fixup_f64 v[122:123], v[132:133], v[122:123], 1.0
; %bb.155:
	s_or_b64 exec, exec, s[0:1]
	v_cmp_ne_u32_e32 vcc, v127, v124
	s_and_saveexec_b64 s[0:1], vcc
	s_xor_b64 s[0:1], exec, s[0:1]
	s_cbranch_execz .LBB116_161
; %bb.156:
	v_cmp_eq_u32_e32 vcc, 9, v127
	s_and_saveexec_b64 s[2:3], vcc
	s_cbranch_execz .LBB116_160
; %bb.157:
	v_cmp_ne_u32_e32 vcc, 9, v124
	s_xor_b64 s[14:15], s[6:7], -1
	s_and_b64 s[16:17], s[14:15], vcc
	s_and_saveexec_b64 s[14:15], s[16:17]
	s_cbranch_execz .LBB116_159
; %bb.158:
	v_ashrrev_i32_e32 v125, 31, v124
	v_lshlrev_b64 v[132:133], 2, v[124:125]
	v_add_co_u32_e32 v132, vcc, v4, v132
	v_addc_co_u32_e32 v133, vcc, v5, v133, vcc
	flat_load_dword v125, v[132:133]
	flat_load_dword v127, v[4:5] offset:36
	s_waitcnt vmcnt(0) lgkmcnt(0)
	flat_store_dword v[4:5], v125 offset:36
	flat_store_dword v[132:133], v127
.LBB116_159:
	s_or_b64 exec, exec, s[14:15]
	v_mov_b32_e32 v125, v124
	v_mov_b32_e32 v127, v124
.LBB116_160:
	s_or_b64 exec, exec, s[2:3]
.LBB116_161:
	s_andn2_saveexec_b64 s[0:1], s[0:1]
	s_cbranch_execz .LBB116_163
; %bb.162:
	v_mov_b32_e32 v132, v98
	v_mov_b32_e32 v133, v99
	v_mov_b32_e32 v134, v96
	v_mov_b32_e32 v135, v97
	ds_write2_b64 v126, v[132:133], v[134:135] offset0:10 offset1:11
	v_mov_b32_e32 v132, v94
	v_mov_b32_e32 v133, v95
	v_mov_b32_e32 v134, v92
	v_mov_b32_e32 v135, v93
	ds_write2_b64 v126, v[132:133], v[134:135] offset0:12 offset1:13
	;; [unrolled: 5-line block ×23, first 2 shown]
	v_mov_b32_e32 v132, v6
	v_mov_b32_e32 v133, v7
	;; [unrolled: 1-line block ×5, first 2 shown]
	ds_write2_b64 v126, v[132:133], v[134:135] offset0:56 offset1:57
	ds_write_b64 v126, v[120:121] offset:464
.LBB116_163:
	s_or_b64 exec, exec, s[0:1]
	v_cmp_lt_i32_e32 vcc, 9, v127
	s_waitcnt lgkmcnt(0)
	s_barrier
	s_and_saveexec_b64 s[0:1], vcc
	s_cbranch_execz .LBB116_165
; %bb.164:
	ds_read2_b64 v[132:135], v126 offset0:10 offset1:11
	ds_read2_b64 v[136:139], v126 offset0:12 offset1:13
	;; [unrolled: 1-line block ×3, first 2 shown]
	v_mul_f64 v[100:101], v[122:123], v[100:101]
	ds_read_b64 v[122:123], v126 offset:464
	s_waitcnt lgkmcnt(0)
	v_fma_f64 v[98:99], -v[100:101], v[132:133], v[98:99]
	v_fma_f64 v[96:97], -v[100:101], v[134:135], v[96:97]
	ds_read2_b64 v[132:135], v126 offset0:16 offset1:17
	v_fma_f64 v[94:95], -v[100:101], v[136:137], v[94:95]
	v_fma_f64 v[92:93], -v[100:101], v[138:139], v[92:93]
	v_fma_f64 v[90:91], -v[100:101], v[140:141], v[90:91]
	ds_read2_b64 v[136:139], v126 offset0:18 offset1:19
	v_fma_f64 v[88:89], -v[100:101], v[142:143], v[88:89]
	ds_read2_b64 v[140:143], v126 offset0:20 offset1:21
	s_waitcnt lgkmcnt(0)
	v_fma_f64 v[86:87], -v[100:101], v[132:133], v[86:87]
	v_fma_f64 v[84:85], -v[100:101], v[134:135], v[84:85]
	v_fma_f64 v[82:83], -v[100:101], v[136:137], v[82:83]
	ds_read2_b64 v[132:135], v126 offset0:22 offset1:23
	v_fma_f64 v[80:81], -v[100:101], v[138:139], v[80:81]
	ds_read2_b64 v[136:139], v126 offset0:24 offset1:25
	v_fma_f64 v[78:79], -v[100:101], v[140:141], v[78:79]
	v_fma_f64 v[76:77], -v[100:101], v[142:143], v[76:77]
	ds_read2_b64 v[140:143], v126 offset0:26 offset1:27
	s_waitcnt lgkmcnt(0)
	v_fma_f64 v[74:75], -v[100:101], v[132:133], v[74:75]
	v_fma_f64 v[72:73], -v[100:101], v[134:135], v[72:73]
	ds_read2_b64 v[132:135], v126 offset0:28 offset1:29
	v_fma_f64 v[70:71], -v[100:101], v[136:137], v[70:71]
	v_fma_f64 v[68:69], -v[100:101], v[138:139], v[68:69]
	v_fma_f64 v[66:67], -v[100:101], v[140:141], v[66:67]
	ds_read2_b64 v[136:139], v126 offset0:30 offset1:31
	v_fma_f64 v[64:65], -v[100:101], v[142:143], v[64:65]
	ds_read2_b64 v[140:143], v126 offset0:32 offset1:33
	s_waitcnt lgkmcnt(0)
	v_fma_f64 v[62:63], -v[100:101], v[132:133], v[62:63]
	v_fma_f64 v[60:61], -v[100:101], v[134:135], v[60:61]
	v_fma_f64 v[58:59], -v[100:101], v[136:137], v[58:59]
	ds_read2_b64 v[132:135], v126 offset0:34 offset1:35
	v_fma_f64 v[56:57], -v[100:101], v[138:139], v[56:57]
	ds_read2_b64 v[136:139], v126 offset0:36 offset1:37
	v_fma_f64 v[54:55], -v[100:101], v[140:141], v[54:55]
	v_fma_f64 v[52:53], -v[100:101], v[142:143], v[52:53]
	ds_read2_b64 v[140:143], v126 offset0:38 offset1:39
	;; [unrolled: 20-line block ×3, first 2 shown]
	s_waitcnt lgkmcnt(0)
	v_fma_f64 v[26:27], -v[100:101], v[132:133], v[26:27]
	v_fma_f64 v[24:25], -v[100:101], v[134:135], v[24:25]
	ds_read2_b64 v[132:135], v126 offset0:52 offset1:53
	v_fma_f64 v[22:23], -v[100:101], v[136:137], v[22:23]
	v_fma_f64 v[20:21], -v[100:101], v[138:139], v[20:21]
	v_fma_f64 v[18:19], -v[100:101], v[140:141], v[18:19]
	v_fma_f64 v[16:17], -v[100:101], v[142:143], v[16:17]
	ds_read2_b64 v[136:139], v126 offset0:54 offset1:55
	ds_read2_b64 v[140:143], v126 offset0:56 offset1:57
	s_waitcnt lgkmcnt(0)
	v_fma_f64 v[14:15], -v[100:101], v[132:133], v[14:15]
	v_fma_f64 v[12:13], -v[100:101], v[134:135], v[12:13]
	;; [unrolled: 1-line block ×7, first 2 shown]
.LBB116_165:
	s_or_b64 exec, exec, s[0:1]
	v_lshl_add_u32 v122, v127, 3, v126
	s_barrier
	ds_write_b64 v122, v[98:99]
	s_waitcnt lgkmcnt(0)
	s_barrier
	ds_read_b64 v[122:123], v126 offset:80
	s_cmp_lt_i32 s18, 12
	v_mov_b32_e32 v124, 10
	s_cbranch_scc1 .LBB116_168
; %bb.166:
	v_add_u32_e32 v131, 0x58, v126
	s_mov_b32 s0, 11
	v_mov_b32_e32 v124, 10
.LBB116_167:                            ; =>This Inner Loop Header: Depth=1
	ds_read_b64 v[132:133], v131
	v_mov_b32_e32 v134, s0
	s_add_i32 s0, s0, 1
	v_add_u32_e32 v131, 8, v131
	s_cmp_lg_u32 s18, s0
	s_waitcnt lgkmcnt(0)
	v_cmp_lt_f64_e64 vcc, |v[122:123]|, |v[132:133]|
	v_cndmask_b32_e32 v123, v123, v133, vcc
	v_cndmask_b32_e32 v122, v122, v132, vcc
	;; [unrolled: 1-line block ×3, first 2 shown]
	s_cbranch_scc1 .LBB116_167
.LBB116_168:
	s_waitcnt lgkmcnt(0)
	v_cmp_eq_f64_e32 vcc, 0, v[122:123]
	s_and_saveexec_b64 s[0:1], vcc
	s_xor_b64 s[0:1], exec, s[0:1]
; %bb.169:
	v_cmp_ne_u32_e32 vcc, 0, v130
	v_cndmask_b32_e32 v130, 11, v130, vcc
; %bb.170:
	s_andn2_saveexec_b64 s[0:1], s[0:1]
; %bb.171:
	v_div_scale_f64 v[132:133], s[2:3], v[122:123], v[122:123], 1.0
	v_rcp_f64_e32 v[134:135], v[132:133]
	v_div_scale_f64 v[136:137], vcc, 1.0, v[122:123], 1.0
	v_fma_f64 v[138:139], -v[132:133], v[134:135], 1.0
	v_fmac_f64_e32 v[134:135], v[134:135], v[138:139]
	v_fma_f64 v[138:139], -v[132:133], v[134:135], 1.0
	v_fmac_f64_e32 v[134:135], v[134:135], v[138:139]
	v_mul_f64 v[138:139], v[136:137], v[134:135]
	v_fma_f64 v[132:133], -v[132:133], v[138:139], v[136:137]
	v_div_fmas_f64 v[132:133], v[132:133], v[134:135], v[138:139]
	v_div_fixup_f64 v[122:123], v[132:133], v[122:123], 1.0
; %bb.172:
	s_or_b64 exec, exec, s[0:1]
	v_cmp_ne_u32_e32 vcc, v127, v124
	s_and_saveexec_b64 s[0:1], vcc
	s_xor_b64 s[0:1], exec, s[0:1]
	s_cbranch_execz .LBB116_178
; %bb.173:
	v_cmp_eq_u32_e32 vcc, 10, v127
	s_and_saveexec_b64 s[2:3], vcc
	s_cbranch_execz .LBB116_177
; %bb.174:
	v_cmp_ne_u32_e32 vcc, 10, v124
	s_xor_b64 s[14:15], s[6:7], -1
	s_and_b64 s[16:17], s[14:15], vcc
	s_and_saveexec_b64 s[14:15], s[16:17]
	s_cbranch_execz .LBB116_176
; %bb.175:
	v_ashrrev_i32_e32 v125, 31, v124
	v_lshlrev_b64 v[132:133], 2, v[124:125]
	v_add_co_u32_e32 v132, vcc, v4, v132
	v_addc_co_u32_e32 v133, vcc, v5, v133, vcc
	flat_load_dword v125, v[132:133]
	flat_load_dword v127, v[4:5] offset:40
	s_waitcnt vmcnt(0) lgkmcnt(0)
	flat_store_dword v[4:5], v125 offset:40
	flat_store_dword v[132:133], v127
.LBB116_176:
	s_or_b64 exec, exec, s[14:15]
	v_mov_b32_e32 v125, v124
	v_mov_b32_e32 v127, v124
.LBB116_177:
	s_or_b64 exec, exec, s[2:3]
.LBB116_178:
	s_andn2_saveexec_b64 s[0:1], s[0:1]
	s_cbranch_execz .LBB116_180
; %bb.179:
	v_mov_b32_e32 v127, 10
	ds_write2_b64 v126, v[96:97], v[94:95] offset0:11 offset1:12
	ds_write2_b64 v126, v[92:93], v[90:91] offset0:13 offset1:14
	;; [unrolled: 1-line block ×24, first 2 shown]
.LBB116_180:
	s_or_b64 exec, exec, s[0:1]
	v_cmp_lt_i32_e32 vcc, 10, v127
	s_waitcnt lgkmcnt(0)
	s_barrier
	s_and_saveexec_b64 s[0:1], vcc
	s_cbranch_execz .LBB116_182
; %bb.181:
	ds_read2_b64 v[132:135], v126 offset0:11 offset1:12
	ds_read2_b64 v[136:139], v126 offset0:13 offset1:14
	;; [unrolled: 1-line block ×3, first 2 shown]
	v_mul_f64 v[98:99], v[122:123], v[98:99]
	s_waitcnt lgkmcnt(0)
	v_fma_f64 v[96:97], -v[98:99], v[132:133], v[96:97]
	v_fma_f64 v[94:95], -v[98:99], v[134:135], v[94:95]
	ds_read2_b64 v[132:135], v126 offset0:17 offset1:18
	v_fma_f64 v[92:93], -v[98:99], v[136:137], v[92:93]
	v_fma_f64 v[90:91], -v[98:99], v[138:139], v[90:91]
	v_fma_f64 v[88:89], -v[98:99], v[140:141], v[88:89]
	ds_read2_b64 v[136:139], v126 offset0:19 offset1:20
	v_fma_f64 v[86:87], -v[98:99], v[142:143], v[86:87]
	ds_read2_b64 v[140:143], v126 offset0:21 offset1:22
	s_waitcnt lgkmcnt(0)
	v_fma_f64 v[84:85], -v[98:99], v[132:133], v[84:85]
	v_fma_f64 v[82:83], -v[98:99], v[134:135], v[82:83]
	v_fma_f64 v[80:81], -v[98:99], v[136:137], v[80:81]
	ds_read2_b64 v[132:135], v126 offset0:23 offset1:24
	v_fma_f64 v[78:79], -v[98:99], v[138:139], v[78:79]
	ds_read2_b64 v[136:139], v126 offset0:25 offset1:26
	v_fma_f64 v[76:77], -v[98:99], v[140:141], v[76:77]
	v_fma_f64 v[74:75], -v[98:99], v[142:143], v[74:75]
	ds_read2_b64 v[140:143], v126 offset0:27 offset1:28
	s_waitcnt lgkmcnt(0)
	v_fma_f64 v[72:73], -v[98:99], v[132:133], v[72:73]
	v_fma_f64 v[70:71], -v[98:99], v[134:135], v[70:71]
	ds_read2_b64 v[132:135], v126 offset0:29 offset1:30
	v_fma_f64 v[68:69], -v[98:99], v[136:137], v[68:69]
	v_fma_f64 v[66:67], -v[98:99], v[138:139], v[66:67]
	v_fma_f64 v[64:65], -v[98:99], v[140:141], v[64:65]
	ds_read2_b64 v[136:139], v126 offset0:31 offset1:32
	v_fma_f64 v[62:63], -v[98:99], v[142:143], v[62:63]
	ds_read2_b64 v[140:143], v126 offset0:33 offset1:34
	s_waitcnt lgkmcnt(0)
	v_fma_f64 v[60:61], -v[98:99], v[132:133], v[60:61]
	v_fma_f64 v[58:59], -v[98:99], v[134:135], v[58:59]
	v_fma_f64 v[56:57], -v[98:99], v[136:137], v[56:57]
	ds_read2_b64 v[132:135], v126 offset0:35 offset1:36
	v_fma_f64 v[54:55], -v[98:99], v[138:139], v[54:55]
	ds_read2_b64 v[136:139], v126 offset0:37 offset1:38
	v_fma_f64 v[52:53], -v[98:99], v[140:141], v[52:53]
	v_fma_f64 v[50:51], -v[98:99], v[142:143], v[50:51]
	ds_read2_b64 v[140:143], v126 offset0:39 offset1:40
	;; [unrolled: 20-line block ×3, first 2 shown]
	s_waitcnt lgkmcnt(0)
	v_fma_f64 v[24:25], -v[98:99], v[132:133], v[24:25]
	v_fma_f64 v[22:23], -v[98:99], v[134:135], v[22:23]
	ds_read2_b64 v[132:135], v126 offset0:53 offset1:54
	v_fma_f64 v[20:21], -v[98:99], v[136:137], v[20:21]
	v_fma_f64 v[18:19], -v[98:99], v[138:139], v[18:19]
	v_fma_f64 v[16:17], -v[98:99], v[140:141], v[16:17]
	ds_read2_b64 v[136:139], v126 offset0:55 offset1:56
	v_fma_f64 v[14:15], -v[98:99], v[142:143], v[14:15]
	ds_read2_b64 v[140:143], v126 offset0:57 offset1:58
	s_waitcnt lgkmcnt(0)
	v_fma_f64 v[12:13], -v[98:99], v[132:133], v[12:13]
	v_fma_f64 v[10:11], -v[98:99], v[134:135], v[10:11]
	;; [unrolled: 1-line block ×6, first 2 shown]
.LBB116_182:
	s_or_b64 exec, exec, s[0:1]
	v_lshl_add_u32 v122, v127, 3, v126
	s_barrier
	ds_write_b64 v122, v[96:97]
	s_waitcnt lgkmcnt(0)
	s_barrier
	ds_read_b64 v[122:123], v126 offset:88
	s_cmp_lt_i32 s18, 13
	v_mov_b32_e32 v124, 11
	s_cbranch_scc1 .LBB116_185
; %bb.183:
	v_add_u32_e32 v131, 0x60, v126
	s_mov_b32 s0, 12
	v_mov_b32_e32 v124, 11
.LBB116_184:                            ; =>This Inner Loop Header: Depth=1
	ds_read_b64 v[132:133], v131
	v_mov_b32_e32 v134, s0
	s_add_i32 s0, s0, 1
	v_add_u32_e32 v131, 8, v131
	s_cmp_lg_u32 s18, s0
	s_waitcnt lgkmcnt(0)
	v_cmp_lt_f64_e64 vcc, |v[122:123]|, |v[132:133]|
	v_cndmask_b32_e32 v123, v123, v133, vcc
	v_cndmask_b32_e32 v122, v122, v132, vcc
	;; [unrolled: 1-line block ×3, first 2 shown]
	s_cbranch_scc1 .LBB116_184
.LBB116_185:
	s_waitcnt lgkmcnt(0)
	v_cmp_eq_f64_e32 vcc, 0, v[122:123]
	s_and_saveexec_b64 s[0:1], vcc
	s_xor_b64 s[0:1], exec, s[0:1]
; %bb.186:
	v_cmp_ne_u32_e32 vcc, 0, v130
	v_cndmask_b32_e32 v130, 12, v130, vcc
; %bb.187:
	s_andn2_saveexec_b64 s[0:1], s[0:1]
; %bb.188:
	v_div_scale_f64 v[132:133], s[2:3], v[122:123], v[122:123], 1.0
	v_rcp_f64_e32 v[134:135], v[132:133]
	v_div_scale_f64 v[136:137], vcc, 1.0, v[122:123], 1.0
	v_fma_f64 v[138:139], -v[132:133], v[134:135], 1.0
	v_fmac_f64_e32 v[134:135], v[134:135], v[138:139]
	v_fma_f64 v[138:139], -v[132:133], v[134:135], 1.0
	v_fmac_f64_e32 v[134:135], v[134:135], v[138:139]
	v_mul_f64 v[138:139], v[136:137], v[134:135]
	v_fma_f64 v[132:133], -v[132:133], v[138:139], v[136:137]
	v_div_fmas_f64 v[132:133], v[132:133], v[134:135], v[138:139]
	v_div_fixup_f64 v[122:123], v[132:133], v[122:123], 1.0
; %bb.189:
	s_or_b64 exec, exec, s[0:1]
	v_cmp_ne_u32_e32 vcc, v127, v124
	s_and_saveexec_b64 s[0:1], vcc
	s_xor_b64 s[0:1], exec, s[0:1]
	s_cbranch_execz .LBB116_195
; %bb.190:
	v_cmp_eq_u32_e32 vcc, 11, v127
	s_and_saveexec_b64 s[2:3], vcc
	s_cbranch_execz .LBB116_194
; %bb.191:
	v_cmp_ne_u32_e32 vcc, 11, v124
	s_xor_b64 s[14:15], s[6:7], -1
	s_and_b64 s[16:17], s[14:15], vcc
	s_and_saveexec_b64 s[14:15], s[16:17]
	s_cbranch_execz .LBB116_193
; %bb.192:
	v_ashrrev_i32_e32 v125, 31, v124
	v_lshlrev_b64 v[132:133], 2, v[124:125]
	v_add_co_u32_e32 v132, vcc, v4, v132
	v_addc_co_u32_e32 v133, vcc, v5, v133, vcc
	flat_load_dword v125, v[132:133]
	flat_load_dword v127, v[4:5] offset:44
	s_waitcnt vmcnt(0) lgkmcnt(0)
	flat_store_dword v[4:5], v125 offset:44
	flat_store_dword v[132:133], v127
.LBB116_193:
	s_or_b64 exec, exec, s[14:15]
	v_mov_b32_e32 v125, v124
	v_mov_b32_e32 v127, v124
.LBB116_194:
	s_or_b64 exec, exec, s[2:3]
.LBB116_195:
	s_andn2_saveexec_b64 s[0:1], s[0:1]
	s_cbranch_execz .LBB116_197
; %bb.196:
	v_mov_b32_e32 v132, v94
	v_mov_b32_e32 v133, v95
	v_mov_b32_e32 v134, v92
	v_mov_b32_e32 v135, v93
	ds_write2_b64 v126, v[132:133], v[134:135] offset0:12 offset1:13
	v_mov_b32_e32 v132, v90
	v_mov_b32_e32 v133, v91
	v_mov_b32_e32 v134, v88
	v_mov_b32_e32 v135, v89
	ds_write2_b64 v126, v[132:133], v[134:135] offset0:14 offset1:15
	;; [unrolled: 5-line block ×22, first 2 shown]
	v_mov_b32_e32 v132, v6
	v_mov_b32_e32 v133, v7
	;; [unrolled: 1-line block ×5, first 2 shown]
	ds_write2_b64 v126, v[132:133], v[134:135] offset0:56 offset1:57
	ds_write_b64 v126, v[120:121] offset:464
.LBB116_197:
	s_or_b64 exec, exec, s[0:1]
	v_cmp_lt_i32_e32 vcc, 11, v127
	s_waitcnt lgkmcnt(0)
	s_barrier
	s_and_saveexec_b64 s[0:1], vcc
	s_cbranch_execz .LBB116_199
; %bb.198:
	ds_read2_b64 v[132:135], v126 offset0:12 offset1:13
	ds_read2_b64 v[136:139], v126 offset0:14 offset1:15
	v_mul_f64 v[96:97], v[122:123], v[96:97]
	ds_read2_b64 v[140:143], v126 offset0:16 offset1:17
	ds_read_b64 v[122:123], v126 offset:464
	s_waitcnt lgkmcnt(0)
	v_fma_f64 v[94:95], -v[96:97], v[132:133], v[94:95]
	v_fma_f64 v[92:93], -v[96:97], v[134:135], v[92:93]
	ds_read2_b64 v[132:135], v126 offset0:18 offset1:19
	v_fma_f64 v[90:91], -v[96:97], v[136:137], v[90:91]
	v_fma_f64 v[88:89], -v[96:97], v[138:139], v[88:89]
	ds_read2_b64 v[136:139], v126 offset0:20 offset1:21
	;; [unrolled: 3-line block ×3, first 2 shown]
	s_waitcnt lgkmcnt(0)
	v_fma_f64 v[82:83], -v[96:97], v[132:133], v[82:83]
	v_fma_f64 v[80:81], -v[96:97], v[134:135], v[80:81]
	;; [unrolled: 1-line block ×3, first 2 shown]
	ds_read2_b64 v[132:135], v126 offset0:24 offset1:25
	v_fma_f64 v[76:77], -v[96:97], v[138:139], v[76:77]
	ds_read2_b64 v[136:139], v126 offset0:26 offset1:27
	v_fma_f64 v[74:75], -v[96:97], v[140:141], v[74:75]
	v_fma_f64 v[72:73], -v[96:97], v[142:143], v[72:73]
	s_waitcnt lgkmcnt(0)
	v_fma_f64 v[70:71], -v[96:97], v[132:133], v[70:71]
	ds_read2_b64 v[140:143], v126 offset0:28 offset1:29
	v_fma_f64 v[68:69], -v[96:97], v[134:135], v[68:69]
	ds_read2_b64 v[132:135], v126 offset0:30 offset1:31
	v_fma_f64 v[66:67], -v[96:97], v[136:137], v[66:67]
	v_fma_f64 v[64:65], -v[96:97], v[138:139], v[64:65]
	ds_read2_b64 v[136:139], v126 offset0:32 offset1:33
	s_waitcnt lgkmcnt(0)
	v_fma_f64 v[62:63], -v[96:97], v[140:141], v[62:63]
	v_fma_f64 v[60:61], -v[96:97], v[142:143], v[60:61]
	ds_read2_b64 v[140:143], v126 offset0:34 offset1:35
	v_fma_f64 v[58:59], -v[96:97], v[132:133], v[58:59]
	v_fma_f64 v[56:57], -v[96:97], v[134:135], v[56:57]
	;; [unrolled: 1-line block ×3, first 2 shown]
	ds_read2_b64 v[132:135], v126 offset0:36 offset1:37
	v_fma_f64 v[52:53], -v[96:97], v[138:139], v[52:53]
	ds_read2_b64 v[136:139], v126 offset0:38 offset1:39
	s_waitcnt lgkmcnt(0)
	v_fma_f64 v[50:51], -v[96:97], v[140:141], v[50:51]
	v_fma_f64 v[48:49], -v[96:97], v[142:143], v[48:49]
	;; [unrolled: 1-line block ×3, first 2 shown]
	ds_read2_b64 v[140:143], v126 offset0:40 offset1:41
	v_fma_f64 v[44:45], -v[96:97], v[134:135], v[44:45]
	ds_read2_b64 v[132:135], v126 offset0:42 offset1:43
	v_fma_f64 v[42:43], -v[96:97], v[136:137], v[42:43]
	v_fma_f64 v[40:41], -v[96:97], v[138:139], v[40:41]
	ds_read2_b64 v[136:139], v126 offset0:44 offset1:45
	s_waitcnt lgkmcnt(0)
	v_fma_f64 v[38:39], -v[96:97], v[140:141], v[38:39]
	v_fma_f64 v[36:37], -v[96:97], v[142:143], v[36:37]
	ds_read2_b64 v[140:143], v126 offset0:46 offset1:47
	v_fma_f64 v[34:35], -v[96:97], v[132:133], v[34:35]
	v_fma_f64 v[32:33], -v[96:97], v[134:135], v[32:33]
	;; [unrolled: 1-line block ×3, first 2 shown]
	ds_read2_b64 v[132:135], v126 offset0:48 offset1:49
	v_fma_f64 v[28:29], -v[96:97], v[138:139], v[28:29]
	ds_read2_b64 v[136:139], v126 offset0:50 offset1:51
	s_waitcnt lgkmcnt(0)
	v_fma_f64 v[26:27], -v[96:97], v[140:141], v[26:27]
	v_fma_f64 v[24:25], -v[96:97], v[142:143], v[24:25]
	;; [unrolled: 1-line block ×3, first 2 shown]
	ds_read2_b64 v[140:143], v126 offset0:52 offset1:53
	v_fma_f64 v[20:21], -v[96:97], v[134:135], v[20:21]
	ds_read2_b64 v[132:135], v126 offset0:54 offset1:55
	v_fma_f64 v[18:19], -v[96:97], v[136:137], v[18:19]
	v_fma_f64 v[16:17], -v[96:97], v[138:139], v[16:17]
	ds_read2_b64 v[136:139], v126 offset0:56 offset1:57
	s_waitcnt lgkmcnt(0)
	v_fma_f64 v[14:15], -v[96:97], v[140:141], v[14:15]
	v_fma_f64 v[12:13], -v[96:97], v[142:143], v[12:13]
	;; [unrolled: 1-line block ×7, first 2 shown]
.LBB116_199:
	s_or_b64 exec, exec, s[0:1]
	v_lshl_add_u32 v122, v127, 3, v126
	s_barrier
	ds_write_b64 v122, v[94:95]
	s_waitcnt lgkmcnt(0)
	s_barrier
	ds_read_b64 v[122:123], v126 offset:96
	s_cmp_lt_i32 s18, 14
	v_mov_b32_e32 v124, 12
	s_cbranch_scc1 .LBB116_202
; %bb.200:
	v_add_u32_e32 v131, 0x68, v126
	s_mov_b32 s0, 13
	v_mov_b32_e32 v124, 12
.LBB116_201:                            ; =>This Inner Loop Header: Depth=1
	ds_read_b64 v[132:133], v131
	v_mov_b32_e32 v134, s0
	s_add_i32 s0, s0, 1
	v_add_u32_e32 v131, 8, v131
	s_cmp_lg_u32 s18, s0
	s_waitcnt lgkmcnt(0)
	v_cmp_lt_f64_e64 vcc, |v[122:123]|, |v[132:133]|
	v_cndmask_b32_e32 v123, v123, v133, vcc
	v_cndmask_b32_e32 v122, v122, v132, vcc
	;; [unrolled: 1-line block ×3, first 2 shown]
	s_cbranch_scc1 .LBB116_201
.LBB116_202:
	s_waitcnt lgkmcnt(0)
	v_cmp_eq_f64_e32 vcc, 0, v[122:123]
	s_and_saveexec_b64 s[0:1], vcc
	s_xor_b64 s[0:1], exec, s[0:1]
; %bb.203:
	v_cmp_ne_u32_e32 vcc, 0, v130
	v_cndmask_b32_e32 v130, 13, v130, vcc
; %bb.204:
	s_andn2_saveexec_b64 s[0:1], s[0:1]
; %bb.205:
	v_div_scale_f64 v[132:133], s[2:3], v[122:123], v[122:123], 1.0
	v_rcp_f64_e32 v[134:135], v[132:133]
	v_div_scale_f64 v[136:137], vcc, 1.0, v[122:123], 1.0
	v_fma_f64 v[138:139], -v[132:133], v[134:135], 1.0
	v_fmac_f64_e32 v[134:135], v[134:135], v[138:139]
	v_fma_f64 v[138:139], -v[132:133], v[134:135], 1.0
	v_fmac_f64_e32 v[134:135], v[134:135], v[138:139]
	v_mul_f64 v[138:139], v[136:137], v[134:135]
	v_fma_f64 v[132:133], -v[132:133], v[138:139], v[136:137]
	v_div_fmas_f64 v[132:133], v[132:133], v[134:135], v[138:139]
	v_div_fixup_f64 v[122:123], v[132:133], v[122:123], 1.0
; %bb.206:
	s_or_b64 exec, exec, s[0:1]
	v_cmp_ne_u32_e32 vcc, v127, v124
	s_and_saveexec_b64 s[0:1], vcc
	s_xor_b64 s[0:1], exec, s[0:1]
	s_cbranch_execz .LBB116_212
; %bb.207:
	v_cmp_eq_u32_e32 vcc, 12, v127
	s_and_saveexec_b64 s[2:3], vcc
	s_cbranch_execz .LBB116_211
; %bb.208:
	v_cmp_ne_u32_e32 vcc, 12, v124
	s_xor_b64 s[14:15], s[6:7], -1
	s_and_b64 s[16:17], s[14:15], vcc
	s_and_saveexec_b64 s[14:15], s[16:17]
	s_cbranch_execz .LBB116_210
; %bb.209:
	v_ashrrev_i32_e32 v125, 31, v124
	v_lshlrev_b64 v[132:133], 2, v[124:125]
	v_add_co_u32_e32 v132, vcc, v4, v132
	v_addc_co_u32_e32 v133, vcc, v5, v133, vcc
	flat_load_dword v125, v[132:133]
	flat_load_dword v127, v[4:5] offset:48
	s_waitcnt vmcnt(0) lgkmcnt(0)
	flat_store_dword v[4:5], v125 offset:48
	flat_store_dword v[132:133], v127
.LBB116_210:
	s_or_b64 exec, exec, s[14:15]
	v_mov_b32_e32 v125, v124
	v_mov_b32_e32 v127, v124
.LBB116_211:
	s_or_b64 exec, exec, s[2:3]
.LBB116_212:
	s_andn2_saveexec_b64 s[0:1], s[0:1]
	s_cbranch_execz .LBB116_214
; %bb.213:
	v_mov_b32_e32 v127, 12
	ds_write2_b64 v126, v[92:93], v[90:91] offset0:13 offset1:14
	ds_write2_b64 v126, v[88:89], v[86:87] offset0:15 offset1:16
	;; [unrolled: 1-line block ×23, first 2 shown]
.LBB116_214:
	s_or_b64 exec, exec, s[0:1]
	v_cmp_lt_i32_e32 vcc, 12, v127
	s_waitcnt lgkmcnt(0)
	s_barrier
	s_and_saveexec_b64 s[0:1], vcc
	s_cbranch_execz .LBB116_216
; %bb.215:
	ds_read2_b64 v[132:135], v126 offset0:13 offset1:14
	ds_read2_b64 v[136:139], v126 offset0:15 offset1:16
	v_mul_f64 v[94:95], v[122:123], v[94:95]
	ds_read2_b64 v[140:143], v126 offset0:17 offset1:18
	s_waitcnt lgkmcnt(0)
	v_fma_f64 v[92:93], -v[94:95], v[132:133], v[92:93]
	v_fma_f64 v[90:91], -v[94:95], v[134:135], v[90:91]
	ds_read2_b64 v[132:135], v126 offset0:19 offset1:20
	v_fma_f64 v[88:89], -v[94:95], v[136:137], v[88:89]
	v_fma_f64 v[86:87], -v[94:95], v[138:139], v[86:87]
	ds_read2_b64 v[136:139], v126 offset0:21 offset1:22
	;; [unrolled: 3-line block ×3, first 2 shown]
	s_waitcnt lgkmcnt(0)
	v_fma_f64 v[80:81], -v[94:95], v[132:133], v[80:81]
	v_fma_f64 v[78:79], -v[94:95], v[134:135], v[78:79]
	;; [unrolled: 1-line block ×3, first 2 shown]
	ds_read2_b64 v[132:135], v126 offset0:25 offset1:26
	v_fma_f64 v[74:75], -v[94:95], v[138:139], v[74:75]
	ds_read2_b64 v[136:139], v126 offset0:27 offset1:28
	v_fma_f64 v[72:73], -v[94:95], v[140:141], v[72:73]
	v_fma_f64 v[70:71], -v[94:95], v[142:143], v[70:71]
	s_waitcnt lgkmcnt(0)
	v_fma_f64 v[68:69], -v[94:95], v[132:133], v[68:69]
	ds_read2_b64 v[140:143], v126 offset0:29 offset1:30
	v_fma_f64 v[66:67], -v[94:95], v[134:135], v[66:67]
	ds_read2_b64 v[132:135], v126 offset0:31 offset1:32
	v_fma_f64 v[64:65], -v[94:95], v[136:137], v[64:65]
	v_fma_f64 v[62:63], -v[94:95], v[138:139], v[62:63]
	ds_read2_b64 v[136:139], v126 offset0:33 offset1:34
	s_waitcnt lgkmcnt(0)
	v_fma_f64 v[60:61], -v[94:95], v[140:141], v[60:61]
	v_fma_f64 v[58:59], -v[94:95], v[142:143], v[58:59]
	ds_read2_b64 v[140:143], v126 offset0:35 offset1:36
	v_fma_f64 v[56:57], -v[94:95], v[132:133], v[56:57]
	v_fma_f64 v[54:55], -v[94:95], v[134:135], v[54:55]
	;; [unrolled: 1-line block ×3, first 2 shown]
	ds_read2_b64 v[132:135], v126 offset0:37 offset1:38
	v_fma_f64 v[50:51], -v[94:95], v[138:139], v[50:51]
	ds_read2_b64 v[136:139], v126 offset0:39 offset1:40
	s_waitcnt lgkmcnt(0)
	v_fma_f64 v[48:49], -v[94:95], v[140:141], v[48:49]
	v_fma_f64 v[46:47], -v[94:95], v[142:143], v[46:47]
	v_fma_f64 v[44:45], -v[94:95], v[132:133], v[44:45]
	ds_read2_b64 v[140:143], v126 offset0:41 offset1:42
	v_fma_f64 v[42:43], -v[94:95], v[134:135], v[42:43]
	ds_read2_b64 v[132:135], v126 offset0:43 offset1:44
	v_fma_f64 v[40:41], -v[94:95], v[136:137], v[40:41]
	v_fma_f64 v[38:39], -v[94:95], v[138:139], v[38:39]
	ds_read2_b64 v[136:139], v126 offset0:45 offset1:46
	s_waitcnt lgkmcnt(0)
	v_fma_f64 v[36:37], -v[94:95], v[140:141], v[36:37]
	v_fma_f64 v[34:35], -v[94:95], v[142:143], v[34:35]
	ds_read2_b64 v[140:143], v126 offset0:47 offset1:48
	v_fma_f64 v[32:33], -v[94:95], v[132:133], v[32:33]
	v_fma_f64 v[30:31], -v[94:95], v[134:135], v[30:31]
	;; [unrolled: 1-line block ×3, first 2 shown]
	ds_read2_b64 v[132:135], v126 offset0:49 offset1:50
	v_fma_f64 v[26:27], -v[94:95], v[138:139], v[26:27]
	ds_read2_b64 v[136:139], v126 offset0:51 offset1:52
	s_waitcnt lgkmcnt(0)
	v_fma_f64 v[24:25], -v[94:95], v[140:141], v[24:25]
	v_fma_f64 v[22:23], -v[94:95], v[142:143], v[22:23]
	;; [unrolled: 1-line block ×4, first 2 shown]
	ds_read2_b64 v[132:135], v126 offset0:53 offset1:54
	ds_read2_b64 v[140:143], v126 offset0:55 offset1:56
	v_fma_f64 v[16:17], -v[94:95], v[136:137], v[16:17]
	v_fma_f64 v[14:15], -v[94:95], v[138:139], v[14:15]
	ds_read2_b64 v[136:139], v126 offset0:57 offset1:58
	s_waitcnt lgkmcnt(0)
	v_fma_f64 v[12:13], -v[94:95], v[132:133], v[12:13]
	v_fma_f64 v[10:11], -v[94:95], v[134:135], v[10:11]
	;; [unrolled: 1-line block ×6, first 2 shown]
.LBB116_216:
	s_or_b64 exec, exec, s[0:1]
	v_lshl_add_u32 v122, v127, 3, v126
	s_barrier
	ds_write_b64 v122, v[92:93]
	s_waitcnt lgkmcnt(0)
	s_barrier
	ds_read_b64 v[122:123], v126 offset:104
	s_cmp_lt_i32 s18, 15
	v_mov_b32_e32 v124, 13
	s_cbranch_scc1 .LBB116_219
; %bb.217:
	v_add_u32_e32 v131, 0x70, v126
	s_mov_b32 s0, 14
	v_mov_b32_e32 v124, 13
.LBB116_218:                            ; =>This Inner Loop Header: Depth=1
	ds_read_b64 v[132:133], v131
	v_mov_b32_e32 v134, s0
	s_add_i32 s0, s0, 1
	v_add_u32_e32 v131, 8, v131
	s_cmp_lg_u32 s18, s0
	s_waitcnt lgkmcnt(0)
	v_cmp_lt_f64_e64 vcc, |v[122:123]|, |v[132:133]|
	v_cndmask_b32_e32 v123, v123, v133, vcc
	v_cndmask_b32_e32 v122, v122, v132, vcc
	v_cndmask_b32_e32 v124, v124, v134, vcc
	s_cbranch_scc1 .LBB116_218
.LBB116_219:
	s_waitcnt lgkmcnt(0)
	v_cmp_eq_f64_e32 vcc, 0, v[122:123]
	s_and_saveexec_b64 s[0:1], vcc
	s_xor_b64 s[0:1], exec, s[0:1]
; %bb.220:
	v_cmp_ne_u32_e32 vcc, 0, v130
	v_cndmask_b32_e32 v130, 14, v130, vcc
; %bb.221:
	s_andn2_saveexec_b64 s[0:1], s[0:1]
; %bb.222:
	v_div_scale_f64 v[132:133], s[2:3], v[122:123], v[122:123], 1.0
	v_rcp_f64_e32 v[134:135], v[132:133]
	v_div_scale_f64 v[136:137], vcc, 1.0, v[122:123], 1.0
	v_fma_f64 v[138:139], -v[132:133], v[134:135], 1.0
	v_fmac_f64_e32 v[134:135], v[134:135], v[138:139]
	v_fma_f64 v[138:139], -v[132:133], v[134:135], 1.0
	v_fmac_f64_e32 v[134:135], v[134:135], v[138:139]
	v_mul_f64 v[138:139], v[136:137], v[134:135]
	v_fma_f64 v[132:133], -v[132:133], v[138:139], v[136:137]
	v_div_fmas_f64 v[132:133], v[132:133], v[134:135], v[138:139]
	v_div_fixup_f64 v[122:123], v[132:133], v[122:123], 1.0
; %bb.223:
	s_or_b64 exec, exec, s[0:1]
	v_cmp_ne_u32_e32 vcc, v127, v124
	s_and_saveexec_b64 s[0:1], vcc
	s_xor_b64 s[0:1], exec, s[0:1]
	s_cbranch_execz .LBB116_229
; %bb.224:
	v_cmp_eq_u32_e32 vcc, 13, v127
	s_and_saveexec_b64 s[2:3], vcc
	s_cbranch_execz .LBB116_228
; %bb.225:
	v_cmp_ne_u32_e32 vcc, 13, v124
	s_xor_b64 s[14:15], s[6:7], -1
	s_and_b64 s[16:17], s[14:15], vcc
	s_and_saveexec_b64 s[14:15], s[16:17]
	s_cbranch_execz .LBB116_227
; %bb.226:
	v_ashrrev_i32_e32 v125, 31, v124
	v_lshlrev_b64 v[132:133], 2, v[124:125]
	v_add_co_u32_e32 v132, vcc, v4, v132
	v_addc_co_u32_e32 v133, vcc, v5, v133, vcc
	flat_load_dword v125, v[132:133]
	flat_load_dword v127, v[4:5] offset:52
	s_waitcnt vmcnt(0) lgkmcnt(0)
	flat_store_dword v[4:5], v125 offset:52
	flat_store_dword v[132:133], v127
.LBB116_227:
	s_or_b64 exec, exec, s[14:15]
	v_mov_b32_e32 v125, v124
	v_mov_b32_e32 v127, v124
.LBB116_228:
	s_or_b64 exec, exec, s[2:3]
.LBB116_229:
	s_andn2_saveexec_b64 s[0:1], s[0:1]
	s_cbranch_execz .LBB116_231
; %bb.230:
	v_mov_b32_e32 v132, v90
	v_mov_b32_e32 v133, v91
	v_mov_b32_e32 v134, v88
	v_mov_b32_e32 v135, v89
	ds_write2_b64 v126, v[132:133], v[134:135] offset0:14 offset1:15
	v_mov_b32_e32 v132, v86
	v_mov_b32_e32 v133, v87
	v_mov_b32_e32 v134, v84
	v_mov_b32_e32 v135, v85
	ds_write2_b64 v126, v[132:133], v[134:135] offset0:16 offset1:17
	;; [unrolled: 5-line block ×21, first 2 shown]
	v_mov_b32_e32 v132, v6
	v_mov_b32_e32 v133, v7
	;; [unrolled: 1-line block ×5, first 2 shown]
	ds_write2_b64 v126, v[132:133], v[134:135] offset0:56 offset1:57
	ds_write_b64 v126, v[120:121] offset:464
.LBB116_231:
	s_or_b64 exec, exec, s[0:1]
	v_cmp_lt_i32_e32 vcc, 13, v127
	s_waitcnt lgkmcnt(0)
	s_barrier
	s_and_saveexec_b64 s[0:1], vcc
	s_cbranch_execz .LBB116_233
; %bb.232:
	ds_read2_b64 v[132:135], v126 offset0:14 offset1:15
	ds_read2_b64 v[136:139], v126 offset0:16 offset1:17
	v_mul_f64 v[92:93], v[122:123], v[92:93]
	ds_read2_b64 v[140:143], v126 offset0:18 offset1:19
	ds_read_b64 v[122:123], v126 offset:464
	s_waitcnt lgkmcnt(0)
	v_fma_f64 v[90:91], -v[92:93], v[132:133], v[90:91]
	v_fma_f64 v[88:89], -v[92:93], v[134:135], v[88:89]
	ds_read2_b64 v[132:135], v126 offset0:20 offset1:21
	v_fma_f64 v[86:87], -v[92:93], v[136:137], v[86:87]
	v_fma_f64 v[84:85], -v[92:93], v[138:139], v[84:85]
	v_fma_f64 v[82:83], -v[92:93], v[140:141], v[82:83]
	ds_read2_b64 v[136:139], v126 offset0:22 offset1:23
	v_fma_f64 v[80:81], -v[92:93], v[142:143], v[80:81]
	ds_read2_b64 v[140:143], v126 offset0:24 offset1:25
	s_waitcnt lgkmcnt(0)
	v_fma_f64 v[78:79], -v[92:93], v[132:133], v[78:79]
	v_fma_f64 v[76:77], -v[92:93], v[134:135], v[76:77]
	ds_read2_b64 v[132:135], v126 offset0:26 offset1:27
	v_fma_f64 v[74:75], -v[92:93], v[136:137], v[74:75]
	v_fma_f64 v[72:73], -v[92:93], v[138:139], v[72:73]
	ds_read2_b64 v[136:139], v126 offset0:28 offset1:29
	v_fma_f64 v[70:71], -v[92:93], v[140:141], v[70:71]
	v_fma_f64 v[68:69], -v[92:93], v[142:143], v[68:69]
	s_waitcnt lgkmcnt(0)
	v_fma_f64 v[66:67], -v[92:93], v[132:133], v[66:67]
	ds_read2_b64 v[140:143], v126 offset0:30 offset1:31
	v_fma_f64 v[64:65], -v[92:93], v[134:135], v[64:65]
	ds_read2_b64 v[132:135], v126 offset0:32 offset1:33
	v_fma_f64 v[62:63], -v[92:93], v[136:137], v[62:63]
	v_fma_f64 v[60:61], -v[92:93], v[138:139], v[60:61]
	s_waitcnt lgkmcnt(0)
	v_fma_f64 v[58:59], -v[92:93], v[140:141], v[58:59]
	ds_read2_b64 v[136:139], v126 offset0:34 offset1:35
	v_fma_f64 v[56:57], -v[92:93], v[142:143], v[56:57]
	ds_read2_b64 v[140:143], v126 offset0:36 offset1:37
	v_fma_f64 v[54:55], -v[92:93], v[132:133], v[54:55]
	v_fma_f64 v[52:53], -v[92:93], v[134:135], v[52:53]
	ds_read2_b64 v[132:135], v126 offset0:38 offset1:39
	s_waitcnt lgkmcnt(0)
	v_fma_f64 v[50:51], -v[92:93], v[136:137], v[50:51]
	v_fma_f64 v[48:49], -v[92:93], v[138:139], v[48:49]
	ds_read2_b64 v[136:139], v126 offset0:40 offset1:41
	v_fma_f64 v[46:47], -v[92:93], v[140:141], v[46:47]
	v_fma_f64 v[44:45], -v[92:93], v[142:143], v[44:45]
	;; [unrolled: 1-line block ×3, first 2 shown]
	ds_read2_b64 v[140:143], v126 offset0:42 offset1:43
	v_fma_f64 v[40:41], -v[92:93], v[134:135], v[40:41]
	ds_read2_b64 v[132:135], v126 offset0:44 offset1:45
	s_waitcnt lgkmcnt(0)
	v_fma_f64 v[38:39], -v[92:93], v[136:137], v[38:39]
	v_fma_f64 v[36:37], -v[92:93], v[138:139], v[36:37]
	;; [unrolled: 1-line block ×3, first 2 shown]
	ds_read2_b64 v[136:139], v126 offset0:46 offset1:47
	v_fma_f64 v[32:33], -v[92:93], v[142:143], v[32:33]
	ds_read2_b64 v[140:143], v126 offset0:48 offset1:49
	v_fma_f64 v[30:31], -v[92:93], v[132:133], v[30:31]
	v_fma_f64 v[28:29], -v[92:93], v[134:135], v[28:29]
	ds_read2_b64 v[132:135], v126 offset0:50 offset1:51
	s_waitcnt lgkmcnt(0)
	v_fma_f64 v[26:27], -v[92:93], v[136:137], v[26:27]
	v_fma_f64 v[24:25], -v[92:93], v[138:139], v[24:25]
	ds_read2_b64 v[136:139], v126 offset0:52 offset1:53
	v_fma_f64 v[22:23], -v[92:93], v[140:141], v[22:23]
	v_fma_f64 v[20:21], -v[92:93], v[142:143], v[20:21]
	;; [unrolled: 1-line block ×4, first 2 shown]
	ds_read2_b64 v[132:135], v126 offset0:54 offset1:55
	ds_read2_b64 v[140:143], v126 offset0:56 offset1:57
	s_waitcnt lgkmcnt(0)
	v_fma_f64 v[14:15], -v[92:93], v[136:137], v[14:15]
	v_fma_f64 v[12:13], -v[92:93], v[138:139], v[12:13]
	;; [unrolled: 1-line block ×7, first 2 shown]
.LBB116_233:
	s_or_b64 exec, exec, s[0:1]
	v_lshl_add_u32 v122, v127, 3, v126
	s_barrier
	ds_write_b64 v122, v[90:91]
	s_waitcnt lgkmcnt(0)
	s_barrier
	ds_read_b64 v[122:123], v126 offset:112
	s_cmp_lt_i32 s18, 16
	v_mov_b32_e32 v124, 14
	s_cbranch_scc1 .LBB116_236
; %bb.234:
	v_add_u32_e32 v131, 0x78, v126
	s_mov_b32 s0, 15
	v_mov_b32_e32 v124, 14
.LBB116_235:                            ; =>This Inner Loop Header: Depth=1
	ds_read_b64 v[132:133], v131
	v_mov_b32_e32 v134, s0
	s_add_i32 s0, s0, 1
	v_add_u32_e32 v131, 8, v131
	s_cmp_lg_u32 s18, s0
	s_waitcnt lgkmcnt(0)
	v_cmp_lt_f64_e64 vcc, |v[122:123]|, |v[132:133]|
	v_cndmask_b32_e32 v123, v123, v133, vcc
	v_cndmask_b32_e32 v122, v122, v132, vcc
	;; [unrolled: 1-line block ×3, first 2 shown]
	s_cbranch_scc1 .LBB116_235
.LBB116_236:
	s_waitcnt lgkmcnt(0)
	v_cmp_eq_f64_e32 vcc, 0, v[122:123]
	s_and_saveexec_b64 s[0:1], vcc
	s_xor_b64 s[0:1], exec, s[0:1]
; %bb.237:
	v_cmp_ne_u32_e32 vcc, 0, v130
	v_cndmask_b32_e32 v130, 15, v130, vcc
; %bb.238:
	s_andn2_saveexec_b64 s[0:1], s[0:1]
; %bb.239:
	v_div_scale_f64 v[132:133], s[2:3], v[122:123], v[122:123], 1.0
	v_rcp_f64_e32 v[134:135], v[132:133]
	v_div_scale_f64 v[136:137], vcc, 1.0, v[122:123], 1.0
	v_fma_f64 v[138:139], -v[132:133], v[134:135], 1.0
	v_fmac_f64_e32 v[134:135], v[134:135], v[138:139]
	v_fma_f64 v[138:139], -v[132:133], v[134:135], 1.0
	v_fmac_f64_e32 v[134:135], v[134:135], v[138:139]
	v_mul_f64 v[138:139], v[136:137], v[134:135]
	v_fma_f64 v[132:133], -v[132:133], v[138:139], v[136:137]
	v_div_fmas_f64 v[132:133], v[132:133], v[134:135], v[138:139]
	v_div_fixup_f64 v[122:123], v[132:133], v[122:123], 1.0
; %bb.240:
	s_or_b64 exec, exec, s[0:1]
	v_cmp_ne_u32_e32 vcc, v127, v124
	s_and_saveexec_b64 s[0:1], vcc
	s_xor_b64 s[0:1], exec, s[0:1]
	s_cbranch_execz .LBB116_246
; %bb.241:
	v_cmp_eq_u32_e32 vcc, 14, v127
	s_and_saveexec_b64 s[2:3], vcc
	s_cbranch_execz .LBB116_245
; %bb.242:
	v_cmp_ne_u32_e32 vcc, 14, v124
	s_xor_b64 s[14:15], s[6:7], -1
	s_and_b64 s[16:17], s[14:15], vcc
	s_and_saveexec_b64 s[14:15], s[16:17]
	s_cbranch_execz .LBB116_244
; %bb.243:
	v_ashrrev_i32_e32 v125, 31, v124
	v_lshlrev_b64 v[132:133], 2, v[124:125]
	v_add_co_u32_e32 v132, vcc, v4, v132
	v_addc_co_u32_e32 v133, vcc, v5, v133, vcc
	flat_load_dword v125, v[132:133]
	flat_load_dword v127, v[4:5] offset:56
	s_waitcnt vmcnt(0) lgkmcnt(0)
	flat_store_dword v[4:5], v125 offset:56
	flat_store_dword v[132:133], v127
.LBB116_244:
	s_or_b64 exec, exec, s[14:15]
	v_mov_b32_e32 v125, v124
	v_mov_b32_e32 v127, v124
.LBB116_245:
	s_or_b64 exec, exec, s[2:3]
.LBB116_246:
	s_andn2_saveexec_b64 s[0:1], s[0:1]
	s_cbranch_execz .LBB116_248
; %bb.247:
	v_mov_b32_e32 v127, 14
	ds_write2_b64 v126, v[88:89], v[86:87] offset0:15 offset1:16
	ds_write2_b64 v126, v[84:85], v[82:83] offset0:17 offset1:18
	;; [unrolled: 1-line block ×22, first 2 shown]
.LBB116_248:
	s_or_b64 exec, exec, s[0:1]
	v_cmp_lt_i32_e32 vcc, 14, v127
	s_waitcnt lgkmcnt(0)
	s_barrier
	s_and_saveexec_b64 s[0:1], vcc
	s_cbranch_execz .LBB116_250
; %bb.249:
	ds_read2_b64 v[132:135], v126 offset0:15 offset1:16
	ds_read2_b64 v[136:139], v126 offset0:17 offset1:18
	v_mul_f64 v[90:91], v[122:123], v[90:91]
	ds_read2_b64 v[140:143], v126 offset0:19 offset1:20
	s_waitcnt lgkmcnt(0)
	v_fma_f64 v[88:89], -v[90:91], v[132:133], v[88:89]
	v_fma_f64 v[86:87], -v[90:91], v[134:135], v[86:87]
	ds_read2_b64 v[132:135], v126 offset0:21 offset1:22
	v_fma_f64 v[84:85], -v[90:91], v[136:137], v[84:85]
	v_fma_f64 v[82:83], -v[90:91], v[138:139], v[82:83]
	;; [unrolled: 1-line block ×3, first 2 shown]
	ds_read2_b64 v[136:139], v126 offset0:23 offset1:24
	v_fma_f64 v[78:79], -v[90:91], v[142:143], v[78:79]
	ds_read2_b64 v[140:143], v126 offset0:25 offset1:26
	s_waitcnt lgkmcnt(0)
	v_fma_f64 v[76:77], -v[90:91], v[132:133], v[76:77]
	v_fma_f64 v[74:75], -v[90:91], v[134:135], v[74:75]
	ds_read2_b64 v[132:135], v126 offset0:27 offset1:28
	v_fma_f64 v[72:73], -v[90:91], v[136:137], v[72:73]
	v_fma_f64 v[70:71], -v[90:91], v[138:139], v[70:71]
	ds_read2_b64 v[136:139], v126 offset0:29 offset1:30
	v_fma_f64 v[68:69], -v[90:91], v[140:141], v[68:69]
	v_fma_f64 v[66:67], -v[90:91], v[142:143], v[66:67]
	s_waitcnt lgkmcnt(0)
	v_fma_f64 v[64:65], -v[90:91], v[132:133], v[64:65]
	ds_read2_b64 v[140:143], v126 offset0:31 offset1:32
	v_fma_f64 v[62:63], -v[90:91], v[134:135], v[62:63]
	ds_read2_b64 v[132:135], v126 offset0:33 offset1:34
	v_fma_f64 v[60:61], -v[90:91], v[136:137], v[60:61]
	v_fma_f64 v[58:59], -v[90:91], v[138:139], v[58:59]
	s_waitcnt lgkmcnt(0)
	v_fma_f64 v[56:57], -v[90:91], v[140:141], v[56:57]
	ds_read2_b64 v[136:139], v126 offset0:35 offset1:36
	v_fma_f64 v[54:55], -v[90:91], v[142:143], v[54:55]
	ds_read2_b64 v[140:143], v126 offset0:37 offset1:38
	v_fma_f64 v[52:53], -v[90:91], v[132:133], v[52:53]
	v_fma_f64 v[50:51], -v[90:91], v[134:135], v[50:51]
	ds_read2_b64 v[132:135], v126 offset0:39 offset1:40
	s_waitcnt lgkmcnt(0)
	v_fma_f64 v[48:49], -v[90:91], v[136:137], v[48:49]
	v_fma_f64 v[46:47], -v[90:91], v[138:139], v[46:47]
	ds_read2_b64 v[136:139], v126 offset0:41 offset1:42
	v_fma_f64 v[44:45], -v[90:91], v[140:141], v[44:45]
	v_fma_f64 v[42:43], -v[90:91], v[142:143], v[42:43]
	v_fma_f64 v[40:41], -v[90:91], v[132:133], v[40:41]
	ds_read2_b64 v[140:143], v126 offset0:43 offset1:44
	v_fma_f64 v[38:39], -v[90:91], v[134:135], v[38:39]
	ds_read2_b64 v[132:135], v126 offset0:45 offset1:46
	s_waitcnt lgkmcnt(0)
	v_fma_f64 v[36:37], -v[90:91], v[136:137], v[36:37]
	v_fma_f64 v[34:35], -v[90:91], v[138:139], v[34:35]
	;; [unrolled: 1-line block ×3, first 2 shown]
	ds_read2_b64 v[136:139], v126 offset0:47 offset1:48
	v_fma_f64 v[30:31], -v[90:91], v[142:143], v[30:31]
	ds_read2_b64 v[140:143], v126 offset0:49 offset1:50
	v_fma_f64 v[28:29], -v[90:91], v[132:133], v[28:29]
	v_fma_f64 v[26:27], -v[90:91], v[134:135], v[26:27]
	ds_read2_b64 v[132:135], v126 offset0:51 offset1:52
	s_waitcnt lgkmcnt(0)
	v_fma_f64 v[24:25], -v[90:91], v[136:137], v[24:25]
	v_fma_f64 v[22:23], -v[90:91], v[138:139], v[22:23]
	ds_read2_b64 v[136:139], v126 offset0:53 offset1:54
	v_fma_f64 v[20:21], -v[90:91], v[140:141], v[20:21]
	v_fma_f64 v[18:19], -v[90:91], v[142:143], v[18:19]
	;; [unrolled: 1-line block ×3, first 2 shown]
	ds_read2_b64 v[140:143], v126 offset0:55 offset1:56
	v_fma_f64 v[14:15], -v[90:91], v[134:135], v[14:15]
	ds_read2_b64 v[132:135], v126 offset0:57 offset1:58
	s_waitcnt lgkmcnt(0)
	v_fma_f64 v[12:13], -v[90:91], v[136:137], v[12:13]
	v_fma_f64 v[10:11], -v[90:91], v[138:139], v[10:11]
	;; [unrolled: 1-line block ×6, first 2 shown]
.LBB116_250:
	s_or_b64 exec, exec, s[0:1]
	v_lshl_add_u32 v122, v127, 3, v126
	s_barrier
	ds_write_b64 v122, v[88:89]
	s_waitcnt lgkmcnt(0)
	s_barrier
	ds_read_b64 v[122:123], v126 offset:120
	s_cmp_lt_i32 s18, 17
	v_mov_b32_e32 v124, 15
	s_cbranch_scc1 .LBB116_253
; %bb.251:
	v_add_u32_e32 v131, 0x80, v126
	s_mov_b32 s0, 16
	v_mov_b32_e32 v124, 15
.LBB116_252:                            ; =>This Inner Loop Header: Depth=1
	ds_read_b64 v[132:133], v131
	v_mov_b32_e32 v134, s0
	s_add_i32 s0, s0, 1
	v_add_u32_e32 v131, 8, v131
	s_cmp_lg_u32 s18, s0
	s_waitcnt lgkmcnt(0)
	v_cmp_lt_f64_e64 vcc, |v[122:123]|, |v[132:133]|
	v_cndmask_b32_e32 v123, v123, v133, vcc
	v_cndmask_b32_e32 v122, v122, v132, vcc
	;; [unrolled: 1-line block ×3, first 2 shown]
	s_cbranch_scc1 .LBB116_252
.LBB116_253:
	s_waitcnt lgkmcnt(0)
	v_cmp_eq_f64_e32 vcc, 0, v[122:123]
	s_and_saveexec_b64 s[0:1], vcc
	s_xor_b64 s[0:1], exec, s[0:1]
; %bb.254:
	v_cmp_ne_u32_e32 vcc, 0, v130
	v_cndmask_b32_e32 v130, 16, v130, vcc
; %bb.255:
	s_andn2_saveexec_b64 s[0:1], s[0:1]
; %bb.256:
	v_div_scale_f64 v[132:133], s[2:3], v[122:123], v[122:123], 1.0
	v_rcp_f64_e32 v[134:135], v[132:133]
	v_div_scale_f64 v[136:137], vcc, 1.0, v[122:123], 1.0
	v_fma_f64 v[138:139], -v[132:133], v[134:135], 1.0
	v_fmac_f64_e32 v[134:135], v[134:135], v[138:139]
	v_fma_f64 v[138:139], -v[132:133], v[134:135], 1.0
	v_fmac_f64_e32 v[134:135], v[134:135], v[138:139]
	v_mul_f64 v[138:139], v[136:137], v[134:135]
	v_fma_f64 v[132:133], -v[132:133], v[138:139], v[136:137]
	v_div_fmas_f64 v[132:133], v[132:133], v[134:135], v[138:139]
	v_div_fixup_f64 v[122:123], v[132:133], v[122:123], 1.0
; %bb.257:
	s_or_b64 exec, exec, s[0:1]
	v_cmp_ne_u32_e32 vcc, v127, v124
	s_and_saveexec_b64 s[0:1], vcc
	s_xor_b64 s[0:1], exec, s[0:1]
	s_cbranch_execz .LBB116_263
; %bb.258:
	v_cmp_eq_u32_e32 vcc, 15, v127
	s_and_saveexec_b64 s[2:3], vcc
	s_cbranch_execz .LBB116_262
; %bb.259:
	v_cmp_ne_u32_e32 vcc, 15, v124
	s_xor_b64 s[14:15], s[6:7], -1
	s_and_b64 s[16:17], s[14:15], vcc
	s_and_saveexec_b64 s[14:15], s[16:17]
	s_cbranch_execz .LBB116_261
; %bb.260:
	v_ashrrev_i32_e32 v125, 31, v124
	v_lshlrev_b64 v[132:133], 2, v[124:125]
	v_add_co_u32_e32 v132, vcc, v4, v132
	v_addc_co_u32_e32 v133, vcc, v5, v133, vcc
	flat_load_dword v125, v[132:133]
	flat_load_dword v127, v[4:5] offset:60
	s_waitcnt vmcnt(0) lgkmcnt(0)
	flat_store_dword v[4:5], v125 offset:60
	flat_store_dword v[132:133], v127
.LBB116_261:
	s_or_b64 exec, exec, s[14:15]
	v_mov_b32_e32 v125, v124
	v_mov_b32_e32 v127, v124
.LBB116_262:
	s_or_b64 exec, exec, s[2:3]
.LBB116_263:
	s_andn2_saveexec_b64 s[0:1], s[0:1]
	s_cbranch_execz .LBB116_265
; %bb.264:
	v_mov_b32_e32 v132, v86
	v_mov_b32_e32 v133, v87
	v_mov_b32_e32 v134, v84
	v_mov_b32_e32 v135, v85
	ds_write2_b64 v126, v[132:133], v[134:135] offset0:16 offset1:17
	v_mov_b32_e32 v132, v82
	v_mov_b32_e32 v133, v83
	v_mov_b32_e32 v134, v80
	v_mov_b32_e32 v135, v81
	ds_write2_b64 v126, v[132:133], v[134:135] offset0:18 offset1:19
	v_mov_b32_e32 v132, v78
	v_mov_b32_e32 v133, v79
	v_mov_b32_e32 v134, v76
	v_mov_b32_e32 v135, v77
	ds_write2_b64 v126, v[132:133], v[134:135] offset0:20 offset1:21
	v_mov_b32_e32 v132, v74
	v_mov_b32_e32 v133, v75
	v_mov_b32_e32 v134, v72
	v_mov_b32_e32 v135, v73
	ds_write2_b64 v126, v[132:133], v[134:135] offset0:22 offset1:23
	v_mov_b32_e32 v132, v70
	v_mov_b32_e32 v133, v71
	v_mov_b32_e32 v134, v68
	v_mov_b32_e32 v135, v69
	ds_write2_b64 v126, v[132:133], v[134:135] offset0:24 offset1:25
	v_mov_b32_e32 v132, v66
	v_mov_b32_e32 v133, v67
	v_mov_b32_e32 v134, v64
	v_mov_b32_e32 v135, v65
	ds_write2_b64 v126, v[132:133], v[134:135] offset0:26 offset1:27
	v_mov_b32_e32 v132, v62
	v_mov_b32_e32 v133, v63
	v_mov_b32_e32 v134, v60
	v_mov_b32_e32 v135, v61
	ds_write2_b64 v126, v[132:133], v[134:135] offset0:28 offset1:29
	v_mov_b32_e32 v132, v58
	v_mov_b32_e32 v133, v59
	v_mov_b32_e32 v134, v56
	v_mov_b32_e32 v135, v57
	ds_write2_b64 v126, v[132:133], v[134:135] offset0:30 offset1:31
	v_mov_b32_e32 v132, v54
	v_mov_b32_e32 v133, v55
	v_mov_b32_e32 v134, v52
	v_mov_b32_e32 v135, v53
	ds_write2_b64 v126, v[132:133], v[134:135] offset0:32 offset1:33
	v_mov_b32_e32 v132, v50
	v_mov_b32_e32 v133, v51
	v_mov_b32_e32 v134, v48
	v_mov_b32_e32 v135, v49
	ds_write2_b64 v126, v[132:133], v[134:135] offset0:34 offset1:35
	v_mov_b32_e32 v132, v46
	v_mov_b32_e32 v133, v47
	v_mov_b32_e32 v134, v44
	v_mov_b32_e32 v135, v45
	ds_write2_b64 v126, v[132:133], v[134:135] offset0:36 offset1:37
	v_mov_b32_e32 v132, v42
	v_mov_b32_e32 v133, v43
	v_mov_b32_e32 v134, v40
	v_mov_b32_e32 v135, v41
	ds_write2_b64 v126, v[132:133], v[134:135] offset0:38 offset1:39
	v_mov_b32_e32 v132, v38
	v_mov_b32_e32 v133, v39
	v_mov_b32_e32 v134, v36
	v_mov_b32_e32 v135, v37
	ds_write2_b64 v126, v[132:133], v[134:135] offset0:40 offset1:41
	v_mov_b32_e32 v132, v34
	v_mov_b32_e32 v133, v35
	v_mov_b32_e32 v134, v32
	v_mov_b32_e32 v135, v33
	ds_write2_b64 v126, v[132:133], v[134:135] offset0:42 offset1:43
	v_mov_b32_e32 v132, v30
	v_mov_b32_e32 v133, v31
	v_mov_b32_e32 v134, v28
	v_mov_b32_e32 v135, v29
	ds_write2_b64 v126, v[132:133], v[134:135] offset0:44 offset1:45
	v_mov_b32_e32 v132, v26
	v_mov_b32_e32 v133, v27
	v_mov_b32_e32 v134, v24
	v_mov_b32_e32 v135, v25
	ds_write2_b64 v126, v[132:133], v[134:135] offset0:46 offset1:47
	v_mov_b32_e32 v132, v22
	v_mov_b32_e32 v133, v23
	v_mov_b32_e32 v134, v20
	v_mov_b32_e32 v135, v21
	ds_write2_b64 v126, v[132:133], v[134:135] offset0:48 offset1:49
	v_mov_b32_e32 v132, v18
	v_mov_b32_e32 v133, v19
	v_mov_b32_e32 v134, v16
	v_mov_b32_e32 v135, v17
	ds_write2_b64 v126, v[132:133], v[134:135] offset0:50 offset1:51
	v_mov_b32_e32 v132, v14
	v_mov_b32_e32 v133, v15
	v_mov_b32_e32 v134, v12
	v_mov_b32_e32 v135, v13
	ds_write2_b64 v126, v[132:133], v[134:135] offset0:52 offset1:53
	v_mov_b32_e32 v132, v10
	v_mov_b32_e32 v133, v11
	v_mov_b32_e32 v134, v8
	v_mov_b32_e32 v135, v9
	ds_write2_b64 v126, v[132:133], v[134:135] offset0:54 offset1:55
	v_mov_b32_e32 v132, v6
	v_mov_b32_e32 v133, v7
	v_mov_b32_e32 v134, v0
	v_mov_b32_e32 v135, v1
	v_mov_b32_e32 v127, 15
	ds_write2_b64 v126, v[132:133], v[134:135] offset0:56 offset1:57
	ds_write_b64 v126, v[120:121] offset:464
.LBB116_265:
	s_or_b64 exec, exec, s[0:1]
	v_cmp_lt_i32_e32 vcc, 15, v127
	s_waitcnt lgkmcnt(0)
	s_barrier
	s_and_saveexec_b64 s[0:1], vcc
	s_cbranch_execz .LBB116_267
; %bb.266:
	ds_read2_b64 v[132:135], v126 offset0:16 offset1:17
	ds_read2_b64 v[136:139], v126 offset0:18 offset1:19
	;; [unrolled: 1-line block ×3, first 2 shown]
	v_mul_f64 v[88:89], v[122:123], v[88:89]
	ds_read_b64 v[122:123], v126 offset:464
	s_waitcnt lgkmcnt(0)
	v_fma_f64 v[86:87], -v[88:89], v[132:133], v[86:87]
	v_fma_f64 v[84:85], -v[88:89], v[134:135], v[84:85]
	ds_read2_b64 v[132:135], v126 offset0:22 offset1:23
	v_fma_f64 v[82:83], -v[88:89], v[136:137], v[82:83]
	v_fma_f64 v[80:81], -v[88:89], v[138:139], v[80:81]
	v_fma_f64 v[78:79], -v[88:89], v[140:141], v[78:79]
	ds_read2_b64 v[136:139], v126 offset0:24 offset1:25
	v_fma_f64 v[76:77], -v[88:89], v[142:143], v[76:77]
	ds_read2_b64 v[140:143], v126 offset0:26 offset1:27
	s_waitcnt lgkmcnt(0)
	v_fma_f64 v[74:75], -v[88:89], v[132:133], v[74:75]
	v_fma_f64 v[72:73], -v[88:89], v[134:135], v[72:73]
	v_fma_f64 v[70:71], -v[88:89], v[136:137], v[70:71]
	ds_read2_b64 v[132:135], v126 offset0:28 offset1:29
	v_fma_f64 v[68:69], -v[88:89], v[138:139], v[68:69]
	ds_read2_b64 v[136:139], v126 offset0:30 offset1:31
	v_fma_f64 v[66:67], -v[88:89], v[140:141], v[66:67]
	v_fma_f64 v[64:65], -v[88:89], v[142:143], v[64:65]
	ds_read2_b64 v[140:143], v126 offset0:32 offset1:33
	s_waitcnt lgkmcnt(0)
	v_fma_f64 v[62:63], -v[88:89], v[132:133], v[62:63]
	v_fma_f64 v[60:61], -v[88:89], v[134:135], v[60:61]
	ds_read2_b64 v[132:135], v126 offset0:34 offset1:35
	v_fma_f64 v[58:59], -v[88:89], v[136:137], v[58:59]
	v_fma_f64 v[56:57], -v[88:89], v[138:139], v[56:57]
	v_fma_f64 v[54:55], -v[88:89], v[140:141], v[54:55]
	ds_read2_b64 v[136:139], v126 offset0:36 offset1:37
	v_fma_f64 v[52:53], -v[88:89], v[142:143], v[52:53]
	ds_read2_b64 v[140:143], v126 offset0:38 offset1:39
	s_waitcnt lgkmcnt(0)
	v_fma_f64 v[50:51], -v[88:89], v[132:133], v[50:51]
	v_fma_f64 v[48:49], -v[88:89], v[134:135], v[48:49]
	v_fma_f64 v[46:47], -v[88:89], v[136:137], v[46:47]
	ds_read2_b64 v[132:135], v126 offset0:40 offset1:41
	v_fma_f64 v[44:45], -v[88:89], v[138:139], v[44:45]
	ds_read2_b64 v[136:139], v126 offset0:42 offset1:43
	v_fma_f64 v[42:43], -v[88:89], v[140:141], v[42:43]
	v_fma_f64 v[40:41], -v[88:89], v[142:143], v[40:41]
	ds_read2_b64 v[140:143], v126 offset0:44 offset1:45
	;; [unrolled: 20-line block ×3, first 2 shown]
	s_waitcnt lgkmcnt(0)
	v_fma_f64 v[14:15], -v[88:89], v[132:133], v[14:15]
	v_fma_f64 v[12:13], -v[88:89], v[134:135], v[12:13]
	;; [unrolled: 1-line block ×7, first 2 shown]
.LBB116_267:
	s_or_b64 exec, exec, s[0:1]
	v_lshl_add_u32 v122, v127, 3, v126
	s_barrier
	ds_write_b64 v122, v[86:87]
	s_waitcnt lgkmcnt(0)
	s_barrier
	ds_read_b64 v[122:123], v126 offset:128
	s_cmp_lt_i32 s18, 18
	v_mov_b32_e32 v124, 16
	s_cbranch_scc1 .LBB116_270
; %bb.268:
	v_add_u32_e32 v131, 0x88, v126
	s_mov_b32 s0, 17
	v_mov_b32_e32 v124, 16
.LBB116_269:                            ; =>This Inner Loop Header: Depth=1
	ds_read_b64 v[132:133], v131
	v_mov_b32_e32 v134, s0
	s_add_i32 s0, s0, 1
	v_add_u32_e32 v131, 8, v131
	s_cmp_lg_u32 s18, s0
	s_waitcnt lgkmcnt(0)
	v_cmp_lt_f64_e64 vcc, |v[122:123]|, |v[132:133]|
	v_cndmask_b32_e32 v123, v123, v133, vcc
	v_cndmask_b32_e32 v122, v122, v132, vcc
	;; [unrolled: 1-line block ×3, first 2 shown]
	s_cbranch_scc1 .LBB116_269
.LBB116_270:
	s_waitcnt lgkmcnt(0)
	v_cmp_eq_f64_e32 vcc, 0, v[122:123]
	s_and_saveexec_b64 s[0:1], vcc
	s_xor_b64 s[0:1], exec, s[0:1]
; %bb.271:
	v_cmp_ne_u32_e32 vcc, 0, v130
	v_cndmask_b32_e32 v130, 17, v130, vcc
; %bb.272:
	s_andn2_saveexec_b64 s[0:1], s[0:1]
; %bb.273:
	v_div_scale_f64 v[132:133], s[2:3], v[122:123], v[122:123], 1.0
	v_rcp_f64_e32 v[134:135], v[132:133]
	v_div_scale_f64 v[136:137], vcc, 1.0, v[122:123], 1.0
	v_fma_f64 v[138:139], -v[132:133], v[134:135], 1.0
	v_fmac_f64_e32 v[134:135], v[134:135], v[138:139]
	v_fma_f64 v[138:139], -v[132:133], v[134:135], 1.0
	v_fmac_f64_e32 v[134:135], v[134:135], v[138:139]
	v_mul_f64 v[138:139], v[136:137], v[134:135]
	v_fma_f64 v[132:133], -v[132:133], v[138:139], v[136:137]
	v_div_fmas_f64 v[132:133], v[132:133], v[134:135], v[138:139]
	v_div_fixup_f64 v[122:123], v[132:133], v[122:123], 1.0
; %bb.274:
	s_or_b64 exec, exec, s[0:1]
	v_cmp_ne_u32_e32 vcc, v127, v124
	s_and_saveexec_b64 s[0:1], vcc
	s_xor_b64 s[0:1], exec, s[0:1]
	s_cbranch_execz .LBB116_280
; %bb.275:
	v_cmp_eq_u32_e32 vcc, 16, v127
	s_and_saveexec_b64 s[2:3], vcc
	s_cbranch_execz .LBB116_279
; %bb.276:
	v_cmp_ne_u32_e32 vcc, 16, v124
	s_xor_b64 s[14:15], s[6:7], -1
	s_and_b64 s[16:17], s[14:15], vcc
	s_and_saveexec_b64 s[14:15], s[16:17]
	s_cbranch_execz .LBB116_278
; %bb.277:
	v_ashrrev_i32_e32 v125, 31, v124
	v_lshlrev_b64 v[132:133], 2, v[124:125]
	v_add_co_u32_e32 v132, vcc, v4, v132
	v_addc_co_u32_e32 v133, vcc, v5, v133, vcc
	flat_load_dword v125, v[132:133]
	flat_load_dword v127, v[4:5] offset:64
	s_waitcnt vmcnt(0) lgkmcnt(0)
	flat_store_dword v[4:5], v125 offset:64
	flat_store_dword v[132:133], v127
.LBB116_278:
	s_or_b64 exec, exec, s[14:15]
	v_mov_b32_e32 v125, v124
	v_mov_b32_e32 v127, v124
.LBB116_279:
	s_or_b64 exec, exec, s[2:3]
.LBB116_280:
	s_andn2_saveexec_b64 s[0:1], s[0:1]
	s_cbranch_execz .LBB116_282
; %bb.281:
	v_mov_b32_e32 v127, 16
	ds_write2_b64 v126, v[84:85], v[82:83] offset0:17 offset1:18
	ds_write2_b64 v126, v[80:81], v[78:79] offset0:19 offset1:20
	;; [unrolled: 1-line block ×21, first 2 shown]
.LBB116_282:
	s_or_b64 exec, exec, s[0:1]
	v_cmp_lt_i32_e32 vcc, 16, v127
	s_waitcnt lgkmcnt(0)
	s_barrier
	s_and_saveexec_b64 s[0:1], vcc
	s_cbranch_execz .LBB116_284
; %bb.283:
	ds_read2_b64 v[132:135], v126 offset0:17 offset1:18
	ds_read2_b64 v[136:139], v126 offset0:19 offset1:20
	;; [unrolled: 1-line block ×3, first 2 shown]
	v_mul_f64 v[86:87], v[122:123], v[86:87]
	s_waitcnt lgkmcnt(0)
	v_fma_f64 v[84:85], -v[86:87], v[132:133], v[84:85]
	v_fma_f64 v[82:83], -v[86:87], v[134:135], v[82:83]
	ds_read2_b64 v[132:135], v126 offset0:23 offset1:24
	v_fma_f64 v[80:81], -v[86:87], v[136:137], v[80:81]
	v_fma_f64 v[78:79], -v[86:87], v[138:139], v[78:79]
	;; [unrolled: 1-line block ×3, first 2 shown]
	ds_read2_b64 v[136:139], v126 offset0:25 offset1:26
	v_fma_f64 v[74:75], -v[86:87], v[142:143], v[74:75]
	ds_read2_b64 v[140:143], v126 offset0:27 offset1:28
	s_waitcnt lgkmcnt(0)
	v_fma_f64 v[72:73], -v[86:87], v[132:133], v[72:73]
	v_fma_f64 v[70:71], -v[86:87], v[134:135], v[70:71]
	;; [unrolled: 1-line block ×3, first 2 shown]
	ds_read2_b64 v[132:135], v126 offset0:29 offset1:30
	v_fma_f64 v[66:67], -v[86:87], v[138:139], v[66:67]
	ds_read2_b64 v[136:139], v126 offset0:31 offset1:32
	v_fma_f64 v[64:65], -v[86:87], v[140:141], v[64:65]
	v_fma_f64 v[62:63], -v[86:87], v[142:143], v[62:63]
	ds_read2_b64 v[140:143], v126 offset0:33 offset1:34
	s_waitcnt lgkmcnt(0)
	v_fma_f64 v[60:61], -v[86:87], v[132:133], v[60:61]
	v_fma_f64 v[58:59], -v[86:87], v[134:135], v[58:59]
	ds_read2_b64 v[132:135], v126 offset0:35 offset1:36
	v_fma_f64 v[56:57], -v[86:87], v[136:137], v[56:57]
	v_fma_f64 v[54:55], -v[86:87], v[138:139], v[54:55]
	;; [unrolled: 1-line block ×3, first 2 shown]
	ds_read2_b64 v[136:139], v126 offset0:37 offset1:38
	v_fma_f64 v[50:51], -v[86:87], v[142:143], v[50:51]
	ds_read2_b64 v[140:143], v126 offset0:39 offset1:40
	s_waitcnt lgkmcnt(0)
	v_fma_f64 v[48:49], -v[86:87], v[132:133], v[48:49]
	v_fma_f64 v[46:47], -v[86:87], v[134:135], v[46:47]
	;; [unrolled: 1-line block ×3, first 2 shown]
	ds_read2_b64 v[132:135], v126 offset0:41 offset1:42
	v_fma_f64 v[42:43], -v[86:87], v[138:139], v[42:43]
	ds_read2_b64 v[136:139], v126 offset0:43 offset1:44
	v_fma_f64 v[40:41], -v[86:87], v[140:141], v[40:41]
	v_fma_f64 v[38:39], -v[86:87], v[142:143], v[38:39]
	ds_read2_b64 v[140:143], v126 offset0:45 offset1:46
	s_waitcnt lgkmcnt(0)
	v_fma_f64 v[36:37], -v[86:87], v[132:133], v[36:37]
	v_fma_f64 v[34:35], -v[86:87], v[134:135], v[34:35]
	ds_read2_b64 v[132:135], v126 offset0:47 offset1:48
	v_fma_f64 v[32:33], -v[86:87], v[136:137], v[32:33]
	v_fma_f64 v[30:31], -v[86:87], v[138:139], v[30:31]
	v_fma_f64 v[28:29], -v[86:87], v[140:141], v[28:29]
	ds_read2_b64 v[136:139], v126 offset0:49 offset1:50
	v_fma_f64 v[26:27], -v[86:87], v[142:143], v[26:27]
	ds_read2_b64 v[140:143], v126 offset0:51 offset1:52
	s_waitcnt lgkmcnt(0)
	v_fma_f64 v[24:25], -v[86:87], v[132:133], v[24:25]
	v_fma_f64 v[22:23], -v[86:87], v[134:135], v[22:23]
	;; [unrolled: 1-line block ×4, first 2 shown]
	ds_read2_b64 v[132:135], v126 offset0:53 offset1:54
	ds_read2_b64 v[136:139], v126 offset0:55 offset1:56
	v_fma_f64 v[16:17], -v[86:87], v[140:141], v[16:17]
	v_fma_f64 v[14:15], -v[86:87], v[142:143], v[14:15]
	ds_read2_b64 v[140:143], v126 offset0:57 offset1:58
	s_waitcnt lgkmcnt(0)
	v_fma_f64 v[12:13], -v[86:87], v[132:133], v[12:13]
	v_fma_f64 v[10:11], -v[86:87], v[134:135], v[10:11]
	;; [unrolled: 1-line block ×6, first 2 shown]
.LBB116_284:
	s_or_b64 exec, exec, s[0:1]
	v_lshl_add_u32 v122, v127, 3, v126
	s_barrier
	ds_write_b64 v122, v[84:85]
	s_waitcnt lgkmcnt(0)
	s_barrier
	ds_read_b64 v[122:123], v126 offset:136
	s_cmp_lt_i32 s18, 19
	v_mov_b32_e32 v124, 17
	s_cbranch_scc1 .LBB116_287
; %bb.285:
	v_add_u32_e32 v131, 0x90, v126
	s_mov_b32 s0, 18
	v_mov_b32_e32 v124, 17
.LBB116_286:                            ; =>This Inner Loop Header: Depth=1
	ds_read_b64 v[132:133], v131
	v_mov_b32_e32 v134, s0
	s_add_i32 s0, s0, 1
	v_add_u32_e32 v131, 8, v131
	s_cmp_lg_u32 s18, s0
	s_waitcnt lgkmcnt(0)
	v_cmp_lt_f64_e64 vcc, |v[122:123]|, |v[132:133]|
	v_cndmask_b32_e32 v123, v123, v133, vcc
	v_cndmask_b32_e32 v122, v122, v132, vcc
	;; [unrolled: 1-line block ×3, first 2 shown]
	s_cbranch_scc1 .LBB116_286
.LBB116_287:
	s_waitcnt lgkmcnt(0)
	v_cmp_eq_f64_e32 vcc, 0, v[122:123]
	s_and_saveexec_b64 s[0:1], vcc
	s_xor_b64 s[0:1], exec, s[0:1]
; %bb.288:
	v_cmp_ne_u32_e32 vcc, 0, v130
	v_cndmask_b32_e32 v130, 18, v130, vcc
; %bb.289:
	s_andn2_saveexec_b64 s[0:1], s[0:1]
; %bb.290:
	v_div_scale_f64 v[132:133], s[2:3], v[122:123], v[122:123], 1.0
	v_rcp_f64_e32 v[134:135], v[132:133]
	v_div_scale_f64 v[136:137], vcc, 1.0, v[122:123], 1.0
	v_fma_f64 v[138:139], -v[132:133], v[134:135], 1.0
	v_fmac_f64_e32 v[134:135], v[134:135], v[138:139]
	v_fma_f64 v[138:139], -v[132:133], v[134:135], 1.0
	v_fmac_f64_e32 v[134:135], v[134:135], v[138:139]
	v_mul_f64 v[138:139], v[136:137], v[134:135]
	v_fma_f64 v[132:133], -v[132:133], v[138:139], v[136:137]
	v_div_fmas_f64 v[132:133], v[132:133], v[134:135], v[138:139]
	v_div_fixup_f64 v[122:123], v[132:133], v[122:123], 1.0
; %bb.291:
	s_or_b64 exec, exec, s[0:1]
	v_cmp_ne_u32_e32 vcc, v127, v124
	s_and_saveexec_b64 s[0:1], vcc
	s_xor_b64 s[0:1], exec, s[0:1]
	s_cbranch_execz .LBB116_297
; %bb.292:
	v_cmp_eq_u32_e32 vcc, 17, v127
	s_and_saveexec_b64 s[2:3], vcc
	s_cbranch_execz .LBB116_296
; %bb.293:
	v_cmp_ne_u32_e32 vcc, 17, v124
	s_xor_b64 s[14:15], s[6:7], -1
	s_and_b64 s[16:17], s[14:15], vcc
	s_and_saveexec_b64 s[14:15], s[16:17]
	s_cbranch_execz .LBB116_295
; %bb.294:
	v_ashrrev_i32_e32 v125, 31, v124
	v_lshlrev_b64 v[132:133], 2, v[124:125]
	v_add_co_u32_e32 v132, vcc, v4, v132
	v_addc_co_u32_e32 v133, vcc, v5, v133, vcc
	flat_load_dword v125, v[132:133]
	flat_load_dword v127, v[4:5] offset:68
	s_waitcnt vmcnt(0) lgkmcnt(0)
	flat_store_dword v[4:5], v125 offset:68
	flat_store_dword v[132:133], v127
.LBB116_295:
	s_or_b64 exec, exec, s[14:15]
	v_mov_b32_e32 v125, v124
	v_mov_b32_e32 v127, v124
.LBB116_296:
	s_or_b64 exec, exec, s[2:3]
.LBB116_297:
	s_andn2_saveexec_b64 s[0:1], s[0:1]
	s_cbranch_execz .LBB116_299
; %bb.298:
	v_mov_b32_e32 v132, v82
	v_mov_b32_e32 v133, v83
	v_mov_b32_e32 v134, v80
	v_mov_b32_e32 v135, v81
	ds_write2_b64 v126, v[132:133], v[134:135] offset0:18 offset1:19
	v_mov_b32_e32 v132, v78
	v_mov_b32_e32 v133, v79
	v_mov_b32_e32 v134, v76
	v_mov_b32_e32 v135, v77
	ds_write2_b64 v126, v[132:133], v[134:135] offset0:20 offset1:21
	;; [unrolled: 5-line block ×19, first 2 shown]
	v_mov_b32_e32 v132, v6
	v_mov_b32_e32 v133, v7
	;; [unrolled: 1-line block ×5, first 2 shown]
	ds_write2_b64 v126, v[132:133], v[134:135] offset0:56 offset1:57
	ds_write_b64 v126, v[120:121] offset:464
.LBB116_299:
	s_or_b64 exec, exec, s[0:1]
	v_cmp_lt_i32_e32 vcc, 17, v127
	s_waitcnt lgkmcnt(0)
	s_barrier
	s_and_saveexec_b64 s[0:1], vcc
	s_cbranch_execz .LBB116_301
; %bb.300:
	ds_read2_b64 v[132:135], v126 offset0:18 offset1:19
	ds_read2_b64 v[136:139], v126 offset0:20 offset1:21
	v_mul_f64 v[84:85], v[122:123], v[84:85]
	ds_read2_b64 v[140:143], v126 offset0:22 offset1:23
	ds_read_b64 v[122:123], v126 offset:464
	s_waitcnt lgkmcnt(0)
	v_fma_f64 v[82:83], -v[84:85], v[132:133], v[82:83]
	v_fma_f64 v[80:81], -v[84:85], v[134:135], v[80:81]
	ds_read2_b64 v[132:135], v126 offset0:24 offset1:25
	v_fma_f64 v[78:79], -v[84:85], v[136:137], v[78:79]
	v_fma_f64 v[76:77], -v[84:85], v[138:139], v[76:77]
	ds_read2_b64 v[136:139], v126 offset0:26 offset1:27
	;; [unrolled: 3-line block ×3, first 2 shown]
	s_waitcnt lgkmcnt(0)
	v_fma_f64 v[70:71], -v[84:85], v[132:133], v[70:71]
	v_fma_f64 v[68:69], -v[84:85], v[134:135], v[68:69]
	v_fma_f64 v[66:67], -v[84:85], v[136:137], v[66:67]
	ds_read2_b64 v[132:135], v126 offset0:30 offset1:31
	v_fma_f64 v[64:65], -v[84:85], v[138:139], v[64:65]
	ds_read2_b64 v[136:139], v126 offset0:32 offset1:33
	v_fma_f64 v[62:63], -v[84:85], v[140:141], v[62:63]
	v_fma_f64 v[60:61], -v[84:85], v[142:143], v[60:61]
	s_waitcnt lgkmcnt(0)
	v_fma_f64 v[58:59], -v[84:85], v[132:133], v[58:59]
	ds_read2_b64 v[140:143], v126 offset0:34 offset1:35
	v_fma_f64 v[56:57], -v[84:85], v[134:135], v[56:57]
	ds_read2_b64 v[132:135], v126 offset0:36 offset1:37
	v_fma_f64 v[54:55], -v[84:85], v[136:137], v[54:55]
	v_fma_f64 v[52:53], -v[84:85], v[138:139], v[52:53]
	ds_read2_b64 v[136:139], v126 offset0:38 offset1:39
	s_waitcnt lgkmcnt(0)
	v_fma_f64 v[50:51], -v[84:85], v[140:141], v[50:51]
	v_fma_f64 v[48:49], -v[84:85], v[142:143], v[48:49]
	ds_read2_b64 v[140:143], v126 offset0:40 offset1:41
	v_fma_f64 v[46:47], -v[84:85], v[132:133], v[46:47]
	v_fma_f64 v[44:45], -v[84:85], v[134:135], v[44:45]
	;; [unrolled: 1-line block ×3, first 2 shown]
	ds_read2_b64 v[132:135], v126 offset0:42 offset1:43
	v_fma_f64 v[40:41], -v[84:85], v[138:139], v[40:41]
	ds_read2_b64 v[136:139], v126 offset0:44 offset1:45
	s_waitcnt lgkmcnt(0)
	v_fma_f64 v[38:39], -v[84:85], v[140:141], v[38:39]
	v_fma_f64 v[36:37], -v[84:85], v[142:143], v[36:37]
	;; [unrolled: 1-line block ×3, first 2 shown]
	ds_read2_b64 v[140:143], v126 offset0:46 offset1:47
	v_fma_f64 v[32:33], -v[84:85], v[134:135], v[32:33]
	ds_read2_b64 v[132:135], v126 offset0:48 offset1:49
	v_fma_f64 v[30:31], -v[84:85], v[136:137], v[30:31]
	v_fma_f64 v[28:29], -v[84:85], v[138:139], v[28:29]
	ds_read2_b64 v[136:139], v126 offset0:50 offset1:51
	s_waitcnt lgkmcnt(0)
	v_fma_f64 v[26:27], -v[84:85], v[140:141], v[26:27]
	v_fma_f64 v[24:25], -v[84:85], v[142:143], v[24:25]
	ds_read2_b64 v[140:143], v126 offset0:52 offset1:53
	v_fma_f64 v[22:23], -v[84:85], v[132:133], v[22:23]
	v_fma_f64 v[20:21], -v[84:85], v[134:135], v[20:21]
	v_fma_f64 v[18:19], -v[84:85], v[136:137], v[18:19]
	v_fma_f64 v[16:17], -v[84:85], v[138:139], v[16:17]
	ds_read2_b64 v[132:135], v126 offset0:54 offset1:55
	ds_read2_b64 v[136:139], v126 offset0:56 offset1:57
	s_waitcnt lgkmcnt(0)
	v_fma_f64 v[14:15], -v[84:85], v[140:141], v[14:15]
	v_fma_f64 v[12:13], -v[84:85], v[142:143], v[12:13]
	;; [unrolled: 1-line block ×7, first 2 shown]
.LBB116_301:
	s_or_b64 exec, exec, s[0:1]
	v_lshl_add_u32 v122, v127, 3, v126
	s_barrier
	ds_write_b64 v122, v[82:83]
	s_waitcnt lgkmcnt(0)
	s_barrier
	ds_read_b64 v[122:123], v126 offset:144
	s_cmp_lt_i32 s18, 20
	v_mov_b32_e32 v124, 18
	s_cbranch_scc1 .LBB116_304
; %bb.302:
	v_add_u32_e32 v131, 0x98, v126
	s_mov_b32 s0, 19
	v_mov_b32_e32 v124, 18
.LBB116_303:                            ; =>This Inner Loop Header: Depth=1
	ds_read_b64 v[132:133], v131
	v_mov_b32_e32 v134, s0
	s_add_i32 s0, s0, 1
	v_add_u32_e32 v131, 8, v131
	s_cmp_lg_u32 s18, s0
	s_waitcnt lgkmcnt(0)
	v_cmp_lt_f64_e64 vcc, |v[122:123]|, |v[132:133]|
	v_cndmask_b32_e32 v123, v123, v133, vcc
	v_cndmask_b32_e32 v122, v122, v132, vcc
	;; [unrolled: 1-line block ×3, first 2 shown]
	s_cbranch_scc1 .LBB116_303
.LBB116_304:
	s_waitcnt lgkmcnt(0)
	v_cmp_eq_f64_e32 vcc, 0, v[122:123]
	s_and_saveexec_b64 s[0:1], vcc
	s_xor_b64 s[0:1], exec, s[0:1]
; %bb.305:
	v_cmp_ne_u32_e32 vcc, 0, v130
	v_cndmask_b32_e32 v130, 19, v130, vcc
; %bb.306:
	s_andn2_saveexec_b64 s[0:1], s[0:1]
; %bb.307:
	v_div_scale_f64 v[132:133], s[2:3], v[122:123], v[122:123], 1.0
	v_rcp_f64_e32 v[134:135], v[132:133]
	v_div_scale_f64 v[136:137], vcc, 1.0, v[122:123], 1.0
	v_fma_f64 v[138:139], -v[132:133], v[134:135], 1.0
	v_fmac_f64_e32 v[134:135], v[134:135], v[138:139]
	v_fma_f64 v[138:139], -v[132:133], v[134:135], 1.0
	v_fmac_f64_e32 v[134:135], v[134:135], v[138:139]
	v_mul_f64 v[138:139], v[136:137], v[134:135]
	v_fma_f64 v[132:133], -v[132:133], v[138:139], v[136:137]
	v_div_fmas_f64 v[132:133], v[132:133], v[134:135], v[138:139]
	v_div_fixup_f64 v[122:123], v[132:133], v[122:123], 1.0
; %bb.308:
	s_or_b64 exec, exec, s[0:1]
	v_cmp_ne_u32_e32 vcc, v127, v124
	s_and_saveexec_b64 s[0:1], vcc
	s_xor_b64 s[0:1], exec, s[0:1]
	s_cbranch_execz .LBB116_314
; %bb.309:
	v_cmp_eq_u32_e32 vcc, 18, v127
	s_and_saveexec_b64 s[2:3], vcc
	s_cbranch_execz .LBB116_313
; %bb.310:
	v_cmp_ne_u32_e32 vcc, 18, v124
	s_xor_b64 s[14:15], s[6:7], -1
	s_and_b64 s[16:17], s[14:15], vcc
	s_and_saveexec_b64 s[14:15], s[16:17]
	s_cbranch_execz .LBB116_312
; %bb.311:
	v_ashrrev_i32_e32 v125, 31, v124
	v_lshlrev_b64 v[132:133], 2, v[124:125]
	v_add_co_u32_e32 v132, vcc, v4, v132
	v_addc_co_u32_e32 v133, vcc, v5, v133, vcc
	flat_load_dword v125, v[132:133]
	flat_load_dword v127, v[4:5] offset:72
	s_waitcnt vmcnt(0) lgkmcnt(0)
	flat_store_dword v[4:5], v125 offset:72
	flat_store_dword v[132:133], v127
.LBB116_312:
	s_or_b64 exec, exec, s[14:15]
	v_mov_b32_e32 v125, v124
	v_mov_b32_e32 v127, v124
.LBB116_313:
	s_or_b64 exec, exec, s[2:3]
.LBB116_314:
	s_andn2_saveexec_b64 s[0:1], s[0:1]
	s_cbranch_execz .LBB116_316
; %bb.315:
	v_mov_b32_e32 v127, 18
	ds_write2_b64 v126, v[80:81], v[78:79] offset0:19 offset1:20
	ds_write2_b64 v126, v[76:77], v[74:75] offset0:21 offset1:22
	;; [unrolled: 1-line block ×20, first 2 shown]
.LBB116_316:
	s_or_b64 exec, exec, s[0:1]
	v_cmp_lt_i32_e32 vcc, 18, v127
	s_waitcnt lgkmcnt(0)
	s_barrier
	s_and_saveexec_b64 s[0:1], vcc
	s_cbranch_execz .LBB116_318
; %bb.317:
	ds_read2_b64 v[132:135], v126 offset0:19 offset1:20
	ds_read2_b64 v[136:139], v126 offset0:21 offset1:22
	v_mul_f64 v[82:83], v[122:123], v[82:83]
	ds_read2_b64 v[140:143], v126 offset0:23 offset1:24
	s_waitcnt lgkmcnt(0)
	v_fma_f64 v[80:81], -v[82:83], v[132:133], v[80:81]
	v_fma_f64 v[78:79], -v[82:83], v[134:135], v[78:79]
	ds_read2_b64 v[132:135], v126 offset0:25 offset1:26
	v_fma_f64 v[76:77], -v[82:83], v[136:137], v[76:77]
	v_fma_f64 v[74:75], -v[82:83], v[138:139], v[74:75]
	ds_read2_b64 v[136:139], v126 offset0:27 offset1:28
	;; [unrolled: 3-line block ×3, first 2 shown]
	s_waitcnt lgkmcnt(0)
	v_fma_f64 v[68:69], -v[82:83], v[132:133], v[68:69]
	v_fma_f64 v[66:67], -v[82:83], v[134:135], v[66:67]
	;; [unrolled: 1-line block ×3, first 2 shown]
	ds_read2_b64 v[132:135], v126 offset0:31 offset1:32
	v_fma_f64 v[62:63], -v[82:83], v[138:139], v[62:63]
	ds_read2_b64 v[136:139], v126 offset0:33 offset1:34
	v_fma_f64 v[60:61], -v[82:83], v[140:141], v[60:61]
	v_fma_f64 v[58:59], -v[82:83], v[142:143], v[58:59]
	s_waitcnt lgkmcnt(0)
	v_fma_f64 v[56:57], -v[82:83], v[132:133], v[56:57]
	ds_read2_b64 v[140:143], v126 offset0:35 offset1:36
	v_fma_f64 v[54:55], -v[82:83], v[134:135], v[54:55]
	ds_read2_b64 v[132:135], v126 offset0:37 offset1:38
	v_fma_f64 v[52:53], -v[82:83], v[136:137], v[52:53]
	v_fma_f64 v[50:51], -v[82:83], v[138:139], v[50:51]
	ds_read2_b64 v[136:139], v126 offset0:39 offset1:40
	s_waitcnt lgkmcnt(0)
	v_fma_f64 v[48:49], -v[82:83], v[140:141], v[48:49]
	v_fma_f64 v[46:47], -v[82:83], v[142:143], v[46:47]
	ds_read2_b64 v[140:143], v126 offset0:41 offset1:42
	v_fma_f64 v[44:45], -v[82:83], v[132:133], v[44:45]
	v_fma_f64 v[42:43], -v[82:83], v[134:135], v[42:43]
	;; [unrolled: 1-line block ×3, first 2 shown]
	ds_read2_b64 v[132:135], v126 offset0:43 offset1:44
	v_fma_f64 v[38:39], -v[82:83], v[138:139], v[38:39]
	ds_read2_b64 v[136:139], v126 offset0:45 offset1:46
	s_waitcnt lgkmcnt(0)
	v_fma_f64 v[36:37], -v[82:83], v[140:141], v[36:37]
	v_fma_f64 v[34:35], -v[82:83], v[142:143], v[34:35]
	;; [unrolled: 1-line block ×3, first 2 shown]
	ds_read2_b64 v[140:143], v126 offset0:47 offset1:48
	v_fma_f64 v[30:31], -v[82:83], v[134:135], v[30:31]
	ds_read2_b64 v[132:135], v126 offset0:49 offset1:50
	v_fma_f64 v[28:29], -v[82:83], v[136:137], v[28:29]
	v_fma_f64 v[26:27], -v[82:83], v[138:139], v[26:27]
	ds_read2_b64 v[136:139], v126 offset0:51 offset1:52
	s_waitcnt lgkmcnt(0)
	v_fma_f64 v[24:25], -v[82:83], v[140:141], v[24:25]
	v_fma_f64 v[22:23], -v[82:83], v[142:143], v[22:23]
	v_fma_f64 v[20:21], -v[82:83], v[132:133], v[20:21]
	v_fma_f64 v[18:19], -v[82:83], v[134:135], v[18:19]
	ds_read2_b64 v[132:135], v126 offset0:53 offset1:54
	v_fma_f64 v[16:17], -v[82:83], v[136:137], v[16:17]
	ds_read2_b64 v[140:143], v126 offset0:55 offset1:56
	v_fma_f64 v[14:15], -v[82:83], v[138:139], v[14:15]
	ds_read2_b64 v[136:139], v126 offset0:57 offset1:58
	s_waitcnt lgkmcnt(0)
	v_fma_f64 v[12:13], -v[82:83], v[132:133], v[12:13]
	v_fma_f64 v[10:11], -v[82:83], v[134:135], v[10:11]
	;; [unrolled: 1-line block ×6, first 2 shown]
.LBB116_318:
	s_or_b64 exec, exec, s[0:1]
	v_lshl_add_u32 v122, v127, 3, v126
	s_barrier
	ds_write_b64 v122, v[80:81]
	s_waitcnt lgkmcnt(0)
	s_barrier
	ds_read_b64 v[122:123], v126 offset:152
	s_cmp_lt_i32 s18, 21
	v_mov_b32_e32 v124, 19
	s_cbranch_scc1 .LBB116_321
; %bb.319:
	v_add_u32_e32 v131, 0xa0, v126
	s_mov_b32 s0, 20
	v_mov_b32_e32 v124, 19
.LBB116_320:                            ; =>This Inner Loop Header: Depth=1
	ds_read_b64 v[132:133], v131
	v_mov_b32_e32 v134, s0
	s_add_i32 s0, s0, 1
	v_add_u32_e32 v131, 8, v131
	s_cmp_lg_u32 s18, s0
	s_waitcnt lgkmcnt(0)
	v_cmp_lt_f64_e64 vcc, |v[122:123]|, |v[132:133]|
	v_cndmask_b32_e32 v123, v123, v133, vcc
	v_cndmask_b32_e32 v122, v122, v132, vcc
	;; [unrolled: 1-line block ×3, first 2 shown]
	s_cbranch_scc1 .LBB116_320
.LBB116_321:
	s_waitcnt lgkmcnt(0)
	v_cmp_eq_f64_e32 vcc, 0, v[122:123]
	s_and_saveexec_b64 s[0:1], vcc
	s_xor_b64 s[0:1], exec, s[0:1]
; %bb.322:
	v_cmp_ne_u32_e32 vcc, 0, v130
	v_cndmask_b32_e32 v130, 20, v130, vcc
; %bb.323:
	s_andn2_saveexec_b64 s[0:1], s[0:1]
; %bb.324:
	v_div_scale_f64 v[132:133], s[2:3], v[122:123], v[122:123], 1.0
	v_rcp_f64_e32 v[134:135], v[132:133]
	v_div_scale_f64 v[136:137], vcc, 1.0, v[122:123], 1.0
	v_fma_f64 v[138:139], -v[132:133], v[134:135], 1.0
	v_fmac_f64_e32 v[134:135], v[134:135], v[138:139]
	v_fma_f64 v[138:139], -v[132:133], v[134:135], 1.0
	v_fmac_f64_e32 v[134:135], v[134:135], v[138:139]
	v_mul_f64 v[138:139], v[136:137], v[134:135]
	v_fma_f64 v[132:133], -v[132:133], v[138:139], v[136:137]
	v_div_fmas_f64 v[132:133], v[132:133], v[134:135], v[138:139]
	v_div_fixup_f64 v[122:123], v[132:133], v[122:123], 1.0
; %bb.325:
	s_or_b64 exec, exec, s[0:1]
	v_cmp_ne_u32_e32 vcc, v127, v124
	s_and_saveexec_b64 s[0:1], vcc
	s_xor_b64 s[0:1], exec, s[0:1]
	s_cbranch_execz .LBB116_331
; %bb.326:
	v_cmp_eq_u32_e32 vcc, 19, v127
	s_and_saveexec_b64 s[2:3], vcc
	s_cbranch_execz .LBB116_330
; %bb.327:
	v_cmp_ne_u32_e32 vcc, 19, v124
	s_xor_b64 s[14:15], s[6:7], -1
	s_and_b64 s[16:17], s[14:15], vcc
	s_and_saveexec_b64 s[14:15], s[16:17]
	s_cbranch_execz .LBB116_329
; %bb.328:
	v_ashrrev_i32_e32 v125, 31, v124
	v_lshlrev_b64 v[132:133], 2, v[124:125]
	v_add_co_u32_e32 v132, vcc, v4, v132
	v_addc_co_u32_e32 v133, vcc, v5, v133, vcc
	flat_load_dword v125, v[132:133]
	flat_load_dword v127, v[4:5] offset:76
	s_waitcnt vmcnt(0) lgkmcnt(0)
	flat_store_dword v[4:5], v125 offset:76
	flat_store_dword v[132:133], v127
.LBB116_329:
	s_or_b64 exec, exec, s[14:15]
	v_mov_b32_e32 v125, v124
	v_mov_b32_e32 v127, v124
.LBB116_330:
	s_or_b64 exec, exec, s[2:3]
.LBB116_331:
	s_andn2_saveexec_b64 s[0:1], s[0:1]
	s_cbranch_execz .LBB116_333
; %bb.332:
	v_mov_b32_e32 v132, v78
	v_mov_b32_e32 v133, v79
	v_mov_b32_e32 v134, v76
	v_mov_b32_e32 v135, v77
	ds_write2_b64 v126, v[132:133], v[134:135] offset0:20 offset1:21
	v_mov_b32_e32 v132, v74
	v_mov_b32_e32 v133, v75
	v_mov_b32_e32 v134, v72
	v_mov_b32_e32 v135, v73
	ds_write2_b64 v126, v[132:133], v[134:135] offset0:22 offset1:23
	;; [unrolled: 5-line block ×18, first 2 shown]
	v_mov_b32_e32 v132, v6
	v_mov_b32_e32 v133, v7
	;; [unrolled: 1-line block ×5, first 2 shown]
	ds_write2_b64 v126, v[132:133], v[134:135] offset0:56 offset1:57
	ds_write_b64 v126, v[120:121] offset:464
.LBB116_333:
	s_or_b64 exec, exec, s[0:1]
	v_cmp_lt_i32_e32 vcc, 19, v127
	s_waitcnt lgkmcnt(0)
	s_barrier
	s_and_saveexec_b64 s[0:1], vcc
	s_cbranch_execz .LBB116_335
; %bb.334:
	ds_read2_b64 v[132:135], v126 offset0:20 offset1:21
	ds_read2_b64 v[136:139], v126 offset0:22 offset1:23
	v_mul_f64 v[80:81], v[122:123], v[80:81]
	ds_read2_b64 v[140:143], v126 offset0:24 offset1:25
	ds_read_b64 v[122:123], v126 offset:464
	s_waitcnt lgkmcnt(0)
	v_fma_f64 v[78:79], -v[80:81], v[132:133], v[78:79]
	v_fma_f64 v[76:77], -v[80:81], v[134:135], v[76:77]
	ds_read2_b64 v[132:135], v126 offset0:26 offset1:27
	v_fma_f64 v[74:75], -v[80:81], v[136:137], v[74:75]
	v_fma_f64 v[72:73], -v[80:81], v[138:139], v[72:73]
	;; [unrolled: 1-line block ×3, first 2 shown]
	ds_read2_b64 v[136:139], v126 offset0:28 offset1:29
	v_fma_f64 v[68:69], -v[80:81], v[142:143], v[68:69]
	ds_read2_b64 v[140:143], v126 offset0:30 offset1:31
	s_waitcnt lgkmcnt(0)
	v_fma_f64 v[66:67], -v[80:81], v[132:133], v[66:67]
	v_fma_f64 v[64:65], -v[80:81], v[134:135], v[64:65]
	ds_read2_b64 v[132:135], v126 offset0:32 offset1:33
	v_fma_f64 v[62:63], -v[80:81], v[136:137], v[62:63]
	v_fma_f64 v[60:61], -v[80:81], v[138:139], v[60:61]
	ds_read2_b64 v[136:139], v126 offset0:34 offset1:35
	v_fma_f64 v[58:59], -v[80:81], v[140:141], v[58:59]
	v_fma_f64 v[56:57], -v[80:81], v[142:143], v[56:57]
	s_waitcnt lgkmcnt(0)
	v_fma_f64 v[54:55], -v[80:81], v[132:133], v[54:55]
	ds_read2_b64 v[140:143], v126 offset0:36 offset1:37
	v_fma_f64 v[52:53], -v[80:81], v[134:135], v[52:53]
	ds_read2_b64 v[132:135], v126 offset0:38 offset1:39
	v_fma_f64 v[50:51], -v[80:81], v[136:137], v[50:51]
	v_fma_f64 v[48:49], -v[80:81], v[138:139], v[48:49]
	s_waitcnt lgkmcnt(0)
	v_fma_f64 v[46:47], -v[80:81], v[140:141], v[46:47]
	ds_read2_b64 v[136:139], v126 offset0:40 offset1:41
	v_fma_f64 v[44:45], -v[80:81], v[142:143], v[44:45]
	ds_read2_b64 v[140:143], v126 offset0:42 offset1:43
	v_fma_f64 v[42:43], -v[80:81], v[132:133], v[42:43]
	v_fma_f64 v[40:41], -v[80:81], v[134:135], v[40:41]
	ds_read2_b64 v[132:135], v126 offset0:44 offset1:45
	s_waitcnt lgkmcnt(0)
	v_fma_f64 v[38:39], -v[80:81], v[136:137], v[38:39]
	v_fma_f64 v[36:37], -v[80:81], v[138:139], v[36:37]
	ds_read2_b64 v[136:139], v126 offset0:46 offset1:47
	v_fma_f64 v[34:35], -v[80:81], v[140:141], v[34:35]
	v_fma_f64 v[32:33], -v[80:81], v[142:143], v[32:33]
	;; [unrolled: 1-line block ×3, first 2 shown]
	ds_read2_b64 v[140:143], v126 offset0:48 offset1:49
	v_fma_f64 v[28:29], -v[80:81], v[134:135], v[28:29]
	ds_read2_b64 v[132:135], v126 offset0:50 offset1:51
	s_waitcnt lgkmcnt(0)
	v_fma_f64 v[26:27], -v[80:81], v[136:137], v[26:27]
	v_fma_f64 v[24:25], -v[80:81], v[138:139], v[24:25]
	;; [unrolled: 1-line block ×3, first 2 shown]
	ds_read2_b64 v[136:139], v126 offset0:52 offset1:53
	v_fma_f64 v[20:21], -v[80:81], v[142:143], v[20:21]
	v_fma_f64 v[18:19], -v[80:81], v[132:133], v[18:19]
	;; [unrolled: 1-line block ×3, first 2 shown]
	ds_read2_b64 v[132:135], v126 offset0:54 offset1:55
	ds_read2_b64 v[140:143], v126 offset0:56 offset1:57
	s_waitcnt lgkmcnt(0)
	v_fma_f64 v[14:15], -v[80:81], v[136:137], v[14:15]
	v_fma_f64 v[12:13], -v[80:81], v[138:139], v[12:13]
	v_fma_f64 v[120:121], -v[80:81], v[122:123], v[120:121]
	v_fma_f64 v[10:11], -v[80:81], v[132:133], v[10:11]
	v_fma_f64 v[8:9], -v[80:81], v[134:135], v[8:9]
	v_fma_f64 v[6:7], -v[80:81], v[140:141], v[6:7]
	v_fma_f64 v[0:1], -v[80:81], v[142:143], v[0:1]
.LBB116_335:
	s_or_b64 exec, exec, s[0:1]
	v_lshl_add_u32 v122, v127, 3, v126
	s_barrier
	ds_write_b64 v122, v[78:79]
	s_waitcnt lgkmcnt(0)
	s_barrier
	ds_read_b64 v[122:123], v126 offset:160
	s_cmp_lt_i32 s18, 22
	v_mov_b32_e32 v124, 20
	s_cbranch_scc1 .LBB116_338
; %bb.336:
	v_add_u32_e32 v131, 0xa8, v126
	s_mov_b32 s0, 21
	v_mov_b32_e32 v124, 20
.LBB116_337:                            ; =>This Inner Loop Header: Depth=1
	ds_read_b64 v[132:133], v131
	v_mov_b32_e32 v134, s0
	s_add_i32 s0, s0, 1
	v_add_u32_e32 v131, 8, v131
	s_cmp_lg_u32 s18, s0
	s_waitcnt lgkmcnt(0)
	v_cmp_lt_f64_e64 vcc, |v[122:123]|, |v[132:133]|
	v_cndmask_b32_e32 v123, v123, v133, vcc
	v_cndmask_b32_e32 v122, v122, v132, vcc
	;; [unrolled: 1-line block ×3, first 2 shown]
	s_cbranch_scc1 .LBB116_337
.LBB116_338:
	s_waitcnt lgkmcnt(0)
	v_cmp_eq_f64_e32 vcc, 0, v[122:123]
	s_and_saveexec_b64 s[0:1], vcc
	s_xor_b64 s[0:1], exec, s[0:1]
; %bb.339:
	v_cmp_ne_u32_e32 vcc, 0, v130
	v_cndmask_b32_e32 v130, 21, v130, vcc
; %bb.340:
	s_andn2_saveexec_b64 s[0:1], s[0:1]
; %bb.341:
	v_div_scale_f64 v[132:133], s[2:3], v[122:123], v[122:123], 1.0
	v_rcp_f64_e32 v[134:135], v[132:133]
	v_div_scale_f64 v[136:137], vcc, 1.0, v[122:123], 1.0
	v_fma_f64 v[138:139], -v[132:133], v[134:135], 1.0
	v_fmac_f64_e32 v[134:135], v[134:135], v[138:139]
	v_fma_f64 v[138:139], -v[132:133], v[134:135], 1.0
	v_fmac_f64_e32 v[134:135], v[134:135], v[138:139]
	v_mul_f64 v[138:139], v[136:137], v[134:135]
	v_fma_f64 v[132:133], -v[132:133], v[138:139], v[136:137]
	v_div_fmas_f64 v[132:133], v[132:133], v[134:135], v[138:139]
	v_div_fixup_f64 v[122:123], v[132:133], v[122:123], 1.0
; %bb.342:
	s_or_b64 exec, exec, s[0:1]
	v_cmp_ne_u32_e32 vcc, v127, v124
	s_and_saveexec_b64 s[0:1], vcc
	s_xor_b64 s[0:1], exec, s[0:1]
	s_cbranch_execz .LBB116_348
; %bb.343:
	v_cmp_eq_u32_e32 vcc, 20, v127
	s_and_saveexec_b64 s[2:3], vcc
	s_cbranch_execz .LBB116_347
; %bb.344:
	v_cmp_ne_u32_e32 vcc, 20, v124
	s_xor_b64 s[14:15], s[6:7], -1
	s_and_b64 s[16:17], s[14:15], vcc
	s_and_saveexec_b64 s[14:15], s[16:17]
	s_cbranch_execz .LBB116_346
; %bb.345:
	v_ashrrev_i32_e32 v125, 31, v124
	v_lshlrev_b64 v[132:133], 2, v[124:125]
	v_add_co_u32_e32 v132, vcc, v4, v132
	v_addc_co_u32_e32 v133, vcc, v5, v133, vcc
	flat_load_dword v125, v[132:133]
	flat_load_dword v127, v[4:5] offset:80
	s_waitcnt vmcnt(0) lgkmcnt(0)
	flat_store_dword v[4:5], v125 offset:80
	flat_store_dword v[132:133], v127
.LBB116_346:
	s_or_b64 exec, exec, s[14:15]
	v_mov_b32_e32 v125, v124
	v_mov_b32_e32 v127, v124
.LBB116_347:
	s_or_b64 exec, exec, s[2:3]
.LBB116_348:
	s_andn2_saveexec_b64 s[0:1], s[0:1]
	s_cbranch_execz .LBB116_350
; %bb.349:
	v_mov_b32_e32 v127, 20
	ds_write2_b64 v126, v[76:77], v[74:75] offset0:21 offset1:22
	ds_write2_b64 v126, v[72:73], v[70:71] offset0:23 offset1:24
	;; [unrolled: 1-line block ×19, first 2 shown]
.LBB116_350:
	s_or_b64 exec, exec, s[0:1]
	v_cmp_lt_i32_e32 vcc, 20, v127
	s_waitcnt lgkmcnt(0)
	s_barrier
	s_and_saveexec_b64 s[0:1], vcc
	s_cbranch_execz .LBB116_352
; %bb.351:
	ds_read2_b64 v[132:135], v126 offset0:21 offset1:22
	ds_read2_b64 v[136:139], v126 offset0:23 offset1:24
	v_mul_f64 v[78:79], v[122:123], v[78:79]
	ds_read2_b64 v[140:143], v126 offset0:25 offset1:26
	s_waitcnt lgkmcnt(0)
	v_fma_f64 v[76:77], -v[78:79], v[132:133], v[76:77]
	v_fma_f64 v[74:75], -v[78:79], v[134:135], v[74:75]
	ds_read2_b64 v[132:135], v126 offset0:27 offset1:28
	v_fma_f64 v[72:73], -v[78:79], v[136:137], v[72:73]
	v_fma_f64 v[70:71], -v[78:79], v[138:139], v[70:71]
	;; [unrolled: 1-line block ×3, first 2 shown]
	ds_read2_b64 v[136:139], v126 offset0:29 offset1:30
	v_fma_f64 v[66:67], -v[78:79], v[142:143], v[66:67]
	ds_read2_b64 v[140:143], v126 offset0:31 offset1:32
	s_waitcnt lgkmcnt(0)
	v_fma_f64 v[64:65], -v[78:79], v[132:133], v[64:65]
	v_fma_f64 v[62:63], -v[78:79], v[134:135], v[62:63]
	ds_read2_b64 v[132:135], v126 offset0:33 offset1:34
	v_fma_f64 v[60:61], -v[78:79], v[136:137], v[60:61]
	v_fma_f64 v[58:59], -v[78:79], v[138:139], v[58:59]
	ds_read2_b64 v[136:139], v126 offset0:35 offset1:36
	v_fma_f64 v[56:57], -v[78:79], v[140:141], v[56:57]
	v_fma_f64 v[54:55], -v[78:79], v[142:143], v[54:55]
	s_waitcnt lgkmcnt(0)
	v_fma_f64 v[52:53], -v[78:79], v[132:133], v[52:53]
	ds_read2_b64 v[140:143], v126 offset0:37 offset1:38
	v_fma_f64 v[50:51], -v[78:79], v[134:135], v[50:51]
	ds_read2_b64 v[132:135], v126 offset0:39 offset1:40
	v_fma_f64 v[48:49], -v[78:79], v[136:137], v[48:49]
	v_fma_f64 v[46:47], -v[78:79], v[138:139], v[46:47]
	s_waitcnt lgkmcnt(0)
	v_fma_f64 v[44:45], -v[78:79], v[140:141], v[44:45]
	ds_read2_b64 v[136:139], v126 offset0:41 offset1:42
	v_fma_f64 v[42:43], -v[78:79], v[142:143], v[42:43]
	ds_read2_b64 v[140:143], v126 offset0:43 offset1:44
	v_fma_f64 v[40:41], -v[78:79], v[132:133], v[40:41]
	v_fma_f64 v[38:39], -v[78:79], v[134:135], v[38:39]
	ds_read2_b64 v[132:135], v126 offset0:45 offset1:46
	s_waitcnt lgkmcnt(0)
	v_fma_f64 v[36:37], -v[78:79], v[136:137], v[36:37]
	v_fma_f64 v[34:35], -v[78:79], v[138:139], v[34:35]
	ds_read2_b64 v[136:139], v126 offset0:47 offset1:48
	v_fma_f64 v[32:33], -v[78:79], v[140:141], v[32:33]
	v_fma_f64 v[30:31], -v[78:79], v[142:143], v[30:31]
	;; [unrolled: 1-line block ×3, first 2 shown]
	ds_read2_b64 v[140:143], v126 offset0:49 offset1:50
	v_fma_f64 v[26:27], -v[78:79], v[134:135], v[26:27]
	ds_read2_b64 v[132:135], v126 offset0:51 offset1:52
	s_waitcnt lgkmcnt(0)
	v_fma_f64 v[24:25], -v[78:79], v[136:137], v[24:25]
	v_fma_f64 v[22:23], -v[78:79], v[138:139], v[22:23]
	;; [unrolled: 1-line block ×4, first 2 shown]
	ds_read2_b64 v[136:139], v126 offset0:53 offset1:54
	ds_read2_b64 v[140:143], v126 offset0:55 offset1:56
	v_fma_f64 v[16:17], -v[78:79], v[132:133], v[16:17]
	v_fma_f64 v[14:15], -v[78:79], v[134:135], v[14:15]
	ds_read2_b64 v[132:135], v126 offset0:57 offset1:58
	s_waitcnt lgkmcnt(0)
	v_fma_f64 v[12:13], -v[78:79], v[136:137], v[12:13]
	v_fma_f64 v[10:11], -v[78:79], v[138:139], v[10:11]
	;; [unrolled: 1-line block ×6, first 2 shown]
.LBB116_352:
	s_or_b64 exec, exec, s[0:1]
	v_lshl_add_u32 v122, v127, 3, v126
	s_barrier
	ds_write_b64 v122, v[76:77]
	s_waitcnt lgkmcnt(0)
	s_barrier
	ds_read_b64 v[122:123], v126 offset:168
	s_cmp_lt_i32 s18, 23
	v_mov_b32_e32 v124, 21
	s_cbranch_scc1 .LBB116_355
; %bb.353:
	v_add_u32_e32 v131, 0xb0, v126
	s_mov_b32 s0, 22
	v_mov_b32_e32 v124, 21
.LBB116_354:                            ; =>This Inner Loop Header: Depth=1
	ds_read_b64 v[132:133], v131
	v_mov_b32_e32 v134, s0
	s_add_i32 s0, s0, 1
	v_add_u32_e32 v131, 8, v131
	s_cmp_lg_u32 s18, s0
	s_waitcnt lgkmcnt(0)
	v_cmp_lt_f64_e64 vcc, |v[122:123]|, |v[132:133]|
	v_cndmask_b32_e32 v123, v123, v133, vcc
	v_cndmask_b32_e32 v122, v122, v132, vcc
	;; [unrolled: 1-line block ×3, first 2 shown]
	s_cbranch_scc1 .LBB116_354
.LBB116_355:
	s_waitcnt lgkmcnt(0)
	v_cmp_eq_f64_e32 vcc, 0, v[122:123]
	s_and_saveexec_b64 s[0:1], vcc
	s_xor_b64 s[0:1], exec, s[0:1]
; %bb.356:
	v_cmp_ne_u32_e32 vcc, 0, v130
	v_cndmask_b32_e32 v130, 22, v130, vcc
; %bb.357:
	s_andn2_saveexec_b64 s[0:1], s[0:1]
; %bb.358:
	v_div_scale_f64 v[132:133], s[2:3], v[122:123], v[122:123], 1.0
	v_rcp_f64_e32 v[134:135], v[132:133]
	v_div_scale_f64 v[136:137], vcc, 1.0, v[122:123], 1.0
	v_fma_f64 v[138:139], -v[132:133], v[134:135], 1.0
	v_fmac_f64_e32 v[134:135], v[134:135], v[138:139]
	v_fma_f64 v[138:139], -v[132:133], v[134:135], 1.0
	v_fmac_f64_e32 v[134:135], v[134:135], v[138:139]
	v_mul_f64 v[138:139], v[136:137], v[134:135]
	v_fma_f64 v[132:133], -v[132:133], v[138:139], v[136:137]
	v_div_fmas_f64 v[132:133], v[132:133], v[134:135], v[138:139]
	v_div_fixup_f64 v[122:123], v[132:133], v[122:123], 1.0
; %bb.359:
	s_or_b64 exec, exec, s[0:1]
	v_cmp_ne_u32_e32 vcc, v127, v124
	s_and_saveexec_b64 s[0:1], vcc
	s_xor_b64 s[0:1], exec, s[0:1]
	s_cbranch_execz .LBB116_365
; %bb.360:
	v_cmp_eq_u32_e32 vcc, 21, v127
	s_and_saveexec_b64 s[2:3], vcc
	s_cbranch_execz .LBB116_364
; %bb.361:
	v_cmp_ne_u32_e32 vcc, 21, v124
	s_xor_b64 s[14:15], s[6:7], -1
	s_and_b64 s[16:17], s[14:15], vcc
	s_and_saveexec_b64 s[14:15], s[16:17]
	s_cbranch_execz .LBB116_363
; %bb.362:
	v_ashrrev_i32_e32 v125, 31, v124
	v_lshlrev_b64 v[132:133], 2, v[124:125]
	v_add_co_u32_e32 v132, vcc, v4, v132
	v_addc_co_u32_e32 v133, vcc, v5, v133, vcc
	flat_load_dword v125, v[132:133]
	flat_load_dword v127, v[4:5] offset:84
	s_waitcnt vmcnt(0) lgkmcnt(0)
	flat_store_dword v[4:5], v125 offset:84
	flat_store_dword v[132:133], v127
.LBB116_363:
	s_or_b64 exec, exec, s[14:15]
	v_mov_b32_e32 v125, v124
	v_mov_b32_e32 v127, v124
.LBB116_364:
	s_or_b64 exec, exec, s[2:3]
.LBB116_365:
	s_andn2_saveexec_b64 s[0:1], s[0:1]
	s_cbranch_execz .LBB116_367
; %bb.366:
	v_mov_b32_e32 v132, v74
	v_mov_b32_e32 v133, v75
	v_mov_b32_e32 v134, v72
	v_mov_b32_e32 v135, v73
	ds_write2_b64 v126, v[132:133], v[134:135] offset0:22 offset1:23
	v_mov_b32_e32 v132, v70
	v_mov_b32_e32 v133, v71
	v_mov_b32_e32 v134, v68
	v_mov_b32_e32 v135, v69
	ds_write2_b64 v126, v[132:133], v[134:135] offset0:24 offset1:25
	;; [unrolled: 5-line block ×17, first 2 shown]
	v_mov_b32_e32 v132, v6
	v_mov_b32_e32 v133, v7
	;; [unrolled: 1-line block ×5, first 2 shown]
	ds_write2_b64 v126, v[132:133], v[134:135] offset0:56 offset1:57
	ds_write_b64 v126, v[120:121] offset:464
.LBB116_367:
	s_or_b64 exec, exec, s[0:1]
	v_cmp_lt_i32_e32 vcc, 21, v127
	s_waitcnt lgkmcnt(0)
	s_barrier
	s_and_saveexec_b64 s[0:1], vcc
	s_cbranch_execz .LBB116_369
; %bb.368:
	ds_read2_b64 v[132:135], v126 offset0:22 offset1:23
	ds_read2_b64 v[136:139], v126 offset0:24 offset1:25
	;; [unrolled: 1-line block ×3, first 2 shown]
	v_mul_f64 v[76:77], v[122:123], v[76:77]
	ds_read_b64 v[122:123], v126 offset:464
	s_waitcnt lgkmcnt(0)
	v_fma_f64 v[74:75], -v[76:77], v[132:133], v[74:75]
	v_fma_f64 v[72:73], -v[76:77], v[134:135], v[72:73]
	ds_read2_b64 v[132:135], v126 offset0:28 offset1:29
	v_fma_f64 v[70:71], -v[76:77], v[136:137], v[70:71]
	v_fma_f64 v[68:69], -v[76:77], v[138:139], v[68:69]
	;; [unrolled: 1-line block ×3, first 2 shown]
	ds_read2_b64 v[136:139], v126 offset0:30 offset1:31
	v_fma_f64 v[64:65], -v[76:77], v[142:143], v[64:65]
	ds_read2_b64 v[140:143], v126 offset0:32 offset1:33
	s_waitcnt lgkmcnt(0)
	v_fma_f64 v[62:63], -v[76:77], v[132:133], v[62:63]
	v_fma_f64 v[60:61], -v[76:77], v[134:135], v[60:61]
	;; [unrolled: 1-line block ×3, first 2 shown]
	ds_read2_b64 v[132:135], v126 offset0:34 offset1:35
	v_fma_f64 v[56:57], -v[76:77], v[138:139], v[56:57]
	ds_read2_b64 v[136:139], v126 offset0:36 offset1:37
	v_fma_f64 v[54:55], -v[76:77], v[140:141], v[54:55]
	v_fma_f64 v[52:53], -v[76:77], v[142:143], v[52:53]
	ds_read2_b64 v[140:143], v126 offset0:38 offset1:39
	s_waitcnt lgkmcnt(0)
	v_fma_f64 v[50:51], -v[76:77], v[132:133], v[50:51]
	v_fma_f64 v[48:49], -v[76:77], v[134:135], v[48:49]
	ds_read2_b64 v[132:135], v126 offset0:40 offset1:41
	v_fma_f64 v[46:47], -v[76:77], v[136:137], v[46:47]
	v_fma_f64 v[44:45], -v[76:77], v[138:139], v[44:45]
	;; [unrolled: 1-line block ×3, first 2 shown]
	ds_read2_b64 v[136:139], v126 offset0:42 offset1:43
	v_fma_f64 v[40:41], -v[76:77], v[142:143], v[40:41]
	ds_read2_b64 v[140:143], v126 offset0:44 offset1:45
	s_waitcnt lgkmcnt(0)
	v_fma_f64 v[38:39], -v[76:77], v[132:133], v[38:39]
	v_fma_f64 v[36:37], -v[76:77], v[134:135], v[36:37]
	;; [unrolled: 1-line block ×3, first 2 shown]
	ds_read2_b64 v[132:135], v126 offset0:46 offset1:47
	v_fma_f64 v[32:33], -v[76:77], v[138:139], v[32:33]
	ds_read2_b64 v[136:139], v126 offset0:48 offset1:49
	v_fma_f64 v[30:31], -v[76:77], v[140:141], v[30:31]
	v_fma_f64 v[28:29], -v[76:77], v[142:143], v[28:29]
	ds_read2_b64 v[140:143], v126 offset0:50 offset1:51
	s_waitcnt lgkmcnt(0)
	v_fma_f64 v[26:27], -v[76:77], v[132:133], v[26:27]
	v_fma_f64 v[24:25], -v[76:77], v[134:135], v[24:25]
	ds_read2_b64 v[132:135], v126 offset0:52 offset1:53
	v_fma_f64 v[22:23], -v[76:77], v[136:137], v[22:23]
	v_fma_f64 v[20:21], -v[76:77], v[138:139], v[20:21]
	;; [unrolled: 1-line block ×4, first 2 shown]
	ds_read2_b64 v[136:139], v126 offset0:54 offset1:55
	ds_read2_b64 v[140:143], v126 offset0:56 offset1:57
	s_waitcnt lgkmcnt(0)
	v_fma_f64 v[14:15], -v[76:77], v[132:133], v[14:15]
	v_fma_f64 v[12:13], -v[76:77], v[134:135], v[12:13]
	;; [unrolled: 1-line block ×7, first 2 shown]
.LBB116_369:
	s_or_b64 exec, exec, s[0:1]
	v_lshl_add_u32 v122, v127, 3, v126
	s_barrier
	ds_write_b64 v122, v[74:75]
	s_waitcnt lgkmcnt(0)
	s_barrier
	ds_read_b64 v[122:123], v126 offset:176
	s_cmp_lt_i32 s18, 24
	v_mov_b32_e32 v124, 22
	s_cbranch_scc1 .LBB116_372
; %bb.370:
	v_add_u32_e32 v131, 0xb8, v126
	s_mov_b32 s0, 23
	v_mov_b32_e32 v124, 22
.LBB116_371:                            ; =>This Inner Loop Header: Depth=1
	ds_read_b64 v[132:133], v131
	v_mov_b32_e32 v134, s0
	s_add_i32 s0, s0, 1
	v_add_u32_e32 v131, 8, v131
	s_cmp_lg_u32 s18, s0
	s_waitcnt lgkmcnt(0)
	v_cmp_lt_f64_e64 vcc, |v[122:123]|, |v[132:133]|
	v_cndmask_b32_e32 v123, v123, v133, vcc
	v_cndmask_b32_e32 v122, v122, v132, vcc
	;; [unrolled: 1-line block ×3, first 2 shown]
	s_cbranch_scc1 .LBB116_371
.LBB116_372:
	s_waitcnt lgkmcnt(0)
	v_cmp_eq_f64_e32 vcc, 0, v[122:123]
	s_and_saveexec_b64 s[0:1], vcc
	s_xor_b64 s[0:1], exec, s[0:1]
; %bb.373:
	v_cmp_ne_u32_e32 vcc, 0, v130
	v_cndmask_b32_e32 v130, 23, v130, vcc
; %bb.374:
	s_andn2_saveexec_b64 s[0:1], s[0:1]
; %bb.375:
	v_div_scale_f64 v[132:133], s[2:3], v[122:123], v[122:123], 1.0
	v_rcp_f64_e32 v[134:135], v[132:133]
	v_div_scale_f64 v[136:137], vcc, 1.0, v[122:123], 1.0
	v_fma_f64 v[138:139], -v[132:133], v[134:135], 1.0
	v_fmac_f64_e32 v[134:135], v[134:135], v[138:139]
	v_fma_f64 v[138:139], -v[132:133], v[134:135], 1.0
	v_fmac_f64_e32 v[134:135], v[134:135], v[138:139]
	v_mul_f64 v[138:139], v[136:137], v[134:135]
	v_fma_f64 v[132:133], -v[132:133], v[138:139], v[136:137]
	v_div_fmas_f64 v[132:133], v[132:133], v[134:135], v[138:139]
	v_div_fixup_f64 v[122:123], v[132:133], v[122:123], 1.0
; %bb.376:
	s_or_b64 exec, exec, s[0:1]
	v_cmp_ne_u32_e32 vcc, v127, v124
	s_and_saveexec_b64 s[0:1], vcc
	s_xor_b64 s[0:1], exec, s[0:1]
	s_cbranch_execz .LBB116_382
; %bb.377:
	v_cmp_eq_u32_e32 vcc, 22, v127
	s_and_saveexec_b64 s[2:3], vcc
	s_cbranch_execz .LBB116_381
; %bb.378:
	v_cmp_ne_u32_e32 vcc, 22, v124
	s_xor_b64 s[14:15], s[6:7], -1
	s_and_b64 s[16:17], s[14:15], vcc
	s_and_saveexec_b64 s[14:15], s[16:17]
	s_cbranch_execz .LBB116_380
; %bb.379:
	v_ashrrev_i32_e32 v125, 31, v124
	v_lshlrev_b64 v[132:133], 2, v[124:125]
	v_add_co_u32_e32 v132, vcc, v4, v132
	v_addc_co_u32_e32 v133, vcc, v5, v133, vcc
	flat_load_dword v125, v[132:133]
	flat_load_dword v127, v[4:5] offset:88
	s_waitcnt vmcnt(0) lgkmcnt(0)
	flat_store_dword v[4:5], v125 offset:88
	flat_store_dword v[132:133], v127
.LBB116_380:
	s_or_b64 exec, exec, s[14:15]
	v_mov_b32_e32 v125, v124
	v_mov_b32_e32 v127, v124
.LBB116_381:
	s_or_b64 exec, exec, s[2:3]
.LBB116_382:
	s_andn2_saveexec_b64 s[0:1], s[0:1]
	s_cbranch_execz .LBB116_384
; %bb.383:
	v_mov_b32_e32 v127, 22
	ds_write2_b64 v126, v[72:73], v[70:71] offset0:23 offset1:24
	ds_write2_b64 v126, v[68:69], v[66:67] offset0:25 offset1:26
	;; [unrolled: 1-line block ×18, first 2 shown]
.LBB116_384:
	s_or_b64 exec, exec, s[0:1]
	v_cmp_lt_i32_e32 vcc, 22, v127
	s_waitcnt lgkmcnt(0)
	s_barrier
	s_and_saveexec_b64 s[0:1], vcc
	s_cbranch_execz .LBB116_386
; %bb.385:
	ds_read2_b64 v[132:135], v126 offset0:23 offset1:24
	ds_read2_b64 v[136:139], v126 offset0:25 offset1:26
	;; [unrolled: 1-line block ×3, first 2 shown]
	v_mul_f64 v[74:75], v[122:123], v[74:75]
	s_waitcnt lgkmcnt(0)
	v_fma_f64 v[72:73], -v[74:75], v[132:133], v[72:73]
	v_fma_f64 v[70:71], -v[74:75], v[134:135], v[70:71]
	ds_read2_b64 v[132:135], v126 offset0:29 offset1:30
	v_fma_f64 v[68:69], -v[74:75], v[136:137], v[68:69]
	v_fma_f64 v[66:67], -v[74:75], v[138:139], v[66:67]
	;; [unrolled: 1-line block ×3, first 2 shown]
	ds_read2_b64 v[136:139], v126 offset0:31 offset1:32
	v_fma_f64 v[62:63], -v[74:75], v[142:143], v[62:63]
	ds_read2_b64 v[140:143], v126 offset0:33 offset1:34
	s_waitcnt lgkmcnt(0)
	v_fma_f64 v[60:61], -v[74:75], v[132:133], v[60:61]
	v_fma_f64 v[58:59], -v[74:75], v[134:135], v[58:59]
	;; [unrolled: 1-line block ×3, first 2 shown]
	ds_read2_b64 v[132:135], v126 offset0:35 offset1:36
	v_fma_f64 v[54:55], -v[74:75], v[138:139], v[54:55]
	ds_read2_b64 v[136:139], v126 offset0:37 offset1:38
	v_fma_f64 v[52:53], -v[74:75], v[140:141], v[52:53]
	v_fma_f64 v[50:51], -v[74:75], v[142:143], v[50:51]
	ds_read2_b64 v[140:143], v126 offset0:39 offset1:40
	s_waitcnt lgkmcnt(0)
	v_fma_f64 v[48:49], -v[74:75], v[132:133], v[48:49]
	v_fma_f64 v[46:47], -v[74:75], v[134:135], v[46:47]
	ds_read2_b64 v[132:135], v126 offset0:41 offset1:42
	v_fma_f64 v[44:45], -v[74:75], v[136:137], v[44:45]
	v_fma_f64 v[42:43], -v[74:75], v[138:139], v[42:43]
	v_fma_f64 v[40:41], -v[74:75], v[140:141], v[40:41]
	ds_read2_b64 v[136:139], v126 offset0:43 offset1:44
	v_fma_f64 v[38:39], -v[74:75], v[142:143], v[38:39]
	ds_read2_b64 v[140:143], v126 offset0:45 offset1:46
	s_waitcnt lgkmcnt(0)
	v_fma_f64 v[36:37], -v[74:75], v[132:133], v[36:37]
	v_fma_f64 v[34:35], -v[74:75], v[134:135], v[34:35]
	;; [unrolled: 1-line block ×3, first 2 shown]
	ds_read2_b64 v[132:135], v126 offset0:47 offset1:48
	v_fma_f64 v[30:31], -v[74:75], v[138:139], v[30:31]
	ds_read2_b64 v[136:139], v126 offset0:49 offset1:50
	v_fma_f64 v[28:29], -v[74:75], v[140:141], v[28:29]
	v_fma_f64 v[26:27], -v[74:75], v[142:143], v[26:27]
	ds_read2_b64 v[140:143], v126 offset0:51 offset1:52
	s_waitcnt lgkmcnt(0)
	v_fma_f64 v[24:25], -v[74:75], v[132:133], v[24:25]
	v_fma_f64 v[22:23], -v[74:75], v[134:135], v[22:23]
	ds_read2_b64 v[132:135], v126 offset0:53 offset1:54
	v_fma_f64 v[20:21], -v[74:75], v[136:137], v[20:21]
	v_fma_f64 v[18:19], -v[74:75], v[138:139], v[18:19]
	;; [unrolled: 1-line block ×3, first 2 shown]
	ds_read2_b64 v[136:139], v126 offset0:55 offset1:56
	v_fma_f64 v[14:15], -v[74:75], v[142:143], v[14:15]
	ds_read2_b64 v[140:143], v126 offset0:57 offset1:58
	s_waitcnt lgkmcnt(0)
	v_fma_f64 v[12:13], -v[74:75], v[132:133], v[12:13]
	v_fma_f64 v[10:11], -v[74:75], v[134:135], v[10:11]
	;; [unrolled: 1-line block ×6, first 2 shown]
.LBB116_386:
	s_or_b64 exec, exec, s[0:1]
	v_lshl_add_u32 v122, v127, 3, v126
	s_barrier
	ds_write_b64 v122, v[72:73]
	s_waitcnt lgkmcnt(0)
	s_barrier
	ds_read_b64 v[122:123], v126 offset:184
	s_cmp_lt_i32 s18, 25
	v_mov_b32_e32 v124, 23
	s_cbranch_scc1 .LBB116_389
; %bb.387:
	v_add_u32_e32 v131, 0xc0, v126
	s_mov_b32 s0, 24
	v_mov_b32_e32 v124, 23
.LBB116_388:                            ; =>This Inner Loop Header: Depth=1
	ds_read_b64 v[132:133], v131
	v_mov_b32_e32 v134, s0
	s_add_i32 s0, s0, 1
	v_add_u32_e32 v131, 8, v131
	s_cmp_lg_u32 s18, s0
	s_waitcnt lgkmcnt(0)
	v_cmp_lt_f64_e64 vcc, |v[122:123]|, |v[132:133]|
	v_cndmask_b32_e32 v123, v123, v133, vcc
	v_cndmask_b32_e32 v122, v122, v132, vcc
	;; [unrolled: 1-line block ×3, first 2 shown]
	s_cbranch_scc1 .LBB116_388
.LBB116_389:
	s_waitcnt lgkmcnt(0)
	v_cmp_eq_f64_e32 vcc, 0, v[122:123]
	s_and_saveexec_b64 s[0:1], vcc
	s_xor_b64 s[0:1], exec, s[0:1]
; %bb.390:
	v_cmp_ne_u32_e32 vcc, 0, v130
	v_cndmask_b32_e32 v130, 24, v130, vcc
; %bb.391:
	s_andn2_saveexec_b64 s[0:1], s[0:1]
; %bb.392:
	v_div_scale_f64 v[132:133], s[2:3], v[122:123], v[122:123], 1.0
	v_rcp_f64_e32 v[134:135], v[132:133]
	v_div_scale_f64 v[136:137], vcc, 1.0, v[122:123], 1.0
	v_fma_f64 v[138:139], -v[132:133], v[134:135], 1.0
	v_fmac_f64_e32 v[134:135], v[134:135], v[138:139]
	v_fma_f64 v[138:139], -v[132:133], v[134:135], 1.0
	v_fmac_f64_e32 v[134:135], v[134:135], v[138:139]
	v_mul_f64 v[138:139], v[136:137], v[134:135]
	v_fma_f64 v[132:133], -v[132:133], v[138:139], v[136:137]
	v_div_fmas_f64 v[132:133], v[132:133], v[134:135], v[138:139]
	v_div_fixup_f64 v[122:123], v[132:133], v[122:123], 1.0
; %bb.393:
	s_or_b64 exec, exec, s[0:1]
	v_cmp_ne_u32_e32 vcc, v127, v124
	s_and_saveexec_b64 s[0:1], vcc
	s_xor_b64 s[0:1], exec, s[0:1]
	s_cbranch_execz .LBB116_399
; %bb.394:
	v_cmp_eq_u32_e32 vcc, 23, v127
	s_and_saveexec_b64 s[2:3], vcc
	s_cbranch_execz .LBB116_398
; %bb.395:
	v_cmp_ne_u32_e32 vcc, 23, v124
	s_xor_b64 s[14:15], s[6:7], -1
	s_and_b64 s[16:17], s[14:15], vcc
	s_and_saveexec_b64 s[14:15], s[16:17]
	s_cbranch_execz .LBB116_397
; %bb.396:
	v_ashrrev_i32_e32 v125, 31, v124
	v_lshlrev_b64 v[132:133], 2, v[124:125]
	v_add_co_u32_e32 v132, vcc, v4, v132
	v_addc_co_u32_e32 v133, vcc, v5, v133, vcc
	flat_load_dword v125, v[132:133]
	flat_load_dword v127, v[4:5] offset:92
	s_waitcnt vmcnt(0) lgkmcnt(0)
	flat_store_dword v[4:5], v125 offset:92
	flat_store_dword v[132:133], v127
.LBB116_397:
	s_or_b64 exec, exec, s[14:15]
	v_mov_b32_e32 v125, v124
	v_mov_b32_e32 v127, v124
.LBB116_398:
	s_or_b64 exec, exec, s[2:3]
.LBB116_399:
	s_andn2_saveexec_b64 s[0:1], s[0:1]
	s_cbranch_execz .LBB116_401
; %bb.400:
	v_mov_b32_e32 v132, v70
	v_mov_b32_e32 v133, v71
	v_mov_b32_e32 v134, v68
	v_mov_b32_e32 v135, v69
	ds_write2_b64 v126, v[132:133], v[134:135] offset0:24 offset1:25
	v_mov_b32_e32 v132, v66
	v_mov_b32_e32 v133, v67
	v_mov_b32_e32 v134, v64
	v_mov_b32_e32 v135, v65
	ds_write2_b64 v126, v[132:133], v[134:135] offset0:26 offset1:27
	;; [unrolled: 5-line block ×16, first 2 shown]
	v_mov_b32_e32 v132, v6
	v_mov_b32_e32 v133, v7
	;; [unrolled: 1-line block ×5, first 2 shown]
	ds_write2_b64 v126, v[132:133], v[134:135] offset0:56 offset1:57
	ds_write_b64 v126, v[120:121] offset:464
.LBB116_401:
	s_or_b64 exec, exec, s[0:1]
	v_cmp_lt_i32_e32 vcc, 23, v127
	s_waitcnt lgkmcnt(0)
	s_barrier
	s_and_saveexec_b64 s[0:1], vcc
	s_cbranch_execz .LBB116_403
; %bb.402:
	ds_read2_b64 v[132:135], v126 offset0:24 offset1:25
	ds_read2_b64 v[136:139], v126 offset0:26 offset1:27
	v_mul_f64 v[72:73], v[122:123], v[72:73]
	ds_read2_b64 v[140:143], v126 offset0:28 offset1:29
	ds_read_b64 v[122:123], v126 offset:464
	s_waitcnt lgkmcnt(0)
	v_fma_f64 v[70:71], -v[72:73], v[132:133], v[70:71]
	v_fma_f64 v[68:69], -v[72:73], v[134:135], v[68:69]
	ds_read2_b64 v[132:135], v126 offset0:30 offset1:31
	v_fma_f64 v[66:67], -v[72:73], v[136:137], v[66:67]
	v_fma_f64 v[64:65], -v[72:73], v[138:139], v[64:65]
	ds_read2_b64 v[136:139], v126 offset0:32 offset1:33
	;; [unrolled: 3-line block ×3, first 2 shown]
	s_waitcnt lgkmcnt(0)
	v_fma_f64 v[58:59], -v[72:73], v[132:133], v[58:59]
	v_fma_f64 v[56:57], -v[72:73], v[134:135], v[56:57]
	;; [unrolled: 1-line block ×3, first 2 shown]
	ds_read2_b64 v[132:135], v126 offset0:36 offset1:37
	v_fma_f64 v[52:53], -v[72:73], v[138:139], v[52:53]
	ds_read2_b64 v[136:139], v126 offset0:38 offset1:39
	v_fma_f64 v[50:51], -v[72:73], v[140:141], v[50:51]
	v_fma_f64 v[48:49], -v[72:73], v[142:143], v[48:49]
	s_waitcnt lgkmcnt(0)
	v_fma_f64 v[46:47], -v[72:73], v[132:133], v[46:47]
	ds_read2_b64 v[140:143], v126 offset0:40 offset1:41
	v_fma_f64 v[44:45], -v[72:73], v[134:135], v[44:45]
	ds_read2_b64 v[132:135], v126 offset0:42 offset1:43
	v_fma_f64 v[42:43], -v[72:73], v[136:137], v[42:43]
	v_fma_f64 v[40:41], -v[72:73], v[138:139], v[40:41]
	ds_read2_b64 v[136:139], v126 offset0:44 offset1:45
	s_waitcnt lgkmcnt(0)
	v_fma_f64 v[38:39], -v[72:73], v[140:141], v[38:39]
	v_fma_f64 v[36:37], -v[72:73], v[142:143], v[36:37]
	ds_read2_b64 v[140:143], v126 offset0:46 offset1:47
	v_fma_f64 v[34:35], -v[72:73], v[132:133], v[34:35]
	v_fma_f64 v[32:33], -v[72:73], v[134:135], v[32:33]
	;; [unrolled: 1-line block ×3, first 2 shown]
	ds_read2_b64 v[132:135], v126 offset0:48 offset1:49
	v_fma_f64 v[28:29], -v[72:73], v[138:139], v[28:29]
	ds_read2_b64 v[136:139], v126 offset0:50 offset1:51
	s_waitcnt lgkmcnt(0)
	v_fma_f64 v[26:27], -v[72:73], v[140:141], v[26:27]
	v_fma_f64 v[24:25], -v[72:73], v[142:143], v[24:25]
	;; [unrolled: 1-line block ×3, first 2 shown]
	ds_read2_b64 v[140:143], v126 offset0:52 offset1:53
	v_fma_f64 v[20:21], -v[72:73], v[134:135], v[20:21]
	ds_read2_b64 v[132:135], v126 offset0:54 offset1:55
	v_fma_f64 v[18:19], -v[72:73], v[136:137], v[18:19]
	v_fma_f64 v[16:17], -v[72:73], v[138:139], v[16:17]
	ds_read2_b64 v[136:139], v126 offset0:56 offset1:57
	s_waitcnt lgkmcnt(0)
	v_fma_f64 v[14:15], -v[72:73], v[140:141], v[14:15]
	v_fma_f64 v[12:13], -v[72:73], v[142:143], v[12:13]
	;; [unrolled: 1-line block ×7, first 2 shown]
.LBB116_403:
	s_or_b64 exec, exec, s[0:1]
	v_lshl_add_u32 v122, v127, 3, v126
	s_barrier
	ds_write_b64 v122, v[70:71]
	s_waitcnt lgkmcnt(0)
	s_barrier
	ds_read_b64 v[122:123], v126 offset:192
	s_cmp_lt_i32 s18, 26
	v_mov_b32_e32 v124, 24
	s_cbranch_scc1 .LBB116_406
; %bb.404:
	v_add_u32_e32 v131, 0xc8, v126
	s_mov_b32 s0, 25
	v_mov_b32_e32 v124, 24
.LBB116_405:                            ; =>This Inner Loop Header: Depth=1
	ds_read_b64 v[132:133], v131
	v_mov_b32_e32 v134, s0
	s_add_i32 s0, s0, 1
	v_add_u32_e32 v131, 8, v131
	s_cmp_lg_u32 s18, s0
	s_waitcnt lgkmcnt(0)
	v_cmp_lt_f64_e64 vcc, |v[122:123]|, |v[132:133]|
	v_cndmask_b32_e32 v123, v123, v133, vcc
	v_cndmask_b32_e32 v122, v122, v132, vcc
	;; [unrolled: 1-line block ×3, first 2 shown]
	s_cbranch_scc1 .LBB116_405
.LBB116_406:
	s_waitcnt lgkmcnt(0)
	v_cmp_eq_f64_e32 vcc, 0, v[122:123]
	s_and_saveexec_b64 s[0:1], vcc
	s_xor_b64 s[0:1], exec, s[0:1]
; %bb.407:
	v_cmp_ne_u32_e32 vcc, 0, v130
	v_cndmask_b32_e32 v130, 25, v130, vcc
; %bb.408:
	s_andn2_saveexec_b64 s[0:1], s[0:1]
; %bb.409:
	v_div_scale_f64 v[132:133], s[2:3], v[122:123], v[122:123], 1.0
	v_rcp_f64_e32 v[134:135], v[132:133]
	v_div_scale_f64 v[136:137], vcc, 1.0, v[122:123], 1.0
	v_fma_f64 v[138:139], -v[132:133], v[134:135], 1.0
	v_fmac_f64_e32 v[134:135], v[134:135], v[138:139]
	v_fma_f64 v[138:139], -v[132:133], v[134:135], 1.0
	v_fmac_f64_e32 v[134:135], v[134:135], v[138:139]
	v_mul_f64 v[138:139], v[136:137], v[134:135]
	v_fma_f64 v[132:133], -v[132:133], v[138:139], v[136:137]
	v_div_fmas_f64 v[132:133], v[132:133], v[134:135], v[138:139]
	v_div_fixup_f64 v[122:123], v[132:133], v[122:123], 1.0
; %bb.410:
	s_or_b64 exec, exec, s[0:1]
	v_cmp_ne_u32_e32 vcc, v127, v124
	s_and_saveexec_b64 s[0:1], vcc
	s_xor_b64 s[0:1], exec, s[0:1]
	s_cbranch_execz .LBB116_416
; %bb.411:
	v_cmp_eq_u32_e32 vcc, 24, v127
	s_and_saveexec_b64 s[2:3], vcc
	s_cbranch_execz .LBB116_415
; %bb.412:
	v_cmp_ne_u32_e32 vcc, 24, v124
	s_xor_b64 s[14:15], s[6:7], -1
	s_and_b64 s[16:17], s[14:15], vcc
	s_and_saveexec_b64 s[14:15], s[16:17]
	s_cbranch_execz .LBB116_414
; %bb.413:
	v_ashrrev_i32_e32 v125, 31, v124
	v_lshlrev_b64 v[132:133], 2, v[124:125]
	v_add_co_u32_e32 v132, vcc, v4, v132
	v_addc_co_u32_e32 v133, vcc, v5, v133, vcc
	flat_load_dword v125, v[132:133]
	flat_load_dword v127, v[4:5] offset:96
	s_waitcnt vmcnt(0) lgkmcnt(0)
	flat_store_dword v[4:5], v125 offset:96
	flat_store_dword v[132:133], v127
.LBB116_414:
	s_or_b64 exec, exec, s[14:15]
	v_mov_b32_e32 v125, v124
	v_mov_b32_e32 v127, v124
.LBB116_415:
	s_or_b64 exec, exec, s[2:3]
.LBB116_416:
	s_andn2_saveexec_b64 s[0:1], s[0:1]
	s_cbranch_execz .LBB116_418
; %bb.417:
	v_mov_b32_e32 v127, 24
	ds_write2_b64 v126, v[68:69], v[66:67] offset0:25 offset1:26
	ds_write2_b64 v126, v[64:65], v[62:63] offset0:27 offset1:28
	;; [unrolled: 1-line block ×17, first 2 shown]
.LBB116_418:
	s_or_b64 exec, exec, s[0:1]
	v_cmp_lt_i32_e32 vcc, 24, v127
	s_waitcnt lgkmcnt(0)
	s_barrier
	s_and_saveexec_b64 s[0:1], vcc
	s_cbranch_execz .LBB116_420
; %bb.419:
	ds_read2_b64 v[132:135], v126 offset0:25 offset1:26
	ds_read2_b64 v[136:139], v126 offset0:27 offset1:28
	v_mul_f64 v[70:71], v[122:123], v[70:71]
	ds_read2_b64 v[140:143], v126 offset0:29 offset1:30
	s_waitcnt lgkmcnt(0)
	v_fma_f64 v[68:69], -v[70:71], v[132:133], v[68:69]
	v_fma_f64 v[66:67], -v[70:71], v[134:135], v[66:67]
	ds_read2_b64 v[132:135], v126 offset0:31 offset1:32
	v_fma_f64 v[64:65], -v[70:71], v[136:137], v[64:65]
	v_fma_f64 v[62:63], -v[70:71], v[138:139], v[62:63]
	ds_read2_b64 v[136:139], v126 offset0:33 offset1:34
	;; [unrolled: 3-line block ×3, first 2 shown]
	s_waitcnt lgkmcnt(0)
	v_fma_f64 v[56:57], -v[70:71], v[132:133], v[56:57]
	v_fma_f64 v[54:55], -v[70:71], v[134:135], v[54:55]
	;; [unrolled: 1-line block ×3, first 2 shown]
	ds_read2_b64 v[132:135], v126 offset0:37 offset1:38
	v_fma_f64 v[50:51], -v[70:71], v[138:139], v[50:51]
	ds_read2_b64 v[136:139], v126 offset0:39 offset1:40
	v_fma_f64 v[48:49], -v[70:71], v[140:141], v[48:49]
	v_fma_f64 v[46:47], -v[70:71], v[142:143], v[46:47]
	s_waitcnt lgkmcnt(0)
	v_fma_f64 v[44:45], -v[70:71], v[132:133], v[44:45]
	ds_read2_b64 v[140:143], v126 offset0:41 offset1:42
	v_fma_f64 v[42:43], -v[70:71], v[134:135], v[42:43]
	ds_read2_b64 v[132:135], v126 offset0:43 offset1:44
	v_fma_f64 v[40:41], -v[70:71], v[136:137], v[40:41]
	v_fma_f64 v[38:39], -v[70:71], v[138:139], v[38:39]
	ds_read2_b64 v[136:139], v126 offset0:45 offset1:46
	s_waitcnt lgkmcnt(0)
	v_fma_f64 v[36:37], -v[70:71], v[140:141], v[36:37]
	v_fma_f64 v[34:35], -v[70:71], v[142:143], v[34:35]
	ds_read2_b64 v[140:143], v126 offset0:47 offset1:48
	v_fma_f64 v[32:33], -v[70:71], v[132:133], v[32:33]
	v_fma_f64 v[30:31], -v[70:71], v[134:135], v[30:31]
	;; [unrolled: 1-line block ×3, first 2 shown]
	ds_read2_b64 v[132:135], v126 offset0:49 offset1:50
	v_fma_f64 v[26:27], -v[70:71], v[138:139], v[26:27]
	ds_read2_b64 v[136:139], v126 offset0:51 offset1:52
	s_waitcnt lgkmcnt(0)
	v_fma_f64 v[24:25], -v[70:71], v[140:141], v[24:25]
	v_fma_f64 v[22:23], -v[70:71], v[142:143], v[22:23]
	;; [unrolled: 1-line block ×4, first 2 shown]
	ds_read2_b64 v[132:135], v126 offset0:53 offset1:54
	ds_read2_b64 v[140:143], v126 offset0:55 offset1:56
	v_fma_f64 v[16:17], -v[70:71], v[136:137], v[16:17]
	v_fma_f64 v[14:15], -v[70:71], v[138:139], v[14:15]
	ds_read2_b64 v[136:139], v126 offset0:57 offset1:58
	s_waitcnt lgkmcnt(0)
	v_fma_f64 v[12:13], -v[70:71], v[132:133], v[12:13]
	v_fma_f64 v[10:11], -v[70:71], v[134:135], v[10:11]
	;; [unrolled: 1-line block ×6, first 2 shown]
.LBB116_420:
	s_or_b64 exec, exec, s[0:1]
	v_lshl_add_u32 v122, v127, 3, v126
	s_barrier
	ds_write_b64 v122, v[68:69]
	s_waitcnt lgkmcnt(0)
	s_barrier
	ds_read_b64 v[122:123], v126 offset:200
	s_cmp_lt_i32 s18, 27
	v_mov_b32_e32 v124, 25
	s_cbranch_scc1 .LBB116_423
; %bb.421:
	v_add_u32_e32 v131, 0xd0, v126
	s_mov_b32 s0, 26
	v_mov_b32_e32 v124, 25
.LBB116_422:                            ; =>This Inner Loop Header: Depth=1
	ds_read_b64 v[132:133], v131
	v_mov_b32_e32 v134, s0
	s_add_i32 s0, s0, 1
	v_add_u32_e32 v131, 8, v131
	s_cmp_lg_u32 s18, s0
	s_waitcnt lgkmcnt(0)
	v_cmp_lt_f64_e64 vcc, |v[122:123]|, |v[132:133]|
	v_cndmask_b32_e32 v123, v123, v133, vcc
	v_cndmask_b32_e32 v122, v122, v132, vcc
	;; [unrolled: 1-line block ×3, first 2 shown]
	s_cbranch_scc1 .LBB116_422
.LBB116_423:
	s_waitcnt lgkmcnt(0)
	v_cmp_eq_f64_e32 vcc, 0, v[122:123]
	s_and_saveexec_b64 s[0:1], vcc
	s_xor_b64 s[0:1], exec, s[0:1]
; %bb.424:
	v_cmp_ne_u32_e32 vcc, 0, v130
	v_cndmask_b32_e32 v130, 26, v130, vcc
; %bb.425:
	s_andn2_saveexec_b64 s[0:1], s[0:1]
; %bb.426:
	v_div_scale_f64 v[132:133], s[2:3], v[122:123], v[122:123], 1.0
	v_rcp_f64_e32 v[134:135], v[132:133]
	v_div_scale_f64 v[136:137], vcc, 1.0, v[122:123], 1.0
	v_fma_f64 v[138:139], -v[132:133], v[134:135], 1.0
	v_fmac_f64_e32 v[134:135], v[134:135], v[138:139]
	v_fma_f64 v[138:139], -v[132:133], v[134:135], 1.0
	v_fmac_f64_e32 v[134:135], v[134:135], v[138:139]
	v_mul_f64 v[138:139], v[136:137], v[134:135]
	v_fma_f64 v[132:133], -v[132:133], v[138:139], v[136:137]
	v_div_fmas_f64 v[132:133], v[132:133], v[134:135], v[138:139]
	v_div_fixup_f64 v[122:123], v[132:133], v[122:123], 1.0
; %bb.427:
	s_or_b64 exec, exec, s[0:1]
	v_cmp_ne_u32_e32 vcc, v127, v124
	s_and_saveexec_b64 s[0:1], vcc
	s_xor_b64 s[0:1], exec, s[0:1]
	s_cbranch_execz .LBB116_433
; %bb.428:
	v_cmp_eq_u32_e32 vcc, 25, v127
	s_and_saveexec_b64 s[2:3], vcc
	s_cbranch_execz .LBB116_432
; %bb.429:
	v_cmp_ne_u32_e32 vcc, 25, v124
	s_xor_b64 s[14:15], s[6:7], -1
	s_and_b64 s[16:17], s[14:15], vcc
	s_and_saveexec_b64 s[14:15], s[16:17]
	s_cbranch_execz .LBB116_431
; %bb.430:
	v_ashrrev_i32_e32 v125, 31, v124
	v_lshlrev_b64 v[132:133], 2, v[124:125]
	v_add_co_u32_e32 v132, vcc, v4, v132
	v_addc_co_u32_e32 v133, vcc, v5, v133, vcc
	flat_load_dword v125, v[132:133]
	flat_load_dword v127, v[4:5] offset:100
	s_waitcnt vmcnt(0) lgkmcnt(0)
	flat_store_dword v[4:5], v125 offset:100
	flat_store_dword v[132:133], v127
.LBB116_431:
	s_or_b64 exec, exec, s[14:15]
	v_mov_b32_e32 v125, v124
	v_mov_b32_e32 v127, v124
.LBB116_432:
	s_or_b64 exec, exec, s[2:3]
.LBB116_433:
	s_andn2_saveexec_b64 s[0:1], s[0:1]
	s_cbranch_execz .LBB116_435
; %bb.434:
	v_mov_b32_e32 v132, v66
	v_mov_b32_e32 v133, v67
	v_mov_b32_e32 v134, v64
	v_mov_b32_e32 v135, v65
	ds_write2_b64 v126, v[132:133], v[134:135] offset0:26 offset1:27
	v_mov_b32_e32 v132, v62
	v_mov_b32_e32 v133, v63
	v_mov_b32_e32 v134, v60
	v_mov_b32_e32 v135, v61
	ds_write2_b64 v126, v[132:133], v[134:135] offset0:28 offset1:29
	;; [unrolled: 5-line block ×15, first 2 shown]
	v_mov_b32_e32 v132, v6
	v_mov_b32_e32 v133, v7
	;; [unrolled: 1-line block ×5, first 2 shown]
	ds_write2_b64 v126, v[132:133], v[134:135] offset0:56 offset1:57
	ds_write_b64 v126, v[120:121] offset:464
.LBB116_435:
	s_or_b64 exec, exec, s[0:1]
	v_cmp_lt_i32_e32 vcc, 25, v127
	s_waitcnt lgkmcnt(0)
	s_barrier
	s_and_saveexec_b64 s[0:1], vcc
	s_cbranch_execz .LBB116_437
; %bb.436:
	ds_read2_b64 v[132:135], v126 offset0:26 offset1:27
	ds_read2_b64 v[136:139], v126 offset0:28 offset1:29
	v_mul_f64 v[68:69], v[122:123], v[68:69]
	ds_read2_b64 v[140:143], v126 offset0:30 offset1:31
	ds_read_b64 v[122:123], v126 offset:464
	s_waitcnt lgkmcnt(0)
	v_fma_f64 v[66:67], -v[68:69], v[132:133], v[66:67]
	v_fma_f64 v[64:65], -v[68:69], v[134:135], v[64:65]
	ds_read2_b64 v[132:135], v126 offset0:32 offset1:33
	v_fma_f64 v[62:63], -v[68:69], v[136:137], v[62:63]
	v_fma_f64 v[60:61], -v[68:69], v[138:139], v[60:61]
	;; [unrolled: 1-line block ×3, first 2 shown]
	ds_read2_b64 v[136:139], v126 offset0:34 offset1:35
	v_fma_f64 v[56:57], -v[68:69], v[142:143], v[56:57]
	ds_read2_b64 v[140:143], v126 offset0:36 offset1:37
	s_waitcnt lgkmcnt(0)
	v_fma_f64 v[54:55], -v[68:69], v[132:133], v[54:55]
	v_fma_f64 v[52:53], -v[68:69], v[134:135], v[52:53]
	ds_read2_b64 v[132:135], v126 offset0:38 offset1:39
	v_fma_f64 v[50:51], -v[68:69], v[136:137], v[50:51]
	v_fma_f64 v[48:49], -v[68:69], v[138:139], v[48:49]
	ds_read2_b64 v[136:139], v126 offset0:40 offset1:41
	v_fma_f64 v[46:47], -v[68:69], v[140:141], v[46:47]
	v_fma_f64 v[44:45], -v[68:69], v[142:143], v[44:45]
	s_waitcnt lgkmcnt(0)
	v_fma_f64 v[42:43], -v[68:69], v[132:133], v[42:43]
	ds_read2_b64 v[140:143], v126 offset0:42 offset1:43
	v_fma_f64 v[40:41], -v[68:69], v[134:135], v[40:41]
	ds_read2_b64 v[132:135], v126 offset0:44 offset1:45
	v_fma_f64 v[38:39], -v[68:69], v[136:137], v[38:39]
	v_fma_f64 v[36:37], -v[68:69], v[138:139], v[36:37]
	s_waitcnt lgkmcnt(0)
	v_fma_f64 v[34:35], -v[68:69], v[140:141], v[34:35]
	ds_read2_b64 v[136:139], v126 offset0:46 offset1:47
	v_fma_f64 v[32:33], -v[68:69], v[142:143], v[32:33]
	ds_read2_b64 v[140:143], v126 offset0:48 offset1:49
	v_fma_f64 v[30:31], -v[68:69], v[132:133], v[30:31]
	v_fma_f64 v[28:29], -v[68:69], v[134:135], v[28:29]
	ds_read2_b64 v[132:135], v126 offset0:50 offset1:51
	s_waitcnt lgkmcnt(0)
	v_fma_f64 v[26:27], -v[68:69], v[136:137], v[26:27]
	v_fma_f64 v[24:25], -v[68:69], v[138:139], v[24:25]
	ds_read2_b64 v[136:139], v126 offset0:52 offset1:53
	v_fma_f64 v[22:23], -v[68:69], v[140:141], v[22:23]
	v_fma_f64 v[20:21], -v[68:69], v[142:143], v[20:21]
	;; [unrolled: 1-line block ×4, first 2 shown]
	ds_read2_b64 v[132:135], v126 offset0:54 offset1:55
	ds_read2_b64 v[140:143], v126 offset0:56 offset1:57
	s_waitcnt lgkmcnt(0)
	v_fma_f64 v[14:15], -v[68:69], v[136:137], v[14:15]
	v_fma_f64 v[12:13], -v[68:69], v[138:139], v[12:13]
	;; [unrolled: 1-line block ×7, first 2 shown]
.LBB116_437:
	s_or_b64 exec, exec, s[0:1]
	v_lshl_add_u32 v122, v127, 3, v126
	s_barrier
	ds_write_b64 v122, v[66:67]
	s_waitcnt lgkmcnt(0)
	s_barrier
	ds_read_b64 v[122:123], v126 offset:208
	s_cmp_lt_i32 s18, 28
	v_mov_b32_e32 v124, 26
	s_cbranch_scc1 .LBB116_440
; %bb.438:
	v_add_u32_e32 v131, 0xd8, v126
	s_mov_b32 s0, 27
	v_mov_b32_e32 v124, 26
.LBB116_439:                            ; =>This Inner Loop Header: Depth=1
	ds_read_b64 v[132:133], v131
	v_mov_b32_e32 v134, s0
	s_add_i32 s0, s0, 1
	v_add_u32_e32 v131, 8, v131
	s_cmp_lg_u32 s18, s0
	s_waitcnt lgkmcnt(0)
	v_cmp_lt_f64_e64 vcc, |v[122:123]|, |v[132:133]|
	v_cndmask_b32_e32 v123, v123, v133, vcc
	v_cndmask_b32_e32 v122, v122, v132, vcc
	;; [unrolled: 1-line block ×3, first 2 shown]
	s_cbranch_scc1 .LBB116_439
.LBB116_440:
	s_waitcnt lgkmcnt(0)
	v_cmp_eq_f64_e32 vcc, 0, v[122:123]
	s_and_saveexec_b64 s[0:1], vcc
	s_xor_b64 s[0:1], exec, s[0:1]
; %bb.441:
	v_cmp_ne_u32_e32 vcc, 0, v130
	v_cndmask_b32_e32 v130, 27, v130, vcc
; %bb.442:
	s_andn2_saveexec_b64 s[0:1], s[0:1]
; %bb.443:
	v_div_scale_f64 v[132:133], s[2:3], v[122:123], v[122:123], 1.0
	v_rcp_f64_e32 v[134:135], v[132:133]
	v_div_scale_f64 v[136:137], vcc, 1.0, v[122:123], 1.0
	v_fma_f64 v[138:139], -v[132:133], v[134:135], 1.0
	v_fmac_f64_e32 v[134:135], v[134:135], v[138:139]
	v_fma_f64 v[138:139], -v[132:133], v[134:135], 1.0
	v_fmac_f64_e32 v[134:135], v[134:135], v[138:139]
	v_mul_f64 v[138:139], v[136:137], v[134:135]
	v_fma_f64 v[132:133], -v[132:133], v[138:139], v[136:137]
	v_div_fmas_f64 v[132:133], v[132:133], v[134:135], v[138:139]
	v_div_fixup_f64 v[122:123], v[132:133], v[122:123], 1.0
; %bb.444:
	s_or_b64 exec, exec, s[0:1]
	v_cmp_ne_u32_e32 vcc, v127, v124
	s_and_saveexec_b64 s[0:1], vcc
	s_xor_b64 s[0:1], exec, s[0:1]
	s_cbranch_execz .LBB116_450
; %bb.445:
	v_cmp_eq_u32_e32 vcc, 26, v127
	s_and_saveexec_b64 s[2:3], vcc
	s_cbranch_execz .LBB116_449
; %bb.446:
	v_cmp_ne_u32_e32 vcc, 26, v124
	s_xor_b64 s[14:15], s[6:7], -1
	s_and_b64 s[16:17], s[14:15], vcc
	s_and_saveexec_b64 s[14:15], s[16:17]
	s_cbranch_execz .LBB116_448
; %bb.447:
	v_ashrrev_i32_e32 v125, 31, v124
	v_lshlrev_b64 v[132:133], 2, v[124:125]
	v_add_co_u32_e32 v132, vcc, v4, v132
	v_addc_co_u32_e32 v133, vcc, v5, v133, vcc
	flat_load_dword v125, v[132:133]
	flat_load_dword v127, v[4:5] offset:104
	s_waitcnt vmcnt(0) lgkmcnt(0)
	flat_store_dword v[4:5], v125 offset:104
	flat_store_dword v[132:133], v127
.LBB116_448:
	s_or_b64 exec, exec, s[14:15]
	v_mov_b32_e32 v125, v124
	v_mov_b32_e32 v127, v124
.LBB116_449:
	s_or_b64 exec, exec, s[2:3]
.LBB116_450:
	s_andn2_saveexec_b64 s[0:1], s[0:1]
	s_cbranch_execz .LBB116_452
; %bb.451:
	v_mov_b32_e32 v127, 26
	ds_write2_b64 v126, v[64:65], v[62:63] offset0:27 offset1:28
	ds_write2_b64 v126, v[60:61], v[58:59] offset0:29 offset1:30
	;; [unrolled: 1-line block ×16, first 2 shown]
.LBB116_452:
	s_or_b64 exec, exec, s[0:1]
	v_cmp_lt_i32_e32 vcc, 26, v127
	s_waitcnt lgkmcnt(0)
	s_barrier
	s_and_saveexec_b64 s[0:1], vcc
	s_cbranch_execz .LBB116_454
; %bb.453:
	ds_read2_b64 v[132:135], v126 offset0:27 offset1:28
	ds_read2_b64 v[136:139], v126 offset0:29 offset1:30
	v_mul_f64 v[66:67], v[122:123], v[66:67]
	ds_read2_b64 v[140:143], v126 offset0:31 offset1:32
	s_waitcnt lgkmcnt(0)
	v_fma_f64 v[64:65], -v[66:67], v[132:133], v[64:65]
	v_fma_f64 v[62:63], -v[66:67], v[134:135], v[62:63]
	ds_read2_b64 v[132:135], v126 offset0:33 offset1:34
	v_fma_f64 v[60:61], -v[66:67], v[136:137], v[60:61]
	v_fma_f64 v[58:59], -v[66:67], v[138:139], v[58:59]
	;; [unrolled: 1-line block ×3, first 2 shown]
	ds_read2_b64 v[136:139], v126 offset0:35 offset1:36
	v_fma_f64 v[54:55], -v[66:67], v[142:143], v[54:55]
	ds_read2_b64 v[140:143], v126 offset0:37 offset1:38
	s_waitcnt lgkmcnt(0)
	v_fma_f64 v[52:53], -v[66:67], v[132:133], v[52:53]
	v_fma_f64 v[50:51], -v[66:67], v[134:135], v[50:51]
	ds_read2_b64 v[132:135], v126 offset0:39 offset1:40
	v_fma_f64 v[48:49], -v[66:67], v[136:137], v[48:49]
	v_fma_f64 v[46:47], -v[66:67], v[138:139], v[46:47]
	ds_read2_b64 v[136:139], v126 offset0:41 offset1:42
	v_fma_f64 v[44:45], -v[66:67], v[140:141], v[44:45]
	v_fma_f64 v[42:43], -v[66:67], v[142:143], v[42:43]
	s_waitcnt lgkmcnt(0)
	v_fma_f64 v[40:41], -v[66:67], v[132:133], v[40:41]
	ds_read2_b64 v[140:143], v126 offset0:43 offset1:44
	v_fma_f64 v[38:39], -v[66:67], v[134:135], v[38:39]
	ds_read2_b64 v[132:135], v126 offset0:45 offset1:46
	v_fma_f64 v[36:37], -v[66:67], v[136:137], v[36:37]
	v_fma_f64 v[34:35], -v[66:67], v[138:139], v[34:35]
	s_waitcnt lgkmcnt(0)
	v_fma_f64 v[32:33], -v[66:67], v[140:141], v[32:33]
	ds_read2_b64 v[136:139], v126 offset0:47 offset1:48
	v_fma_f64 v[30:31], -v[66:67], v[142:143], v[30:31]
	ds_read2_b64 v[140:143], v126 offset0:49 offset1:50
	v_fma_f64 v[28:29], -v[66:67], v[132:133], v[28:29]
	v_fma_f64 v[26:27], -v[66:67], v[134:135], v[26:27]
	ds_read2_b64 v[132:135], v126 offset0:51 offset1:52
	s_waitcnt lgkmcnt(0)
	v_fma_f64 v[24:25], -v[66:67], v[136:137], v[24:25]
	v_fma_f64 v[22:23], -v[66:67], v[138:139], v[22:23]
	ds_read2_b64 v[136:139], v126 offset0:53 offset1:54
	v_fma_f64 v[20:21], -v[66:67], v[140:141], v[20:21]
	v_fma_f64 v[18:19], -v[66:67], v[142:143], v[18:19]
	;; [unrolled: 1-line block ×3, first 2 shown]
	ds_read2_b64 v[140:143], v126 offset0:55 offset1:56
	v_fma_f64 v[14:15], -v[66:67], v[134:135], v[14:15]
	ds_read2_b64 v[132:135], v126 offset0:57 offset1:58
	s_waitcnt lgkmcnt(0)
	v_fma_f64 v[12:13], -v[66:67], v[136:137], v[12:13]
	v_fma_f64 v[10:11], -v[66:67], v[138:139], v[10:11]
	;; [unrolled: 1-line block ×6, first 2 shown]
.LBB116_454:
	s_or_b64 exec, exec, s[0:1]
	v_lshl_add_u32 v122, v127, 3, v126
	s_barrier
	ds_write_b64 v122, v[64:65]
	s_waitcnt lgkmcnt(0)
	s_barrier
	ds_read_b64 v[122:123], v126 offset:216
	s_cmp_lt_i32 s18, 29
	v_mov_b32_e32 v124, 27
	s_cbranch_scc1 .LBB116_457
; %bb.455:
	v_add_u32_e32 v131, 0xe0, v126
	s_mov_b32 s0, 28
	v_mov_b32_e32 v124, 27
.LBB116_456:                            ; =>This Inner Loop Header: Depth=1
	ds_read_b64 v[132:133], v131
	v_mov_b32_e32 v134, s0
	s_add_i32 s0, s0, 1
	v_add_u32_e32 v131, 8, v131
	s_cmp_lg_u32 s18, s0
	s_waitcnt lgkmcnt(0)
	v_cmp_lt_f64_e64 vcc, |v[122:123]|, |v[132:133]|
	v_cndmask_b32_e32 v123, v123, v133, vcc
	v_cndmask_b32_e32 v122, v122, v132, vcc
	v_cndmask_b32_e32 v124, v124, v134, vcc
	s_cbranch_scc1 .LBB116_456
.LBB116_457:
	s_waitcnt lgkmcnt(0)
	v_cmp_eq_f64_e32 vcc, 0, v[122:123]
	s_and_saveexec_b64 s[0:1], vcc
	s_xor_b64 s[0:1], exec, s[0:1]
; %bb.458:
	v_cmp_ne_u32_e32 vcc, 0, v130
	v_cndmask_b32_e32 v130, 28, v130, vcc
; %bb.459:
	s_andn2_saveexec_b64 s[0:1], s[0:1]
; %bb.460:
	v_div_scale_f64 v[132:133], s[2:3], v[122:123], v[122:123], 1.0
	v_rcp_f64_e32 v[134:135], v[132:133]
	v_div_scale_f64 v[136:137], vcc, 1.0, v[122:123], 1.0
	v_fma_f64 v[138:139], -v[132:133], v[134:135], 1.0
	v_fmac_f64_e32 v[134:135], v[134:135], v[138:139]
	v_fma_f64 v[138:139], -v[132:133], v[134:135], 1.0
	v_fmac_f64_e32 v[134:135], v[134:135], v[138:139]
	v_mul_f64 v[138:139], v[136:137], v[134:135]
	v_fma_f64 v[132:133], -v[132:133], v[138:139], v[136:137]
	v_div_fmas_f64 v[132:133], v[132:133], v[134:135], v[138:139]
	v_div_fixup_f64 v[122:123], v[132:133], v[122:123], 1.0
; %bb.461:
	s_or_b64 exec, exec, s[0:1]
	v_cmp_ne_u32_e32 vcc, v127, v124
	s_and_saveexec_b64 s[0:1], vcc
	s_xor_b64 s[0:1], exec, s[0:1]
	s_cbranch_execz .LBB116_467
; %bb.462:
	v_cmp_eq_u32_e32 vcc, 27, v127
	s_and_saveexec_b64 s[2:3], vcc
	s_cbranch_execz .LBB116_466
; %bb.463:
	v_cmp_ne_u32_e32 vcc, 27, v124
	s_xor_b64 s[14:15], s[6:7], -1
	s_and_b64 s[16:17], s[14:15], vcc
	s_and_saveexec_b64 s[14:15], s[16:17]
	s_cbranch_execz .LBB116_465
; %bb.464:
	v_ashrrev_i32_e32 v125, 31, v124
	v_lshlrev_b64 v[132:133], 2, v[124:125]
	v_add_co_u32_e32 v132, vcc, v4, v132
	v_addc_co_u32_e32 v133, vcc, v5, v133, vcc
	flat_load_dword v125, v[132:133]
	flat_load_dword v127, v[4:5] offset:108
	s_waitcnt vmcnt(0) lgkmcnt(0)
	flat_store_dword v[4:5], v125 offset:108
	flat_store_dword v[132:133], v127
.LBB116_465:
	s_or_b64 exec, exec, s[14:15]
	v_mov_b32_e32 v125, v124
	v_mov_b32_e32 v127, v124
.LBB116_466:
	s_or_b64 exec, exec, s[2:3]
.LBB116_467:
	s_andn2_saveexec_b64 s[0:1], s[0:1]
	s_cbranch_execz .LBB116_469
; %bb.468:
	v_mov_b32_e32 v132, v62
	v_mov_b32_e32 v133, v63
	v_mov_b32_e32 v134, v60
	v_mov_b32_e32 v135, v61
	ds_write2_b64 v126, v[132:133], v[134:135] offset0:28 offset1:29
	v_mov_b32_e32 v132, v58
	v_mov_b32_e32 v133, v59
	v_mov_b32_e32 v134, v56
	v_mov_b32_e32 v135, v57
	ds_write2_b64 v126, v[132:133], v[134:135] offset0:30 offset1:31
	;; [unrolled: 5-line block ×14, first 2 shown]
	v_mov_b32_e32 v132, v6
	v_mov_b32_e32 v133, v7
	;; [unrolled: 1-line block ×5, first 2 shown]
	ds_write2_b64 v126, v[132:133], v[134:135] offset0:56 offset1:57
	ds_write_b64 v126, v[120:121] offset:464
.LBB116_469:
	s_or_b64 exec, exec, s[0:1]
	v_cmp_lt_i32_e32 vcc, 27, v127
	s_waitcnt lgkmcnt(0)
	s_barrier
	s_and_saveexec_b64 s[0:1], vcc
	s_cbranch_execz .LBB116_471
; %bb.470:
	ds_read2_b64 v[132:135], v126 offset0:28 offset1:29
	ds_read2_b64 v[136:139], v126 offset0:30 offset1:31
	;; [unrolled: 1-line block ×3, first 2 shown]
	v_mul_f64 v[64:65], v[122:123], v[64:65]
	ds_read_b64 v[122:123], v126 offset:464
	s_waitcnt lgkmcnt(0)
	v_fma_f64 v[62:63], -v[64:65], v[132:133], v[62:63]
	v_fma_f64 v[60:61], -v[64:65], v[134:135], v[60:61]
	ds_read2_b64 v[132:135], v126 offset0:34 offset1:35
	v_fma_f64 v[58:59], -v[64:65], v[136:137], v[58:59]
	v_fma_f64 v[56:57], -v[64:65], v[138:139], v[56:57]
	;; [unrolled: 1-line block ×3, first 2 shown]
	ds_read2_b64 v[136:139], v126 offset0:36 offset1:37
	v_fma_f64 v[52:53], -v[64:65], v[142:143], v[52:53]
	ds_read2_b64 v[140:143], v126 offset0:38 offset1:39
	s_waitcnt lgkmcnt(0)
	v_fma_f64 v[50:51], -v[64:65], v[132:133], v[50:51]
	v_fma_f64 v[48:49], -v[64:65], v[134:135], v[48:49]
	;; [unrolled: 1-line block ×3, first 2 shown]
	ds_read2_b64 v[132:135], v126 offset0:40 offset1:41
	v_fma_f64 v[44:45], -v[64:65], v[138:139], v[44:45]
	ds_read2_b64 v[136:139], v126 offset0:42 offset1:43
	v_fma_f64 v[42:43], -v[64:65], v[140:141], v[42:43]
	v_fma_f64 v[40:41], -v[64:65], v[142:143], v[40:41]
	ds_read2_b64 v[140:143], v126 offset0:44 offset1:45
	s_waitcnt lgkmcnt(0)
	v_fma_f64 v[38:39], -v[64:65], v[132:133], v[38:39]
	v_fma_f64 v[36:37], -v[64:65], v[134:135], v[36:37]
	ds_read2_b64 v[132:135], v126 offset0:46 offset1:47
	v_fma_f64 v[34:35], -v[64:65], v[136:137], v[34:35]
	v_fma_f64 v[32:33], -v[64:65], v[138:139], v[32:33]
	;; [unrolled: 1-line block ×3, first 2 shown]
	ds_read2_b64 v[136:139], v126 offset0:48 offset1:49
	v_fma_f64 v[28:29], -v[64:65], v[142:143], v[28:29]
	ds_read2_b64 v[140:143], v126 offset0:50 offset1:51
	s_waitcnt lgkmcnt(0)
	v_fma_f64 v[26:27], -v[64:65], v[132:133], v[26:27]
	v_fma_f64 v[24:25], -v[64:65], v[134:135], v[24:25]
	v_fma_f64 v[22:23], -v[64:65], v[136:137], v[22:23]
	ds_read2_b64 v[132:135], v126 offset0:52 offset1:53
	v_fma_f64 v[20:21], -v[64:65], v[138:139], v[20:21]
	ds_read2_b64 v[136:139], v126 offset0:54 offset1:55
	v_fma_f64 v[18:19], -v[64:65], v[140:141], v[18:19]
	v_fma_f64 v[16:17], -v[64:65], v[142:143], v[16:17]
	ds_read2_b64 v[140:143], v126 offset0:56 offset1:57
	s_waitcnt lgkmcnt(0)
	v_fma_f64 v[14:15], -v[64:65], v[132:133], v[14:15]
	v_fma_f64 v[12:13], -v[64:65], v[134:135], v[12:13]
	;; [unrolled: 1-line block ×7, first 2 shown]
.LBB116_471:
	s_or_b64 exec, exec, s[0:1]
	v_lshl_add_u32 v122, v127, 3, v126
	s_barrier
	ds_write_b64 v122, v[62:63]
	s_waitcnt lgkmcnt(0)
	s_barrier
	ds_read_b64 v[122:123], v126 offset:224
	s_cmp_lt_i32 s18, 30
	v_mov_b32_e32 v124, 28
	s_cbranch_scc1 .LBB116_474
; %bb.472:
	v_add_u32_e32 v131, 0xe8, v126
	s_mov_b32 s0, 29
	v_mov_b32_e32 v124, 28
.LBB116_473:                            ; =>This Inner Loop Header: Depth=1
	ds_read_b64 v[132:133], v131
	v_mov_b32_e32 v134, s0
	s_add_i32 s0, s0, 1
	v_add_u32_e32 v131, 8, v131
	s_cmp_lg_u32 s18, s0
	s_waitcnt lgkmcnt(0)
	v_cmp_lt_f64_e64 vcc, |v[122:123]|, |v[132:133]|
	v_cndmask_b32_e32 v123, v123, v133, vcc
	v_cndmask_b32_e32 v122, v122, v132, vcc
	;; [unrolled: 1-line block ×3, first 2 shown]
	s_cbranch_scc1 .LBB116_473
.LBB116_474:
	s_waitcnt lgkmcnt(0)
	v_cmp_eq_f64_e32 vcc, 0, v[122:123]
	s_and_saveexec_b64 s[0:1], vcc
	s_xor_b64 s[0:1], exec, s[0:1]
; %bb.475:
	v_cmp_ne_u32_e32 vcc, 0, v130
	v_cndmask_b32_e32 v130, 29, v130, vcc
; %bb.476:
	s_andn2_saveexec_b64 s[0:1], s[0:1]
; %bb.477:
	v_div_scale_f64 v[132:133], s[2:3], v[122:123], v[122:123], 1.0
	v_rcp_f64_e32 v[134:135], v[132:133]
	v_div_scale_f64 v[136:137], vcc, 1.0, v[122:123], 1.0
	v_fma_f64 v[138:139], -v[132:133], v[134:135], 1.0
	v_fmac_f64_e32 v[134:135], v[134:135], v[138:139]
	v_fma_f64 v[138:139], -v[132:133], v[134:135], 1.0
	v_fmac_f64_e32 v[134:135], v[134:135], v[138:139]
	v_mul_f64 v[138:139], v[136:137], v[134:135]
	v_fma_f64 v[132:133], -v[132:133], v[138:139], v[136:137]
	v_div_fmas_f64 v[132:133], v[132:133], v[134:135], v[138:139]
	v_div_fixup_f64 v[122:123], v[132:133], v[122:123], 1.0
; %bb.478:
	s_or_b64 exec, exec, s[0:1]
	v_cmp_ne_u32_e32 vcc, v127, v124
	s_and_saveexec_b64 s[0:1], vcc
	s_xor_b64 s[0:1], exec, s[0:1]
	s_cbranch_execz .LBB116_484
; %bb.479:
	v_cmp_eq_u32_e32 vcc, 28, v127
	s_and_saveexec_b64 s[2:3], vcc
	s_cbranch_execz .LBB116_483
; %bb.480:
	v_cmp_ne_u32_e32 vcc, 28, v124
	s_xor_b64 s[14:15], s[6:7], -1
	s_and_b64 s[16:17], s[14:15], vcc
	s_and_saveexec_b64 s[14:15], s[16:17]
	s_cbranch_execz .LBB116_482
; %bb.481:
	v_ashrrev_i32_e32 v125, 31, v124
	v_lshlrev_b64 v[132:133], 2, v[124:125]
	v_add_co_u32_e32 v132, vcc, v4, v132
	v_addc_co_u32_e32 v133, vcc, v5, v133, vcc
	flat_load_dword v125, v[132:133]
	flat_load_dword v127, v[4:5] offset:112
	s_waitcnt vmcnt(0) lgkmcnt(0)
	flat_store_dword v[4:5], v125 offset:112
	flat_store_dword v[132:133], v127
.LBB116_482:
	s_or_b64 exec, exec, s[14:15]
	v_mov_b32_e32 v125, v124
	v_mov_b32_e32 v127, v124
.LBB116_483:
	s_or_b64 exec, exec, s[2:3]
.LBB116_484:
	s_andn2_saveexec_b64 s[0:1], s[0:1]
	s_cbranch_execz .LBB116_486
; %bb.485:
	v_mov_b32_e32 v127, 28
	ds_write2_b64 v126, v[60:61], v[58:59] offset0:29 offset1:30
	ds_write2_b64 v126, v[56:57], v[54:55] offset0:31 offset1:32
	;; [unrolled: 1-line block ×15, first 2 shown]
.LBB116_486:
	s_or_b64 exec, exec, s[0:1]
	v_cmp_lt_i32_e32 vcc, 28, v127
	s_waitcnt lgkmcnt(0)
	s_barrier
	s_and_saveexec_b64 s[0:1], vcc
	s_cbranch_execz .LBB116_488
; %bb.487:
	ds_read2_b64 v[132:135], v126 offset0:29 offset1:30
	ds_read2_b64 v[136:139], v126 offset0:31 offset1:32
	;; [unrolled: 1-line block ×3, first 2 shown]
	v_mul_f64 v[62:63], v[122:123], v[62:63]
	s_waitcnt lgkmcnt(0)
	v_fma_f64 v[60:61], -v[62:63], v[132:133], v[60:61]
	v_fma_f64 v[58:59], -v[62:63], v[134:135], v[58:59]
	ds_read2_b64 v[132:135], v126 offset0:35 offset1:36
	v_fma_f64 v[56:57], -v[62:63], v[136:137], v[56:57]
	v_fma_f64 v[54:55], -v[62:63], v[138:139], v[54:55]
	;; [unrolled: 1-line block ×3, first 2 shown]
	ds_read2_b64 v[136:139], v126 offset0:37 offset1:38
	v_fma_f64 v[50:51], -v[62:63], v[142:143], v[50:51]
	ds_read2_b64 v[140:143], v126 offset0:39 offset1:40
	s_waitcnt lgkmcnt(0)
	v_fma_f64 v[48:49], -v[62:63], v[132:133], v[48:49]
	v_fma_f64 v[46:47], -v[62:63], v[134:135], v[46:47]
	;; [unrolled: 1-line block ×3, first 2 shown]
	ds_read2_b64 v[132:135], v126 offset0:41 offset1:42
	v_fma_f64 v[42:43], -v[62:63], v[138:139], v[42:43]
	ds_read2_b64 v[136:139], v126 offset0:43 offset1:44
	v_fma_f64 v[40:41], -v[62:63], v[140:141], v[40:41]
	v_fma_f64 v[38:39], -v[62:63], v[142:143], v[38:39]
	ds_read2_b64 v[140:143], v126 offset0:45 offset1:46
	s_waitcnt lgkmcnt(0)
	v_fma_f64 v[36:37], -v[62:63], v[132:133], v[36:37]
	v_fma_f64 v[34:35], -v[62:63], v[134:135], v[34:35]
	ds_read2_b64 v[132:135], v126 offset0:47 offset1:48
	v_fma_f64 v[32:33], -v[62:63], v[136:137], v[32:33]
	v_fma_f64 v[30:31], -v[62:63], v[138:139], v[30:31]
	;; [unrolled: 1-line block ×3, first 2 shown]
	ds_read2_b64 v[136:139], v126 offset0:49 offset1:50
	v_fma_f64 v[26:27], -v[62:63], v[142:143], v[26:27]
	ds_read2_b64 v[140:143], v126 offset0:51 offset1:52
	s_waitcnt lgkmcnt(0)
	v_fma_f64 v[24:25], -v[62:63], v[132:133], v[24:25]
	v_fma_f64 v[22:23], -v[62:63], v[134:135], v[22:23]
	;; [unrolled: 1-line block ×4, first 2 shown]
	ds_read2_b64 v[132:135], v126 offset0:53 offset1:54
	ds_read2_b64 v[136:139], v126 offset0:55 offset1:56
	v_fma_f64 v[16:17], -v[62:63], v[140:141], v[16:17]
	v_fma_f64 v[14:15], -v[62:63], v[142:143], v[14:15]
	ds_read2_b64 v[140:143], v126 offset0:57 offset1:58
	s_waitcnt lgkmcnt(0)
	v_fma_f64 v[12:13], -v[62:63], v[132:133], v[12:13]
	v_fma_f64 v[10:11], -v[62:63], v[134:135], v[10:11]
	;; [unrolled: 1-line block ×6, first 2 shown]
.LBB116_488:
	s_or_b64 exec, exec, s[0:1]
	v_lshl_add_u32 v122, v127, 3, v126
	s_barrier
	ds_write_b64 v122, v[60:61]
	s_waitcnt lgkmcnt(0)
	s_barrier
	ds_read_b64 v[122:123], v126 offset:232
	s_cmp_lt_i32 s18, 31
	v_mov_b32_e32 v124, 29
	s_cbranch_scc1 .LBB116_491
; %bb.489:
	v_add_u32_e32 v131, 0xf0, v126
	s_mov_b32 s0, 30
	v_mov_b32_e32 v124, 29
.LBB116_490:                            ; =>This Inner Loop Header: Depth=1
	ds_read_b64 v[132:133], v131
	v_mov_b32_e32 v134, s0
	s_add_i32 s0, s0, 1
	v_add_u32_e32 v131, 8, v131
	s_cmp_lg_u32 s18, s0
	s_waitcnt lgkmcnt(0)
	v_cmp_lt_f64_e64 vcc, |v[122:123]|, |v[132:133]|
	v_cndmask_b32_e32 v123, v123, v133, vcc
	v_cndmask_b32_e32 v122, v122, v132, vcc
	;; [unrolled: 1-line block ×3, first 2 shown]
	s_cbranch_scc1 .LBB116_490
.LBB116_491:
	s_waitcnt lgkmcnt(0)
	v_cmp_eq_f64_e32 vcc, 0, v[122:123]
	s_and_saveexec_b64 s[0:1], vcc
	s_xor_b64 s[0:1], exec, s[0:1]
; %bb.492:
	v_cmp_ne_u32_e32 vcc, 0, v130
	v_cndmask_b32_e32 v130, 30, v130, vcc
; %bb.493:
	s_andn2_saveexec_b64 s[0:1], s[0:1]
; %bb.494:
	v_div_scale_f64 v[132:133], s[2:3], v[122:123], v[122:123], 1.0
	v_rcp_f64_e32 v[134:135], v[132:133]
	v_div_scale_f64 v[136:137], vcc, 1.0, v[122:123], 1.0
	v_fma_f64 v[138:139], -v[132:133], v[134:135], 1.0
	v_fmac_f64_e32 v[134:135], v[134:135], v[138:139]
	v_fma_f64 v[138:139], -v[132:133], v[134:135], 1.0
	v_fmac_f64_e32 v[134:135], v[134:135], v[138:139]
	v_mul_f64 v[138:139], v[136:137], v[134:135]
	v_fma_f64 v[132:133], -v[132:133], v[138:139], v[136:137]
	v_div_fmas_f64 v[132:133], v[132:133], v[134:135], v[138:139]
	v_div_fixup_f64 v[122:123], v[132:133], v[122:123], 1.0
; %bb.495:
	s_or_b64 exec, exec, s[0:1]
	v_cmp_ne_u32_e32 vcc, v127, v124
	s_and_saveexec_b64 s[0:1], vcc
	s_xor_b64 s[0:1], exec, s[0:1]
	s_cbranch_execz .LBB116_501
; %bb.496:
	v_cmp_eq_u32_e32 vcc, 29, v127
	s_and_saveexec_b64 s[2:3], vcc
	s_cbranch_execz .LBB116_500
; %bb.497:
	v_cmp_ne_u32_e32 vcc, 29, v124
	s_xor_b64 s[14:15], s[6:7], -1
	s_and_b64 s[16:17], s[14:15], vcc
	s_and_saveexec_b64 s[14:15], s[16:17]
	s_cbranch_execz .LBB116_499
; %bb.498:
	v_ashrrev_i32_e32 v125, 31, v124
	v_lshlrev_b64 v[132:133], 2, v[124:125]
	v_add_co_u32_e32 v132, vcc, v4, v132
	v_addc_co_u32_e32 v133, vcc, v5, v133, vcc
	flat_load_dword v125, v[132:133]
	flat_load_dword v127, v[4:5] offset:116
	s_waitcnt vmcnt(0) lgkmcnt(0)
	flat_store_dword v[4:5], v125 offset:116
	flat_store_dword v[132:133], v127
.LBB116_499:
	s_or_b64 exec, exec, s[14:15]
	v_mov_b32_e32 v125, v124
	v_mov_b32_e32 v127, v124
.LBB116_500:
	s_or_b64 exec, exec, s[2:3]
.LBB116_501:
	s_andn2_saveexec_b64 s[0:1], s[0:1]
	s_cbranch_execz .LBB116_503
; %bb.502:
	v_mov_b32_e32 v132, v58
	v_mov_b32_e32 v133, v59
	v_mov_b32_e32 v134, v56
	v_mov_b32_e32 v135, v57
	ds_write2_b64 v126, v[132:133], v[134:135] offset0:30 offset1:31
	v_mov_b32_e32 v132, v54
	v_mov_b32_e32 v133, v55
	v_mov_b32_e32 v134, v52
	v_mov_b32_e32 v135, v53
	ds_write2_b64 v126, v[132:133], v[134:135] offset0:32 offset1:33
	;; [unrolled: 5-line block ×13, first 2 shown]
	v_mov_b32_e32 v132, v6
	v_mov_b32_e32 v133, v7
	;; [unrolled: 1-line block ×5, first 2 shown]
	ds_write2_b64 v126, v[132:133], v[134:135] offset0:56 offset1:57
	ds_write_b64 v126, v[120:121] offset:464
.LBB116_503:
	s_or_b64 exec, exec, s[0:1]
	v_cmp_lt_i32_e32 vcc, 29, v127
	s_waitcnt lgkmcnt(0)
	s_barrier
	s_and_saveexec_b64 s[0:1], vcc
	s_cbranch_execz .LBB116_505
; %bb.504:
	ds_read2_b64 v[132:135], v126 offset0:30 offset1:31
	ds_read2_b64 v[136:139], v126 offset0:32 offset1:33
	v_mul_f64 v[60:61], v[122:123], v[60:61]
	ds_read2_b64 v[140:143], v126 offset0:34 offset1:35
	ds_read_b64 v[122:123], v126 offset:464
	s_waitcnt lgkmcnt(0)
	v_fma_f64 v[58:59], -v[60:61], v[132:133], v[58:59]
	v_fma_f64 v[56:57], -v[60:61], v[134:135], v[56:57]
	ds_read2_b64 v[132:135], v126 offset0:36 offset1:37
	v_fma_f64 v[54:55], -v[60:61], v[136:137], v[54:55]
	v_fma_f64 v[52:53], -v[60:61], v[138:139], v[52:53]
	ds_read2_b64 v[136:139], v126 offset0:38 offset1:39
	;; [unrolled: 3-line block ×3, first 2 shown]
	s_waitcnt lgkmcnt(0)
	v_fma_f64 v[46:47], -v[60:61], v[132:133], v[46:47]
	v_fma_f64 v[44:45], -v[60:61], v[134:135], v[44:45]
	;; [unrolled: 1-line block ×3, first 2 shown]
	ds_read2_b64 v[132:135], v126 offset0:42 offset1:43
	v_fma_f64 v[40:41], -v[60:61], v[138:139], v[40:41]
	ds_read2_b64 v[136:139], v126 offset0:44 offset1:45
	v_fma_f64 v[38:39], -v[60:61], v[140:141], v[38:39]
	v_fma_f64 v[36:37], -v[60:61], v[142:143], v[36:37]
	s_waitcnt lgkmcnt(0)
	v_fma_f64 v[34:35], -v[60:61], v[132:133], v[34:35]
	ds_read2_b64 v[140:143], v126 offset0:46 offset1:47
	v_fma_f64 v[32:33], -v[60:61], v[134:135], v[32:33]
	ds_read2_b64 v[132:135], v126 offset0:48 offset1:49
	v_fma_f64 v[30:31], -v[60:61], v[136:137], v[30:31]
	v_fma_f64 v[28:29], -v[60:61], v[138:139], v[28:29]
	ds_read2_b64 v[136:139], v126 offset0:50 offset1:51
	s_waitcnt lgkmcnt(0)
	v_fma_f64 v[26:27], -v[60:61], v[140:141], v[26:27]
	v_fma_f64 v[24:25], -v[60:61], v[142:143], v[24:25]
	ds_read2_b64 v[140:143], v126 offset0:52 offset1:53
	v_fma_f64 v[22:23], -v[60:61], v[132:133], v[22:23]
	v_fma_f64 v[20:21], -v[60:61], v[134:135], v[20:21]
	;; [unrolled: 1-line block ×4, first 2 shown]
	ds_read2_b64 v[132:135], v126 offset0:54 offset1:55
	ds_read2_b64 v[136:139], v126 offset0:56 offset1:57
	s_waitcnt lgkmcnt(0)
	v_fma_f64 v[14:15], -v[60:61], v[140:141], v[14:15]
	v_fma_f64 v[12:13], -v[60:61], v[142:143], v[12:13]
	v_fma_f64 v[120:121], -v[60:61], v[122:123], v[120:121]
	v_fma_f64 v[10:11], -v[60:61], v[132:133], v[10:11]
	v_fma_f64 v[8:9], -v[60:61], v[134:135], v[8:9]
	v_fma_f64 v[6:7], -v[60:61], v[136:137], v[6:7]
	v_fma_f64 v[0:1], -v[60:61], v[138:139], v[0:1]
.LBB116_505:
	s_or_b64 exec, exec, s[0:1]
	v_lshl_add_u32 v122, v127, 3, v126
	s_barrier
	ds_write_b64 v122, v[58:59]
	s_waitcnt lgkmcnt(0)
	s_barrier
	ds_read_b64 v[122:123], v126 offset:240
	s_cmp_lt_i32 s18, 32
	v_mov_b32_e32 v124, 30
	s_cbranch_scc1 .LBB116_508
; %bb.506:
	v_add_u32_e32 v131, 0xf8, v126
	s_mov_b32 s0, 31
	v_mov_b32_e32 v124, 30
.LBB116_507:                            ; =>This Inner Loop Header: Depth=1
	ds_read_b64 v[132:133], v131
	v_mov_b32_e32 v134, s0
	s_add_i32 s0, s0, 1
	v_add_u32_e32 v131, 8, v131
	s_cmp_lg_u32 s18, s0
	s_waitcnt lgkmcnt(0)
	v_cmp_lt_f64_e64 vcc, |v[122:123]|, |v[132:133]|
	v_cndmask_b32_e32 v123, v123, v133, vcc
	v_cndmask_b32_e32 v122, v122, v132, vcc
	v_cndmask_b32_e32 v124, v124, v134, vcc
	s_cbranch_scc1 .LBB116_507
.LBB116_508:
	s_waitcnt lgkmcnt(0)
	v_cmp_eq_f64_e32 vcc, 0, v[122:123]
	s_and_saveexec_b64 s[0:1], vcc
	s_xor_b64 s[0:1], exec, s[0:1]
; %bb.509:
	v_cmp_ne_u32_e32 vcc, 0, v130
	v_cndmask_b32_e32 v130, 31, v130, vcc
; %bb.510:
	s_andn2_saveexec_b64 s[0:1], s[0:1]
; %bb.511:
	v_div_scale_f64 v[132:133], s[2:3], v[122:123], v[122:123], 1.0
	v_rcp_f64_e32 v[134:135], v[132:133]
	v_div_scale_f64 v[136:137], vcc, 1.0, v[122:123], 1.0
	v_fma_f64 v[138:139], -v[132:133], v[134:135], 1.0
	v_fmac_f64_e32 v[134:135], v[134:135], v[138:139]
	v_fma_f64 v[138:139], -v[132:133], v[134:135], 1.0
	v_fmac_f64_e32 v[134:135], v[134:135], v[138:139]
	v_mul_f64 v[138:139], v[136:137], v[134:135]
	v_fma_f64 v[132:133], -v[132:133], v[138:139], v[136:137]
	v_div_fmas_f64 v[132:133], v[132:133], v[134:135], v[138:139]
	v_div_fixup_f64 v[122:123], v[132:133], v[122:123], 1.0
; %bb.512:
	s_or_b64 exec, exec, s[0:1]
	v_cmp_ne_u32_e32 vcc, v127, v124
	s_and_saveexec_b64 s[0:1], vcc
	s_xor_b64 s[0:1], exec, s[0:1]
	s_cbranch_execz .LBB116_518
; %bb.513:
	v_cmp_eq_u32_e32 vcc, 30, v127
	s_and_saveexec_b64 s[2:3], vcc
	s_cbranch_execz .LBB116_517
; %bb.514:
	v_cmp_ne_u32_e32 vcc, 30, v124
	s_xor_b64 s[14:15], s[6:7], -1
	s_and_b64 s[16:17], s[14:15], vcc
	s_and_saveexec_b64 s[14:15], s[16:17]
	s_cbranch_execz .LBB116_516
; %bb.515:
	v_ashrrev_i32_e32 v125, 31, v124
	v_lshlrev_b64 v[132:133], 2, v[124:125]
	v_add_co_u32_e32 v132, vcc, v4, v132
	v_addc_co_u32_e32 v133, vcc, v5, v133, vcc
	flat_load_dword v125, v[132:133]
	flat_load_dword v127, v[4:5] offset:120
	s_waitcnt vmcnt(0) lgkmcnt(0)
	flat_store_dword v[4:5], v125 offset:120
	flat_store_dword v[132:133], v127
.LBB116_516:
	s_or_b64 exec, exec, s[14:15]
	v_mov_b32_e32 v125, v124
	v_mov_b32_e32 v127, v124
.LBB116_517:
	s_or_b64 exec, exec, s[2:3]
.LBB116_518:
	s_andn2_saveexec_b64 s[0:1], s[0:1]
	s_cbranch_execz .LBB116_520
; %bb.519:
	v_mov_b32_e32 v127, 30
	ds_write2_b64 v126, v[56:57], v[54:55] offset0:31 offset1:32
	ds_write2_b64 v126, v[52:53], v[50:51] offset0:33 offset1:34
	;; [unrolled: 1-line block ×14, first 2 shown]
.LBB116_520:
	s_or_b64 exec, exec, s[0:1]
	v_cmp_lt_i32_e32 vcc, 30, v127
	s_waitcnt lgkmcnt(0)
	s_barrier
	s_and_saveexec_b64 s[0:1], vcc
	s_cbranch_execz .LBB116_522
; %bb.521:
	ds_read2_b64 v[132:135], v126 offset0:31 offset1:32
	ds_read2_b64 v[136:139], v126 offset0:33 offset1:34
	v_mul_f64 v[58:59], v[122:123], v[58:59]
	ds_read2_b64 v[140:143], v126 offset0:35 offset1:36
	s_waitcnt lgkmcnt(0)
	v_fma_f64 v[56:57], -v[58:59], v[132:133], v[56:57]
	v_fma_f64 v[54:55], -v[58:59], v[134:135], v[54:55]
	ds_read2_b64 v[132:135], v126 offset0:37 offset1:38
	v_fma_f64 v[52:53], -v[58:59], v[136:137], v[52:53]
	v_fma_f64 v[50:51], -v[58:59], v[138:139], v[50:51]
	ds_read2_b64 v[136:139], v126 offset0:39 offset1:40
	;; [unrolled: 3-line block ×3, first 2 shown]
	s_waitcnt lgkmcnt(0)
	v_fma_f64 v[44:45], -v[58:59], v[132:133], v[44:45]
	v_fma_f64 v[42:43], -v[58:59], v[134:135], v[42:43]
	;; [unrolled: 1-line block ×3, first 2 shown]
	ds_read2_b64 v[132:135], v126 offset0:43 offset1:44
	v_fma_f64 v[38:39], -v[58:59], v[138:139], v[38:39]
	ds_read2_b64 v[136:139], v126 offset0:45 offset1:46
	v_fma_f64 v[36:37], -v[58:59], v[140:141], v[36:37]
	v_fma_f64 v[34:35], -v[58:59], v[142:143], v[34:35]
	s_waitcnt lgkmcnt(0)
	v_fma_f64 v[32:33], -v[58:59], v[132:133], v[32:33]
	ds_read2_b64 v[140:143], v126 offset0:47 offset1:48
	v_fma_f64 v[30:31], -v[58:59], v[134:135], v[30:31]
	ds_read2_b64 v[132:135], v126 offset0:49 offset1:50
	v_fma_f64 v[28:29], -v[58:59], v[136:137], v[28:29]
	v_fma_f64 v[26:27], -v[58:59], v[138:139], v[26:27]
	ds_read2_b64 v[136:139], v126 offset0:51 offset1:52
	s_waitcnt lgkmcnt(0)
	v_fma_f64 v[24:25], -v[58:59], v[140:141], v[24:25]
	v_fma_f64 v[22:23], -v[58:59], v[142:143], v[22:23]
	;; [unrolled: 1-line block ×4, first 2 shown]
	ds_read2_b64 v[132:135], v126 offset0:53 offset1:54
	v_fma_f64 v[16:17], -v[58:59], v[136:137], v[16:17]
	ds_read2_b64 v[140:143], v126 offset0:55 offset1:56
	v_fma_f64 v[14:15], -v[58:59], v[138:139], v[14:15]
	ds_read2_b64 v[136:139], v126 offset0:57 offset1:58
	s_waitcnt lgkmcnt(0)
	v_fma_f64 v[12:13], -v[58:59], v[132:133], v[12:13]
	v_fma_f64 v[10:11], -v[58:59], v[134:135], v[10:11]
	;; [unrolled: 1-line block ×6, first 2 shown]
.LBB116_522:
	s_or_b64 exec, exec, s[0:1]
	v_lshl_add_u32 v122, v127, 3, v126
	s_barrier
	ds_write_b64 v122, v[56:57]
	s_waitcnt lgkmcnt(0)
	s_barrier
	ds_read_b64 v[122:123], v126 offset:248
	s_cmp_lt_i32 s18, 33
	v_mov_b32_e32 v124, 31
	s_cbranch_scc1 .LBB116_525
; %bb.523:
	v_add_u32_e32 v131, 0x100, v126
	s_mov_b32 s0, 32
	v_mov_b32_e32 v124, 31
.LBB116_524:                            ; =>This Inner Loop Header: Depth=1
	ds_read_b64 v[132:133], v131
	v_mov_b32_e32 v134, s0
	s_add_i32 s0, s0, 1
	v_add_u32_e32 v131, 8, v131
	s_cmp_lg_u32 s18, s0
	s_waitcnt lgkmcnt(0)
	v_cmp_lt_f64_e64 vcc, |v[122:123]|, |v[132:133]|
	v_cndmask_b32_e32 v123, v123, v133, vcc
	v_cndmask_b32_e32 v122, v122, v132, vcc
	;; [unrolled: 1-line block ×3, first 2 shown]
	s_cbranch_scc1 .LBB116_524
.LBB116_525:
	s_waitcnt lgkmcnt(0)
	v_cmp_eq_f64_e32 vcc, 0, v[122:123]
	s_and_saveexec_b64 s[0:1], vcc
	s_xor_b64 s[0:1], exec, s[0:1]
; %bb.526:
	v_cmp_ne_u32_e32 vcc, 0, v130
	v_cndmask_b32_e32 v130, 32, v130, vcc
; %bb.527:
	s_andn2_saveexec_b64 s[0:1], s[0:1]
; %bb.528:
	v_div_scale_f64 v[132:133], s[2:3], v[122:123], v[122:123], 1.0
	v_rcp_f64_e32 v[134:135], v[132:133]
	v_div_scale_f64 v[136:137], vcc, 1.0, v[122:123], 1.0
	v_fma_f64 v[138:139], -v[132:133], v[134:135], 1.0
	v_fmac_f64_e32 v[134:135], v[134:135], v[138:139]
	v_fma_f64 v[138:139], -v[132:133], v[134:135], 1.0
	v_fmac_f64_e32 v[134:135], v[134:135], v[138:139]
	v_mul_f64 v[138:139], v[136:137], v[134:135]
	v_fma_f64 v[132:133], -v[132:133], v[138:139], v[136:137]
	v_div_fmas_f64 v[132:133], v[132:133], v[134:135], v[138:139]
	v_div_fixup_f64 v[122:123], v[132:133], v[122:123], 1.0
; %bb.529:
	s_or_b64 exec, exec, s[0:1]
	v_cmp_ne_u32_e32 vcc, v127, v124
	s_and_saveexec_b64 s[0:1], vcc
	s_xor_b64 s[0:1], exec, s[0:1]
	s_cbranch_execz .LBB116_535
; %bb.530:
	v_cmp_eq_u32_e32 vcc, 31, v127
	s_and_saveexec_b64 s[2:3], vcc
	s_cbranch_execz .LBB116_534
; %bb.531:
	v_cmp_ne_u32_e32 vcc, 31, v124
	s_xor_b64 s[14:15], s[6:7], -1
	s_and_b64 s[16:17], s[14:15], vcc
	s_and_saveexec_b64 s[14:15], s[16:17]
	s_cbranch_execz .LBB116_533
; %bb.532:
	v_ashrrev_i32_e32 v125, 31, v124
	v_lshlrev_b64 v[132:133], 2, v[124:125]
	v_add_co_u32_e32 v132, vcc, v4, v132
	v_addc_co_u32_e32 v133, vcc, v5, v133, vcc
	flat_load_dword v125, v[132:133]
	flat_load_dword v127, v[4:5] offset:124
	s_waitcnt vmcnt(0) lgkmcnt(0)
	flat_store_dword v[4:5], v125 offset:124
	flat_store_dword v[132:133], v127
.LBB116_533:
	s_or_b64 exec, exec, s[14:15]
	v_mov_b32_e32 v125, v124
	v_mov_b32_e32 v127, v124
.LBB116_534:
	s_or_b64 exec, exec, s[2:3]
.LBB116_535:
	s_andn2_saveexec_b64 s[0:1], s[0:1]
	s_cbranch_execz .LBB116_537
; %bb.536:
	v_mov_b32_e32 v132, v54
	v_mov_b32_e32 v133, v55
	v_mov_b32_e32 v134, v52
	v_mov_b32_e32 v135, v53
	ds_write2_b64 v126, v[132:133], v[134:135] offset0:32 offset1:33
	v_mov_b32_e32 v132, v50
	v_mov_b32_e32 v133, v51
	v_mov_b32_e32 v134, v48
	v_mov_b32_e32 v135, v49
	ds_write2_b64 v126, v[132:133], v[134:135] offset0:34 offset1:35
	;; [unrolled: 5-line block ×12, first 2 shown]
	v_mov_b32_e32 v132, v6
	v_mov_b32_e32 v133, v7
	;; [unrolled: 1-line block ×5, first 2 shown]
	ds_write2_b64 v126, v[132:133], v[134:135] offset0:56 offset1:57
	ds_write_b64 v126, v[120:121] offset:464
.LBB116_537:
	s_or_b64 exec, exec, s[0:1]
	v_cmp_lt_i32_e32 vcc, 31, v127
	s_waitcnt lgkmcnt(0)
	s_barrier
	s_and_saveexec_b64 s[0:1], vcc
	s_cbranch_execz .LBB116_539
; %bb.538:
	ds_read2_b64 v[132:135], v126 offset0:32 offset1:33
	ds_read2_b64 v[136:139], v126 offset0:34 offset1:35
	v_mul_f64 v[56:57], v[122:123], v[56:57]
	ds_read2_b64 v[140:143], v126 offset0:36 offset1:37
	ds_read_b64 v[122:123], v126 offset:464
	s_waitcnt lgkmcnt(0)
	v_fma_f64 v[54:55], -v[56:57], v[132:133], v[54:55]
	v_fma_f64 v[52:53], -v[56:57], v[134:135], v[52:53]
	ds_read2_b64 v[132:135], v126 offset0:38 offset1:39
	v_fma_f64 v[50:51], -v[56:57], v[136:137], v[50:51]
	v_fma_f64 v[48:49], -v[56:57], v[138:139], v[48:49]
	;; [unrolled: 1-line block ×3, first 2 shown]
	ds_read2_b64 v[136:139], v126 offset0:40 offset1:41
	v_fma_f64 v[44:45], -v[56:57], v[142:143], v[44:45]
	ds_read2_b64 v[140:143], v126 offset0:42 offset1:43
	s_waitcnt lgkmcnt(0)
	v_fma_f64 v[42:43], -v[56:57], v[132:133], v[42:43]
	v_fma_f64 v[40:41], -v[56:57], v[134:135], v[40:41]
	ds_read2_b64 v[132:135], v126 offset0:44 offset1:45
	v_fma_f64 v[38:39], -v[56:57], v[136:137], v[38:39]
	v_fma_f64 v[36:37], -v[56:57], v[138:139], v[36:37]
	ds_read2_b64 v[136:139], v126 offset0:46 offset1:47
	v_fma_f64 v[34:35], -v[56:57], v[140:141], v[34:35]
	v_fma_f64 v[32:33], -v[56:57], v[142:143], v[32:33]
	s_waitcnt lgkmcnt(0)
	v_fma_f64 v[30:31], -v[56:57], v[132:133], v[30:31]
	ds_read2_b64 v[140:143], v126 offset0:48 offset1:49
	v_fma_f64 v[28:29], -v[56:57], v[134:135], v[28:29]
	ds_read2_b64 v[132:135], v126 offset0:50 offset1:51
	v_fma_f64 v[26:27], -v[56:57], v[136:137], v[26:27]
	v_fma_f64 v[24:25], -v[56:57], v[138:139], v[24:25]
	s_waitcnt lgkmcnt(0)
	v_fma_f64 v[22:23], -v[56:57], v[140:141], v[22:23]
	ds_read2_b64 v[136:139], v126 offset0:52 offset1:53
	v_fma_f64 v[20:21], -v[56:57], v[142:143], v[20:21]
	v_fma_f64 v[18:19], -v[56:57], v[132:133], v[18:19]
	;; [unrolled: 1-line block ×3, first 2 shown]
	ds_read2_b64 v[132:135], v126 offset0:54 offset1:55
	ds_read2_b64 v[140:143], v126 offset0:56 offset1:57
	s_waitcnt lgkmcnt(0)
	v_fma_f64 v[14:15], -v[56:57], v[136:137], v[14:15]
	v_fma_f64 v[12:13], -v[56:57], v[138:139], v[12:13]
	;; [unrolled: 1-line block ×7, first 2 shown]
.LBB116_539:
	s_or_b64 exec, exec, s[0:1]
	v_lshl_add_u32 v122, v127, 3, v126
	s_barrier
	ds_write_b64 v122, v[54:55]
	s_waitcnt lgkmcnt(0)
	s_barrier
	ds_read_b64 v[122:123], v126 offset:256
	s_cmp_lt_i32 s18, 34
	v_mov_b32_e32 v124, 32
	s_cbranch_scc1 .LBB116_542
; %bb.540:
	v_add_u32_e32 v131, 0x108, v126
	s_mov_b32 s0, 33
	v_mov_b32_e32 v124, 32
.LBB116_541:                            ; =>This Inner Loop Header: Depth=1
	ds_read_b64 v[132:133], v131
	v_mov_b32_e32 v134, s0
	s_add_i32 s0, s0, 1
	v_add_u32_e32 v131, 8, v131
	s_cmp_lg_u32 s18, s0
	s_waitcnt lgkmcnt(0)
	v_cmp_lt_f64_e64 vcc, |v[122:123]|, |v[132:133]|
	v_cndmask_b32_e32 v123, v123, v133, vcc
	v_cndmask_b32_e32 v122, v122, v132, vcc
	;; [unrolled: 1-line block ×3, first 2 shown]
	s_cbranch_scc1 .LBB116_541
.LBB116_542:
	s_waitcnt lgkmcnt(0)
	v_cmp_eq_f64_e32 vcc, 0, v[122:123]
	s_and_saveexec_b64 s[0:1], vcc
	s_xor_b64 s[0:1], exec, s[0:1]
; %bb.543:
	v_cmp_ne_u32_e32 vcc, 0, v130
	v_cndmask_b32_e32 v130, 33, v130, vcc
; %bb.544:
	s_andn2_saveexec_b64 s[0:1], s[0:1]
; %bb.545:
	v_div_scale_f64 v[132:133], s[2:3], v[122:123], v[122:123], 1.0
	v_rcp_f64_e32 v[134:135], v[132:133]
	v_div_scale_f64 v[136:137], vcc, 1.0, v[122:123], 1.0
	v_fma_f64 v[138:139], -v[132:133], v[134:135], 1.0
	v_fmac_f64_e32 v[134:135], v[134:135], v[138:139]
	v_fma_f64 v[138:139], -v[132:133], v[134:135], 1.0
	v_fmac_f64_e32 v[134:135], v[134:135], v[138:139]
	v_mul_f64 v[138:139], v[136:137], v[134:135]
	v_fma_f64 v[132:133], -v[132:133], v[138:139], v[136:137]
	v_div_fmas_f64 v[132:133], v[132:133], v[134:135], v[138:139]
	v_div_fixup_f64 v[122:123], v[132:133], v[122:123], 1.0
; %bb.546:
	s_or_b64 exec, exec, s[0:1]
	v_cmp_ne_u32_e32 vcc, v127, v124
	s_and_saveexec_b64 s[0:1], vcc
	s_xor_b64 s[0:1], exec, s[0:1]
	s_cbranch_execz .LBB116_552
; %bb.547:
	v_cmp_eq_u32_e32 vcc, 32, v127
	s_and_saveexec_b64 s[2:3], vcc
	s_cbranch_execz .LBB116_551
; %bb.548:
	v_cmp_ne_u32_e32 vcc, 32, v124
	s_xor_b64 s[14:15], s[6:7], -1
	s_and_b64 s[16:17], s[14:15], vcc
	s_and_saveexec_b64 s[14:15], s[16:17]
	s_cbranch_execz .LBB116_550
; %bb.549:
	v_ashrrev_i32_e32 v125, 31, v124
	v_lshlrev_b64 v[132:133], 2, v[124:125]
	v_add_co_u32_e32 v132, vcc, v4, v132
	v_addc_co_u32_e32 v133, vcc, v5, v133, vcc
	flat_load_dword v125, v[132:133]
	flat_load_dword v127, v[4:5] offset:128
	s_waitcnt vmcnt(0) lgkmcnt(0)
	flat_store_dword v[4:5], v125 offset:128
	flat_store_dword v[132:133], v127
.LBB116_550:
	s_or_b64 exec, exec, s[14:15]
	v_mov_b32_e32 v125, v124
	v_mov_b32_e32 v127, v124
.LBB116_551:
	s_or_b64 exec, exec, s[2:3]
.LBB116_552:
	s_andn2_saveexec_b64 s[0:1], s[0:1]
	s_cbranch_execz .LBB116_554
; %bb.553:
	v_mov_b32_e32 v127, 32
	ds_write2_b64 v126, v[52:53], v[50:51] offset0:33 offset1:34
	ds_write2_b64 v126, v[48:49], v[46:47] offset0:35 offset1:36
	;; [unrolled: 1-line block ×13, first 2 shown]
.LBB116_554:
	s_or_b64 exec, exec, s[0:1]
	v_cmp_lt_i32_e32 vcc, 32, v127
	s_waitcnt lgkmcnt(0)
	s_barrier
	s_and_saveexec_b64 s[0:1], vcc
	s_cbranch_execz .LBB116_556
; %bb.555:
	ds_read2_b64 v[132:135], v126 offset0:33 offset1:34
	ds_read2_b64 v[136:139], v126 offset0:35 offset1:36
	v_mul_f64 v[54:55], v[122:123], v[54:55]
	ds_read2_b64 v[140:143], v126 offset0:37 offset1:38
	s_waitcnt lgkmcnt(0)
	v_fma_f64 v[52:53], -v[54:55], v[132:133], v[52:53]
	v_fma_f64 v[50:51], -v[54:55], v[134:135], v[50:51]
	ds_read2_b64 v[132:135], v126 offset0:39 offset1:40
	v_fma_f64 v[48:49], -v[54:55], v[136:137], v[48:49]
	v_fma_f64 v[46:47], -v[54:55], v[138:139], v[46:47]
	;; [unrolled: 1-line block ×3, first 2 shown]
	ds_read2_b64 v[136:139], v126 offset0:41 offset1:42
	v_fma_f64 v[42:43], -v[54:55], v[142:143], v[42:43]
	ds_read2_b64 v[140:143], v126 offset0:43 offset1:44
	s_waitcnt lgkmcnt(0)
	v_fma_f64 v[40:41], -v[54:55], v[132:133], v[40:41]
	v_fma_f64 v[38:39], -v[54:55], v[134:135], v[38:39]
	ds_read2_b64 v[132:135], v126 offset0:45 offset1:46
	v_fma_f64 v[36:37], -v[54:55], v[136:137], v[36:37]
	v_fma_f64 v[34:35], -v[54:55], v[138:139], v[34:35]
	ds_read2_b64 v[136:139], v126 offset0:47 offset1:48
	v_fma_f64 v[32:33], -v[54:55], v[140:141], v[32:33]
	v_fma_f64 v[30:31], -v[54:55], v[142:143], v[30:31]
	s_waitcnt lgkmcnt(0)
	v_fma_f64 v[28:29], -v[54:55], v[132:133], v[28:29]
	ds_read2_b64 v[140:143], v126 offset0:49 offset1:50
	v_fma_f64 v[26:27], -v[54:55], v[134:135], v[26:27]
	ds_read2_b64 v[132:135], v126 offset0:51 offset1:52
	v_fma_f64 v[24:25], -v[54:55], v[136:137], v[24:25]
	v_fma_f64 v[22:23], -v[54:55], v[138:139], v[22:23]
	s_waitcnt lgkmcnt(0)
	v_fma_f64 v[20:21], -v[54:55], v[140:141], v[20:21]
	v_fma_f64 v[18:19], -v[54:55], v[142:143], v[18:19]
	ds_read2_b64 v[136:139], v126 offset0:53 offset1:54
	ds_read2_b64 v[140:143], v126 offset0:55 offset1:56
	v_fma_f64 v[16:17], -v[54:55], v[132:133], v[16:17]
	v_fma_f64 v[14:15], -v[54:55], v[134:135], v[14:15]
	ds_read2_b64 v[132:135], v126 offset0:57 offset1:58
	s_waitcnt lgkmcnt(0)
	v_fma_f64 v[12:13], -v[54:55], v[136:137], v[12:13]
	v_fma_f64 v[10:11], -v[54:55], v[138:139], v[10:11]
	;; [unrolled: 1-line block ×6, first 2 shown]
.LBB116_556:
	s_or_b64 exec, exec, s[0:1]
	v_lshl_add_u32 v122, v127, 3, v126
	s_barrier
	ds_write_b64 v122, v[52:53]
	s_waitcnt lgkmcnt(0)
	s_barrier
	ds_read_b64 v[122:123], v126 offset:264
	s_cmp_lt_i32 s18, 35
	v_mov_b32_e32 v124, 33
	s_cbranch_scc1 .LBB116_559
; %bb.557:
	v_add_u32_e32 v131, 0x110, v126
	s_mov_b32 s0, 34
	v_mov_b32_e32 v124, 33
.LBB116_558:                            ; =>This Inner Loop Header: Depth=1
	ds_read_b64 v[132:133], v131
	v_mov_b32_e32 v134, s0
	s_add_i32 s0, s0, 1
	v_add_u32_e32 v131, 8, v131
	s_cmp_lg_u32 s18, s0
	s_waitcnt lgkmcnt(0)
	v_cmp_lt_f64_e64 vcc, |v[122:123]|, |v[132:133]|
	v_cndmask_b32_e32 v123, v123, v133, vcc
	v_cndmask_b32_e32 v122, v122, v132, vcc
	;; [unrolled: 1-line block ×3, first 2 shown]
	s_cbranch_scc1 .LBB116_558
.LBB116_559:
	s_waitcnt lgkmcnt(0)
	v_cmp_eq_f64_e32 vcc, 0, v[122:123]
	s_and_saveexec_b64 s[0:1], vcc
	s_xor_b64 s[0:1], exec, s[0:1]
; %bb.560:
	v_cmp_ne_u32_e32 vcc, 0, v130
	v_cndmask_b32_e32 v130, 34, v130, vcc
; %bb.561:
	s_andn2_saveexec_b64 s[0:1], s[0:1]
; %bb.562:
	v_div_scale_f64 v[132:133], s[2:3], v[122:123], v[122:123], 1.0
	v_rcp_f64_e32 v[134:135], v[132:133]
	v_div_scale_f64 v[136:137], vcc, 1.0, v[122:123], 1.0
	v_fma_f64 v[138:139], -v[132:133], v[134:135], 1.0
	v_fmac_f64_e32 v[134:135], v[134:135], v[138:139]
	v_fma_f64 v[138:139], -v[132:133], v[134:135], 1.0
	v_fmac_f64_e32 v[134:135], v[134:135], v[138:139]
	v_mul_f64 v[138:139], v[136:137], v[134:135]
	v_fma_f64 v[132:133], -v[132:133], v[138:139], v[136:137]
	v_div_fmas_f64 v[132:133], v[132:133], v[134:135], v[138:139]
	v_div_fixup_f64 v[122:123], v[132:133], v[122:123], 1.0
; %bb.563:
	s_or_b64 exec, exec, s[0:1]
	v_cmp_ne_u32_e32 vcc, v127, v124
	s_and_saveexec_b64 s[0:1], vcc
	s_xor_b64 s[0:1], exec, s[0:1]
	s_cbranch_execz .LBB116_569
; %bb.564:
	v_cmp_eq_u32_e32 vcc, 33, v127
	s_and_saveexec_b64 s[2:3], vcc
	s_cbranch_execz .LBB116_568
; %bb.565:
	v_cmp_ne_u32_e32 vcc, 33, v124
	s_xor_b64 s[14:15], s[6:7], -1
	s_and_b64 s[16:17], s[14:15], vcc
	s_and_saveexec_b64 s[14:15], s[16:17]
	s_cbranch_execz .LBB116_567
; %bb.566:
	v_ashrrev_i32_e32 v125, 31, v124
	v_lshlrev_b64 v[132:133], 2, v[124:125]
	v_add_co_u32_e32 v132, vcc, v4, v132
	v_addc_co_u32_e32 v133, vcc, v5, v133, vcc
	flat_load_dword v125, v[132:133]
	flat_load_dword v127, v[4:5] offset:132
	s_waitcnt vmcnt(0) lgkmcnt(0)
	flat_store_dword v[4:5], v125 offset:132
	flat_store_dword v[132:133], v127
.LBB116_567:
	s_or_b64 exec, exec, s[14:15]
	v_mov_b32_e32 v125, v124
	v_mov_b32_e32 v127, v124
.LBB116_568:
	s_or_b64 exec, exec, s[2:3]
.LBB116_569:
	s_andn2_saveexec_b64 s[0:1], s[0:1]
	s_cbranch_execz .LBB116_571
; %bb.570:
	v_mov_b32_e32 v132, v50
	v_mov_b32_e32 v133, v51
	v_mov_b32_e32 v134, v48
	v_mov_b32_e32 v135, v49
	ds_write2_b64 v126, v[132:133], v[134:135] offset0:34 offset1:35
	v_mov_b32_e32 v132, v46
	v_mov_b32_e32 v133, v47
	v_mov_b32_e32 v134, v44
	v_mov_b32_e32 v135, v45
	ds_write2_b64 v126, v[132:133], v[134:135] offset0:36 offset1:37
	;; [unrolled: 5-line block ×11, first 2 shown]
	v_mov_b32_e32 v132, v6
	v_mov_b32_e32 v133, v7
	;; [unrolled: 1-line block ×5, first 2 shown]
	ds_write2_b64 v126, v[132:133], v[134:135] offset0:56 offset1:57
	ds_write_b64 v126, v[120:121] offset:464
.LBB116_571:
	s_or_b64 exec, exec, s[0:1]
	v_cmp_lt_i32_e32 vcc, 33, v127
	s_waitcnt lgkmcnt(0)
	s_barrier
	s_and_saveexec_b64 s[0:1], vcc
	s_cbranch_execz .LBB116_573
; %bb.572:
	ds_read2_b64 v[132:135], v126 offset0:34 offset1:35
	ds_read2_b64 v[136:139], v126 offset0:36 offset1:37
	;; [unrolled: 1-line block ×3, first 2 shown]
	v_mul_f64 v[52:53], v[122:123], v[52:53]
	ds_read_b64 v[122:123], v126 offset:464
	s_waitcnt lgkmcnt(0)
	v_fma_f64 v[50:51], -v[52:53], v[132:133], v[50:51]
	v_fma_f64 v[48:49], -v[52:53], v[134:135], v[48:49]
	ds_read2_b64 v[132:135], v126 offset0:40 offset1:41
	v_fma_f64 v[46:47], -v[52:53], v[136:137], v[46:47]
	v_fma_f64 v[44:45], -v[52:53], v[138:139], v[44:45]
	v_fma_f64 v[42:43], -v[52:53], v[140:141], v[42:43]
	ds_read2_b64 v[136:139], v126 offset0:42 offset1:43
	v_fma_f64 v[40:41], -v[52:53], v[142:143], v[40:41]
	ds_read2_b64 v[140:143], v126 offset0:44 offset1:45
	s_waitcnt lgkmcnt(0)
	v_fma_f64 v[38:39], -v[52:53], v[132:133], v[38:39]
	v_fma_f64 v[36:37], -v[52:53], v[134:135], v[36:37]
	;; [unrolled: 1-line block ×3, first 2 shown]
	ds_read2_b64 v[132:135], v126 offset0:46 offset1:47
	v_fma_f64 v[32:33], -v[52:53], v[138:139], v[32:33]
	ds_read2_b64 v[136:139], v126 offset0:48 offset1:49
	v_fma_f64 v[30:31], -v[52:53], v[140:141], v[30:31]
	v_fma_f64 v[28:29], -v[52:53], v[142:143], v[28:29]
	ds_read2_b64 v[140:143], v126 offset0:50 offset1:51
	s_waitcnt lgkmcnt(0)
	v_fma_f64 v[26:27], -v[52:53], v[132:133], v[26:27]
	v_fma_f64 v[24:25], -v[52:53], v[134:135], v[24:25]
	ds_read2_b64 v[132:135], v126 offset0:52 offset1:53
	v_fma_f64 v[22:23], -v[52:53], v[136:137], v[22:23]
	v_fma_f64 v[20:21], -v[52:53], v[138:139], v[20:21]
	v_fma_f64 v[18:19], -v[52:53], v[140:141], v[18:19]
	v_fma_f64 v[16:17], -v[52:53], v[142:143], v[16:17]
	ds_read2_b64 v[136:139], v126 offset0:54 offset1:55
	ds_read2_b64 v[140:143], v126 offset0:56 offset1:57
	s_waitcnt lgkmcnt(0)
	v_fma_f64 v[14:15], -v[52:53], v[132:133], v[14:15]
	v_fma_f64 v[12:13], -v[52:53], v[134:135], v[12:13]
	;; [unrolled: 1-line block ×7, first 2 shown]
.LBB116_573:
	s_or_b64 exec, exec, s[0:1]
	v_lshl_add_u32 v122, v127, 3, v126
	s_barrier
	ds_write_b64 v122, v[50:51]
	s_waitcnt lgkmcnt(0)
	s_barrier
	ds_read_b64 v[122:123], v126 offset:272
	s_cmp_lt_i32 s18, 36
	v_mov_b32_e32 v124, 34
	s_cbranch_scc1 .LBB116_576
; %bb.574:
	v_add_u32_e32 v131, 0x118, v126
	s_mov_b32 s0, 35
	v_mov_b32_e32 v124, 34
.LBB116_575:                            ; =>This Inner Loop Header: Depth=1
	ds_read_b64 v[132:133], v131
	v_mov_b32_e32 v134, s0
	s_add_i32 s0, s0, 1
	v_add_u32_e32 v131, 8, v131
	s_cmp_lg_u32 s18, s0
	s_waitcnt lgkmcnt(0)
	v_cmp_lt_f64_e64 vcc, |v[122:123]|, |v[132:133]|
	v_cndmask_b32_e32 v123, v123, v133, vcc
	v_cndmask_b32_e32 v122, v122, v132, vcc
	;; [unrolled: 1-line block ×3, first 2 shown]
	s_cbranch_scc1 .LBB116_575
.LBB116_576:
	s_waitcnt lgkmcnt(0)
	v_cmp_eq_f64_e32 vcc, 0, v[122:123]
	s_and_saveexec_b64 s[0:1], vcc
	s_xor_b64 s[0:1], exec, s[0:1]
; %bb.577:
	v_cmp_ne_u32_e32 vcc, 0, v130
	v_cndmask_b32_e32 v130, 35, v130, vcc
; %bb.578:
	s_andn2_saveexec_b64 s[0:1], s[0:1]
; %bb.579:
	v_div_scale_f64 v[132:133], s[2:3], v[122:123], v[122:123], 1.0
	v_rcp_f64_e32 v[134:135], v[132:133]
	v_div_scale_f64 v[136:137], vcc, 1.0, v[122:123], 1.0
	v_fma_f64 v[138:139], -v[132:133], v[134:135], 1.0
	v_fmac_f64_e32 v[134:135], v[134:135], v[138:139]
	v_fma_f64 v[138:139], -v[132:133], v[134:135], 1.0
	v_fmac_f64_e32 v[134:135], v[134:135], v[138:139]
	v_mul_f64 v[138:139], v[136:137], v[134:135]
	v_fma_f64 v[132:133], -v[132:133], v[138:139], v[136:137]
	v_div_fmas_f64 v[132:133], v[132:133], v[134:135], v[138:139]
	v_div_fixup_f64 v[122:123], v[132:133], v[122:123], 1.0
; %bb.580:
	s_or_b64 exec, exec, s[0:1]
	v_cmp_ne_u32_e32 vcc, v127, v124
	s_and_saveexec_b64 s[0:1], vcc
	s_xor_b64 s[0:1], exec, s[0:1]
	s_cbranch_execz .LBB116_586
; %bb.581:
	v_cmp_eq_u32_e32 vcc, 34, v127
	s_and_saveexec_b64 s[2:3], vcc
	s_cbranch_execz .LBB116_585
; %bb.582:
	v_cmp_ne_u32_e32 vcc, 34, v124
	s_xor_b64 s[14:15], s[6:7], -1
	s_and_b64 s[16:17], s[14:15], vcc
	s_and_saveexec_b64 s[14:15], s[16:17]
	s_cbranch_execz .LBB116_584
; %bb.583:
	v_ashrrev_i32_e32 v125, 31, v124
	v_lshlrev_b64 v[132:133], 2, v[124:125]
	v_add_co_u32_e32 v132, vcc, v4, v132
	v_addc_co_u32_e32 v133, vcc, v5, v133, vcc
	flat_load_dword v125, v[132:133]
	flat_load_dword v127, v[4:5] offset:136
	s_waitcnt vmcnt(0) lgkmcnt(0)
	flat_store_dword v[4:5], v125 offset:136
	flat_store_dword v[132:133], v127
.LBB116_584:
	s_or_b64 exec, exec, s[14:15]
	v_mov_b32_e32 v125, v124
	v_mov_b32_e32 v127, v124
.LBB116_585:
	s_or_b64 exec, exec, s[2:3]
.LBB116_586:
	s_andn2_saveexec_b64 s[0:1], s[0:1]
	s_cbranch_execz .LBB116_588
; %bb.587:
	v_mov_b32_e32 v127, 34
	ds_write2_b64 v126, v[48:49], v[46:47] offset0:35 offset1:36
	ds_write2_b64 v126, v[44:45], v[42:43] offset0:37 offset1:38
	;; [unrolled: 1-line block ×12, first 2 shown]
.LBB116_588:
	s_or_b64 exec, exec, s[0:1]
	v_cmp_lt_i32_e32 vcc, 34, v127
	s_waitcnt lgkmcnt(0)
	s_barrier
	s_and_saveexec_b64 s[0:1], vcc
	s_cbranch_execz .LBB116_590
; %bb.589:
	ds_read2_b64 v[132:135], v126 offset0:35 offset1:36
	ds_read2_b64 v[136:139], v126 offset0:37 offset1:38
	;; [unrolled: 1-line block ×3, first 2 shown]
	v_mul_f64 v[50:51], v[122:123], v[50:51]
	s_waitcnt lgkmcnt(0)
	v_fma_f64 v[48:49], -v[50:51], v[132:133], v[48:49]
	v_fma_f64 v[46:47], -v[50:51], v[134:135], v[46:47]
	ds_read2_b64 v[132:135], v126 offset0:41 offset1:42
	v_fma_f64 v[44:45], -v[50:51], v[136:137], v[44:45]
	v_fma_f64 v[42:43], -v[50:51], v[138:139], v[42:43]
	;; [unrolled: 1-line block ×3, first 2 shown]
	ds_read2_b64 v[136:139], v126 offset0:43 offset1:44
	v_fma_f64 v[38:39], -v[50:51], v[142:143], v[38:39]
	ds_read2_b64 v[140:143], v126 offset0:45 offset1:46
	s_waitcnt lgkmcnt(0)
	v_fma_f64 v[36:37], -v[50:51], v[132:133], v[36:37]
	v_fma_f64 v[34:35], -v[50:51], v[134:135], v[34:35]
	;; [unrolled: 1-line block ×3, first 2 shown]
	ds_read2_b64 v[132:135], v126 offset0:47 offset1:48
	v_fma_f64 v[30:31], -v[50:51], v[138:139], v[30:31]
	ds_read2_b64 v[136:139], v126 offset0:49 offset1:50
	v_fma_f64 v[28:29], -v[50:51], v[140:141], v[28:29]
	v_fma_f64 v[26:27], -v[50:51], v[142:143], v[26:27]
	ds_read2_b64 v[140:143], v126 offset0:51 offset1:52
	s_waitcnt lgkmcnt(0)
	v_fma_f64 v[24:25], -v[50:51], v[132:133], v[24:25]
	v_fma_f64 v[22:23], -v[50:51], v[134:135], v[22:23]
	ds_read2_b64 v[132:135], v126 offset0:53 offset1:54
	v_fma_f64 v[20:21], -v[50:51], v[136:137], v[20:21]
	v_fma_f64 v[18:19], -v[50:51], v[138:139], v[18:19]
	;; [unrolled: 1-line block ×3, first 2 shown]
	ds_read2_b64 v[136:139], v126 offset0:55 offset1:56
	v_fma_f64 v[14:15], -v[50:51], v[142:143], v[14:15]
	ds_read2_b64 v[140:143], v126 offset0:57 offset1:58
	s_waitcnt lgkmcnt(0)
	v_fma_f64 v[12:13], -v[50:51], v[132:133], v[12:13]
	v_fma_f64 v[10:11], -v[50:51], v[134:135], v[10:11]
	v_fma_f64 v[8:9], -v[50:51], v[136:137], v[8:9]
	v_fma_f64 v[6:7], -v[50:51], v[138:139], v[6:7]
	v_fma_f64 v[0:1], -v[50:51], v[140:141], v[0:1]
	v_fma_f64 v[120:121], -v[50:51], v[142:143], v[120:121]
.LBB116_590:
	s_or_b64 exec, exec, s[0:1]
	v_lshl_add_u32 v122, v127, 3, v126
	s_barrier
	ds_write_b64 v122, v[48:49]
	s_waitcnt lgkmcnt(0)
	s_barrier
	ds_read_b64 v[122:123], v126 offset:280
	s_cmp_lt_i32 s18, 37
	v_mov_b32_e32 v124, 35
	s_cbranch_scc1 .LBB116_593
; %bb.591:
	v_add_u32_e32 v131, 0x120, v126
	s_mov_b32 s0, 36
	v_mov_b32_e32 v124, 35
.LBB116_592:                            ; =>This Inner Loop Header: Depth=1
	ds_read_b64 v[132:133], v131
	v_mov_b32_e32 v134, s0
	s_add_i32 s0, s0, 1
	v_add_u32_e32 v131, 8, v131
	s_cmp_lg_u32 s18, s0
	s_waitcnt lgkmcnt(0)
	v_cmp_lt_f64_e64 vcc, |v[122:123]|, |v[132:133]|
	v_cndmask_b32_e32 v123, v123, v133, vcc
	v_cndmask_b32_e32 v122, v122, v132, vcc
	;; [unrolled: 1-line block ×3, first 2 shown]
	s_cbranch_scc1 .LBB116_592
.LBB116_593:
	s_waitcnt lgkmcnt(0)
	v_cmp_eq_f64_e32 vcc, 0, v[122:123]
	s_and_saveexec_b64 s[0:1], vcc
	s_xor_b64 s[0:1], exec, s[0:1]
; %bb.594:
	v_cmp_ne_u32_e32 vcc, 0, v130
	v_cndmask_b32_e32 v130, 36, v130, vcc
; %bb.595:
	s_andn2_saveexec_b64 s[0:1], s[0:1]
; %bb.596:
	v_div_scale_f64 v[132:133], s[2:3], v[122:123], v[122:123], 1.0
	v_rcp_f64_e32 v[134:135], v[132:133]
	v_div_scale_f64 v[136:137], vcc, 1.0, v[122:123], 1.0
	v_fma_f64 v[138:139], -v[132:133], v[134:135], 1.0
	v_fmac_f64_e32 v[134:135], v[134:135], v[138:139]
	v_fma_f64 v[138:139], -v[132:133], v[134:135], 1.0
	v_fmac_f64_e32 v[134:135], v[134:135], v[138:139]
	v_mul_f64 v[138:139], v[136:137], v[134:135]
	v_fma_f64 v[132:133], -v[132:133], v[138:139], v[136:137]
	v_div_fmas_f64 v[132:133], v[132:133], v[134:135], v[138:139]
	v_div_fixup_f64 v[122:123], v[132:133], v[122:123], 1.0
; %bb.597:
	s_or_b64 exec, exec, s[0:1]
	v_cmp_ne_u32_e32 vcc, v127, v124
	s_and_saveexec_b64 s[0:1], vcc
	s_xor_b64 s[0:1], exec, s[0:1]
	s_cbranch_execz .LBB116_603
; %bb.598:
	v_cmp_eq_u32_e32 vcc, 35, v127
	s_and_saveexec_b64 s[2:3], vcc
	s_cbranch_execz .LBB116_602
; %bb.599:
	v_cmp_ne_u32_e32 vcc, 35, v124
	s_xor_b64 s[14:15], s[6:7], -1
	s_and_b64 s[16:17], s[14:15], vcc
	s_and_saveexec_b64 s[14:15], s[16:17]
	s_cbranch_execz .LBB116_601
; %bb.600:
	v_ashrrev_i32_e32 v125, 31, v124
	v_lshlrev_b64 v[132:133], 2, v[124:125]
	v_add_co_u32_e32 v132, vcc, v4, v132
	v_addc_co_u32_e32 v133, vcc, v5, v133, vcc
	flat_load_dword v125, v[132:133]
	flat_load_dword v127, v[4:5] offset:140
	s_waitcnt vmcnt(0) lgkmcnt(0)
	flat_store_dword v[4:5], v125 offset:140
	flat_store_dword v[132:133], v127
.LBB116_601:
	s_or_b64 exec, exec, s[14:15]
	v_mov_b32_e32 v125, v124
	v_mov_b32_e32 v127, v124
.LBB116_602:
	s_or_b64 exec, exec, s[2:3]
.LBB116_603:
	s_andn2_saveexec_b64 s[0:1], s[0:1]
	s_cbranch_execz .LBB116_605
; %bb.604:
	v_mov_b32_e32 v132, v46
	v_mov_b32_e32 v133, v47
	v_mov_b32_e32 v134, v44
	v_mov_b32_e32 v135, v45
	ds_write2_b64 v126, v[132:133], v[134:135] offset0:36 offset1:37
	v_mov_b32_e32 v132, v42
	v_mov_b32_e32 v133, v43
	v_mov_b32_e32 v134, v40
	v_mov_b32_e32 v135, v41
	ds_write2_b64 v126, v[132:133], v[134:135] offset0:38 offset1:39
	;; [unrolled: 5-line block ×10, first 2 shown]
	v_mov_b32_e32 v132, v6
	v_mov_b32_e32 v133, v7
	;; [unrolled: 1-line block ×5, first 2 shown]
	ds_write2_b64 v126, v[132:133], v[134:135] offset0:56 offset1:57
	ds_write_b64 v126, v[120:121] offset:464
.LBB116_605:
	s_or_b64 exec, exec, s[0:1]
	v_cmp_lt_i32_e32 vcc, 35, v127
	s_waitcnt lgkmcnt(0)
	s_barrier
	s_and_saveexec_b64 s[0:1], vcc
	s_cbranch_execz .LBB116_607
; %bb.606:
	ds_read2_b64 v[132:135], v126 offset0:36 offset1:37
	ds_read2_b64 v[136:139], v126 offset0:38 offset1:39
	v_mul_f64 v[48:49], v[122:123], v[48:49]
	ds_read2_b64 v[140:143], v126 offset0:40 offset1:41
	ds_read_b64 v[122:123], v126 offset:464
	s_waitcnt lgkmcnt(0)
	v_fma_f64 v[46:47], -v[48:49], v[132:133], v[46:47]
	v_fma_f64 v[44:45], -v[48:49], v[134:135], v[44:45]
	ds_read2_b64 v[132:135], v126 offset0:42 offset1:43
	v_fma_f64 v[42:43], -v[48:49], v[136:137], v[42:43]
	v_fma_f64 v[40:41], -v[48:49], v[138:139], v[40:41]
	ds_read2_b64 v[136:139], v126 offset0:44 offset1:45
	;; [unrolled: 3-line block ×3, first 2 shown]
	s_waitcnt lgkmcnt(0)
	v_fma_f64 v[34:35], -v[48:49], v[132:133], v[34:35]
	v_fma_f64 v[32:33], -v[48:49], v[134:135], v[32:33]
	;; [unrolled: 1-line block ×3, first 2 shown]
	ds_read2_b64 v[132:135], v126 offset0:48 offset1:49
	v_fma_f64 v[28:29], -v[48:49], v[138:139], v[28:29]
	ds_read2_b64 v[136:139], v126 offset0:50 offset1:51
	v_fma_f64 v[26:27], -v[48:49], v[140:141], v[26:27]
	v_fma_f64 v[24:25], -v[48:49], v[142:143], v[24:25]
	s_waitcnt lgkmcnt(0)
	v_fma_f64 v[22:23], -v[48:49], v[132:133], v[22:23]
	ds_read2_b64 v[140:143], v126 offset0:52 offset1:53
	v_fma_f64 v[20:21], -v[48:49], v[134:135], v[20:21]
	ds_read2_b64 v[132:135], v126 offset0:54 offset1:55
	v_fma_f64 v[18:19], -v[48:49], v[136:137], v[18:19]
	v_fma_f64 v[16:17], -v[48:49], v[138:139], v[16:17]
	ds_read2_b64 v[136:139], v126 offset0:56 offset1:57
	s_waitcnt lgkmcnt(0)
	v_fma_f64 v[14:15], -v[48:49], v[140:141], v[14:15]
	v_fma_f64 v[12:13], -v[48:49], v[142:143], v[12:13]
	;; [unrolled: 1-line block ×7, first 2 shown]
.LBB116_607:
	s_or_b64 exec, exec, s[0:1]
	v_lshl_add_u32 v122, v127, 3, v126
	s_barrier
	ds_write_b64 v122, v[46:47]
	s_waitcnt lgkmcnt(0)
	s_barrier
	ds_read_b64 v[122:123], v126 offset:288
	s_cmp_lt_i32 s18, 38
	v_mov_b32_e32 v124, 36
	s_cbranch_scc1 .LBB116_610
; %bb.608:
	v_add_u32_e32 v131, 0x128, v126
	s_mov_b32 s0, 37
	v_mov_b32_e32 v124, 36
.LBB116_609:                            ; =>This Inner Loop Header: Depth=1
	ds_read_b64 v[132:133], v131
	v_mov_b32_e32 v134, s0
	s_add_i32 s0, s0, 1
	v_add_u32_e32 v131, 8, v131
	s_cmp_lg_u32 s18, s0
	s_waitcnt lgkmcnt(0)
	v_cmp_lt_f64_e64 vcc, |v[122:123]|, |v[132:133]|
	v_cndmask_b32_e32 v123, v123, v133, vcc
	v_cndmask_b32_e32 v122, v122, v132, vcc
	;; [unrolled: 1-line block ×3, first 2 shown]
	s_cbranch_scc1 .LBB116_609
.LBB116_610:
	s_waitcnt lgkmcnt(0)
	v_cmp_eq_f64_e32 vcc, 0, v[122:123]
	s_and_saveexec_b64 s[0:1], vcc
	s_xor_b64 s[0:1], exec, s[0:1]
; %bb.611:
	v_cmp_ne_u32_e32 vcc, 0, v130
	v_cndmask_b32_e32 v130, 37, v130, vcc
; %bb.612:
	s_andn2_saveexec_b64 s[0:1], s[0:1]
; %bb.613:
	v_div_scale_f64 v[132:133], s[2:3], v[122:123], v[122:123], 1.0
	v_rcp_f64_e32 v[134:135], v[132:133]
	v_div_scale_f64 v[136:137], vcc, 1.0, v[122:123], 1.0
	v_fma_f64 v[138:139], -v[132:133], v[134:135], 1.0
	v_fmac_f64_e32 v[134:135], v[134:135], v[138:139]
	v_fma_f64 v[138:139], -v[132:133], v[134:135], 1.0
	v_fmac_f64_e32 v[134:135], v[134:135], v[138:139]
	v_mul_f64 v[138:139], v[136:137], v[134:135]
	v_fma_f64 v[132:133], -v[132:133], v[138:139], v[136:137]
	v_div_fmas_f64 v[132:133], v[132:133], v[134:135], v[138:139]
	v_div_fixup_f64 v[122:123], v[132:133], v[122:123], 1.0
; %bb.614:
	s_or_b64 exec, exec, s[0:1]
	v_cmp_ne_u32_e32 vcc, v127, v124
	s_and_saveexec_b64 s[0:1], vcc
	s_xor_b64 s[0:1], exec, s[0:1]
	s_cbranch_execz .LBB116_620
; %bb.615:
	v_cmp_eq_u32_e32 vcc, 36, v127
	s_and_saveexec_b64 s[2:3], vcc
	s_cbranch_execz .LBB116_619
; %bb.616:
	v_cmp_ne_u32_e32 vcc, 36, v124
	s_xor_b64 s[14:15], s[6:7], -1
	s_and_b64 s[16:17], s[14:15], vcc
	s_and_saveexec_b64 s[14:15], s[16:17]
	s_cbranch_execz .LBB116_618
; %bb.617:
	v_ashrrev_i32_e32 v125, 31, v124
	v_lshlrev_b64 v[132:133], 2, v[124:125]
	v_add_co_u32_e32 v132, vcc, v4, v132
	v_addc_co_u32_e32 v133, vcc, v5, v133, vcc
	flat_load_dword v125, v[132:133]
	flat_load_dword v127, v[4:5] offset:144
	s_waitcnt vmcnt(0) lgkmcnt(0)
	flat_store_dword v[4:5], v125 offset:144
	flat_store_dword v[132:133], v127
.LBB116_618:
	s_or_b64 exec, exec, s[14:15]
	v_mov_b32_e32 v125, v124
	v_mov_b32_e32 v127, v124
.LBB116_619:
	s_or_b64 exec, exec, s[2:3]
.LBB116_620:
	s_andn2_saveexec_b64 s[0:1], s[0:1]
	s_cbranch_execz .LBB116_622
; %bb.621:
	v_mov_b32_e32 v127, 36
	ds_write2_b64 v126, v[44:45], v[42:43] offset0:37 offset1:38
	ds_write2_b64 v126, v[40:41], v[38:39] offset0:39 offset1:40
	;; [unrolled: 1-line block ×11, first 2 shown]
.LBB116_622:
	s_or_b64 exec, exec, s[0:1]
	v_cmp_lt_i32_e32 vcc, 36, v127
	s_waitcnt lgkmcnt(0)
	s_barrier
	s_and_saveexec_b64 s[0:1], vcc
	s_cbranch_execz .LBB116_624
; %bb.623:
	ds_read2_b64 v[132:135], v126 offset0:37 offset1:38
	ds_read2_b64 v[136:139], v126 offset0:39 offset1:40
	v_mul_f64 v[46:47], v[122:123], v[46:47]
	ds_read2_b64 v[140:143], v126 offset0:41 offset1:42
	s_waitcnt lgkmcnt(0)
	v_fma_f64 v[44:45], -v[46:47], v[132:133], v[44:45]
	v_fma_f64 v[42:43], -v[46:47], v[134:135], v[42:43]
	ds_read2_b64 v[132:135], v126 offset0:43 offset1:44
	v_fma_f64 v[40:41], -v[46:47], v[136:137], v[40:41]
	v_fma_f64 v[38:39], -v[46:47], v[138:139], v[38:39]
	ds_read2_b64 v[136:139], v126 offset0:45 offset1:46
	;; [unrolled: 3-line block ×3, first 2 shown]
	s_waitcnt lgkmcnt(0)
	v_fma_f64 v[32:33], -v[46:47], v[132:133], v[32:33]
	v_fma_f64 v[30:31], -v[46:47], v[134:135], v[30:31]
	;; [unrolled: 1-line block ×3, first 2 shown]
	ds_read2_b64 v[132:135], v126 offset0:49 offset1:50
	v_fma_f64 v[26:27], -v[46:47], v[138:139], v[26:27]
	ds_read2_b64 v[136:139], v126 offset0:51 offset1:52
	v_fma_f64 v[24:25], -v[46:47], v[140:141], v[24:25]
	v_fma_f64 v[22:23], -v[46:47], v[142:143], v[22:23]
	s_waitcnt lgkmcnt(0)
	v_fma_f64 v[20:21], -v[46:47], v[132:133], v[20:21]
	v_fma_f64 v[18:19], -v[46:47], v[134:135], v[18:19]
	ds_read2_b64 v[132:135], v126 offset0:53 offset1:54
	ds_read2_b64 v[140:143], v126 offset0:55 offset1:56
	v_fma_f64 v[16:17], -v[46:47], v[136:137], v[16:17]
	v_fma_f64 v[14:15], -v[46:47], v[138:139], v[14:15]
	ds_read2_b64 v[136:139], v126 offset0:57 offset1:58
	s_waitcnt lgkmcnt(0)
	v_fma_f64 v[12:13], -v[46:47], v[132:133], v[12:13]
	v_fma_f64 v[10:11], -v[46:47], v[134:135], v[10:11]
	;; [unrolled: 1-line block ×6, first 2 shown]
.LBB116_624:
	s_or_b64 exec, exec, s[0:1]
	v_lshl_add_u32 v122, v127, 3, v126
	s_barrier
	ds_write_b64 v122, v[44:45]
	s_waitcnt lgkmcnt(0)
	s_barrier
	ds_read_b64 v[122:123], v126 offset:296
	s_cmp_lt_i32 s18, 39
	v_mov_b32_e32 v124, 37
	s_cbranch_scc1 .LBB116_627
; %bb.625:
	v_add_u32_e32 v131, 0x130, v126
	s_mov_b32 s0, 38
	v_mov_b32_e32 v124, 37
.LBB116_626:                            ; =>This Inner Loop Header: Depth=1
	ds_read_b64 v[132:133], v131
	v_mov_b32_e32 v134, s0
	s_add_i32 s0, s0, 1
	v_add_u32_e32 v131, 8, v131
	s_cmp_lg_u32 s18, s0
	s_waitcnt lgkmcnt(0)
	v_cmp_lt_f64_e64 vcc, |v[122:123]|, |v[132:133]|
	v_cndmask_b32_e32 v123, v123, v133, vcc
	v_cndmask_b32_e32 v122, v122, v132, vcc
	;; [unrolled: 1-line block ×3, first 2 shown]
	s_cbranch_scc1 .LBB116_626
.LBB116_627:
	s_waitcnt lgkmcnt(0)
	v_cmp_eq_f64_e32 vcc, 0, v[122:123]
	s_and_saveexec_b64 s[0:1], vcc
	s_xor_b64 s[0:1], exec, s[0:1]
; %bb.628:
	v_cmp_ne_u32_e32 vcc, 0, v130
	v_cndmask_b32_e32 v130, 38, v130, vcc
; %bb.629:
	s_andn2_saveexec_b64 s[0:1], s[0:1]
; %bb.630:
	v_div_scale_f64 v[132:133], s[2:3], v[122:123], v[122:123], 1.0
	v_rcp_f64_e32 v[134:135], v[132:133]
	v_div_scale_f64 v[136:137], vcc, 1.0, v[122:123], 1.0
	v_fma_f64 v[138:139], -v[132:133], v[134:135], 1.0
	v_fmac_f64_e32 v[134:135], v[134:135], v[138:139]
	v_fma_f64 v[138:139], -v[132:133], v[134:135], 1.0
	v_fmac_f64_e32 v[134:135], v[134:135], v[138:139]
	v_mul_f64 v[138:139], v[136:137], v[134:135]
	v_fma_f64 v[132:133], -v[132:133], v[138:139], v[136:137]
	v_div_fmas_f64 v[132:133], v[132:133], v[134:135], v[138:139]
	v_div_fixup_f64 v[122:123], v[132:133], v[122:123], 1.0
; %bb.631:
	s_or_b64 exec, exec, s[0:1]
	v_cmp_ne_u32_e32 vcc, v127, v124
	s_and_saveexec_b64 s[0:1], vcc
	s_xor_b64 s[0:1], exec, s[0:1]
	s_cbranch_execz .LBB116_637
; %bb.632:
	v_cmp_eq_u32_e32 vcc, 37, v127
	s_and_saveexec_b64 s[2:3], vcc
	s_cbranch_execz .LBB116_636
; %bb.633:
	v_cmp_ne_u32_e32 vcc, 37, v124
	s_xor_b64 s[14:15], s[6:7], -1
	s_and_b64 s[16:17], s[14:15], vcc
	s_and_saveexec_b64 s[14:15], s[16:17]
	s_cbranch_execz .LBB116_635
; %bb.634:
	v_ashrrev_i32_e32 v125, 31, v124
	v_lshlrev_b64 v[132:133], 2, v[124:125]
	v_add_co_u32_e32 v132, vcc, v4, v132
	v_addc_co_u32_e32 v133, vcc, v5, v133, vcc
	flat_load_dword v125, v[132:133]
	flat_load_dword v127, v[4:5] offset:148
	s_waitcnt vmcnt(0) lgkmcnt(0)
	flat_store_dword v[4:5], v125 offset:148
	flat_store_dword v[132:133], v127
.LBB116_635:
	s_or_b64 exec, exec, s[14:15]
	v_mov_b32_e32 v125, v124
	v_mov_b32_e32 v127, v124
.LBB116_636:
	s_or_b64 exec, exec, s[2:3]
.LBB116_637:
	s_andn2_saveexec_b64 s[0:1], s[0:1]
	s_cbranch_execz .LBB116_639
; %bb.638:
	v_mov_b32_e32 v132, v42
	v_mov_b32_e32 v133, v43
	v_mov_b32_e32 v134, v40
	v_mov_b32_e32 v135, v41
	ds_write2_b64 v126, v[132:133], v[134:135] offset0:38 offset1:39
	v_mov_b32_e32 v132, v38
	v_mov_b32_e32 v133, v39
	v_mov_b32_e32 v134, v36
	v_mov_b32_e32 v135, v37
	ds_write2_b64 v126, v[132:133], v[134:135] offset0:40 offset1:41
	;; [unrolled: 5-line block ×9, first 2 shown]
	v_mov_b32_e32 v132, v6
	v_mov_b32_e32 v133, v7
	;; [unrolled: 1-line block ×5, first 2 shown]
	ds_write2_b64 v126, v[132:133], v[134:135] offset0:56 offset1:57
	ds_write_b64 v126, v[120:121] offset:464
.LBB116_639:
	s_or_b64 exec, exec, s[0:1]
	v_cmp_lt_i32_e32 vcc, 37, v127
	s_waitcnt lgkmcnt(0)
	s_barrier
	s_and_saveexec_b64 s[0:1], vcc
	s_cbranch_execz .LBB116_641
; %bb.640:
	ds_read2_b64 v[132:135], v126 offset0:38 offset1:39
	ds_read2_b64 v[136:139], v126 offset0:40 offset1:41
	v_mul_f64 v[44:45], v[122:123], v[44:45]
	ds_read2_b64 v[140:143], v126 offset0:42 offset1:43
	ds_read_b64 v[122:123], v126 offset:464
	s_waitcnt lgkmcnt(0)
	v_fma_f64 v[42:43], -v[44:45], v[132:133], v[42:43]
	v_fma_f64 v[40:41], -v[44:45], v[134:135], v[40:41]
	ds_read2_b64 v[132:135], v126 offset0:44 offset1:45
	v_fma_f64 v[38:39], -v[44:45], v[136:137], v[38:39]
	v_fma_f64 v[36:37], -v[44:45], v[138:139], v[36:37]
	;; [unrolled: 1-line block ×3, first 2 shown]
	ds_read2_b64 v[136:139], v126 offset0:46 offset1:47
	v_fma_f64 v[32:33], -v[44:45], v[142:143], v[32:33]
	ds_read2_b64 v[140:143], v126 offset0:48 offset1:49
	s_waitcnt lgkmcnt(0)
	v_fma_f64 v[30:31], -v[44:45], v[132:133], v[30:31]
	v_fma_f64 v[28:29], -v[44:45], v[134:135], v[28:29]
	ds_read2_b64 v[132:135], v126 offset0:50 offset1:51
	v_fma_f64 v[26:27], -v[44:45], v[136:137], v[26:27]
	v_fma_f64 v[24:25], -v[44:45], v[138:139], v[24:25]
	ds_read2_b64 v[136:139], v126 offset0:52 offset1:53
	v_fma_f64 v[22:23], -v[44:45], v[140:141], v[22:23]
	v_fma_f64 v[20:21], -v[44:45], v[142:143], v[20:21]
	s_waitcnt lgkmcnt(0)
	v_fma_f64 v[18:19], -v[44:45], v[132:133], v[18:19]
	v_fma_f64 v[16:17], -v[44:45], v[134:135], v[16:17]
	ds_read2_b64 v[132:135], v126 offset0:54 offset1:55
	ds_read2_b64 v[140:143], v126 offset0:56 offset1:57
	v_fma_f64 v[14:15], -v[44:45], v[136:137], v[14:15]
	v_fma_f64 v[12:13], -v[44:45], v[138:139], v[12:13]
	;; [unrolled: 1-line block ×3, first 2 shown]
	s_waitcnt lgkmcnt(0)
	v_fma_f64 v[10:11], -v[44:45], v[132:133], v[10:11]
	v_fma_f64 v[8:9], -v[44:45], v[134:135], v[8:9]
	;; [unrolled: 1-line block ×4, first 2 shown]
.LBB116_641:
	s_or_b64 exec, exec, s[0:1]
	v_lshl_add_u32 v122, v127, 3, v126
	s_barrier
	ds_write_b64 v122, v[42:43]
	s_waitcnt lgkmcnt(0)
	s_barrier
	ds_read_b64 v[122:123], v126 offset:304
	s_cmp_lt_i32 s18, 40
	v_mov_b32_e32 v124, 38
	s_cbranch_scc1 .LBB116_644
; %bb.642:
	v_add_u32_e32 v131, 0x138, v126
	s_mov_b32 s0, 39
	v_mov_b32_e32 v124, 38
.LBB116_643:                            ; =>This Inner Loop Header: Depth=1
	ds_read_b64 v[132:133], v131
	v_mov_b32_e32 v134, s0
	s_add_i32 s0, s0, 1
	v_add_u32_e32 v131, 8, v131
	s_cmp_lg_u32 s18, s0
	s_waitcnt lgkmcnt(0)
	v_cmp_lt_f64_e64 vcc, |v[122:123]|, |v[132:133]|
	v_cndmask_b32_e32 v123, v123, v133, vcc
	v_cndmask_b32_e32 v122, v122, v132, vcc
	;; [unrolled: 1-line block ×3, first 2 shown]
	s_cbranch_scc1 .LBB116_643
.LBB116_644:
	s_waitcnt lgkmcnt(0)
	v_cmp_eq_f64_e32 vcc, 0, v[122:123]
	s_and_saveexec_b64 s[0:1], vcc
	s_xor_b64 s[0:1], exec, s[0:1]
; %bb.645:
	v_cmp_ne_u32_e32 vcc, 0, v130
	v_cndmask_b32_e32 v130, 39, v130, vcc
; %bb.646:
	s_andn2_saveexec_b64 s[0:1], s[0:1]
; %bb.647:
	v_div_scale_f64 v[132:133], s[2:3], v[122:123], v[122:123], 1.0
	v_rcp_f64_e32 v[134:135], v[132:133]
	v_div_scale_f64 v[136:137], vcc, 1.0, v[122:123], 1.0
	v_fma_f64 v[138:139], -v[132:133], v[134:135], 1.0
	v_fmac_f64_e32 v[134:135], v[134:135], v[138:139]
	v_fma_f64 v[138:139], -v[132:133], v[134:135], 1.0
	v_fmac_f64_e32 v[134:135], v[134:135], v[138:139]
	v_mul_f64 v[138:139], v[136:137], v[134:135]
	v_fma_f64 v[132:133], -v[132:133], v[138:139], v[136:137]
	v_div_fmas_f64 v[132:133], v[132:133], v[134:135], v[138:139]
	v_div_fixup_f64 v[122:123], v[132:133], v[122:123], 1.0
; %bb.648:
	s_or_b64 exec, exec, s[0:1]
	v_cmp_ne_u32_e32 vcc, v127, v124
	s_and_saveexec_b64 s[0:1], vcc
	s_xor_b64 s[0:1], exec, s[0:1]
	s_cbranch_execz .LBB116_654
; %bb.649:
	v_cmp_eq_u32_e32 vcc, 38, v127
	s_and_saveexec_b64 s[2:3], vcc
	s_cbranch_execz .LBB116_653
; %bb.650:
	v_cmp_ne_u32_e32 vcc, 38, v124
	s_xor_b64 s[14:15], s[6:7], -1
	s_and_b64 s[16:17], s[14:15], vcc
	s_and_saveexec_b64 s[14:15], s[16:17]
	s_cbranch_execz .LBB116_652
; %bb.651:
	v_ashrrev_i32_e32 v125, 31, v124
	v_lshlrev_b64 v[132:133], 2, v[124:125]
	v_add_co_u32_e32 v132, vcc, v4, v132
	v_addc_co_u32_e32 v133, vcc, v5, v133, vcc
	flat_load_dword v125, v[132:133]
	flat_load_dword v127, v[4:5] offset:152
	s_waitcnt vmcnt(0) lgkmcnt(0)
	flat_store_dword v[4:5], v125 offset:152
	flat_store_dword v[132:133], v127
.LBB116_652:
	s_or_b64 exec, exec, s[14:15]
	v_mov_b32_e32 v125, v124
	v_mov_b32_e32 v127, v124
.LBB116_653:
	s_or_b64 exec, exec, s[2:3]
.LBB116_654:
	s_andn2_saveexec_b64 s[0:1], s[0:1]
	s_cbranch_execz .LBB116_656
; %bb.655:
	v_mov_b32_e32 v127, 38
	ds_write2_b64 v126, v[40:41], v[38:39] offset0:39 offset1:40
	ds_write2_b64 v126, v[36:37], v[34:35] offset0:41 offset1:42
	;; [unrolled: 1-line block ×10, first 2 shown]
.LBB116_656:
	s_or_b64 exec, exec, s[0:1]
	v_cmp_lt_i32_e32 vcc, 38, v127
	s_waitcnt lgkmcnt(0)
	s_barrier
	s_and_saveexec_b64 s[0:1], vcc
	s_cbranch_execz .LBB116_658
; %bb.657:
	ds_read2_b64 v[132:135], v126 offset0:39 offset1:40
	ds_read2_b64 v[136:139], v126 offset0:41 offset1:42
	v_mul_f64 v[42:43], v[122:123], v[42:43]
	ds_read2_b64 v[140:143], v126 offset0:43 offset1:44
	s_waitcnt lgkmcnt(0)
	v_fma_f64 v[40:41], -v[42:43], v[132:133], v[40:41]
	v_fma_f64 v[38:39], -v[42:43], v[134:135], v[38:39]
	ds_read2_b64 v[132:135], v126 offset0:45 offset1:46
	v_fma_f64 v[36:37], -v[42:43], v[136:137], v[36:37]
	v_fma_f64 v[34:35], -v[42:43], v[138:139], v[34:35]
	;; [unrolled: 1-line block ×3, first 2 shown]
	ds_read2_b64 v[136:139], v126 offset0:47 offset1:48
	v_fma_f64 v[30:31], -v[42:43], v[142:143], v[30:31]
	ds_read2_b64 v[140:143], v126 offset0:49 offset1:50
	s_waitcnt lgkmcnt(0)
	v_fma_f64 v[28:29], -v[42:43], v[132:133], v[28:29]
	v_fma_f64 v[26:27], -v[42:43], v[134:135], v[26:27]
	ds_read2_b64 v[132:135], v126 offset0:51 offset1:52
	v_fma_f64 v[24:25], -v[42:43], v[136:137], v[24:25]
	v_fma_f64 v[22:23], -v[42:43], v[138:139], v[22:23]
	ds_read2_b64 v[136:139], v126 offset0:53 offset1:54
	v_fma_f64 v[20:21], -v[42:43], v[140:141], v[20:21]
	v_fma_f64 v[18:19], -v[42:43], v[142:143], v[18:19]
	s_waitcnt lgkmcnt(0)
	v_fma_f64 v[16:17], -v[42:43], v[132:133], v[16:17]
	ds_read2_b64 v[140:143], v126 offset0:55 offset1:56
	v_fma_f64 v[14:15], -v[42:43], v[134:135], v[14:15]
	ds_read2_b64 v[132:135], v126 offset0:57 offset1:58
	v_fma_f64 v[12:13], -v[42:43], v[136:137], v[12:13]
	v_fma_f64 v[10:11], -v[42:43], v[138:139], v[10:11]
	s_waitcnt lgkmcnt(0)
	v_fma_f64 v[8:9], -v[42:43], v[140:141], v[8:9]
	v_fma_f64 v[6:7], -v[42:43], v[142:143], v[6:7]
	;; [unrolled: 1-line block ×4, first 2 shown]
.LBB116_658:
	s_or_b64 exec, exec, s[0:1]
	v_lshl_add_u32 v122, v127, 3, v126
	s_barrier
	ds_write_b64 v122, v[40:41]
	s_waitcnt lgkmcnt(0)
	s_barrier
	ds_read_b64 v[122:123], v126 offset:312
	s_cmp_lt_i32 s18, 41
	v_mov_b32_e32 v124, 39
	s_cbranch_scc1 .LBB116_661
; %bb.659:
	v_add_u32_e32 v131, 0x140, v126
	s_mov_b32 s0, 40
	v_mov_b32_e32 v124, 39
.LBB116_660:                            ; =>This Inner Loop Header: Depth=1
	ds_read_b64 v[132:133], v131
	v_mov_b32_e32 v134, s0
	s_add_i32 s0, s0, 1
	v_add_u32_e32 v131, 8, v131
	s_cmp_lg_u32 s18, s0
	s_waitcnt lgkmcnt(0)
	v_cmp_lt_f64_e64 vcc, |v[122:123]|, |v[132:133]|
	v_cndmask_b32_e32 v123, v123, v133, vcc
	v_cndmask_b32_e32 v122, v122, v132, vcc
	;; [unrolled: 1-line block ×3, first 2 shown]
	s_cbranch_scc1 .LBB116_660
.LBB116_661:
	s_waitcnt lgkmcnt(0)
	v_cmp_eq_f64_e32 vcc, 0, v[122:123]
	s_and_saveexec_b64 s[0:1], vcc
	s_xor_b64 s[0:1], exec, s[0:1]
; %bb.662:
	v_cmp_ne_u32_e32 vcc, 0, v130
	v_cndmask_b32_e32 v130, 40, v130, vcc
; %bb.663:
	s_andn2_saveexec_b64 s[0:1], s[0:1]
; %bb.664:
	v_div_scale_f64 v[132:133], s[2:3], v[122:123], v[122:123], 1.0
	v_rcp_f64_e32 v[134:135], v[132:133]
	v_div_scale_f64 v[136:137], vcc, 1.0, v[122:123], 1.0
	v_fma_f64 v[138:139], -v[132:133], v[134:135], 1.0
	v_fmac_f64_e32 v[134:135], v[134:135], v[138:139]
	v_fma_f64 v[138:139], -v[132:133], v[134:135], 1.0
	v_fmac_f64_e32 v[134:135], v[134:135], v[138:139]
	v_mul_f64 v[138:139], v[136:137], v[134:135]
	v_fma_f64 v[132:133], -v[132:133], v[138:139], v[136:137]
	v_div_fmas_f64 v[132:133], v[132:133], v[134:135], v[138:139]
	v_div_fixup_f64 v[122:123], v[132:133], v[122:123], 1.0
; %bb.665:
	s_or_b64 exec, exec, s[0:1]
	v_cmp_ne_u32_e32 vcc, v127, v124
	s_and_saveexec_b64 s[0:1], vcc
	s_xor_b64 s[0:1], exec, s[0:1]
	s_cbranch_execz .LBB116_671
; %bb.666:
	v_cmp_eq_u32_e32 vcc, 39, v127
	s_and_saveexec_b64 s[2:3], vcc
	s_cbranch_execz .LBB116_670
; %bb.667:
	v_cmp_ne_u32_e32 vcc, 39, v124
	s_xor_b64 s[14:15], s[6:7], -1
	s_and_b64 s[16:17], s[14:15], vcc
	s_and_saveexec_b64 s[14:15], s[16:17]
	s_cbranch_execz .LBB116_669
; %bb.668:
	v_ashrrev_i32_e32 v125, 31, v124
	v_lshlrev_b64 v[132:133], 2, v[124:125]
	v_add_co_u32_e32 v132, vcc, v4, v132
	v_addc_co_u32_e32 v133, vcc, v5, v133, vcc
	flat_load_dword v125, v[132:133]
	flat_load_dword v127, v[4:5] offset:156
	s_waitcnt vmcnt(0) lgkmcnt(0)
	flat_store_dword v[4:5], v125 offset:156
	flat_store_dword v[132:133], v127
.LBB116_669:
	s_or_b64 exec, exec, s[14:15]
	v_mov_b32_e32 v125, v124
	v_mov_b32_e32 v127, v124
.LBB116_670:
	s_or_b64 exec, exec, s[2:3]
.LBB116_671:
	s_andn2_saveexec_b64 s[0:1], s[0:1]
	s_cbranch_execz .LBB116_673
; %bb.672:
	v_mov_b32_e32 v132, v38
	v_mov_b32_e32 v133, v39
	v_mov_b32_e32 v134, v36
	v_mov_b32_e32 v135, v37
	ds_write2_b64 v126, v[132:133], v[134:135] offset0:40 offset1:41
	v_mov_b32_e32 v132, v34
	v_mov_b32_e32 v133, v35
	v_mov_b32_e32 v134, v32
	v_mov_b32_e32 v135, v33
	ds_write2_b64 v126, v[132:133], v[134:135] offset0:42 offset1:43
	;; [unrolled: 5-line block ×8, first 2 shown]
	v_mov_b32_e32 v132, v6
	v_mov_b32_e32 v133, v7
	;; [unrolled: 1-line block ×5, first 2 shown]
	ds_write2_b64 v126, v[132:133], v[134:135] offset0:56 offset1:57
	ds_write_b64 v126, v[120:121] offset:464
.LBB116_673:
	s_or_b64 exec, exec, s[0:1]
	v_cmp_lt_i32_e32 vcc, 39, v127
	s_waitcnt lgkmcnt(0)
	s_barrier
	s_and_saveexec_b64 s[0:1], vcc
	s_cbranch_execz .LBB116_675
; %bb.674:
	ds_read2_b64 v[132:135], v126 offset0:40 offset1:41
	ds_read2_b64 v[136:139], v126 offset0:42 offset1:43
	;; [unrolled: 1-line block ×3, first 2 shown]
	v_mul_f64 v[40:41], v[122:123], v[40:41]
	ds_read_b64 v[122:123], v126 offset:464
	s_waitcnt lgkmcnt(0)
	v_fma_f64 v[38:39], -v[40:41], v[132:133], v[38:39]
	v_fma_f64 v[36:37], -v[40:41], v[134:135], v[36:37]
	ds_read2_b64 v[132:135], v126 offset0:46 offset1:47
	v_fma_f64 v[34:35], -v[40:41], v[136:137], v[34:35]
	v_fma_f64 v[32:33], -v[40:41], v[138:139], v[32:33]
	;; [unrolled: 1-line block ×3, first 2 shown]
	ds_read2_b64 v[136:139], v126 offset0:48 offset1:49
	v_fma_f64 v[28:29], -v[40:41], v[142:143], v[28:29]
	ds_read2_b64 v[140:143], v126 offset0:50 offset1:51
	s_waitcnt lgkmcnt(0)
	v_fma_f64 v[26:27], -v[40:41], v[132:133], v[26:27]
	v_fma_f64 v[24:25], -v[40:41], v[134:135], v[24:25]
	;; [unrolled: 1-line block ×3, first 2 shown]
	ds_read2_b64 v[132:135], v126 offset0:52 offset1:53
	v_fma_f64 v[20:21], -v[40:41], v[138:139], v[20:21]
	ds_read2_b64 v[136:139], v126 offset0:54 offset1:55
	v_fma_f64 v[18:19], -v[40:41], v[140:141], v[18:19]
	v_fma_f64 v[16:17], -v[40:41], v[142:143], v[16:17]
	ds_read2_b64 v[140:143], v126 offset0:56 offset1:57
	s_waitcnt lgkmcnt(0)
	v_fma_f64 v[14:15], -v[40:41], v[132:133], v[14:15]
	v_fma_f64 v[12:13], -v[40:41], v[134:135], v[12:13]
	;; [unrolled: 1-line block ×7, first 2 shown]
.LBB116_675:
	s_or_b64 exec, exec, s[0:1]
	v_lshl_add_u32 v122, v127, 3, v126
	s_barrier
	ds_write_b64 v122, v[38:39]
	s_waitcnt lgkmcnt(0)
	s_barrier
	ds_read_b64 v[122:123], v126 offset:320
	s_cmp_lt_i32 s18, 42
	v_mov_b32_e32 v124, 40
	s_cbranch_scc1 .LBB116_678
; %bb.676:
	v_add_u32_e32 v131, 0x148, v126
	s_mov_b32 s0, 41
	v_mov_b32_e32 v124, 40
.LBB116_677:                            ; =>This Inner Loop Header: Depth=1
	ds_read_b64 v[132:133], v131
	v_mov_b32_e32 v134, s0
	s_add_i32 s0, s0, 1
	v_add_u32_e32 v131, 8, v131
	s_cmp_lg_u32 s18, s0
	s_waitcnt lgkmcnt(0)
	v_cmp_lt_f64_e64 vcc, |v[122:123]|, |v[132:133]|
	v_cndmask_b32_e32 v123, v123, v133, vcc
	v_cndmask_b32_e32 v122, v122, v132, vcc
	v_cndmask_b32_e32 v124, v124, v134, vcc
	s_cbranch_scc1 .LBB116_677
.LBB116_678:
	s_waitcnt lgkmcnt(0)
	v_cmp_eq_f64_e32 vcc, 0, v[122:123]
	s_and_saveexec_b64 s[0:1], vcc
	s_xor_b64 s[0:1], exec, s[0:1]
; %bb.679:
	v_cmp_ne_u32_e32 vcc, 0, v130
	v_cndmask_b32_e32 v130, 41, v130, vcc
; %bb.680:
	s_andn2_saveexec_b64 s[0:1], s[0:1]
; %bb.681:
	v_div_scale_f64 v[132:133], s[2:3], v[122:123], v[122:123], 1.0
	v_rcp_f64_e32 v[134:135], v[132:133]
	v_div_scale_f64 v[136:137], vcc, 1.0, v[122:123], 1.0
	v_fma_f64 v[138:139], -v[132:133], v[134:135], 1.0
	v_fmac_f64_e32 v[134:135], v[134:135], v[138:139]
	v_fma_f64 v[138:139], -v[132:133], v[134:135], 1.0
	v_fmac_f64_e32 v[134:135], v[134:135], v[138:139]
	v_mul_f64 v[138:139], v[136:137], v[134:135]
	v_fma_f64 v[132:133], -v[132:133], v[138:139], v[136:137]
	v_div_fmas_f64 v[132:133], v[132:133], v[134:135], v[138:139]
	v_div_fixup_f64 v[122:123], v[132:133], v[122:123], 1.0
; %bb.682:
	s_or_b64 exec, exec, s[0:1]
	v_cmp_ne_u32_e32 vcc, v127, v124
	s_and_saveexec_b64 s[0:1], vcc
	s_xor_b64 s[0:1], exec, s[0:1]
	s_cbranch_execz .LBB116_688
; %bb.683:
	v_cmp_eq_u32_e32 vcc, 40, v127
	s_and_saveexec_b64 s[2:3], vcc
	s_cbranch_execz .LBB116_687
; %bb.684:
	v_cmp_ne_u32_e32 vcc, 40, v124
	s_xor_b64 s[14:15], s[6:7], -1
	s_and_b64 s[16:17], s[14:15], vcc
	s_and_saveexec_b64 s[14:15], s[16:17]
	s_cbranch_execz .LBB116_686
; %bb.685:
	v_ashrrev_i32_e32 v125, 31, v124
	v_lshlrev_b64 v[132:133], 2, v[124:125]
	v_add_co_u32_e32 v132, vcc, v4, v132
	v_addc_co_u32_e32 v133, vcc, v5, v133, vcc
	flat_load_dword v125, v[132:133]
	flat_load_dword v127, v[4:5] offset:160
	s_waitcnt vmcnt(0) lgkmcnt(0)
	flat_store_dword v[4:5], v125 offset:160
	flat_store_dword v[132:133], v127
.LBB116_686:
	s_or_b64 exec, exec, s[14:15]
	v_mov_b32_e32 v125, v124
	v_mov_b32_e32 v127, v124
.LBB116_687:
	s_or_b64 exec, exec, s[2:3]
.LBB116_688:
	s_andn2_saveexec_b64 s[0:1], s[0:1]
	s_cbranch_execz .LBB116_690
; %bb.689:
	v_mov_b32_e32 v127, 40
	ds_write2_b64 v126, v[36:37], v[34:35] offset0:41 offset1:42
	ds_write2_b64 v126, v[32:33], v[30:31] offset0:43 offset1:44
	;; [unrolled: 1-line block ×9, first 2 shown]
.LBB116_690:
	s_or_b64 exec, exec, s[0:1]
	v_cmp_lt_i32_e32 vcc, 40, v127
	s_waitcnt lgkmcnt(0)
	s_barrier
	s_and_saveexec_b64 s[0:1], vcc
	s_cbranch_execz .LBB116_692
; %bb.691:
	ds_read2_b64 v[132:135], v126 offset0:41 offset1:42
	ds_read2_b64 v[136:139], v126 offset0:43 offset1:44
	;; [unrolled: 1-line block ×3, first 2 shown]
	v_mul_f64 v[38:39], v[122:123], v[38:39]
	s_waitcnt lgkmcnt(0)
	v_fma_f64 v[36:37], -v[38:39], v[132:133], v[36:37]
	v_fma_f64 v[34:35], -v[38:39], v[134:135], v[34:35]
	ds_read2_b64 v[132:135], v126 offset0:47 offset1:48
	v_fma_f64 v[32:33], -v[38:39], v[136:137], v[32:33]
	v_fma_f64 v[30:31], -v[38:39], v[138:139], v[30:31]
	v_fma_f64 v[28:29], -v[38:39], v[140:141], v[28:29]
	ds_read2_b64 v[136:139], v126 offset0:49 offset1:50
	v_fma_f64 v[26:27], -v[38:39], v[142:143], v[26:27]
	ds_read2_b64 v[140:143], v126 offset0:51 offset1:52
	s_waitcnt lgkmcnt(0)
	v_fma_f64 v[24:25], -v[38:39], v[132:133], v[24:25]
	v_fma_f64 v[22:23], -v[38:39], v[134:135], v[22:23]
	v_fma_f64 v[20:21], -v[38:39], v[136:137], v[20:21]
	v_fma_f64 v[18:19], -v[38:39], v[138:139], v[18:19]
	ds_read2_b64 v[132:135], v126 offset0:53 offset1:54
	ds_read2_b64 v[136:139], v126 offset0:55 offset1:56
	v_fma_f64 v[16:17], -v[38:39], v[140:141], v[16:17]
	v_fma_f64 v[14:15], -v[38:39], v[142:143], v[14:15]
	ds_read2_b64 v[140:143], v126 offset0:57 offset1:58
	s_waitcnt lgkmcnt(0)
	v_fma_f64 v[12:13], -v[38:39], v[132:133], v[12:13]
	v_fma_f64 v[10:11], -v[38:39], v[134:135], v[10:11]
	;; [unrolled: 1-line block ×6, first 2 shown]
.LBB116_692:
	s_or_b64 exec, exec, s[0:1]
	v_lshl_add_u32 v122, v127, 3, v126
	s_barrier
	ds_write_b64 v122, v[36:37]
	s_waitcnt lgkmcnt(0)
	s_barrier
	ds_read_b64 v[122:123], v126 offset:328
	s_cmp_lt_i32 s18, 43
	v_mov_b32_e32 v124, 41
	s_cbranch_scc1 .LBB116_695
; %bb.693:
	v_add_u32_e32 v131, 0x150, v126
	s_mov_b32 s0, 42
	v_mov_b32_e32 v124, 41
.LBB116_694:                            ; =>This Inner Loop Header: Depth=1
	ds_read_b64 v[132:133], v131
	v_mov_b32_e32 v134, s0
	s_add_i32 s0, s0, 1
	v_add_u32_e32 v131, 8, v131
	s_cmp_lg_u32 s18, s0
	s_waitcnt lgkmcnt(0)
	v_cmp_lt_f64_e64 vcc, |v[122:123]|, |v[132:133]|
	v_cndmask_b32_e32 v123, v123, v133, vcc
	v_cndmask_b32_e32 v122, v122, v132, vcc
	;; [unrolled: 1-line block ×3, first 2 shown]
	s_cbranch_scc1 .LBB116_694
.LBB116_695:
	s_waitcnt lgkmcnt(0)
	v_cmp_eq_f64_e32 vcc, 0, v[122:123]
	s_and_saveexec_b64 s[0:1], vcc
	s_xor_b64 s[0:1], exec, s[0:1]
; %bb.696:
	v_cmp_ne_u32_e32 vcc, 0, v130
	v_cndmask_b32_e32 v130, 42, v130, vcc
; %bb.697:
	s_andn2_saveexec_b64 s[0:1], s[0:1]
; %bb.698:
	v_div_scale_f64 v[132:133], s[2:3], v[122:123], v[122:123], 1.0
	v_rcp_f64_e32 v[134:135], v[132:133]
	v_div_scale_f64 v[136:137], vcc, 1.0, v[122:123], 1.0
	v_fma_f64 v[138:139], -v[132:133], v[134:135], 1.0
	v_fmac_f64_e32 v[134:135], v[134:135], v[138:139]
	v_fma_f64 v[138:139], -v[132:133], v[134:135], 1.0
	v_fmac_f64_e32 v[134:135], v[134:135], v[138:139]
	v_mul_f64 v[138:139], v[136:137], v[134:135]
	v_fma_f64 v[132:133], -v[132:133], v[138:139], v[136:137]
	v_div_fmas_f64 v[132:133], v[132:133], v[134:135], v[138:139]
	v_div_fixup_f64 v[122:123], v[132:133], v[122:123], 1.0
; %bb.699:
	s_or_b64 exec, exec, s[0:1]
	v_cmp_ne_u32_e32 vcc, v127, v124
	s_and_saveexec_b64 s[0:1], vcc
	s_xor_b64 s[0:1], exec, s[0:1]
	s_cbranch_execz .LBB116_705
; %bb.700:
	v_cmp_eq_u32_e32 vcc, 41, v127
	s_and_saveexec_b64 s[2:3], vcc
	s_cbranch_execz .LBB116_704
; %bb.701:
	v_cmp_ne_u32_e32 vcc, 41, v124
	s_xor_b64 s[14:15], s[6:7], -1
	s_and_b64 s[16:17], s[14:15], vcc
	s_and_saveexec_b64 s[14:15], s[16:17]
	s_cbranch_execz .LBB116_703
; %bb.702:
	v_ashrrev_i32_e32 v125, 31, v124
	v_lshlrev_b64 v[132:133], 2, v[124:125]
	v_add_co_u32_e32 v132, vcc, v4, v132
	v_addc_co_u32_e32 v133, vcc, v5, v133, vcc
	flat_load_dword v125, v[132:133]
	flat_load_dword v127, v[4:5] offset:164
	s_waitcnt vmcnt(0) lgkmcnt(0)
	flat_store_dword v[4:5], v125 offset:164
	flat_store_dword v[132:133], v127
.LBB116_703:
	s_or_b64 exec, exec, s[14:15]
	v_mov_b32_e32 v125, v124
	v_mov_b32_e32 v127, v124
.LBB116_704:
	s_or_b64 exec, exec, s[2:3]
.LBB116_705:
	s_andn2_saveexec_b64 s[0:1], s[0:1]
	s_cbranch_execz .LBB116_707
; %bb.706:
	v_mov_b32_e32 v132, v34
	v_mov_b32_e32 v133, v35
	v_mov_b32_e32 v134, v32
	v_mov_b32_e32 v135, v33
	ds_write2_b64 v126, v[132:133], v[134:135] offset0:42 offset1:43
	v_mov_b32_e32 v132, v30
	v_mov_b32_e32 v133, v31
	v_mov_b32_e32 v134, v28
	v_mov_b32_e32 v135, v29
	ds_write2_b64 v126, v[132:133], v[134:135] offset0:44 offset1:45
	;; [unrolled: 5-line block ×7, first 2 shown]
	v_mov_b32_e32 v132, v6
	v_mov_b32_e32 v133, v7
	;; [unrolled: 1-line block ×5, first 2 shown]
	ds_write2_b64 v126, v[132:133], v[134:135] offset0:56 offset1:57
	ds_write_b64 v126, v[120:121] offset:464
.LBB116_707:
	s_or_b64 exec, exec, s[0:1]
	v_cmp_lt_i32_e32 vcc, 41, v127
	s_waitcnt lgkmcnt(0)
	s_barrier
	s_and_saveexec_b64 s[0:1], vcc
	s_cbranch_execz .LBB116_709
; %bb.708:
	ds_read2_b64 v[132:135], v126 offset0:42 offset1:43
	ds_read2_b64 v[136:139], v126 offset0:44 offset1:45
	v_mul_f64 v[36:37], v[122:123], v[36:37]
	ds_read2_b64 v[140:143], v126 offset0:46 offset1:47
	ds_read_b64 v[122:123], v126 offset:464
	s_waitcnt lgkmcnt(0)
	v_fma_f64 v[34:35], -v[36:37], v[132:133], v[34:35]
	v_fma_f64 v[32:33], -v[36:37], v[134:135], v[32:33]
	ds_read2_b64 v[132:135], v126 offset0:48 offset1:49
	v_fma_f64 v[30:31], -v[36:37], v[136:137], v[30:31]
	v_fma_f64 v[28:29], -v[36:37], v[138:139], v[28:29]
	ds_read2_b64 v[136:139], v126 offset0:50 offset1:51
	;; [unrolled: 3-line block ×3, first 2 shown]
	s_waitcnt lgkmcnt(0)
	v_fma_f64 v[22:23], -v[36:37], v[132:133], v[22:23]
	v_fma_f64 v[20:21], -v[36:37], v[134:135], v[20:21]
	;; [unrolled: 1-line block ×4, first 2 shown]
	ds_read2_b64 v[132:135], v126 offset0:54 offset1:55
	ds_read2_b64 v[136:139], v126 offset0:56 offset1:57
	v_fma_f64 v[14:15], -v[36:37], v[140:141], v[14:15]
	v_fma_f64 v[12:13], -v[36:37], v[142:143], v[12:13]
	;; [unrolled: 1-line block ×3, first 2 shown]
	s_waitcnt lgkmcnt(0)
	v_fma_f64 v[10:11], -v[36:37], v[132:133], v[10:11]
	v_fma_f64 v[8:9], -v[36:37], v[134:135], v[8:9]
	;; [unrolled: 1-line block ×4, first 2 shown]
.LBB116_709:
	s_or_b64 exec, exec, s[0:1]
	v_lshl_add_u32 v122, v127, 3, v126
	s_barrier
	ds_write_b64 v122, v[34:35]
	s_waitcnt lgkmcnt(0)
	s_barrier
	ds_read_b64 v[122:123], v126 offset:336
	s_cmp_lt_i32 s18, 44
	v_mov_b32_e32 v124, 42
	s_cbranch_scc1 .LBB116_712
; %bb.710:
	v_add_u32_e32 v131, 0x158, v126
	s_mov_b32 s0, 43
	v_mov_b32_e32 v124, 42
.LBB116_711:                            ; =>This Inner Loop Header: Depth=1
	ds_read_b64 v[132:133], v131
	v_mov_b32_e32 v134, s0
	s_add_i32 s0, s0, 1
	v_add_u32_e32 v131, 8, v131
	s_cmp_lg_u32 s18, s0
	s_waitcnt lgkmcnt(0)
	v_cmp_lt_f64_e64 vcc, |v[122:123]|, |v[132:133]|
	v_cndmask_b32_e32 v123, v123, v133, vcc
	v_cndmask_b32_e32 v122, v122, v132, vcc
	;; [unrolled: 1-line block ×3, first 2 shown]
	s_cbranch_scc1 .LBB116_711
.LBB116_712:
	s_waitcnt lgkmcnt(0)
	v_cmp_eq_f64_e32 vcc, 0, v[122:123]
	s_and_saveexec_b64 s[0:1], vcc
	s_xor_b64 s[0:1], exec, s[0:1]
; %bb.713:
	v_cmp_ne_u32_e32 vcc, 0, v130
	v_cndmask_b32_e32 v130, 43, v130, vcc
; %bb.714:
	s_andn2_saveexec_b64 s[0:1], s[0:1]
; %bb.715:
	v_div_scale_f64 v[132:133], s[2:3], v[122:123], v[122:123], 1.0
	v_rcp_f64_e32 v[134:135], v[132:133]
	v_div_scale_f64 v[136:137], vcc, 1.0, v[122:123], 1.0
	v_fma_f64 v[138:139], -v[132:133], v[134:135], 1.0
	v_fmac_f64_e32 v[134:135], v[134:135], v[138:139]
	v_fma_f64 v[138:139], -v[132:133], v[134:135], 1.0
	v_fmac_f64_e32 v[134:135], v[134:135], v[138:139]
	v_mul_f64 v[138:139], v[136:137], v[134:135]
	v_fma_f64 v[132:133], -v[132:133], v[138:139], v[136:137]
	v_div_fmas_f64 v[132:133], v[132:133], v[134:135], v[138:139]
	v_div_fixup_f64 v[122:123], v[132:133], v[122:123], 1.0
; %bb.716:
	s_or_b64 exec, exec, s[0:1]
	v_cmp_ne_u32_e32 vcc, v127, v124
	s_and_saveexec_b64 s[0:1], vcc
	s_xor_b64 s[0:1], exec, s[0:1]
	s_cbranch_execz .LBB116_722
; %bb.717:
	v_cmp_eq_u32_e32 vcc, 42, v127
	s_and_saveexec_b64 s[2:3], vcc
	s_cbranch_execz .LBB116_721
; %bb.718:
	v_cmp_ne_u32_e32 vcc, 42, v124
	s_xor_b64 s[14:15], s[6:7], -1
	s_and_b64 s[16:17], s[14:15], vcc
	s_and_saveexec_b64 s[14:15], s[16:17]
	s_cbranch_execz .LBB116_720
; %bb.719:
	v_ashrrev_i32_e32 v125, 31, v124
	v_lshlrev_b64 v[132:133], 2, v[124:125]
	v_add_co_u32_e32 v132, vcc, v4, v132
	v_addc_co_u32_e32 v133, vcc, v5, v133, vcc
	flat_load_dword v125, v[132:133]
	flat_load_dword v127, v[4:5] offset:168
	s_waitcnt vmcnt(0) lgkmcnt(0)
	flat_store_dword v[4:5], v125 offset:168
	flat_store_dword v[132:133], v127
.LBB116_720:
	s_or_b64 exec, exec, s[14:15]
	v_mov_b32_e32 v125, v124
	v_mov_b32_e32 v127, v124
.LBB116_721:
	s_or_b64 exec, exec, s[2:3]
.LBB116_722:
	s_andn2_saveexec_b64 s[0:1], s[0:1]
	s_cbranch_execz .LBB116_724
; %bb.723:
	v_mov_b32_e32 v127, 42
	ds_write2_b64 v126, v[32:33], v[30:31] offset0:43 offset1:44
	ds_write2_b64 v126, v[28:29], v[26:27] offset0:45 offset1:46
	ds_write2_b64 v126, v[24:25], v[22:23] offset0:47 offset1:48
	ds_write2_b64 v126, v[20:21], v[18:19] offset0:49 offset1:50
	ds_write2_b64 v126, v[16:17], v[14:15] offset0:51 offset1:52
	ds_write2_b64 v126, v[12:13], v[10:11] offset0:53 offset1:54
	ds_write2_b64 v126, v[8:9], v[6:7] offset0:55 offset1:56
	ds_write2_b64 v126, v[0:1], v[120:121] offset0:57 offset1:58
.LBB116_724:
	s_or_b64 exec, exec, s[0:1]
	v_cmp_lt_i32_e32 vcc, 42, v127
	s_waitcnt lgkmcnt(0)
	s_barrier
	s_and_saveexec_b64 s[0:1], vcc
	s_cbranch_execz .LBB116_726
; %bb.725:
	ds_read2_b64 v[132:135], v126 offset0:43 offset1:44
	ds_read2_b64 v[136:139], v126 offset0:45 offset1:46
	v_mul_f64 v[34:35], v[122:123], v[34:35]
	ds_read2_b64 v[140:143], v126 offset0:47 offset1:48
	s_waitcnt lgkmcnt(0)
	v_fma_f64 v[32:33], -v[34:35], v[132:133], v[32:33]
	v_fma_f64 v[30:31], -v[34:35], v[134:135], v[30:31]
	ds_read2_b64 v[132:135], v126 offset0:49 offset1:50
	v_fma_f64 v[28:29], -v[34:35], v[136:137], v[28:29]
	v_fma_f64 v[26:27], -v[34:35], v[138:139], v[26:27]
	ds_read2_b64 v[136:139], v126 offset0:51 offset1:52
	v_fma_f64 v[24:25], -v[34:35], v[140:141], v[24:25]
	v_fma_f64 v[22:23], -v[34:35], v[142:143], v[22:23]
	s_waitcnt lgkmcnt(0)
	v_fma_f64 v[20:21], -v[34:35], v[132:133], v[20:21]
	v_fma_f64 v[18:19], -v[34:35], v[134:135], v[18:19]
	ds_read2_b64 v[132:135], v126 offset0:53 offset1:54
	v_fma_f64 v[16:17], -v[34:35], v[136:137], v[16:17]
	ds_read2_b64 v[140:143], v126 offset0:55 offset1:56
	;; [unrolled: 2-line block ×3, first 2 shown]
	s_waitcnt lgkmcnt(0)
	v_fma_f64 v[12:13], -v[34:35], v[132:133], v[12:13]
	v_fma_f64 v[10:11], -v[34:35], v[134:135], v[10:11]
	;; [unrolled: 1-line block ×6, first 2 shown]
.LBB116_726:
	s_or_b64 exec, exec, s[0:1]
	v_lshl_add_u32 v122, v127, 3, v126
	s_barrier
	ds_write_b64 v122, v[32:33]
	s_waitcnt lgkmcnt(0)
	s_barrier
	ds_read_b64 v[122:123], v126 offset:344
	s_cmp_lt_i32 s18, 45
	v_mov_b32_e32 v124, 43
	s_cbranch_scc1 .LBB116_729
; %bb.727:
	v_add_u32_e32 v131, 0x160, v126
	s_mov_b32 s0, 44
	v_mov_b32_e32 v124, 43
.LBB116_728:                            ; =>This Inner Loop Header: Depth=1
	ds_read_b64 v[132:133], v131
	v_mov_b32_e32 v134, s0
	s_add_i32 s0, s0, 1
	v_add_u32_e32 v131, 8, v131
	s_cmp_lg_u32 s18, s0
	s_waitcnt lgkmcnt(0)
	v_cmp_lt_f64_e64 vcc, |v[122:123]|, |v[132:133]|
	v_cndmask_b32_e32 v123, v123, v133, vcc
	v_cndmask_b32_e32 v122, v122, v132, vcc
	;; [unrolled: 1-line block ×3, first 2 shown]
	s_cbranch_scc1 .LBB116_728
.LBB116_729:
	s_waitcnt lgkmcnt(0)
	v_cmp_eq_f64_e32 vcc, 0, v[122:123]
	s_and_saveexec_b64 s[0:1], vcc
	s_xor_b64 s[0:1], exec, s[0:1]
; %bb.730:
	v_cmp_ne_u32_e32 vcc, 0, v130
	v_cndmask_b32_e32 v130, 44, v130, vcc
; %bb.731:
	s_andn2_saveexec_b64 s[0:1], s[0:1]
; %bb.732:
	v_div_scale_f64 v[132:133], s[2:3], v[122:123], v[122:123], 1.0
	v_rcp_f64_e32 v[134:135], v[132:133]
	v_div_scale_f64 v[136:137], vcc, 1.0, v[122:123], 1.0
	v_fma_f64 v[138:139], -v[132:133], v[134:135], 1.0
	v_fmac_f64_e32 v[134:135], v[134:135], v[138:139]
	v_fma_f64 v[138:139], -v[132:133], v[134:135], 1.0
	v_fmac_f64_e32 v[134:135], v[134:135], v[138:139]
	v_mul_f64 v[138:139], v[136:137], v[134:135]
	v_fma_f64 v[132:133], -v[132:133], v[138:139], v[136:137]
	v_div_fmas_f64 v[132:133], v[132:133], v[134:135], v[138:139]
	v_div_fixup_f64 v[122:123], v[132:133], v[122:123], 1.0
; %bb.733:
	s_or_b64 exec, exec, s[0:1]
	v_cmp_ne_u32_e32 vcc, v127, v124
	s_and_saveexec_b64 s[0:1], vcc
	s_xor_b64 s[0:1], exec, s[0:1]
	s_cbranch_execz .LBB116_739
; %bb.734:
	v_cmp_eq_u32_e32 vcc, 43, v127
	s_and_saveexec_b64 s[2:3], vcc
	s_cbranch_execz .LBB116_738
; %bb.735:
	v_cmp_ne_u32_e32 vcc, 43, v124
	s_xor_b64 s[14:15], s[6:7], -1
	s_and_b64 s[16:17], s[14:15], vcc
	s_and_saveexec_b64 s[14:15], s[16:17]
	s_cbranch_execz .LBB116_737
; %bb.736:
	v_ashrrev_i32_e32 v125, 31, v124
	v_lshlrev_b64 v[132:133], 2, v[124:125]
	v_add_co_u32_e32 v132, vcc, v4, v132
	v_addc_co_u32_e32 v133, vcc, v5, v133, vcc
	flat_load_dword v125, v[132:133]
	flat_load_dword v127, v[4:5] offset:172
	s_waitcnt vmcnt(0) lgkmcnt(0)
	flat_store_dword v[4:5], v125 offset:172
	flat_store_dword v[132:133], v127
.LBB116_737:
	s_or_b64 exec, exec, s[14:15]
	v_mov_b32_e32 v125, v124
	v_mov_b32_e32 v127, v124
.LBB116_738:
	s_or_b64 exec, exec, s[2:3]
.LBB116_739:
	s_andn2_saveexec_b64 s[0:1], s[0:1]
	s_cbranch_execz .LBB116_741
; %bb.740:
	v_mov_b32_e32 v132, v30
	v_mov_b32_e32 v133, v31
	v_mov_b32_e32 v134, v28
	v_mov_b32_e32 v135, v29
	ds_write2_b64 v126, v[132:133], v[134:135] offset0:44 offset1:45
	v_mov_b32_e32 v132, v26
	v_mov_b32_e32 v133, v27
	v_mov_b32_e32 v134, v24
	v_mov_b32_e32 v135, v25
	ds_write2_b64 v126, v[132:133], v[134:135] offset0:46 offset1:47
	;; [unrolled: 5-line block ×6, first 2 shown]
	v_mov_b32_e32 v132, v6
	v_mov_b32_e32 v133, v7
	;; [unrolled: 1-line block ×5, first 2 shown]
	ds_write2_b64 v126, v[132:133], v[134:135] offset0:56 offset1:57
	ds_write_b64 v126, v[120:121] offset:464
.LBB116_741:
	s_or_b64 exec, exec, s[0:1]
	v_cmp_lt_i32_e32 vcc, 43, v127
	s_waitcnt lgkmcnt(0)
	s_barrier
	s_and_saveexec_b64 s[0:1], vcc
	s_cbranch_execz .LBB116_743
; %bb.742:
	ds_read2_b64 v[132:135], v126 offset0:44 offset1:45
	ds_read2_b64 v[136:139], v126 offset0:46 offset1:47
	v_mul_f64 v[32:33], v[122:123], v[32:33]
	ds_read2_b64 v[140:143], v126 offset0:48 offset1:49
	ds_read_b64 v[122:123], v126 offset:464
	s_waitcnt lgkmcnt(0)
	v_fma_f64 v[30:31], -v[32:33], v[132:133], v[30:31]
	v_fma_f64 v[28:29], -v[32:33], v[134:135], v[28:29]
	ds_read2_b64 v[132:135], v126 offset0:50 offset1:51
	v_fma_f64 v[26:27], -v[32:33], v[136:137], v[26:27]
	v_fma_f64 v[24:25], -v[32:33], v[138:139], v[24:25]
	;; [unrolled: 1-line block ×3, first 2 shown]
	ds_read2_b64 v[136:139], v126 offset0:52 offset1:53
	v_fma_f64 v[20:21], -v[32:33], v[142:143], v[20:21]
	s_waitcnt lgkmcnt(0)
	v_fma_f64 v[18:19], -v[32:33], v[132:133], v[18:19]
	v_fma_f64 v[16:17], -v[32:33], v[134:135], v[16:17]
	ds_read2_b64 v[132:135], v126 offset0:54 offset1:55
	ds_read2_b64 v[140:143], v126 offset0:56 offset1:57
	v_fma_f64 v[14:15], -v[32:33], v[136:137], v[14:15]
	v_fma_f64 v[12:13], -v[32:33], v[138:139], v[12:13]
	v_fma_f64 v[120:121], -v[32:33], v[122:123], v[120:121]
	s_waitcnt lgkmcnt(0)
	v_fma_f64 v[10:11], -v[32:33], v[132:133], v[10:11]
	v_fma_f64 v[8:9], -v[32:33], v[134:135], v[8:9]
	;; [unrolled: 1-line block ×4, first 2 shown]
.LBB116_743:
	s_or_b64 exec, exec, s[0:1]
	v_lshl_add_u32 v122, v127, 3, v126
	s_barrier
	ds_write_b64 v122, v[30:31]
	s_waitcnt lgkmcnt(0)
	s_barrier
	ds_read_b64 v[122:123], v126 offset:352
	s_cmp_lt_i32 s18, 46
	v_mov_b32_e32 v124, 44
	s_cbranch_scc1 .LBB116_746
; %bb.744:
	v_add_u32_e32 v131, 0x168, v126
	s_mov_b32 s0, 45
	v_mov_b32_e32 v124, 44
.LBB116_745:                            ; =>This Inner Loop Header: Depth=1
	ds_read_b64 v[132:133], v131
	v_mov_b32_e32 v134, s0
	s_add_i32 s0, s0, 1
	v_add_u32_e32 v131, 8, v131
	s_cmp_lg_u32 s18, s0
	s_waitcnt lgkmcnt(0)
	v_cmp_lt_f64_e64 vcc, |v[122:123]|, |v[132:133]|
	v_cndmask_b32_e32 v123, v123, v133, vcc
	v_cndmask_b32_e32 v122, v122, v132, vcc
	;; [unrolled: 1-line block ×3, first 2 shown]
	s_cbranch_scc1 .LBB116_745
.LBB116_746:
	s_waitcnt lgkmcnt(0)
	v_cmp_eq_f64_e32 vcc, 0, v[122:123]
	s_and_saveexec_b64 s[0:1], vcc
	s_xor_b64 s[0:1], exec, s[0:1]
; %bb.747:
	v_cmp_ne_u32_e32 vcc, 0, v130
	v_cndmask_b32_e32 v130, 45, v130, vcc
; %bb.748:
	s_andn2_saveexec_b64 s[0:1], s[0:1]
; %bb.749:
	v_div_scale_f64 v[132:133], s[2:3], v[122:123], v[122:123], 1.0
	v_rcp_f64_e32 v[134:135], v[132:133]
	v_div_scale_f64 v[136:137], vcc, 1.0, v[122:123], 1.0
	v_fma_f64 v[138:139], -v[132:133], v[134:135], 1.0
	v_fmac_f64_e32 v[134:135], v[134:135], v[138:139]
	v_fma_f64 v[138:139], -v[132:133], v[134:135], 1.0
	v_fmac_f64_e32 v[134:135], v[134:135], v[138:139]
	v_mul_f64 v[138:139], v[136:137], v[134:135]
	v_fma_f64 v[132:133], -v[132:133], v[138:139], v[136:137]
	v_div_fmas_f64 v[132:133], v[132:133], v[134:135], v[138:139]
	v_div_fixup_f64 v[122:123], v[132:133], v[122:123], 1.0
; %bb.750:
	s_or_b64 exec, exec, s[0:1]
	v_cmp_ne_u32_e32 vcc, v127, v124
	s_and_saveexec_b64 s[0:1], vcc
	s_xor_b64 s[0:1], exec, s[0:1]
	s_cbranch_execz .LBB116_756
; %bb.751:
	v_cmp_eq_u32_e32 vcc, 44, v127
	s_and_saveexec_b64 s[2:3], vcc
	s_cbranch_execz .LBB116_755
; %bb.752:
	v_cmp_ne_u32_e32 vcc, 44, v124
	s_xor_b64 s[14:15], s[6:7], -1
	s_and_b64 s[16:17], s[14:15], vcc
	s_and_saveexec_b64 s[14:15], s[16:17]
	s_cbranch_execz .LBB116_754
; %bb.753:
	v_ashrrev_i32_e32 v125, 31, v124
	v_lshlrev_b64 v[132:133], 2, v[124:125]
	v_add_co_u32_e32 v132, vcc, v4, v132
	v_addc_co_u32_e32 v133, vcc, v5, v133, vcc
	flat_load_dword v125, v[132:133]
	flat_load_dword v127, v[4:5] offset:176
	s_waitcnt vmcnt(0) lgkmcnt(0)
	flat_store_dword v[4:5], v125 offset:176
	flat_store_dword v[132:133], v127
.LBB116_754:
	s_or_b64 exec, exec, s[14:15]
	v_mov_b32_e32 v125, v124
	v_mov_b32_e32 v127, v124
.LBB116_755:
	s_or_b64 exec, exec, s[2:3]
.LBB116_756:
	s_andn2_saveexec_b64 s[0:1], s[0:1]
	s_cbranch_execz .LBB116_758
; %bb.757:
	v_mov_b32_e32 v127, 44
	ds_write2_b64 v126, v[28:29], v[26:27] offset0:45 offset1:46
	ds_write2_b64 v126, v[24:25], v[22:23] offset0:47 offset1:48
	;; [unrolled: 1-line block ×7, first 2 shown]
.LBB116_758:
	s_or_b64 exec, exec, s[0:1]
	v_cmp_lt_i32_e32 vcc, 44, v127
	s_waitcnt lgkmcnt(0)
	s_barrier
	s_and_saveexec_b64 s[0:1], vcc
	s_cbranch_execz .LBB116_760
; %bb.759:
	ds_read2_b64 v[132:135], v126 offset0:45 offset1:46
	ds_read2_b64 v[136:139], v126 offset0:47 offset1:48
	v_mul_f64 v[30:31], v[122:123], v[30:31]
	ds_read2_b64 v[140:143], v126 offset0:49 offset1:50
	s_waitcnt lgkmcnt(0)
	v_fma_f64 v[28:29], -v[30:31], v[132:133], v[28:29]
	v_fma_f64 v[26:27], -v[30:31], v[134:135], v[26:27]
	ds_read2_b64 v[132:135], v126 offset0:51 offset1:52
	v_fma_f64 v[24:25], -v[30:31], v[136:137], v[24:25]
	v_fma_f64 v[22:23], -v[30:31], v[138:139], v[22:23]
	;; [unrolled: 1-line block ×4, first 2 shown]
	ds_read2_b64 v[136:139], v126 offset0:53 offset1:54
	ds_read2_b64 v[140:143], v126 offset0:55 offset1:56
	s_waitcnt lgkmcnt(0)
	v_fma_f64 v[16:17], -v[30:31], v[132:133], v[16:17]
	v_fma_f64 v[14:15], -v[30:31], v[134:135], v[14:15]
	ds_read2_b64 v[132:135], v126 offset0:57 offset1:58
	v_fma_f64 v[12:13], -v[30:31], v[136:137], v[12:13]
	v_fma_f64 v[10:11], -v[30:31], v[138:139], v[10:11]
	;; [unrolled: 1-line block ×4, first 2 shown]
	s_waitcnt lgkmcnt(0)
	v_fma_f64 v[0:1], -v[30:31], v[132:133], v[0:1]
	v_fma_f64 v[120:121], -v[30:31], v[134:135], v[120:121]
.LBB116_760:
	s_or_b64 exec, exec, s[0:1]
	v_lshl_add_u32 v122, v127, 3, v126
	s_barrier
	ds_write_b64 v122, v[28:29]
	s_waitcnt lgkmcnt(0)
	s_barrier
	ds_read_b64 v[122:123], v126 offset:360
	s_cmp_lt_i32 s18, 47
	v_mov_b32_e32 v124, 45
	s_cbranch_scc1 .LBB116_763
; %bb.761:
	v_add_u32_e32 v131, 0x170, v126
	s_mov_b32 s0, 46
	v_mov_b32_e32 v124, 45
.LBB116_762:                            ; =>This Inner Loop Header: Depth=1
	ds_read_b64 v[132:133], v131
	v_mov_b32_e32 v134, s0
	s_add_i32 s0, s0, 1
	v_add_u32_e32 v131, 8, v131
	s_cmp_lg_u32 s18, s0
	s_waitcnt lgkmcnt(0)
	v_cmp_lt_f64_e64 vcc, |v[122:123]|, |v[132:133]|
	v_cndmask_b32_e32 v123, v123, v133, vcc
	v_cndmask_b32_e32 v122, v122, v132, vcc
	;; [unrolled: 1-line block ×3, first 2 shown]
	s_cbranch_scc1 .LBB116_762
.LBB116_763:
	s_waitcnt lgkmcnt(0)
	v_cmp_eq_f64_e32 vcc, 0, v[122:123]
	s_and_saveexec_b64 s[0:1], vcc
	s_xor_b64 s[0:1], exec, s[0:1]
; %bb.764:
	v_cmp_ne_u32_e32 vcc, 0, v130
	v_cndmask_b32_e32 v130, 46, v130, vcc
; %bb.765:
	s_andn2_saveexec_b64 s[0:1], s[0:1]
; %bb.766:
	v_div_scale_f64 v[132:133], s[2:3], v[122:123], v[122:123], 1.0
	v_rcp_f64_e32 v[134:135], v[132:133]
	v_div_scale_f64 v[136:137], vcc, 1.0, v[122:123], 1.0
	v_fma_f64 v[138:139], -v[132:133], v[134:135], 1.0
	v_fmac_f64_e32 v[134:135], v[134:135], v[138:139]
	v_fma_f64 v[138:139], -v[132:133], v[134:135], 1.0
	v_fmac_f64_e32 v[134:135], v[134:135], v[138:139]
	v_mul_f64 v[138:139], v[136:137], v[134:135]
	v_fma_f64 v[132:133], -v[132:133], v[138:139], v[136:137]
	v_div_fmas_f64 v[132:133], v[132:133], v[134:135], v[138:139]
	v_div_fixup_f64 v[122:123], v[132:133], v[122:123], 1.0
; %bb.767:
	s_or_b64 exec, exec, s[0:1]
	v_cmp_ne_u32_e32 vcc, v127, v124
	s_and_saveexec_b64 s[0:1], vcc
	s_xor_b64 s[0:1], exec, s[0:1]
	s_cbranch_execz .LBB116_773
; %bb.768:
	v_cmp_eq_u32_e32 vcc, 45, v127
	s_and_saveexec_b64 s[2:3], vcc
	s_cbranch_execz .LBB116_772
; %bb.769:
	v_cmp_ne_u32_e32 vcc, 45, v124
	s_xor_b64 s[14:15], s[6:7], -1
	s_and_b64 s[16:17], s[14:15], vcc
	s_and_saveexec_b64 s[14:15], s[16:17]
	s_cbranch_execz .LBB116_771
; %bb.770:
	v_ashrrev_i32_e32 v125, 31, v124
	v_lshlrev_b64 v[132:133], 2, v[124:125]
	v_add_co_u32_e32 v132, vcc, v4, v132
	v_addc_co_u32_e32 v133, vcc, v5, v133, vcc
	flat_load_dword v125, v[132:133]
	flat_load_dword v127, v[4:5] offset:180
	s_waitcnt vmcnt(0) lgkmcnt(0)
	flat_store_dword v[4:5], v125 offset:180
	flat_store_dword v[132:133], v127
.LBB116_771:
	s_or_b64 exec, exec, s[14:15]
	v_mov_b32_e32 v125, v124
	v_mov_b32_e32 v127, v124
.LBB116_772:
	s_or_b64 exec, exec, s[2:3]
.LBB116_773:
	s_andn2_saveexec_b64 s[0:1], s[0:1]
	s_cbranch_execz .LBB116_775
; %bb.774:
	v_mov_b32_e32 v132, v26
	v_mov_b32_e32 v133, v27
	v_mov_b32_e32 v134, v24
	v_mov_b32_e32 v135, v25
	ds_write2_b64 v126, v[132:133], v[134:135] offset0:46 offset1:47
	v_mov_b32_e32 v132, v22
	v_mov_b32_e32 v133, v23
	v_mov_b32_e32 v134, v20
	v_mov_b32_e32 v135, v21
	ds_write2_b64 v126, v[132:133], v[134:135] offset0:48 offset1:49
	;; [unrolled: 5-line block ×5, first 2 shown]
	v_mov_b32_e32 v132, v6
	v_mov_b32_e32 v133, v7
	v_mov_b32_e32 v134, v0
	v_mov_b32_e32 v135, v1
	v_mov_b32_e32 v127, 45
	ds_write2_b64 v126, v[132:133], v[134:135] offset0:56 offset1:57
	ds_write_b64 v126, v[120:121] offset:464
.LBB116_775:
	s_or_b64 exec, exec, s[0:1]
	v_cmp_lt_i32_e32 vcc, 45, v127
	s_waitcnt lgkmcnt(0)
	s_barrier
	s_and_saveexec_b64 s[0:1], vcc
	s_cbranch_execz .LBB116_777
; %bb.776:
	ds_read2_b64 v[132:135], v126 offset0:46 offset1:47
	ds_read2_b64 v[136:139], v126 offset0:48 offset1:49
	;; [unrolled: 1-line block ×3, first 2 shown]
	v_mul_f64 v[28:29], v[122:123], v[28:29]
	ds_read_b64 v[122:123], v126 offset:464
	s_waitcnt lgkmcnt(0)
	v_fma_f64 v[26:27], -v[28:29], v[132:133], v[26:27]
	v_fma_f64 v[24:25], -v[28:29], v[134:135], v[24:25]
	ds_read2_b64 v[132:135], v126 offset0:52 offset1:53
	v_fma_f64 v[22:23], -v[28:29], v[136:137], v[22:23]
	v_fma_f64 v[20:21], -v[28:29], v[138:139], v[20:21]
	;; [unrolled: 1-line block ×4, first 2 shown]
	ds_read2_b64 v[136:139], v126 offset0:54 offset1:55
	ds_read2_b64 v[140:143], v126 offset0:56 offset1:57
	s_waitcnt lgkmcnt(0)
	v_fma_f64 v[14:15], -v[28:29], v[132:133], v[14:15]
	v_fma_f64 v[12:13], -v[28:29], v[134:135], v[12:13]
	;; [unrolled: 1-line block ×7, first 2 shown]
.LBB116_777:
	s_or_b64 exec, exec, s[0:1]
	v_lshl_add_u32 v122, v127, 3, v126
	s_barrier
	ds_write_b64 v122, v[26:27]
	s_waitcnt lgkmcnt(0)
	s_barrier
	ds_read_b64 v[122:123], v126 offset:368
	s_cmp_lt_i32 s18, 48
	v_mov_b32_e32 v124, 46
	s_cbranch_scc1 .LBB116_780
; %bb.778:
	v_add_u32_e32 v131, 0x178, v126
	s_mov_b32 s0, 47
	v_mov_b32_e32 v124, 46
.LBB116_779:                            ; =>This Inner Loop Header: Depth=1
	ds_read_b64 v[132:133], v131
	v_mov_b32_e32 v134, s0
	s_add_i32 s0, s0, 1
	v_add_u32_e32 v131, 8, v131
	s_cmp_lg_u32 s18, s0
	s_waitcnt lgkmcnt(0)
	v_cmp_lt_f64_e64 vcc, |v[122:123]|, |v[132:133]|
	v_cndmask_b32_e32 v123, v123, v133, vcc
	v_cndmask_b32_e32 v122, v122, v132, vcc
	;; [unrolled: 1-line block ×3, first 2 shown]
	s_cbranch_scc1 .LBB116_779
.LBB116_780:
	s_waitcnt lgkmcnt(0)
	v_cmp_eq_f64_e32 vcc, 0, v[122:123]
	s_and_saveexec_b64 s[0:1], vcc
	s_xor_b64 s[0:1], exec, s[0:1]
; %bb.781:
	v_cmp_ne_u32_e32 vcc, 0, v130
	v_cndmask_b32_e32 v130, 47, v130, vcc
; %bb.782:
	s_andn2_saveexec_b64 s[0:1], s[0:1]
; %bb.783:
	v_div_scale_f64 v[132:133], s[2:3], v[122:123], v[122:123], 1.0
	v_rcp_f64_e32 v[134:135], v[132:133]
	v_div_scale_f64 v[136:137], vcc, 1.0, v[122:123], 1.0
	v_fma_f64 v[138:139], -v[132:133], v[134:135], 1.0
	v_fmac_f64_e32 v[134:135], v[134:135], v[138:139]
	v_fma_f64 v[138:139], -v[132:133], v[134:135], 1.0
	v_fmac_f64_e32 v[134:135], v[134:135], v[138:139]
	v_mul_f64 v[138:139], v[136:137], v[134:135]
	v_fma_f64 v[132:133], -v[132:133], v[138:139], v[136:137]
	v_div_fmas_f64 v[132:133], v[132:133], v[134:135], v[138:139]
	v_div_fixup_f64 v[122:123], v[132:133], v[122:123], 1.0
; %bb.784:
	s_or_b64 exec, exec, s[0:1]
	v_cmp_ne_u32_e32 vcc, v127, v124
	s_and_saveexec_b64 s[0:1], vcc
	s_xor_b64 s[0:1], exec, s[0:1]
	s_cbranch_execz .LBB116_790
; %bb.785:
	v_cmp_eq_u32_e32 vcc, 46, v127
	s_and_saveexec_b64 s[2:3], vcc
	s_cbranch_execz .LBB116_789
; %bb.786:
	v_cmp_ne_u32_e32 vcc, 46, v124
	s_xor_b64 s[14:15], s[6:7], -1
	s_and_b64 s[16:17], s[14:15], vcc
	s_and_saveexec_b64 s[14:15], s[16:17]
	s_cbranch_execz .LBB116_788
; %bb.787:
	v_ashrrev_i32_e32 v125, 31, v124
	v_lshlrev_b64 v[132:133], 2, v[124:125]
	v_add_co_u32_e32 v132, vcc, v4, v132
	v_addc_co_u32_e32 v133, vcc, v5, v133, vcc
	flat_load_dword v125, v[132:133]
	flat_load_dword v127, v[4:5] offset:184
	s_waitcnt vmcnt(0) lgkmcnt(0)
	flat_store_dword v[4:5], v125 offset:184
	flat_store_dword v[132:133], v127
.LBB116_788:
	s_or_b64 exec, exec, s[14:15]
	v_mov_b32_e32 v125, v124
	v_mov_b32_e32 v127, v124
.LBB116_789:
	s_or_b64 exec, exec, s[2:3]
.LBB116_790:
	s_andn2_saveexec_b64 s[0:1], s[0:1]
	s_cbranch_execz .LBB116_792
; %bb.791:
	v_mov_b32_e32 v127, 46
	ds_write2_b64 v126, v[24:25], v[22:23] offset0:47 offset1:48
	ds_write2_b64 v126, v[20:21], v[18:19] offset0:49 offset1:50
	;; [unrolled: 1-line block ×6, first 2 shown]
.LBB116_792:
	s_or_b64 exec, exec, s[0:1]
	v_cmp_lt_i32_e32 vcc, 46, v127
	s_waitcnt lgkmcnt(0)
	s_barrier
	s_and_saveexec_b64 s[0:1], vcc
	s_cbranch_execz .LBB116_794
; %bb.793:
	ds_read2_b64 v[132:135], v126 offset0:47 offset1:48
	ds_read2_b64 v[136:139], v126 offset0:49 offset1:50
	;; [unrolled: 1-line block ×3, first 2 shown]
	v_mul_f64 v[26:27], v[122:123], v[26:27]
	s_waitcnt lgkmcnt(0)
	v_fma_f64 v[24:25], -v[26:27], v[132:133], v[24:25]
	v_fma_f64 v[22:23], -v[26:27], v[134:135], v[22:23]
	ds_read2_b64 v[132:135], v126 offset0:53 offset1:54
	v_fma_f64 v[20:21], -v[26:27], v[136:137], v[20:21]
	v_fma_f64 v[18:19], -v[26:27], v[138:139], v[18:19]
	;; [unrolled: 1-line block ×3, first 2 shown]
	ds_read2_b64 v[136:139], v126 offset0:55 offset1:56
	v_fma_f64 v[14:15], -v[26:27], v[142:143], v[14:15]
	ds_read2_b64 v[140:143], v126 offset0:57 offset1:58
	s_waitcnt lgkmcnt(0)
	v_fma_f64 v[12:13], -v[26:27], v[132:133], v[12:13]
	v_fma_f64 v[10:11], -v[26:27], v[134:135], v[10:11]
	;; [unrolled: 1-line block ×6, first 2 shown]
.LBB116_794:
	s_or_b64 exec, exec, s[0:1]
	v_lshl_add_u32 v122, v127, 3, v126
	s_barrier
	ds_write_b64 v122, v[24:25]
	s_waitcnt lgkmcnt(0)
	s_barrier
	ds_read_b64 v[122:123], v126 offset:376
	s_cmp_lt_i32 s18, 49
	v_mov_b32_e32 v124, 47
	s_cbranch_scc1 .LBB116_797
; %bb.795:
	v_add_u32_e32 v131, 0x180, v126
	s_mov_b32 s0, 48
	v_mov_b32_e32 v124, 47
.LBB116_796:                            ; =>This Inner Loop Header: Depth=1
	ds_read_b64 v[132:133], v131
	v_mov_b32_e32 v134, s0
	s_add_i32 s0, s0, 1
	v_add_u32_e32 v131, 8, v131
	s_cmp_lg_u32 s18, s0
	s_waitcnt lgkmcnt(0)
	v_cmp_lt_f64_e64 vcc, |v[122:123]|, |v[132:133]|
	v_cndmask_b32_e32 v123, v123, v133, vcc
	v_cndmask_b32_e32 v122, v122, v132, vcc
	;; [unrolled: 1-line block ×3, first 2 shown]
	s_cbranch_scc1 .LBB116_796
.LBB116_797:
	s_waitcnt lgkmcnt(0)
	v_cmp_eq_f64_e32 vcc, 0, v[122:123]
	s_and_saveexec_b64 s[0:1], vcc
	s_xor_b64 s[0:1], exec, s[0:1]
; %bb.798:
	v_cmp_ne_u32_e32 vcc, 0, v130
	v_cndmask_b32_e32 v130, 48, v130, vcc
; %bb.799:
	s_andn2_saveexec_b64 s[0:1], s[0:1]
; %bb.800:
	v_div_scale_f64 v[132:133], s[2:3], v[122:123], v[122:123], 1.0
	v_rcp_f64_e32 v[134:135], v[132:133]
	v_div_scale_f64 v[136:137], vcc, 1.0, v[122:123], 1.0
	v_fma_f64 v[138:139], -v[132:133], v[134:135], 1.0
	v_fmac_f64_e32 v[134:135], v[134:135], v[138:139]
	v_fma_f64 v[138:139], -v[132:133], v[134:135], 1.0
	v_fmac_f64_e32 v[134:135], v[134:135], v[138:139]
	v_mul_f64 v[138:139], v[136:137], v[134:135]
	v_fma_f64 v[132:133], -v[132:133], v[138:139], v[136:137]
	v_div_fmas_f64 v[132:133], v[132:133], v[134:135], v[138:139]
	v_div_fixup_f64 v[122:123], v[132:133], v[122:123], 1.0
; %bb.801:
	s_or_b64 exec, exec, s[0:1]
	v_cmp_ne_u32_e32 vcc, v127, v124
	s_and_saveexec_b64 s[0:1], vcc
	s_xor_b64 s[0:1], exec, s[0:1]
	s_cbranch_execz .LBB116_807
; %bb.802:
	v_cmp_eq_u32_e32 vcc, 47, v127
	s_and_saveexec_b64 s[2:3], vcc
	s_cbranch_execz .LBB116_806
; %bb.803:
	v_cmp_ne_u32_e32 vcc, 47, v124
	s_xor_b64 s[14:15], s[6:7], -1
	s_and_b64 s[16:17], s[14:15], vcc
	s_and_saveexec_b64 s[14:15], s[16:17]
	s_cbranch_execz .LBB116_805
; %bb.804:
	v_ashrrev_i32_e32 v125, 31, v124
	v_lshlrev_b64 v[132:133], 2, v[124:125]
	v_add_co_u32_e32 v132, vcc, v4, v132
	v_addc_co_u32_e32 v133, vcc, v5, v133, vcc
	flat_load_dword v125, v[132:133]
	flat_load_dword v127, v[4:5] offset:188
	s_waitcnt vmcnt(0) lgkmcnt(0)
	flat_store_dword v[4:5], v125 offset:188
	flat_store_dword v[132:133], v127
.LBB116_805:
	s_or_b64 exec, exec, s[14:15]
	v_mov_b32_e32 v125, v124
	v_mov_b32_e32 v127, v124
.LBB116_806:
	s_or_b64 exec, exec, s[2:3]
.LBB116_807:
	s_andn2_saveexec_b64 s[0:1], s[0:1]
	s_cbranch_execz .LBB116_809
; %bb.808:
	v_mov_b32_e32 v132, v22
	v_mov_b32_e32 v133, v23
	v_mov_b32_e32 v134, v20
	v_mov_b32_e32 v135, v21
	ds_write2_b64 v126, v[132:133], v[134:135] offset0:48 offset1:49
	v_mov_b32_e32 v132, v18
	v_mov_b32_e32 v133, v19
	v_mov_b32_e32 v134, v16
	v_mov_b32_e32 v135, v17
	ds_write2_b64 v126, v[132:133], v[134:135] offset0:50 offset1:51
	;; [unrolled: 5-line block ×4, first 2 shown]
	v_mov_b32_e32 v132, v6
	v_mov_b32_e32 v133, v7
	v_mov_b32_e32 v134, v0
	v_mov_b32_e32 v135, v1
	v_mov_b32_e32 v127, 47
	ds_write2_b64 v126, v[132:133], v[134:135] offset0:56 offset1:57
	ds_write_b64 v126, v[120:121] offset:464
.LBB116_809:
	s_or_b64 exec, exec, s[0:1]
	v_cmp_lt_i32_e32 vcc, 47, v127
	s_waitcnt lgkmcnt(0)
	s_barrier
	s_and_saveexec_b64 s[0:1], vcc
	s_cbranch_execz .LBB116_811
; %bb.810:
	ds_read2_b64 v[132:135], v126 offset0:48 offset1:49
	ds_read2_b64 v[136:139], v126 offset0:50 offset1:51
	v_mul_f64 v[24:25], v[122:123], v[24:25]
	ds_read2_b64 v[140:143], v126 offset0:52 offset1:53
	ds_read_b64 v[122:123], v126 offset:464
	s_waitcnt lgkmcnt(0)
	v_fma_f64 v[22:23], -v[24:25], v[132:133], v[22:23]
	v_fma_f64 v[20:21], -v[24:25], v[134:135], v[20:21]
	ds_read2_b64 v[132:135], v126 offset0:54 offset1:55
	v_fma_f64 v[18:19], -v[24:25], v[136:137], v[18:19]
	v_fma_f64 v[16:17], -v[24:25], v[138:139], v[16:17]
	ds_read2_b64 v[136:139], v126 offset0:56 offset1:57
	v_fma_f64 v[14:15], -v[24:25], v[140:141], v[14:15]
	v_fma_f64 v[12:13], -v[24:25], v[142:143], v[12:13]
	s_waitcnt lgkmcnt(0)
	v_fma_f64 v[10:11], -v[24:25], v[132:133], v[10:11]
	v_fma_f64 v[8:9], -v[24:25], v[134:135], v[8:9]
	;; [unrolled: 1-line block ×5, first 2 shown]
.LBB116_811:
	s_or_b64 exec, exec, s[0:1]
	v_lshl_add_u32 v122, v127, 3, v126
	s_barrier
	ds_write_b64 v122, v[22:23]
	s_waitcnt lgkmcnt(0)
	s_barrier
	ds_read_b64 v[122:123], v126 offset:384
	s_cmp_lt_i32 s18, 50
	v_mov_b32_e32 v124, 48
	s_cbranch_scc1 .LBB116_814
; %bb.812:
	v_add_u32_e32 v131, 0x188, v126
	s_mov_b32 s0, 49
	v_mov_b32_e32 v124, 48
.LBB116_813:                            ; =>This Inner Loop Header: Depth=1
	ds_read_b64 v[132:133], v131
	v_mov_b32_e32 v134, s0
	s_add_i32 s0, s0, 1
	v_add_u32_e32 v131, 8, v131
	s_cmp_lg_u32 s18, s0
	s_waitcnt lgkmcnt(0)
	v_cmp_lt_f64_e64 vcc, |v[122:123]|, |v[132:133]|
	v_cndmask_b32_e32 v123, v123, v133, vcc
	v_cndmask_b32_e32 v122, v122, v132, vcc
	;; [unrolled: 1-line block ×3, first 2 shown]
	s_cbranch_scc1 .LBB116_813
.LBB116_814:
	s_waitcnt lgkmcnt(0)
	v_cmp_eq_f64_e32 vcc, 0, v[122:123]
	s_and_saveexec_b64 s[0:1], vcc
	s_xor_b64 s[0:1], exec, s[0:1]
; %bb.815:
	v_cmp_ne_u32_e32 vcc, 0, v130
	v_cndmask_b32_e32 v130, 49, v130, vcc
; %bb.816:
	s_andn2_saveexec_b64 s[0:1], s[0:1]
; %bb.817:
	v_div_scale_f64 v[132:133], s[2:3], v[122:123], v[122:123], 1.0
	v_rcp_f64_e32 v[134:135], v[132:133]
	v_div_scale_f64 v[136:137], vcc, 1.0, v[122:123], 1.0
	v_fma_f64 v[138:139], -v[132:133], v[134:135], 1.0
	v_fmac_f64_e32 v[134:135], v[134:135], v[138:139]
	v_fma_f64 v[138:139], -v[132:133], v[134:135], 1.0
	v_fmac_f64_e32 v[134:135], v[134:135], v[138:139]
	v_mul_f64 v[138:139], v[136:137], v[134:135]
	v_fma_f64 v[132:133], -v[132:133], v[138:139], v[136:137]
	v_div_fmas_f64 v[132:133], v[132:133], v[134:135], v[138:139]
	v_div_fixup_f64 v[122:123], v[132:133], v[122:123], 1.0
; %bb.818:
	s_or_b64 exec, exec, s[0:1]
	v_cmp_ne_u32_e32 vcc, v127, v124
	s_and_saveexec_b64 s[0:1], vcc
	s_xor_b64 s[0:1], exec, s[0:1]
	s_cbranch_execz .LBB116_824
; %bb.819:
	v_cmp_eq_u32_e32 vcc, 48, v127
	s_and_saveexec_b64 s[2:3], vcc
	s_cbranch_execz .LBB116_823
; %bb.820:
	v_cmp_ne_u32_e32 vcc, 48, v124
	s_xor_b64 s[14:15], s[6:7], -1
	s_and_b64 s[16:17], s[14:15], vcc
	s_and_saveexec_b64 s[14:15], s[16:17]
	s_cbranch_execz .LBB116_822
; %bb.821:
	v_ashrrev_i32_e32 v125, 31, v124
	v_lshlrev_b64 v[132:133], 2, v[124:125]
	v_add_co_u32_e32 v132, vcc, v4, v132
	v_addc_co_u32_e32 v133, vcc, v5, v133, vcc
	flat_load_dword v125, v[132:133]
	flat_load_dword v127, v[4:5] offset:192
	s_waitcnt vmcnt(0) lgkmcnt(0)
	flat_store_dword v[4:5], v125 offset:192
	flat_store_dword v[132:133], v127
.LBB116_822:
	s_or_b64 exec, exec, s[14:15]
	v_mov_b32_e32 v125, v124
	v_mov_b32_e32 v127, v124
.LBB116_823:
	s_or_b64 exec, exec, s[2:3]
.LBB116_824:
	s_andn2_saveexec_b64 s[0:1], s[0:1]
	s_cbranch_execz .LBB116_826
; %bb.825:
	v_mov_b32_e32 v127, 48
	ds_write2_b64 v126, v[20:21], v[18:19] offset0:49 offset1:50
	ds_write2_b64 v126, v[16:17], v[14:15] offset0:51 offset1:52
	;; [unrolled: 1-line block ×5, first 2 shown]
.LBB116_826:
	s_or_b64 exec, exec, s[0:1]
	v_cmp_lt_i32_e32 vcc, 48, v127
	s_waitcnt lgkmcnt(0)
	s_barrier
	s_and_saveexec_b64 s[0:1], vcc
	s_cbranch_execz .LBB116_828
; %bb.827:
	ds_read2_b64 v[132:135], v126 offset0:49 offset1:50
	ds_read2_b64 v[136:139], v126 offset0:51 offset1:52
	v_mul_f64 v[22:23], v[122:123], v[22:23]
	ds_read2_b64 v[140:143], v126 offset0:55 offset1:56
	s_waitcnt lgkmcnt(0)
	v_fma_f64 v[20:21], -v[22:23], v[132:133], v[20:21]
	v_fma_f64 v[18:19], -v[22:23], v[134:135], v[18:19]
	ds_read2_b64 v[132:135], v126 offset0:53 offset1:54
	v_fma_f64 v[16:17], -v[22:23], v[136:137], v[16:17]
	v_fma_f64 v[14:15], -v[22:23], v[138:139], v[14:15]
	ds_read2_b64 v[136:139], v126 offset0:57 offset1:58
	v_fma_f64 v[8:9], -v[22:23], v[140:141], v[8:9]
	s_waitcnt lgkmcnt(0)
	v_fma_f64 v[12:13], -v[22:23], v[132:133], v[12:13]
	v_fma_f64 v[10:11], -v[22:23], v[134:135], v[10:11]
	;; [unrolled: 1-line block ×5, first 2 shown]
.LBB116_828:
	s_or_b64 exec, exec, s[0:1]
	v_lshl_add_u32 v122, v127, 3, v126
	s_barrier
	ds_write_b64 v122, v[20:21]
	s_waitcnt lgkmcnt(0)
	s_barrier
	ds_read_b64 v[122:123], v126 offset:392
	s_cmp_lt_i32 s18, 51
	v_mov_b32_e32 v124, 49
	s_cbranch_scc1 .LBB116_831
; %bb.829:
	v_add_u32_e32 v131, 0x190, v126
	s_mov_b32 s0, 50
	v_mov_b32_e32 v124, 49
.LBB116_830:                            ; =>This Inner Loop Header: Depth=1
	ds_read_b64 v[132:133], v131
	v_mov_b32_e32 v134, s0
	s_add_i32 s0, s0, 1
	v_add_u32_e32 v131, 8, v131
	s_cmp_lg_u32 s18, s0
	s_waitcnt lgkmcnt(0)
	v_cmp_lt_f64_e64 vcc, |v[122:123]|, |v[132:133]|
	v_cndmask_b32_e32 v123, v123, v133, vcc
	v_cndmask_b32_e32 v122, v122, v132, vcc
	v_cndmask_b32_e32 v124, v124, v134, vcc
	s_cbranch_scc1 .LBB116_830
.LBB116_831:
	s_waitcnt lgkmcnt(0)
	v_cmp_eq_f64_e32 vcc, 0, v[122:123]
	s_and_saveexec_b64 s[0:1], vcc
	s_xor_b64 s[0:1], exec, s[0:1]
; %bb.832:
	v_cmp_ne_u32_e32 vcc, 0, v130
	v_cndmask_b32_e32 v130, 50, v130, vcc
; %bb.833:
	s_andn2_saveexec_b64 s[0:1], s[0:1]
; %bb.834:
	v_div_scale_f64 v[132:133], s[2:3], v[122:123], v[122:123], 1.0
	v_rcp_f64_e32 v[134:135], v[132:133]
	v_div_scale_f64 v[136:137], vcc, 1.0, v[122:123], 1.0
	v_fma_f64 v[138:139], -v[132:133], v[134:135], 1.0
	v_fmac_f64_e32 v[134:135], v[134:135], v[138:139]
	v_fma_f64 v[138:139], -v[132:133], v[134:135], 1.0
	v_fmac_f64_e32 v[134:135], v[134:135], v[138:139]
	v_mul_f64 v[138:139], v[136:137], v[134:135]
	v_fma_f64 v[132:133], -v[132:133], v[138:139], v[136:137]
	v_div_fmas_f64 v[132:133], v[132:133], v[134:135], v[138:139]
	v_div_fixup_f64 v[122:123], v[132:133], v[122:123], 1.0
; %bb.835:
	s_or_b64 exec, exec, s[0:1]
	v_cmp_ne_u32_e32 vcc, v127, v124
	s_and_saveexec_b64 s[0:1], vcc
	s_xor_b64 s[0:1], exec, s[0:1]
	s_cbranch_execz .LBB116_841
; %bb.836:
	v_cmp_eq_u32_e32 vcc, 49, v127
	s_and_saveexec_b64 s[2:3], vcc
	s_cbranch_execz .LBB116_840
; %bb.837:
	v_cmp_ne_u32_e32 vcc, 49, v124
	s_xor_b64 s[14:15], s[6:7], -1
	s_and_b64 s[16:17], s[14:15], vcc
	s_and_saveexec_b64 s[14:15], s[16:17]
	s_cbranch_execz .LBB116_839
; %bb.838:
	v_ashrrev_i32_e32 v125, 31, v124
	v_lshlrev_b64 v[132:133], 2, v[124:125]
	v_add_co_u32_e32 v132, vcc, v4, v132
	v_addc_co_u32_e32 v133, vcc, v5, v133, vcc
	flat_load_dword v125, v[132:133]
	flat_load_dword v127, v[4:5] offset:196
	s_waitcnt vmcnt(0) lgkmcnt(0)
	flat_store_dword v[4:5], v125 offset:196
	flat_store_dword v[132:133], v127
.LBB116_839:
	s_or_b64 exec, exec, s[14:15]
	v_mov_b32_e32 v125, v124
	v_mov_b32_e32 v127, v124
.LBB116_840:
	s_or_b64 exec, exec, s[2:3]
.LBB116_841:
	s_andn2_saveexec_b64 s[0:1], s[0:1]
	s_cbranch_execz .LBB116_843
; %bb.842:
	v_mov_b32_e32 v132, v18
	v_mov_b32_e32 v133, v19
	v_mov_b32_e32 v134, v16
	v_mov_b32_e32 v135, v17
	ds_write2_b64 v126, v[132:133], v[134:135] offset0:50 offset1:51
	v_mov_b32_e32 v132, v14
	v_mov_b32_e32 v133, v15
	v_mov_b32_e32 v134, v12
	v_mov_b32_e32 v135, v13
	ds_write2_b64 v126, v[132:133], v[134:135] offset0:52 offset1:53
	;; [unrolled: 5-line block ×3, first 2 shown]
	v_mov_b32_e32 v132, v6
	v_mov_b32_e32 v133, v7
	v_mov_b32_e32 v134, v0
	v_mov_b32_e32 v135, v1
	v_mov_b32_e32 v127, 49
	ds_write2_b64 v126, v[132:133], v[134:135] offset0:56 offset1:57
	ds_write_b64 v126, v[120:121] offset:464
.LBB116_843:
	s_or_b64 exec, exec, s[0:1]
	v_cmp_lt_i32_e32 vcc, 49, v127
	s_waitcnt lgkmcnt(0)
	s_barrier
	s_and_saveexec_b64 s[0:1], vcc
	s_cbranch_execz .LBB116_845
; %bb.844:
	ds_read2_b64 v[132:135], v126 offset0:50 offset1:51
	ds_read2_b64 v[136:139], v126 offset0:52 offset1:53
	v_mul_f64 v[20:21], v[122:123], v[20:21]
	ds_read_b64 v[122:123], v126 offset:464
	ds_read2_b64 v[140:143], v126 offset0:56 offset1:57
	s_waitcnt lgkmcnt(0)
	v_fma_f64 v[18:19], -v[20:21], v[132:133], v[18:19]
	v_fma_f64 v[16:17], -v[20:21], v[134:135], v[16:17]
	ds_read2_b64 v[132:135], v126 offset0:54 offset1:55
	v_fma_f64 v[14:15], -v[20:21], v[136:137], v[14:15]
	v_fma_f64 v[12:13], -v[20:21], v[138:139], v[12:13]
	;; [unrolled: 1-line block ×4, first 2 shown]
	s_waitcnt lgkmcnt(0)
	v_fma_f64 v[10:11], -v[20:21], v[132:133], v[10:11]
	v_fma_f64 v[8:9], -v[20:21], v[134:135], v[8:9]
	;; [unrolled: 1-line block ×3, first 2 shown]
.LBB116_845:
	s_or_b64 exec, exec, s[0:1]
	v_lshl_add_u32 v122, v127, 3, v126
	s_barrier
	ds_write_b64 v122, v[18:19]
	s_waitcnt lgkmcnt(0)
	s_barrier
	ds_read_b64 v[122:123], v126 offset:400
	s_cmp_lt_i32 s18, 52
	v_mov_b32_e32 v124, 50
	s_cbranch_scc1 .LBB116_848
; %bb.846:
	v_add_u32_e32 v131, 0x198, v126
	s_mov_b32 s0, 51
	v_mov_b32_e32 v124, 50
.LBB116_847:                            ; =>This Inner Loop Header: Depth=1
	ds_read_b64 v[132:133], v131
	v_mov_b32_e32 v134, s0
	s_add_i32 s0, s0, 1
	v_add_u32_e32 v131, 8, v131
	s_cmp_lg_u32 s18, s0
	s_waitcnt lgkmcnt(0)
	v_cmp_lt_f64_e64 vcc, |v[122:123]|, |v[132:133]|
	v_cndmask_b32_e32 v123, v123, v133, vcc
	v_cndmask_b32_e32 v122, v122, v132, vcc
	;; [unrolled: 1-line block ×3, first 2 shown]
	s_cbranch_scc1 .LBB116_847
.LBB116_848:
	s_waitcnt lgkmcnt(0)
	v_cmp_eq_f64_e32 vcc, 0, v[122:123]
	s_and_saveexec_b64 s[0:1], vcc
	s_xor_b64 s[0:1], exec, s[0:1]
; %bb.849:
	v_cmp_ne_u32_e32 vcc, 0, v130
	v_cndmask_b32_e32 v130, 51, v130, vcc
; %bb.850:
	s_andn2_saveexec_b64 s[0:1], s[0:1]
; %bb.851:
	v_div_scale_f64 v[132:133], s[2:3], v[122:123], v[122:123], 1.0
	v_rcp_f64_e32 v[134:135], v[132:133]
	v_div_scale_f64 v[136:137], vcc, 1.0, v[122:123], 1.0
	v_fma_f64 v[138:139], -v[132:133], v[134:135], 1.0
	v_fmac_f64_e32 v[134:135], v[134:135], v[138:139]
	v_fma_f64 v[138:139], -v[132:133], v[134:135], 1.0
	v_fmac_f64_e32 v[134:135], v[134:135], v[138:139]
	v_mul_f64 v[138:139], v[136:137], v[134:135]
	v_fma_f64 v[132:133], -v[132:133], v[138:139], v[136:137]
	v_div_fmas_f64 v[132:133], v[132:133], v[134:135], v[138:139]
	v_div_fixup_f64 v[122:123], v[132:133], v[122:123], 1.0
; %bb.852:
	s_or_b64 exec, exec, s[0:1]
	v_cmp_ne_u32_e32 vcc, v127, v124
	s_and_saveexec_b64 s[0:1], vcc
	s_xor_b64 s[0:1], exec, s[0:1]
	s_cbranch_execz .LBB116_858
; %bb.853:
	v_cmp_eq_u32_e32 vcc, 50, v127
	s_and_saveexec_b64 s[2:3], vcc
	s_cbranch_execz .LBB116_857
; %bb.854:
	v_cmp_ne_u32_e32 vcc, 50, v124
	s_xor_b64 s[14:15], s[6:7], -1
	s_and_b64 s[16:17], s[14:15], vcc
	s_and_saveexec_b64 s[14:15], s[16:17]
	s_cbranch_execz .LBB116_856
; %bb.855:
	v_ashrrev_i32_e32 v125, 31, v124
	v_lshlrev_b64 v[132:133], 2, v[124:125]
	v_add_co_u32_e32 v132, vcc, v4, v132
	v_addc_co_u32_e32 v133, vcc, v5, v133, vcc
	flat_load_dword v125, v[132:133]
	flat_load_dword v127, v[4:5] offset:200
	s_waitcnt vmcnt(0) lgkmcnt(0)
	flat_store_dword v[4:5], v125 offset:200
	flat_store_dword v[132:133], v127
.LBB116_856:
	s_or_b64 exec, exec, s[14:15]
	v_mov_b32_e32 v125, v124
	v_mov_b32_e32 v127, v124
.LBB116_857:
	s_or_b64 exec, exec, s[2:3]
.LBB116_858:
	s_andn2_saveexec_b64 s[0:1], s[0:1]
	s_cbranch_execz .LBB116_860
; %bb.859:
	v_mov_b32_e32 v127, 50
	ds_write2_b64 v126, v[16:17], v[14:15] offset0:51 offset1:52
	ds_write2_b64 v126, v[12:13], v[10:11] offset0:53 offset1:54
	;; [unrolled: 1-line block ×4, first 2 shown]
.LBB116_860:
	s_or_b64 exec, exec, s[0:1]
	v_cmp_lt_i32_e32 vcc, 50, v127
	s_waitcnt lgkmcnt(0)
	s_barrier
	s_and_saveexec_b64 s[0:1], vcc
	s_cbranch_execz .LBB116_862
; %bb.861:
	ds_read2_b64 v[132:135], v126 offset0:51 offset1:52
	ds_read2_b64 v[136:139], v126 offset0:53 offset1:54
	v_mul_f64 v[18:19], v[122:123], v[18:19]
	ds_read2_b64 v[140:143], v126 offset0:55 offset1:56
	s_waitcnt lgkmcnt(0)
	v_fma_f64 v[16:17], -v[18:19], v[132:133], v[16:17]
	v_fma_f64 v[14:15], -v[18:19], v[134:135], v[14:15]
	ds_read2_b64 v[132:135], v126 offset0:57 offset1:58
	v_fma_f64 v[12:13], -v[18:19], v[136:137], v[12:13]
	v_fma_f64 v[10:11], -v[18:19], v[138:139], v[10:11]
	;; [unrolled: 1-line block ×4, first 2 shown]
	s_waitcnt lgkmcnt(0)
	v_fma_f64 v[0:1], -v[18:19], v[132:133], v[0:1]
	v_fma_f64 v[120:121], -v[18:19], v[134:135], v[120:121]
.LBB116_862:
	s_or_b64 exec, exec, s[0:1]
	v_lshl_add_u32 v122, v127, 3, v126
	s_barrier
	ds_write_b64 v122, v[16:17]
	s_waitcnt lgkmcnt(0)
	s_barrier
	ds_read_b64 v[122:123], v126 offset:408
	s_cmp_lt_i32 s18, 53
	v_mov_b32_e32 v124, 51
	s_cbranch_scc1 .LBB116_865
; %bb.863:
	v_add_u32_e32 v131, 0x1a0, v126
	s_mov_b32 s0, 52
	v_mov_b32_e32 v124, 51
.LBB116_864:                            ; =>This Inner Loop Header: Depth=1
	ds_read_b64 v[132:133], v131
	v_mov_b32_e32 v134, s0
	s_add_i32 s0, s0, 1
	v_add_u32_e32 v131, 8, v131
	s_cmp_lg_u32 s18, s0
	s_waitcnt lgkmcnt(0)
	v_cmp_lt_f64_e64 vcc, |v[122:123]|, |v[132:133]|
	v_cndmask_b32_e32 v123, v123, v133, vcc
	v_cndmask_b32_e32 v122, v122, v132, vcc
	;; [unrolled: 1-line block ×3, first 2 shown]
	s_cbranch_scc1 .LBB116_864
.LBB116_865:
	s_waitcnt lgkmcnt(0)
	v_cmp_eq_f64_e32 vcc, 0, v[122:123]
	s_and_saveexec_b64 s[0:1], vcc
	s_xor_b64 s[0:1], exec, s[0:1]
; %bb.866:
	v_cmp_ne_u32_e32 vcc, 0, v130
	v_cndmask_b32_e32 v130, 52, v130, vcc
; %bb.867:
	s_andn2_saveexec_b64 s[0:1], s[0:1]
; %bb.868:
	v_div_scale_f64 v[132:133], s[2:3], v[122:123], v[122:123], 1.0
	v_rcp_f64_e32 v[134:135], v[132:133]
	v_div_scale_f64 v[136:137], vcc, 1.0, v[122:123], 1.0
	v_fma_f64 v[138:139], -v[132:133], v[134:135], 1.0
	v_fmac_f64_e32 v[134:135], v[134:135], v[138:139]
	v_fma_f64 v[138:139], -v[132:133], v[134:135], 1.0
	v_fmac_f64_e32 v[134:135], v[134:135], v[138:139]
	v_mul_f64 v[138:139], v[136:137], v[134:135]
	v_fma_f64 v[132:133], -v[132:133], v[138:139], v[136:137]
	v_div_fmas_f64 v[132:133], v[132:133], v[134:135], v[138:139]
	v_div_fixup_f64 v[122:123], v[132:133], v[122:123], 1.0
; %bb.869:
	s_or_b64 exec, exec, s[0:1]
	v_cmp_ne_u32_e32 vcc, v127, v124
	s_and_saveexec_b64 s[0:1], vcc
	s_xor_b64 s[0:1], exec, s[0:1]
	s_cbranch_execz .LBB116_875
; %bb.870:
	v_cmp_eq_u32_e32 vcc, 51, v127
	s_and_saveexec_b64 s[2:3], vcc
	s_cbranch_execz .LBB116_874
; %bb.871:
	v_cmp_ne_u32_e32 vcc, 51, v124
	s_xor_b64 s[14:15], s[6:7], -1
	s_and_b64 s[16:17], s[14:15], vcc
	s_and_saveexec_b64 s[14:15], s[16:17]
	s_cbranch_execz .LBB116_873
; %bb.872:
	v_ashrrev_i32_e32 v125, 31, v124
	v_lshlrev_b64 v[132:133], 2, v[124:125]
	v_add_co_u32_e32 v132, vcc, v4, v132
	v_addc_co_u32_e32 v133, vcc, v5, v133, vcc
	flat_load_dword v125, v[132:133]
	flat_load_dword v127, v[4:5] offset:204
	s_waitcnt vmcnt(0) lgkmcnt(0)
	flat_store_dword v[4:5], v125 offset:204
	flat_store_dword v[132:133], v127
.LBB116_873:
	s_or_b64 exec, exec, s[14:15]
	v_mov_b32_e32 v125, v124
	v_mov_b32_e32 v127, v124
.LBB116_874:
	s_or_b64 exec, exec, s[2:3]
.LBB116_875:
	s_andn2_saveexec_b64 s[0:1], s[0:1]
	s_cbranch_execz .LBB116_877
; %bb.876:
	v_mov_b32_e32 v132, v14
	v_mov_b32_e32 v133, v15
	;; [unrolled: 1-line block ×4, first 2 shown]
	ds_write2_b64 v126, v[132:133], v[134:135] offset0:52 offset1:53
	v_mov_b32_e32 v132, v10
	v_mov_b32_e32 v133, v11
	;; [unrolled: 1-line block ×4, first 2 shown]
	ds_write2_b64 v126, v[132:133], v[134:135] offset0:54 offset1:55
	v_mov_b32_e32 v132, v6
	v_mov_b32_e32 v133, v7
	;; [unrolled: 1-line block ×5, first 2 shown]
	ds_write2_b64 v126, v[132:133], v[134:135] offset0:56 offset1:57
	ds_write_b64 v126, v[120:121] offset:464
.LBB116_877:
	s_or_b64 exec, exec, s[0:1]
	v_cmp_lt_i32_e32 vcc, 51, v127
	s_waitcnt lgkmcnt(0)
	s_barrier
	s_and_saveexec_b64 s[0:1], vcc
	s_cbranch_execz .LBB116_879
; %bb.878:
	ds_read2_b64 v[132:135], v126 offset0:52 offset1:53
	ds_read2_b64 v[136:139], v126 offset0:54 offset1:55
	v_mul_f64 v[16:17], v[122:123], v[16:17]
	ds_read2_b64 v[140:143], v126 offset0:56 offset1:57
	ds_read_b64 v[122:123], v126 offset:464
	s_waitcnt lgkmcnt(0)
	v_fma_f64 v[14:15], -v[16:17], v[132:133], v[14:15]
	v_fma_f64 v[12:13], -v[16:17], v[134:135], v[12:13]
	;; [unrolled: 1-line block ×7, first 2 shown]
.LBB116_879:
	s_or_b64 exec, exec, s[0:1]
	v_lshl_add_u32 v122, v127, 3, v126
	s_barrier
	ds_write_b64 v122, v[14:15]
	s_waitcnt lgkmcnt(0)
	s_barrier
	ds_read_b64 v[122:123], v126 offset:416
	s_cmp_lt_i32 s18, 54
	v_mov_b32_e32 v124, 52
	s_cbranch_scc1 .LBB116_882
; %bb.880:
	v_add_u32_e32 v131, 0x1a8, v126
	s_mov_b32 s0, 53
	v_mov_b32_e32 v124, 52
.LBB116_881:                            ; =>This Inner Loop Header: Depth=1
	ds_read_b64 v[132:133], v131
	v_mov_b32_e32 v134, s0
	s_add_i32 s0, s0, 1
	v_add_u32_e32 v131, 8, v131
	s_cmp_lg_u32 s18, s0
	s_waitcnt lgkmcnt(0)
	v_cmp_lt_f64_e64 vcc, |v[122:123]|, |v[132:133]|
	v_cndmask_b32_e32 v123, v123, v133, vcc
	v_cndmask_b32_e32 v122, v122, v132, vcc
	;; [unrolled: 1-line block ×3, first 2 shown]
	s_cbranch_scc1 .LBB116_881
.LBB116_882:
	s_waitcnt lgkmcnt(0)
	v_cmp_eq_f64_e32 vcc, 0, v[122:123]
	s_and_saveexec_b64 s[0:1], vcc
	s_xor_b64 s[0:1], exec, s[0:1]
; %bb.883:
	v_cmp_ne_u32_e32 vcc, 0, v130
	v_cndmask_b32_e32 v130, 53, v130, vcc
; %bb.884:
	s_andn2_saveexec_b64 s[0:1], s[0:1]
; %bb.885:
	v_div_scale_f64 v[132:133], s[2:3], v[122:123], v[122:123], 1.0
	v_rcp_f64_e32 v[134:135], v[132:133]
	v_div_scale_f64 v[136:137], vcc, 1.0, v[122:123], 1.0
	v_fma_f64 v[138:139], -v[132:133], v[134:135], 1.0
	v_fmac_f64_e32 v[134:135], v[134:135], v[138:139]
	v_fma_f64 v[138:139], -v[132:133], v[134:135], 1.0
	v_fmac_f64_e32 v[134:135], v[134:135], v[138:139]
	v_mul_f64 v[138:139], v[136:137], v[134:135]
	v_fma_f64 v[132:133], -v[132:133], v[138:139], v[136:137]
	v_div_fmas_f64 v[132:133], v[132:133], v[134:135], v[138:139]
	v_div_fixup_f64 v[122:123], v[132:133], v[122:123], 1.0
; %bb.886:
	s_or_b64 exec, exec, s[0:1]
	v_cmp_ne_u32_e32 vcc, v127, v124
	s_and_saveexec_b64 s[0:1], vcc
	s_xor_b64 s[0:1], exec, s[0:1]
	s_cbranch_execz .LBB116_892
; %bb.887:
	v_cmp_eq_u32_e32 vcc, 52, v127
	s_and_saveexec_b64 s[2:3], vcc
	s_cbranch_execz .LBB116_891
; %bb.888:
	v_cmp_ne_u32_e32 vcc, 52, v124
	s_xor_b64 s[14:15], s[6:7], -1
	s_and_b64 s[16:17], s[14:15], vcc
	s_and_saveexec_b64 s[14:15], s[16:17]
	s_cbranch_execz .LBB116_890
; %bb.889:
	v_ashrrev_i32_e32 v125, 31, v124
	v_lshlrev_b64 v[132:133], 2, v[124:125]
	v_add_co_u32_e32 v132, vcc, v4, v132
	v_addc_co_u32_e32 v133, vcc, v5, v133, vcc
	flat_load_dword v125, v[132:133]
	flat_load_dword v127, v[4:5] offset:208
	s_waitcnt vmcnt(0) lgkmcnt(0)
	flat_store_dword v[4:5], v125 offset:208
	flat_store_dword v[132:133], v127
.LBB116_890:
	s_or_b64 exec, exec, s[14:15]
	v_mov_b32_e32 v125, v124
	v_mov_b32_e32 v127, v124
.LBB116_891:
	s_or_b64 exec, exec, s[2:3]
.LBB116_892:
	s_andn2_saveexec_b64 s[0:1], s[0:1]
	s_cbranch_execz .LBB116_894
; %bb.893:
	v_mov_b32_e32 v127, 52
	ds_write2_b64 v126, v[12:13], v[10:11] offset0:53 offset1:54
	ds_write2_b64 v126, v[8:9], v[6:7] offset0:55 offset1:56
	;; [unrolled: 1-line block ×3, first 2 shown]
.LBB116_894:
	s_or_b64 exec, exec, s[0:1]
	v_cmp_lt_i32_e32 vcc, 52, v127
	s_waitcnt lgkmcnt(0)
	s_barrier
	s_and_saveexec_b64 s[0:1], vcc
	s_cbranch_execz .LBB116_896
; %bb.895:
	ds_read2_b64 v[132:135], v126 offset0:53 offset1:54
	ds_read2_b64 v[136:139], v126 offset0:55 offset1:56
	;; [unrolled: 1-line block ×3, first 2 shown]
	v_mul_f64 v[14:15], v[122:123], v[14:15]
	s_waitcnt lgkmcnt(0)
	v_fma_f64 v[12:13], -v[14:15], v[132:133], v[12:13]
	v_fma_f64 v[10:11], -v[14:15], v[134:135], v[10:11]
	;; [unrolled: 1-line block ×6, first 2 shown]
.LBB116_896:
	s_or_b64 exec, exec, s[0:1]
	v_lshl_add_u32 v122, v127, 3, v126
	s_barrier
	ds_write_b64 v122, v[12:13]
	s_waitcnt lgkmcnt(0)
	s_barrier
	ds_read_b64 v[122:123], v126 offset:424
	s_cmp_lt_i32 s18, 55
	v_mov_b32_e32 v124, 53
	s_cbranch_scc1 .LBB116_899
; %bb.897:
	v_add_u32_e32 v131, 0x1b0, v126
	s_mov_b32 s0, 54
	v_mov_b32_e32 v124, 53
.LBB116_898:                            ; =>This Inner Loop Header: Depth=1
	ds_read_b64 v[132:133], v131
	v_mov_b32_e32 v134, s0
	s_add_i32 s0, s0, 1
	v_add_u32_e32 v131, 8, v131
	s_cmp_lg_u32 s18, s0
	s_waitcnt lgkmcnt(0)
	v_cmp_lt_f64_e64 vcc, |v[122:123]|, |v[132:133]|
	v_cndmask_b32_e32 v123, v123, v133, vcc
	v_cndmask_b32_e32 v122, v122, v132, vcc
	;; [unrolled: 1-line block ×3, first 2 shown]
	s_cbranch_scc1 .LBB116_898
.LBB116_899:
	s_waitcnt lgkmcnt(0)
	v_cmp_eq_f64_e32 vcc, 0, v[122:123]
	s_and_saveexec_b64 s[0:1], vcc
	s_xor_b64 s[0:1], exec, s[0:1]
; %bb.900:
	v_cmp_ne_u32_e32 vcc, 0, v130
	v_cndmask_b32_e32 v130, 54, v130, vcc
; %bb.901:
	s_andn2_saveexec_b64 s[0:1], s[0:1]
; %bb.902:
	v_div_scale_f64 v[132:133], s[2:3], v[122:123], v[122:123], 1.0
	v_rcp_f64_e32 v[134:135], v[132:133]
	v_div_scale_f64 v[136:137], vcc, 1.0, v[122:123], 1.0
	v_fma_f64 v[138:139], -v[132:133], v[134:135], 1.0
	v_fmac_f64_e32 v[134:135], v[134:135], v[138:139]
	v_fma_f64 v[138:139], -v[132:133], v[134:135], 1.0
	v_fmac_f64_e32 v[134:135], v[134:135], v[138:139]
	v_mul_f64 v[138:139], v[136:137], v[134:135]
	v_fma_f64 v[132:133], -v[132:133], v[138:139], v[136:137]
	v_div_fmas_f64 v[132:133], v[132:133], v[134:135], v[138:139]
	v_div_fixup_f64 v[122:123], v[132:133], v[122:123], 1.0
; %bb.903:
	s_or_b64 exec, exec, s[0:1]
	v_cmp_ne_u32_e32 vcc, v127, v124
	s_and_saveexec_b64 s[0:1], vcc
	s_xor_b64 s[0:1], exec, s[0:1]
	s_cbranch_execz .LBB116_909
; %bb.904:
	v_cmp_eq_u32_e32 vcc, 53, v127
	s_and_saveexec_b64 s[2:3], vcc
	s_cbranch_execz .LBB116_908
; %bb.905:
	v_cmp_ne_u32_e32 vcc, 53, v124
	s_xor_b64 s[14:15], s[6:7], -1
	s_and_b64 s[16:17], s[14:15], vcc
	s_and_saveexec_b64 s[14:15], s[16:17]
	s_cbranch_execz .LBB116_907
; %bb.906:
	v_ashrrev_i32_e32 v125, 31, v124
	v_lshlrev_b64 v[132:133], 2, v[124:125]
	v_add_co_u32_e32 v132, vcc, v4, v132
	v_addc_co_u32_e32 v133, vcc, v5, v133, vcc
	flat_load_dword v125, v[132:133]
	flat_load_dword v127, v[4:5] offset:212
	s_waitcnt vmcnt(0) lgkmcnt(0)
	flat_store_dword v[4:5], v125 offset:212
	flat_store_dword v[132:133], v127
.LBB116_907:
	s_or_b64 exec, exec, s[14:15]
	v_mov_b32_e32 v125, v124
	v_mov_b32_e32 v127, v124
.LBB116_908:
	s_or_b64 exec, exec, s[2:3]
.LBB116_909:
	s_andn2_saveexec_b64 s[0:1], s[0:1]
	s_cbranch_execz .LBB116_911
; %bb.910:
	v_mov_b32_e32 v132, v10
	v_mov_b32_e32 v133, v11
	;; [unrolled: 1-line block ×4, first 2 shown]
	ds_write2_b64 v126, v[132:133], v[134:135] offset0:54 offset1:55
	v_mov_b32_e32 v132, v6
	v_mov_b32_e32 v133, v7
	;; [unrolled: 1-line block ×5, first 2 shown]
	ds_write2_b64 v126, v[132:133], v[134:135] offset0:56 offset1:57
	ds_write_b64 v126, v[120:121] offset:464
.LBB116_911:
	s_or_b64 exec, exec, s[0:1]
	v_cmp_lt_i32_e32 vcc, 53, v127
	s_waitcnt lgkmcnt(0)
	s_barrier
	s_and_saveexec_b64 s[0:1], vcc
	s_cbranch_execz .LBB116_913
; %bb.912:
	ds_read2_b64 v[132:135], v126 offset0:54 offset1:55
	ds_read2_b64 v[136:139], v126 offset0:56 offset1:57
	v_mul_f64 v[12:13], v[122:123], v[12:13]
	ds_read_b64 v[122:123], v126 offset:464
	s_waitcnt lgkmcnt(0)
	v_fma_f64 v[10:11], -v[12:13], v[132:133], v[10:11]
	v_fma_f64 v[8:9], -v[12:13], v[134:135], v[8:9]
	;; [unrolled: 1-line block ×5, first 2 shown]
.LBB116_913:
	s_or_b64 exec, exec, s[0:1]
	v_lshl_add_u32 v122, v127, 3, v126
	s_barrier
	ds_write_b64 v122, v[10:11]
	s_waitcnt lgkmcnt(0)
	s_barrier
	ds_read_b64 v[122:123], v126 offset:432
	s_cmp_lt_i32 s18, 56
	v_mov_b32_e32 v124, 54
	s_cbranch_scc1 .LBB116_916
; %bb.914:
	v_add_u32_e32 v131, 0x1b8, v126
	s_mov_b32 s0, 55
	v_mov_b32_e32 v124, 54
.LBB116_915:                            ; =>This Inner Loop Header: Depth=1
	ds_read_b64 v[132:133], v131
	v_mov_b32_e32 v134, s0
	s_add_i32 s0, s0, 1
	v_add_u32_e32 v131, 8, v131
	s_cmp_lg_u32 s18, s0
	s_waitcnt lgkmcnt(0)
	v_cmp_lt_f64_e64 vcc, |v[122:123]|, |v[132:133]|
	v_cndmask_b32_e32 v123, v123, v133, vcc
	v_cndmask_b32_e32 v122, v122, v132, vcc
	;; [unrolled: 1-line block ×3, first 2 shown]
	s_cbranch_scc1 .LBB116_915
.LBB116_916:
	s_waitcnt lgkmcnt(0)
	v_cmp_eq_f64_e32 vcc, 0, v[122:123]
	s_and_saveexec_b64 s[0:1], vcc
	s_xor_b64 s[0:1], exec, s[0:1]
; %bb.917:
	v_cmp_ne_u32_e32 vcc, 0, v130
	v_cndmask_b32_e32 v130, 55, v130, vcc
; %bb.918:
	s_andn2_saveexec_b64 s[0:1], s[0:1]
; %bb.919:
	v_div_scale_f64 v[132:133], s[2:3], v[122:123], v[122:123], 1.0
	v_rcp_f64_e32 v[134:135], v[132:133]
	v_div_scale_f64 v[136:137], vcc, 1.0, v[122:123], 1.0
	v_fma_f64 v[138:139], -v[132:133], v[134:135], 1.0
	v_fmac_f64_e32 v[134:135], v[134:135], v[138:139]
	v_fma_f64 v[138:139], -v[132:133], v[134:135], 1.0
	v_fmac_f64_e32 v[134:135], v[134:135], v[138:139]
	v_mul_f64 v[138:139], v[136:137], v[134:135]
	v_fma_f64 v[132:133], -v[132:133], v[138:139], v[136:137]
	v_div_fmas_f64 v[132:133], v[132:133], v[134:135], v[138:139]
	v_div_fixup_f64 v[122:123], v[132:133], v[122:123], 1.0
; %bb.920:
	s_or_b64 exec, exec, s[0:1]
	v_cmp_ne_u32_e32 vcc, v127, v124
	s_and_saveexec_b64 s[0:1], vcc
	s_xor_b64 s[0:1], exec, s[0:1]
	s_cbranch_execz .LBB116_926
; %bb.921:
	v_cmp_eq_u32_e32 vcc, 54, v127
	s_and_saveexec_b64 s[2:3], vcc
	s_cbranch_execz .LBB116_925
; %bb.922:
	v_cmp_ne_u32_e32 vcc, 54, v124
	s_xor_b64 s[14:15], s[6:7], -1
	s_and_b64 s[16:17], s[14:15], vcc
	s_and_saveexec_b64 s[14:15], s[16:17]
	s_cbranch_execz .LBB116_924
; %bb.923:
	v_ashrrev_i32_e32 v125, 31, v124
	v_lshlrev_b64 v[132:133], 2, v[124:125]
	v_add_co_u32_e32 v132, vcc, v4, v132
	v_addc_co_u32_e32 v133, vcc, v5, v133, vcc
	flat_load_dword v125, v[132:133]
	flat_load_dword v127, v[4:5] offset:216
	s_waitcnt vmcnt(0) lgkmcnt(0)
	flat_store_dword v[4:5], v125 offset:216
	flat_store_dword v[132:133], v127
.LBB116_924:
	s_or_b64 exec, exec, s[14:15]
	v_mov_b32_e32 v125, v124
	v_mov_b32_e32 v127, v124
.LBB116_925:
	s_or_b64 exec, exec, s[2:3]
.LBB116_926:
	s_andn2_saveexec_b64 s[0:1], s[0:1]
	s_cbranch_execz .LBB116_928
; %bb.927:
	v_mov_b32_e32 v127, 54
	ds_write2_b64 v126, v[8:9], v[6:7] offset0:55 offset1:56
	ds_write2_b64 v126, v[0:1], v[120:121] offset0:57 offset1:58
.LBB116_928:
	s_or_b64 exec, exec, s[0:1]
	v_cmp_lt_i32_e32 vcc, 54, v127
	s_waitcnt lgkmcnt(0)
	s_barrier
	s_and_saveexec_b64 s[0:1], vcc
	s_cbranch_execz .LBB116_930
; %bb.929:
	ds_read2_b64 v[132:135], v126 offset0:55 offset1:56
	ds_read2_b64 v[136:139], v126 offset0:57 offset1:58
	v_mul_f64 v[10:11], v[122:123], v[10:11]
	s_waitcnt lgkmcnt(0)
	v_fma_f64 v[8:9], -v[10:11], v[132:133], v[8:9]
	v_fma_f64 v[6:7], -v[10:11], v[134:135], v[6:7]
	;; [unrolled: 1-line block ×4, first 2 shown]
.LBB116_930:
	s_or_b64 exec, exec, s[0:1]
	v_lshl_add_u32 v122, v127, 3, v126
	s_barrier
	ds_write_b64 v122, v[8:9]
	s_waitcnt lgkmcnt(0)
	s_barrier
	ds_read_b64 v[122:123], v126 offset:440
	s_cmp_lt_i32 s18, 57
	v_mov_b32_e32 v124, 55
	s_cbranch_scc1 .LBB116_933
; %bb.931:
	v_add_u32_e32 v131, 0x1c0, v126
	s_mov_b32 s0, 56
	v_mov_b32_e32 v124, 55
.LBB116_932:                            ; =>This Inner Loop Header: Depth=1
	ds_read_b64 v[132:133], v131
	v_mov_b32_e32 v134, s0
	s_add_i32 s0, s0, 1
	v_add_u32_e32 v131, 8, v131
	s_cmp_lg_u32 s18, s0
	s_waitcnt lgkmcnt(0)
	v_cmp_lt_f64_e64 vcc, |v[122:123]|, |v[132:133]|
	v_cndmask_b32_e32 v123, v123, v133, vcc
	v_cndmask_b32_e32 v122, v122, v132, vcc
	;; [unrolled: 1-line block ×3, first 2 shown]
	s_cbranch_scc1 .LBB116_932
.LBB116_933:
	s_waitcnt lgkmcnt(0)
	v_cmp_eq_f64_e32 vcc, 0, v[122:123]
	s_and_saveexec_b64 s[0:1], vcc
	s_xor_b64 s[0:1], exec, s[0:1]
; %bb.934:
	v_cmp_ne_u32_e32 vcc, 0, v130
	v_cndmask_b32_e32 v130, 56, v130, vcc
; %bb.935:
	s_andn2_saveexec_b64 s[0:1], s[0:1]
; %bb.936:
	v_div_scale_f64 v[132:133], s[2:3], v[122:123], v[122:123], 1.0
	v_rcp_f64_e32 v[134:135], v[132:133]
	v_div_scale_f64 v[136:137], vcc, 1.0, v[122:123], 1.0
	v_fma_f64 v[138:139], -v[132:133], v[134:135], 1.0
	v_fmac_f64_e32 v[134:135], v[134:135], v[138:139]
	v_fma_f64 v[138:139], -v[132:133], v[134:135], 1.0
	v_fmac_f64_e32 v[134:135], v[134:135], v[138:139]
	v_mul_f64 v[138:139], v[136:137], v[134:135]
	v_fma_f64 v[132:133], -v[132:133], v[138:139], v[136:137]
	v_div_fmas_f64 v[132:133], v[132:133], v[134:135], v[138:139]
	v_div_fixup_f64 v[122:123], v[132:133], v[122:123], 1.0
; %bb.937:
	s_or_b64 exec, exec, s[0:1]
	v_cmp_ne_u32_e32 vcc, v127, v124
	s_and_saveexec_b64 s[0:1], vcc
	s_xor_b64 s[0:1], exec, s[0:1]
	s_cbranch_execz .LBB116_943
; %bb.938:
	v_cmp_eq_u32_e32 vcc, 55, v127
	s_and_saveexec_b64 s[2:3], vcc
	s_cbranch_execz .LBB116_942
; %bb.939:
	v_cmp_ne_u32_e32 vcc, 55, v124
	s_xor_b64 s[14:15], s[6:7], -1
	s_and_b64 s[16:17], s[14:15], vcc
	s_and_saveexec_b64 s[14:15], s[16:17]
	s_cbranch_execz .LBB116_941
; %bb.940:
	v_ashrrev_i32_e32 v125, 31, v124
	v_lshlrev_b64 v[132:133], 2, v[124:125]
	v_add_co_u32_e32 v132, vcc, v4, v132
	v_addc_co_u32_e32 v133, vcc, v5, v133, vcc
	flat_load_dword v125, v[132:133]
	flat_load_dword v127, v[4:5] offset:220
	s_waitcnt vmcnt(0) lgkmcnt(0)
	flat_store_dword v[4:5], v125 offset:220
	flat_store_dword v[132:133], v127
.LBB116_941:
	s_or_b64 exec, exec, s[14:15]
	v_mov_b32_e32 v125, v124
	v_mov_b32_e32 v127, v124
.LBB116_942:
	s_or_b64 exec, exec, s[2:3]
.LBB116_943:
	s_andn2_saveexec_b64 s[0:1], s[0:1]
	s_cbranch_execz .LBB116_945
; %bb.944:
	v_mov_b32_e32 v132, v6
	v_mov_b32_e32 v133, v7
	;; [unrolled: 1-line block ×5, first 2 shown]
	ds_write2_b64 v126, v[132:133], v[134:135] offset0:56 offset1:57
	ds_write_b64 v126, v[120:121] offset:464
.LBB116_945:
	s_or_b64 exec, exec, s[0:1]
	v_cmp_lt_i32_e32 vcc, 55, v127
	s_waitcnt lgkmcnt(0)
	s_barrier
	s_and_saveexec_b64 s[0:1], vcc
	s_cbranch_execz .LBB116_947
; %bb.946:
	ds_read2_b64 v[132:135], v126 offset0:56 offset1:57
	ds_read_b64 v[136:137], v126 offset:464
	v_mul_f64 v[8:9], v[122:123], v[8:9]
	s_waitcnt lgkmcnt(0)
	v_fma_f64 v[6:7], -v[8:9], v[132:133], v[6:7]
	v_fma_f64 v[0:1], -v[8:9], v[134:135], v[0:1]
	v_fma_f64 v[120:121], -v[8:9], v[136:137], v[120:121]
.LBB116_947:
	s_or_b64 exec, exec, s[0:1]
	v_lshl_add_u32 v122, v127, 3, v126
	s_barrier
	ds_write_b64 v122, v[6:7]
	s_waitcnt lgkmcnt(0)
	s_barrier
	ds_read_b64 v[122:123], v126 offset:448
	s_cmp_lt_i32 s18, 58
	v_mov_b32_e32 v124, 56
	s_cbranch_scc1 .LBB116_950
; %bb.948:
	v_add_u32_e32 v131, 0x1c8, v126
	s_mov_b32 s0, 57
	v_mov_b32_e32 v124, 56
.LBB116_949:                            ; =>This Inner Loop Header: Depth=1
	ds_read_b64 v[132:133], v131
	v_mov_b32_e32 v134, s0
	s_add_i32 s0, s0, 1
	v_add_u32_e32 v131, 8, v131
	s_cmp_lg_u32 s18, s0
	s_waitcnt lgkmcnt(0)
	v_cmp_lt_f64_e64 vcc, |v[122:123]|, |v[132:133]|
	v_cndmask_b32_e32 v123, v123, v133, vcc
	v_cndmask_b32_e32 v122, v122, v132, vcc
	;; [unrolled: 1-line block ×3, first 2 shown]
	s_cbranch_scc1 .LBB116_949
.LBB116_950:
	s_waitcnt lgkmcnt(0)
	v_cmp_eq_f64_e32 vcc, 0, v[122:123]
	s_and_saveexec_b64 s[0:1], vcc
	s_xor_b64 s[0:1], exec, s[0:1]
; %bb.951:
	v_cmp_ne_u32_e32 vcc, 0, v130
	v_cndmask_b32_e32 v130, 57, v130, vcc
; %bb.952:
	s_andn2_saveexec_b64 s[0:1], s[0:1]
; %bb.953:
	v_div_scale_f64 v[132:133], s[2:3], v[122:123], v[122:123], 1.0
	v_rcp_f64_e32 v[134:135], v[132:133]
	v_div_scale_f64 v[136:137], vcc, 1.0, v[122:123], 1.0
	v_fma_f64 v[138:139], -v[132:133], v[134:135], 1.0
	v_fmac_f64_e32 v[134:135], v[134:135], v[138:139]
	v_fma_f64 v[138:139], -v[132:133], v[134:135], 1.0
	v_fmac_f64_e32 v[134:135], v[134:135], v[138:139]
	v_mul_f64 v[138:139], v[136:137], v[134:135]
	v_fma_f64 v[132:133], -v[132:133], v[138:139], v[136:137]
	v_div_fmas_f64 v[132:133], v[132:133], v[134:135], v[138:139]
	v_div_fixup_f64 v[122:123], v[132:133], v[122:123], 1.0
; %bb.954:
	s_or_b64 exec, exec, s[0:1]
	v_cmp_ne_u32_e32 vcc, v127, v124
	s_and_saveexec_b64 s[0:1], vcc
	s_xor_b64 s[0:1], exec, s[0:1]
	s_cbranch_execz .LBB116_960
; %bb.955:
	v_cmp_eq_u32_e32 vcc, 56, v127
	s_and_saveexec_b64 s[2:3], vcc
	s_cbranch_execz .LBB116_959
; %bb.956:
	v_cmp_ne_u32_e32 vcc, 56, v124
	s_xor_b64 s[14:15], s[6:7], -1
	s_and_b64 s[16:17], s[14:15], vcc
	s_and_saveexec_b64 s[14:15], s[16:17]
	s_cbranch_execz .LBB116_958
; %bb.957:
	v_ashrrev_i32_e32 v125, 31, v124
	v_lshlrev_b64 v[132:133], 2, v[124:125]
	v_add_co_u32_e32 v132, vcc, v4, v132
	v_addc_co_u32_e32 v133, vcc, v5, v133, vcc
	flat_load_dword v125, v[132:133]
	flat_load_dword v127, v[4:5] offset:224
	s_waitcnt vmcnt(0) lgkmcnt(0)
	flat_store_dword v[4:5], v125 offset:224
	flat_store_dword v[132:133], v127
.LBB116_958:
	s_or_b64 exec, exec, s[14:15]
	v_mov_b32_e32 v125, v124
	v_mov_b32_e32 v127, v124
.LBB116_959:
	s_or_b64 exec, exec, s[2:3]
.LBB116_960:
	s_andn2_saveexec_b64 s[0:1], s[0:1]
	s_cbranch_execz .LBB116_962
; %bb.961:
	v_mov_b32_e32 v127, 56
	ds_write2_b64 v126, v[0:1], v[120:121] offset0:57 offset1:58
.LBB116_962:
	s_or_b64 exec, exec, s[0:1]
	v_cmp_lt_i32_e32 vcc, 56, v127
	s_waitcnt lgkmcnt(0)
	s_barrier
	s_and_saveexec_b64 s[0:1], vcc
	s_cbranch_execz .LBB116_964
; %bb.963:
	ds_read2_b64 v[132:135], v126 offset0:57 offset1:58
	v_mul_f64 v[6:7], v[122:123], v[6:7]
	s_waitcnt lgkmcnt(0)
	v_fma_f64 v[0:1], -v[6:7], v[132:133], v[0:1]
	v_fma_f64 v[120:121], -v[6:7], v[134:135], v[120:121]
.LBB116_964:
	s_or_b64 exec, exec, s[0:1]
	v_lshl_add_u32 v122, v127, 3, v126
	s_barrier
	ds_write_b64 v122, v[0:1]
	s_waitcnt lgkmcnt(0)
	s_barrier
	ds_read_b64 v[122:123], v126 offset:456
	s_cmp_lt_i32 s18, 59
	v_mov_b32_e32 v124, 57
	s_cbranch_scc1 .LBB116_967
; %bb.965:
	v_add_u32_e32 v131, 0x1d0, v126
	s_mov_b32 s0, 58
	v_mov_b32_e32 v124, 57
.LBB116_966:                            ; =>This Inner Loop Header: Depth=1
	ds_read_b64 v[132:133], v131
	v_mov_b32_e32 v134, s0
	s_add_i32 s0, s0, 1
	v_add_u32_e32 v131, 8, v131
	s_cmp_lg_u32 s18, s0
	s_waitcnt lgkmcnt(0)
	v_cmp_lt_f64_e64 vcc, |v[122:123]|, |v[132:133]|
	v_cndmask_b32_e32 v123, v123, v133, vcc
	v_cndmask_b32_e32 v122, v122, v132, vcc
	;; [unrolled: 1-line block ×3, first 2 shown]
	s_cbranch_scc1 .LBB116_966
.LBB116_967:
	s_waitcnt lgkmcnt(0)
	v_cmp_eq_f64_e32 vcc, 0, v[122:123]
	s_and_saveexec_b64 s[0:1], vcc
	s_xor_b64 s[0:1], exec, s[0:1]
; %bb.968:
	v_cmp_ne_u32_e32 vcc, 0, v130
	v_cndmask_b32_e32 v130, 58, v130, vcc
; %bb.969:
	s_andn2_saveexec_b64 s[0:1], s[0:1]
; %bb.970:
	v_div_scale_f64 v[132:133], s[2:3], v[122:123], v[122:123], 1.0
	v_rcp_f64_e32 v[134:135], v[132:133]
	v_div_scale_f64 v[136:137], vcc, 1.0, v[122:123], 1.0
	v_fma_f64 v[138:139], -v[132:133], v[134:135], 1.0
	v_fmac_f64_e32 v[134:135], v[134:135], v[138:139]
	v_fma_f64 v[138:139], -v[132:133], v[134:135], 1.0
	v_fmac_f64_e32 v[134:135], v[134:135], v[138:139]
	v_mul_f64 v[138:139], v[136:137], v[134:135]
	v_fma_f64 v[132:133], -v[132:133], v[138:139], v[136:137]
	v_div_fmas_f64 v[132:133], v[132:133], v[134:135], v[138:139]
	v_div_fixup_f64 v[122:123], v[132:133], v[122:123], 1.0
; %bb.971:
	s_or_b64 exec, exec, s[0:1]
	v_cmp_ne_u32_e32 vcc, v127, v124
	s_and_saveexec_b64 s[0:1], vcc
	s_xor_b64 s[0:1], exec, s[0:1]
	s_cbranch_execz .LBB116_977
; %bb.972:
	v_cmp_eq_u32_e32 vcc, 57, v127
	s_and_saveexec_b64 s[2:3], vcc
	s_cbranch_execz .LBB116_976
; %bb.973:
	v_cmp_ne_u32_e32 vcc, 57, v124
	s_xor_b64 s[14:15], s[6:7], -1
	s_and_b64 s[16:17], s[14:15], vcc
	s_and_saveexec_b64 s[14:15], s[16:17]
	s_cbranch_execz .LBB116_975
; %bb.974:
	v_ashrrev_i32_e32 v125, 31, v124
	v_lshlrev_b64 v[132:133], 2, v[124:125]
	v_add_co_u32_e32 v132, vcc, v4, v132
	v_addc_co_u32_e32 v133, vcc, v5, v133, vcc
	flat_load_dword v125, v[132:133]
	flat_load_dword v127, v[4:5] offset:228
	s_waitcnt vmcnt(0) lgkmcnt(0)
	flat_store_dword v[4:5], v125 offset:228
	flat_store_dword v[132:133], v127
.LBB116_975:
	s_or_b64 exec, exec, s[14:15]
	v_mov_b32_e32 v125, v124
	v_mov_b32_e32 v127, v124
.LBB116_976:
	s_or_b64 exec, exec, s[2:3]
.LBB116_977:
	s_andn2_saveexec_b64 s[0:1], s[0:1]
	s_cbranch_execz .LBB116_979
; %bb.978:
	v_mov_b32_e32 v127, 57
	ds_write_b64 v126, v[120:121] offset:464
.LBB116_979:
	s_or_b64 exec, exec, s[0:1]
	v_cmp_lt_i32_e32 vcc, 57, v127
	s_waitcnt lgkmcnt(0)
	s_barrier
	s_and_saveexec_b64 s[0:1], vcc
	s_cbranch_execz .LBB116_981
; %bb.980:
	ds_read_b64 v[132:133], v126 offset:464
	v_mul_f64 v[0:1], v[122:123], v[0:1]
	s_waitcnt lgkmcnt(0)
	v_fma_f64 v[120:121], -v[0:1], v[132:133], v[120:121]
.LBB116_981:
	s_or_b64 exec, exec, s[0:1]
	v_lshl_add_u32 v122, v127, 3, v126
	s_barrier
	ds_write_b64 v122, v[120:121]
	s_waitcnt lgkmcnt(0)
	s_barrier
	ds_read_b64 v[122:123], v126 offset:464
	s_cmp_lt_i32 s18, 60
	v_mov_b32_e32 v124, 58
	s_cbranch_scc1 .LBB116_984
; %bb.982:
	v_add_u32_e32 v126, 0x1d8, v126
	s_mov_b32 s0, 59
	v_mov_b32_e32 v124, 58
.LBB116_983:                            ; =>This Inner Loop Header: Depth=1
	ds_read_b64 v[132:133], v126
	v_mov_b32_e32 v131, s0
	s_add_i32 s0, s0, 1
	v_add_u32_e32 v126, 8, v126
	s_cmp_lg_u32 s18, s0
	s_waitcnt lgkmcnt(0)
	v_cmp_lt_f64_e64 vcc, |v[122:123]|, |v[132:133]|
	v_cndmask_b32_e32 v123, v123, v133, vcc
	v_cndmask_b32_e32 v122, v122, v132, vcc
	;; [unrolled: 1-line block ×3, first 2 shown]
	s_cbranch_scc1 .LBB116_983
.LBB116_984:
	s_waitcnt lgkmcnt(0)
	v_cmp_eq_f64_e32 vcc, 0, v[122:123]
	s_and_saveexec_b64 s[0:1], vcc
	s_xor_b64 s[0:1], exec, s[0:1]
; %bb.985:
	v_cmp_ne_u32_e32 vcc, 0, v130
	v_cndmask_b32_e32 v130, 59, v130, vcc
; %bb.986:
	s_andn2_saveexec_b64 s[0:1], s[0:1]
; %bb.987:
	v_div_scale_f64 v[132:133], s[2:3], v[122:123], v[122:123], 1.0
	v_rcp_f64_e32 v[134:135], v[132:133]
	v_div_scale_f64 v[136:137], vcc, 1.0, v[122:123], 1.0
	v_fma_f64 v[138:139], -v[132:133], v[134:135], 1.0
	v_fmac_f64_e32 v[134:135], v[134:135], v[138:139]
	v_fma_f64 v[138:139], -v[132:133], v[134:135], 1.0
	v_fmac_f64_e32 v[134:135], v[134:135], v[138:139]
	v_mul_f64 v[138:139], v[136:137], v[134:135]
	v_fma_f64 v[132:133], -v[132:133], v[138:139], v[136:137]
	v_div_fmas_f64 v[132:133], v[132:133], v[134:135], v[138:139]
	v_div_fixup_f64 v[122:123], v[132:133], v[122:123], 1.0
; %bb.988:
	s_or_b64 exec, exec, s[0:1]
	v_cmp_ne_u32_e32 vcc, v127, v124
	v_mov_b32_e32 v126, 58
	s_and_saveexec_b64 s[0:1], vcc
	s_cbranch_execz .LBB116_994
; %bb.989:
	v_cmp_eq_u32_e32 vcc, 58, v127
	s_and_saveexec_b64 s[2:3], vcc
	s_cbranch_execz .LBB116_993
; %bb.990:
	v_cmp_ne_u32_e32 vcc, 58, v124
	s_xor_b64 s[6:7], s[6:7], -1
	s_and_b64 s[14:15], s[6:7], vcc
	s_and_saveexec_b64 s[6:7], s[14:15]
	s_cbranch_execz .LBB116_992
; %bb.991:
	v_ashrrev_i32_e32 v125, 31, v124
	v_lshlrev_b64 v[126:127], 2, v[124:125]
	v_add_co_u32_e32 v126, vcc, v4, v126
	v_addc_co_u32_e32 v127, vcc, v5, v127, vcc
	flat_load_dword v125, v[126:127]
	flat_load_dword v131, v[4:5] offset:232
	s_waitcnt vmcnt(0) lgkmcnt(0)
	flat_store_dword v[4:5], v125 offset:232
	flat_store_dword v[126:127], v131
.LBB116_992:
	s_or_b64 exec, exec, s[6:7]
	v_mov_b32_e32 v125, v124
	v_mov_b32_e32 v127, v124
.LBB116_993:
	s_or_b64 exec, exec, s[2:3]
	v_mov_b32_e32 v126, v127
.LBB116_994:
	s_or_b64 exec, exec, s[0:1]
	s_load_dwordx8 s[0:7], s[4:5], 0x28
	v_cmp_gt_i32_e32 vcc, 59, v126
	v_ashrrev_i32_e32 v127, 31, v126
	s_waitcnt lgkmcnt(0)
	s_barrier
	s_barrier
	s_and_saveexec_b64 s[14:15], vcc
	s_cbranch_execz .LBB116_996
; %bb.995:
	v_mul_lo_u32 v124, v3, s4
	v_mul_lo_u32 v131, v2, s5
	v_mad_u64_u32 v[4:5], s[4:5], v2, s4, 0
	s_lshl_b64 s[2:3], s[2:3], 2
	v_add3_u32 v5, v5, v131, v124
	s_add_u32 s0, s2, s0
	v_lshlrev_b64 v[4:5], 2, v[4:5]
	s_addc_u32 s1, s3, s1
	v_mov_b32_e32 v124, s1
	v_add_co_u32_e32 v131, vcc, s0, v4
	v_addc_co_u32_e32 v124, vcc, v124, v5, vcc
	v_lshlrev_b64 v[4:5], 2, v[126:127]
	v_add_co_u32_e32 v4, vcc, v131, v4
	v_addc_co_u32_e32 v5, vcc, v124, v5, vcc
	v_add3_u32 v124, v125, s13, 1
	global_store_dword v[4:5], v124, off
.LBB116_996:
	s_or_b64 exec, exec, s[14:15]
	v_cmp_eq_u32_e32 vcc, 0, v126
	s_and_saveexec_b64 s[2:3], vcc
	s_cbranch_execz .LBB116_999
; %bb.997:
	v_lshlrev_b64 v[2:3], 2, v[2:3]
	v_mov_b32_e32 v4, s7
	v_add_co_u32_e32 v2, vcc, s6, v2
	v_addc_co_u32_e32 v3, vcc, v4, v3, vcc
	global_load_dword v4, v[2:3], off
	v_cmp_lt_i32_e64 s[0:1], 0, v130
	s_waitcnt vmcnt(0)
	v_cmp_eq_u32_e32 vcc, 0, v4
	s_and_b64 s[0:1], vcc, s[0:1]
	s_and_b64 exec, exec, s[0:1]
	s_cbranch_execz .LBB116_999
; %bb.998:
	v_add_u32_e32 v4, s13, v130
	global_store_dword v[2:3], v4, off
.LBB116_999:
	s_or_b64 exec, exec, s[2:3]
	v_mul_f64 v[2:3], v[122:123], v[120:121]
	v_cmp_lt_i32_e32 vcc, 58, v126
	v_lshlrev_b64 v[4:5], 3, v[126:127]
	v_cndmask_b32_e32 v3, v121, v3, vcc
	v_cndmask_b32_e32 v2, v120, v2, vcc
	v_add_co_u32_e32 v4, vcc, v128, v4
	v_addc_co_u32_e32 v5, vcc, v129, v5, vcc
	global_store_dwordx2 v[4:5], v[116:117], off
	v_mov_b32_e32 v116, s11
	v_add_co_u32_e32 v4, vcc, s10, v4
	v_addc_co_u32_e32 v5, vcc, v5, v116, vcc
	global_store_dwordx2 v[4:5], v[118:119], off
	v_add_u32_e32 v4, s12, v126
	v_ashrrev_i32_e32 v5, 31, v4
	v_lshlrev_b64 v[116:117], 3, v[4:5]
	v_add_co_u32_e32 v116, vcc, v128, v116
	v_add_u32_e32 v4, s8, v4
	v_addc_co_u32_e32 v117, vcc, v129, v117, vcc
	v_ashrrev_i32_e32 v5, 31, v4
	global_store_dwordx2 v[116:117], v[114:115], off
	v_lshlrev_b64 v[114:115], 3, v[4:5]
	v_add_co_u32_e32 v114, vcc, v128, v114
	v_add_u32_e32 v4, s8, v4
	v_addc_co_u32_e32 v115, vcc, v129, v115, vcc
	v_ashrrev_i32_e32 v5, 31, v4
	global_store_dwordx2 v[114:115], v[112:113], off
	;; [unrolled: 6-line block ×55, first 2 shown]
	v_lshlrev_b64 v[6:7], 3, v[4:5]
	v_add_co_u32_e32 v6, vcc, v128, v6
	v_addc_co_u32_e32 v7, vcc, v129, v7, vcc
	global_store_dwordx2 v[6:7], v[0:1], off
	v_add_u32_e32 v0, s8, v4
	v_ashrrev_i32_e32 v1, 31, v0
	v_lshlrev_b64 v[0:1], 3, v[0:1]
	v_add_co_u32_e32 v0, vcc, v128, v0
	v_addc_co_u32_e32 v1, vcc, v129, v1, vcc
	global_store_dwordx2 v[0:1], v[2:3], off
.LBB116_1000:
	s_endpgm
	.section	.rodata,"a",@progbits
	.p2align	6, 0x0
	.amdhsa_kernel _ZN9rocsolver6v33100L18getf2_small_kernelILi59EdiiPKPdEEvT1_T3_lS5_lPS5_llPT2_S5_S5_S7_l
		.amdhsa_group_segment_fixed_size 0
		.amdhsa_private_segment_fixed_size 0
		.amdhsa_kernarg_size 352
		.amdhsa_user_sgpr_count 6
		.amdhsa_user_sgpr_private_segment_buffer 1
		.amdhsa_user_sgpr_dispatch_ptr 0
		.amdhsa_user_sgpr_queue_ptr 0
		.amdhsa_user_sgpr_kernarg_segment_ptr 1
		.amdhsa_user_sgpr_dispatch_id 0
		.amdhsa_user_sgpr_flat_scratch_init 0
		.amdhsa_user_sgpr_kernarg_preload_length 0
		.amdhsa_user_sgpr_kernarg_preload_offset 0
		.amdhsa_user_sgpr_private_segment_size 0
		.amdhsa_uses_dynamic_stack 0
		.amdhsa_system_sgpr_private_segment_wavefront_offset 0
		.amdhsa_system_sgpr_workgroup_id_x 1
		.amdhsa_system_sgpr_workgroup_id_y 1
		.amdhsa_system_sgpr_workgroup_id_z 0
		.amdhsa_system_sgpr_workgroup_info 0
		.amdhsa_system_vgpr_workitem_id 1
		.amdhsa_next_free_vgpr 184
		.amdhsa_next_free_sgpr 22
		.amdhsa_accum_offset 184
		.amdhsa_reserve_vcc 1
		.amdhsa_reserve_flat_scratch 0
		.amdhsa_float_round_mode_32 0
		.amdhsa_float_round_mode_16_64 0
		.amdhsa_float_denorm_mode_32 3
		.amdhsa_float_denorm_mode_16_64 3
		.amdhsa_dx10_clamp 1
		.amdhsa_ieee_mode 1
		.amdhsa_fp16_overflow 0
		.amdhsa_tg_split 0
		.amdhsa_exception_fp_ieee_invalid_op 0
		.amdhsa_exception_fp_denorm_src 0
		.amdhsa_exception_fp_ieee_div_zero 0
		.amdhsa_exception_fp_ieee_overflow 0
		.amdhsa_exception_fp_ieee_underflow 0
		.amdhsa_exception_fp_ieee_inexact 0
		.amdhsa_exception_int_div_zero 0
	.end_amdhsa_kernel
	.section	.text._ZN9rocsolver6v33100L18getf2_small_kernelILi59EdiiPKPdEEvT1_T3_lS5_lPS5_llPT2_S5_S5_S7_l,"axG",@progbits,_ZN9rocsolver6v33100L18getf2_small_kernelILi59EdiiPKPdEEvT1_T3_lS5_lPS5_llPT2_S5_S5_S7_l,comdat
.Lfunc_end116:
	.size	_ZN9rocsolver6v33100L18getf2_small_kernelILi59EdiiPKPdEEvT1_T3_lS5_lPS5_llPT2_S5_S5_S7_l, .Lfunc_end116-_ZN9rocsolver6v33100L18getf2_small_kernelILi59EdiiPKPdEEvT1_T3_lS5_lPS5_llPT2_S5_S5_S7_l
                                        ; -- End function
	.section	.AMDGPU.csdata,"",@progbits
; Kernel info:
; codeLenInByte = 62736
; NumSgprs: 26
; NumVgprs: 184
; NumAgprs: 0
; TotalNumVgprs: 184
; ScratchSize: 0
; MemoryBound: 0
; FloatMode: 240
; IeeeMode: 1
; LDSByteSize: 0 bytes/workgroup (compile time only)
; SGPRBlocks: 3
; VGPRBlocks: 22
; NumSGPRsForWavesPerEU: 26
; NumVGPRsForWavesPerEU: 184
; AccumOffset: 184
; Occupancy: 2
; WaveLimiterHint : 1
; COMPUTE_PGM_RSRC2:SCRATCH_EN: 0
; COMPUTE_PGM_RSRC2:USER_SGPR: 6
; COMPUTE_PGM_RSRC2:TRAP_HANDLER: 0
; COMPUTE_PGM_RSRC2:TGID_X_EN: 1
; COMPUTE_PGM_RSRC2:TGID_Y_EN: 1
; COMPUTE_PGM_RSRC2:TGID_Z_EN: 0
; COMPUTE_PGM_RSRC2:TIDIG_COMP_CNT: 1
; COMPUTE_PGM_RSRC3_GFX90A:ACCUM_OFFSET: 45
; COMPUTE_PGM_RSRC3_GFX90A:TG_SPLIT: 0
	.section	.text._ZN9rocsolver6v33100L23getf2_npvt_small_kernelILi59EdiiPKPdEEvT1_T3_lS5_lPT2_S5_S5_,"axG",@progbits,_ZN9rocsolver6v33100L23getf2_npvt_small_kernelILi59EdiiPKPdEEvT1_T3_lS5_lPT2_S5_S5_,comdat
	.globl	_ZN9rocsolver6v33100L23getf2_npvt_small_kernelILi59EdiiPKPdEEvT1_T3_lS5_lPT2_S5_S5_ ; -- Begin function _ZN9rocsolver6v33100L23getf2_npvt_small_kernelILi59EdiiPKPdEEvT1_T3_lS5_lPT2_S5_S5_
	.p2align	8
	.type	_ZN9rocsolver6v33100L23getf2_npvt_small_kernelILi59EdiiPKPdEEvT1_T3_lS5_lPT2_S5_S5_,@function
_ZN9rocsolver6v33100L23getf2_npvt_small_kernelILi59EdiiPKPdEEvT1_T3_lS5_lPT2_S5_S5_: ; @_ZN9rocsolver6v33100L23getf2_npvt_small_kernelILi59EdiiPKPdEEvT1_T3_lS5_lPT2_S5_S5_
; %bb.0:
	s_mov_b64 s[18:19], s[2:3]
	s_mov_b64 s[16:17], s[0:1]
	s_add_u32 s16, s16, s8
	s_load_dword s0, s[4:5], 0x44
	s_load_dwordx2 s[8:9], s[4:5], 0x30
	s_addc_u32 s17, s17, 0
	v_bfe_u32 v1, v0, 10, 10
	s_waitcnt lgkmcnt(0)
	s_lshr_b32 s6, s0, 16
	s_mul_i32 s7, s7, s6
	v_add_u32_e32 v62, s7, v1
	v_cmp_gt_i32_e32 vcc, s8, v62
	s_and_saveexec_b64 s[0:1], vcc
	s_cbranch_execz .LBB117_298
; %bb.1:
	s_load_dwordx4 s[12:15], s[4:5], 0x8
	s_load_dword s0, s[4:5], 0x18
	v_ashrrev_i32_e32 v63, 31, v62
	v_lshlrev_b64 v[2:3], 3, v[62:63]
	v_and_b32_e32 v54, 0x3ff, v0
	s_waitcnt lgkmcnt(0)
	v_mov_b32_e32 v4, s13
	v_add_co_u32_e32 v2, vcc, s12, v2
	v_addc_co_u32_e32 v3, vcc, v4, v3, vcc
	global_load_dwordx2 v[2:3], v[2:3], off
	s_add_i32 s1, s0, s0
	s_lshl_b64 s[2:3], s[14:15], 3
	v_add_u32_e32 v4, s1, v54
	v_mov_b32_e32 v0, s3
	v_ashrrev_i32_e32 v5, 31, v4
	v_add_u32_e32 v6, s0, v4
	v_lshlrev_b64 v[4:5], 3, v[4:5]
	v_ashrrev_i32_e32 v7, 31, v6
	v_add_u32_e32 v8, s0, v6
	v_lshlrev_b64 v[6:7], 3, v[6:7]
	;; [unrolled: 3-line block ×10, first 2 shown]
	v_ashrrev_i32_e32 v25, 31, v24
	s_ashr_i32 s1, s0, 31
	s_mulk_i32 s6, 0x1d8
	s_waitcnt vmcnt(0)
	v_add_co_u32_e32 v26, vcc, s2, v2
	v_addc_co_u32_e32 v0, vcc, v3, v0, vcc
	v_add_co_u32_e32 v64, vcc, v26, v4
	v_addc_co_u32_e32 v65, vcc, v0, v5, vcc
	;; [unrolled: 2-line block ×11, first 2 shown]
	v_lshlrev_b64 v[2:3], 3, v[24:25]
	v_add_co_u32_e32 v84, vcc, v26, v2
	v_add_u32_e32 v2, s0, v24
	v_addc_co_u32_e32 v85, vcc, v0, v3, vcc
	v_ashrrev_i32_e32 v3, 31, v2
	v_lshlrev_b64 v[4:5], 3, v[2:3]
	v_add_u32_e32 v2, s0, v2
	v_add_co_u32_e32 v86, vcc, v26, v4
	v_ashrrev_i32_e32 v3, 31, v2
	v_addc_co_u32_e32 v87, vcc, v0, v5, vcc
	v_lshlrev_b64 v[4:5], 3, v[2:3]
	v_add_u32_e32 v2, s0, v2
	v_add_co_u32_e32 v88, vcc, v26, v4
	v_ashrrev_i32_e32 v3, 31, v2
	v_addc_co_u32_e32 v89, vcc, v0, v5, vcc
	;; [unrolled: 5-line block ×45, first 2 shown]
	v_lshlrev_b64 v[2:3], 3, v[2:3]
	v_add_co_u32_e32 v42, vcc, v26, v2
	v_addc_co_u32_e32 v43, vcc, v0, v3, vcc
	v_lshlrev_b32_e32 v2, 3, v54
	v_add_co_u32_e32 v2, vcc, v26, v2
	v_addc_co_u32_e32 v3, vcc, 0, v0, vcc
	s_lshl_b64 s[0:1], s[0:1], 3
	v_mov_b32_e32 v0, s1
	v_add_co_u32_e32 v26, vcc, s0, v2
	v_addc_co_u32_e32 v27, vcc, v3, v0, vcc
	buffer_store_dword v2, off, s[16:19], 0 offset:152 ; 4-byte Folded Spill
	s_nop 0
	buffer_store_dword v3, off, s[16:19], 0 offset:156 ; 4-byte Folded Spill
	s_movk_i32 s0, 0x1d8
	s_add_i32 s1, s6, 0
	v_mad_u32_u24 v53, v1, s0, 0
	v_lshl_add_u32 v52, v1, 3, s1
	v_cmp_ne_u32_e64 s[2:3], 0, v54
	v_cmp_eq_u32_e64 s[0:1], 0, v54
	global_load_dwordx2 v[120:121], v[2:3], off
	s_nop 0
	buffer_store_dword v26, off, s[16:19], 0 offset:160 ; 4-byte Folded Spill
	s_nop 0
	buffer_store_dword v27, off, s[16:19], 0 offset:164 ; 4-byte Folded Spill
	global_load_dwordx2 v[178:179], v[26:27], off
	global_load_dwordx2 v[234:235], v[64:65], off
	;; [unrolled: 1-line block ×39, first 2 shown]
	s_nop 0
	buffer_store_dword v6, off, s[16:19], 0 ; 4-byte Folded Spill
	s_nop 0
	buffer_store_dword v7, off, s[16:19], 0 offset:4 ; 4-byte Folded Spill
	global_load_dwordx2 v[196:197], v[6:7], off
	s_nop 0
	buffer_store_dword v8, off, s[16:19], 0 offset:8 ; 4-byte Folded Spill
	s_nop 0
	buffer_store_dword v9, off, s[16:19], 0 offset:12 ; 4-byte Folded Spill
	global_load_dwordx2 v[138:139], v[8:9], off
	s_nop 0
	buffer_store_dword v10, off, s[16:19], 0 offset:16 ; 4-byte Folded Spill
	;; [unrolled: 5-line block ×18, first 2 shown]
	s_nop 0
	buffer_store_dword v43, off, s[16:19], 0 offset:148 ; 4-byte Folded Spill
	global_load_dwordx2 v[236:237], v[42:43], off
	s_and_saveexec_b64 s[6:7], s[0:1]
	s_cbranch_execz .LBB117_4
; %bb.2:
	s_waitcnt vmcnt(62)
	ds_write_b64 v52, v[120:121]
	ds_write2_b64 v53, v[178:179], v[234:235] offset0:1 offset1:2
	ds_write2_b64 v53, v[176:177], v[232:233] offset0:3 offset1:4
	ds_write2_b64 v53, v[174:175], v[230:231] offset0:5 offset1:6
	ds_write2_b64 v53, v[172:173], v[228:229] offset0:7 offset1:8
	ds_write2_b64 v53, v[170:171], v[226:227] offset0:9 offset1:10
	ds_write2_b64 v53, v[168:169], v[224:225] offset0:11 offset1:12
	ds_write2_b64 v53, v[166:167], v[222:223] offset0:13 offset1:14
	ds_write2_b64 v53, v[164:165], v[220:221] offset0:15 offset1:16
	ds_write2_b64 v53, v[162:163], v[218:219] offset0:17 offset1:18
	ds_write2_b64 v53, v[160:161], v[216:217] offset0:19 offset1:20
	ds_write2_b64 v53, v[158:159], v[214:215] offset0:21 offset1:22
	ds_write2_b64 v53, v[156:157], v[212:213] offset0:23 offset1:24
	ds_write2_b64 v53, v[154:155], v[210:211] offset0:25 offset1:26
	ds_write2_b64 v53, v[152:153], v[208:209] offset0:27 offset1:28
	ds_write2_b64 v53, v[150:151], v[206:207] offset0:29 offset1:30
	ds_write2_b64 v53, v[148:149], v[204:205] offset0:31 offset1:32
	ds_write2_b64 v53, v[146:147], v[202:203] offset0:33 offset1:34
	s_waitcnt vmcnt(60)
	ds_write2_b64 v53, v[144:145], v[200:201] offset0:35 offset1:36
	s_waitcnt vmcnt(58)
	ds_write2_b64 v53, v[142:143], v[198:199] offset0:37 offset1:38
	;; [unrolled: 2-line block ×12, first 2 shown]
	ds_read_b64 v[0:1], v52
	s_waitcnt lgkmcnt(0)
	v_cmp_neq_f64_e32 vcc, 0, v[0:1]
	s_and_b64 exec, exec, vcc
	s_cbranch_execz .LBB117_4
; %bb.3:
	v_div_scale_f64 v[2:3], s[10:11], v[0:1], v[0:1], 1.0
	v_rcp_f64_e32 v[4:5], v[2:3]
	v_div_scale_f64 v[6:7], vcc, 1.0, v[0:1], 1.0
	v_fma_f64 v[8:9], -v[2:3], v[4:5], 1.0
	v_fmac_f64_e32 v[4:5], v[4:5], v[8:9]
	v_fma_f64 v[8:9], -v[2:3], v[4:5], 1.0
	v_fmac_f64_e32 v[4:5], v[4:5], v[8:9]
	v_mul_f64 v[8:9], v[6:7], v[4:5]
	v_fma_f64 v[2:3], -v[2:3], v[8:9], v[6:7]
	v_div_fmas_f64 v[2:3], v[2:3], v[4:5], v[8:9]
	v_div_fixup_f64 v[0:1], v[2:3], v[0:1], 1.0
	ds_write_b64 v52, v[0:1]
.LBB117_4:
	s_or_b64 exec, exec, s[6:7]
	s_waitcnt lgkmcnt(0)
	s_barrier
	ds_read_b64 v[0:1], v52
	s_waitcnt lgkmcnt(0)
	buffer_store_dword v0, off, s[16:19], 0 offset:168 ; 4-byte Folded Spill
	s_nop 0
	buffer_store_dword v1, off, s[16:19], 0 offset:172 ; 4-byte Folded Spill
	s_and_saveexec_b64 s[6:7], s[2:3]
	s_cbranch_execz .LBB117_6
; %bb.5:
	ds_read2_b64 v[0:3], v53 offset0:1 offset1:2
	ds_read2_b64 v[4:7], v53 offset0:3 offset1:4
	buffer_load_dword v8, off, s[16:19], 0 offset:168 ; 4-byte Folded Reload
	buffer_load_dword v9, off, s[16:19], 0 offset:172 ; 4-byte Folded Reload
	s_waitcnt vmcnt(0)
	v_mul_f64 v[120:121], v[8:9], v[120:121]
	s_waitcnt lgkmcnt(1)
	v_fma_f64 v[178:179], -v[120:121], v[0:1], v[178:179]
	ds_read2_b64 v[8:11], v53 offset0:5 offset1:6
	v_fma_f64 v[234:235], -v[120:121], v[2:3], v[234:235]
	ds_read2_b64 v[0:3], v53 offset0:7 offset1:8
	s_waitcnt lgkmcnt(2)
	v_fma_f64 v[176:177], -v[120:121], v[4:5], v[176:177]
	v_fma_f64 v[232:233], -v[120:121], v[6:7], v[232:233]
	ds_read2_b64 v[4:7], v53 offset0:9 offset1:10
	s_waitcnt lgkmcnt(2)
	v_fma_f64 v[174:175], -v[120:121], v[8:9], v[174:175]
	v_fma_f64 v[230:231], -v[120:121], v[10:11], v[230:231]
	ds_read2_b64 v[8:11], v53 offset0:11 offset1:12
	s_waitcnt lgkmcnt(2)
	v_fma_f64 v[172:173], -v[120:121], v[0:1], v[172:173]
	v_fma_f64 v[228:229], -v[120:121], v[2:3], v[228:229]
	s_waitcnt lgkmcnt(1)
	v_fma_f64 v[170:171], -v[120:121], v[4:5], v[170:171]
	ds_read2_b64 v[0:3], v53 offset0:13 offset1:14
	v_fma_f64 v[226:227], -v[120:121], v[6:7], v[226:227]
	ds_read2_b64 v[4:7], v53 offset0:15 offset1:16
	s_waitcnt lgkmcnt(2)
	v_fma_f64 v[168:169], -v[120:121], v[8:9], v[168:169]
	v_fma_f64 v[224:225], -v[120:121], v[10:11], v[224:225]
	s_waitcnt lgkmcnt(1)
	v_fma_f64 v[166:167], -v[120:121], v[0:1], v[166:167]
	ds_read2_b64 v[8:11], v53 offset0:17 offset1:18
	v_fma_f64 v[222:223], -v[120:121], v[2:3], v[222:223]
	ds_read2_b64 v[0:3], v53 offset0:19 offset1:20
	s_waitcnt lgkmcnt(2)
	v_fma_f64 v[164:165], -v[120:121], v[4:5], v[164:165]
	v_fma_f64 v[220:221], -v[120:121], v[6:7], v[220:221]
	ds_read2_b64 v[4:7], v53 offset0:21 offset1:22
	s_waitcnt lgkmcnt(2)
	v_fma_f64 v[162:163], -v[120:121], v[8:9], v[162:163]
	v_fma_f64 v[218:219], -v[120:121], v[10:11], v[218:219]
	ds_read2_b64 v[8:11], v53 offset0:23 offset1:24
	s_waitcnt lgkmcnt(2)
	v_fma_f64 v[160:161], -v[120:121], v[0:1], v[160:161]
	v_fma_f64 v[216:217], -v[120:121], v[2:3], v[216:217]
	s_waitcnt lgkmcnt(1)
	v_fma_f64 v[158:159], -v[120:121], v[4:5], v[158:159]
	ds_read2_b64 v[0:3], v53 offset0:25 offset1:26
	v_fma_f64 v[214:215], -v[120:121], v[6:7], v[214:215]
	ds_read2_b64 v[4:7], v53 offset0:27 offset1:28
	s_waitcnt lgkmcnt(2)
	v_fma_f64 v[156:157], -v[120:121], v[8:9], v[156:157]
	v_fma_f64 v[212:213], -v[120:121], v[10:11], v[212:213]
	;; [unrolled: 24-line block ×4, first 2 shown]
	s_waitcnt lgkmcnt(1)
	v_fma_f64 v[130:131], -v[120:121], v[0:1], v[130:131]
	v_fma_f64 v[186:187], -v[120:121], v[2:3], v[186:187]
	ds_read2_b64 v[0:3], v53 offset0:53 offset1:54
	ds_read2_b64 v[8:11], v53 offset0:55 offset1:56
	s_waitcnt lgkmcnt(2)
	v_fma_f64 v[128:129], -v[120:121], v[4:5], v[128:129]
	v_fma_f64 v[184:185], -v[120:121], v[6:7], v[184:185]
	ds_read2_b64 v[4:7], v53 offset0:57 offset1:58
	s_waitcnt lgkmcnt(2)
	v_fma_f64 v[126:127], -v[120:121], v[0:1], v[126:127]
	v_fma_f64 v[182:183], -v[120:121], v[2:3], v[182:183]
	s_waitcnt lgkmcnt(1)
	v_fma_f64 v[124:125], -v[120:121], v[8:9], v[124:125]
	v_fma_f64 v[180:181], -v[120:121], v[10:11], v[180:181]
	;; [unrolled: 3-line block ×3, first 2 shown]
.LBB117_6:
	s_or_b64 exec, exec, s[6:7]
	v_cmp_eq_u32_e32 vcc, 1, v54
	s_waitcnt vmcnt(63) expcnt(7) lgkmcnt(15)
	s_barrier
	s_and_saveexec_b64 s[2:3], vcc
	s_cbranch_execz .LBB117_9
; %bb.7:
	v_mov_b32_e32 v0, v234
	v_mov_b32_e32 v1, v235
	;; [unrolled: 1-line block ×4, first 2 shown]
	ds_write_b64 v52, v[178:179]
	ds_write2_b64 v53, v[0:1], v[2:3] offset0:2 offset1:3
	v_mov_b32_e32 v0, v232
	v_mov_b32_e32 v1, v233
	v_mov_b32_e32 v2, v174
	v_mov_b32_e32 v3, v175
	ds_write2_b64 v53, v[0:1], v[2:3] offset0:4 offset1:5
	v_mov_b32_e32 v0, v230
	v_mov_b32_e32 v1, v231
	v_mov_b32_e32 v2, v172
	v_mov_b32_e32 v3, v173
	;; [unrolled: 5-line block ×16, first 2 shown]
	ds_write2_b64 v53, v[0:1], v[2:3] offset0:34 offset1:35
	s_waitcnt vmcnt(62)
	v_mov_b32_e32 v0, v200
	v_mov_b32_e32 v1, v201
	s_waitcnt vmcnt(61)
	v_mov_b32_e32 v2, v142
	v_mov_b32_e32 v3, v143
	ds_write2_b64 v53, v[0:1], v[2:3] offset0:36 offset1:37
	s_waitcnt vmcnt(60)
	v_mov_b32_e32 v0, v198
	v_mov_b32_e32 v1, v199
	s_waitcnt vmcnt(59)
	v_mov_b32_e32 v2, v140
	v_mov_b32_e32 v3, v141
	;; [unrolled: 7-line block ×11, first 2 shown]
	ds_write2_b64 v53, v[0:1], v[2:3] offset0:56 offset1:57
	s_waitcnt vmcnt(2)
	ds_write_b64 v53, v[236:237] offset:464
	ds_read_b64 v[0:1], v52
	s_waitcnt lgkmcnt(0)
	v_cmp_neq_f64_e32 vcc, 0, v[0:1]
	s_and_b64 exec, exec, vcc
	s_cbranch_execz .LBB117_9
; %bb.8:
	v_div_scale_f64 v[2:3], s[6:7], v[0:1], v[0:1], 1.0
	v_rcp_f64_e32 v[4:5], v[2:3]
	v_div_scale_f64 v[6:7], vcc, 1.0, v[0:1], 1.0
	v_fma_f64 v[8:9], -v[2:3], v[4:5], 1.0
	v_fmac_f64_e32 v[4:5], v[4:5], v[8:9]
	v_fma_f64 v[8:9], -v[2:3], v[4:5], 1.0
	v_fmac_f64_e32 v[4:5], v[4:5], v[8:9]
	v_mul_f64 v[8:9], v[6:7], v[4:5]
	v_fma_f64 v[2:3], -v[2:3], v[8:9], v[6:7]
	v_div_fmas_f64 v[2:3], v[2:3], v[4:5], v[8:9]
	v_div_fixup_f64 v[0:1], v[2:3], v[0:1], 1.0
	ds_write_b64 v52, v[0:1]
.LBB117_9:
	s_or_b64 exec, exec, s[2:3]
	s_waitcnt lgkmcnt(0)
	s_barrier
	ds_read_b64 v[0:1], v52
	v_cmp_lt_u32_e32 vcc, 1, v54
	s_waitcnt lgkmcnt(0)
	buffer_store_dword v0, off, s[16:19], 0 offset:176 ; 4-byte Folded Spill
	s_nop 0
	buffer_store_dword v1, off, s[16:19], 0 offset:180 ; 4-byte Folded Spill
	s_and_saveexec_b64 s[2:3], vcc
	s_cbranch_execz .LBB117_11
; %bb.10:
	ds_read2_b64 v[0:3], v53 offset0:2 offset1:3
	ds_read2_b64 v[4:7], v53 offset0:4 offset1:5
	buffer_load_dword v8, off, s[16:19], 0 offset:176 ; 4-byte Folded Reload
	buffer_load_dword v9, off, s[16:19], 0 offset:180 ; 4-byte Folded Reload
	s_waitcnt vmcnt(0)
	v_mul_f64 v[178:179], v[8:9], v[178:179]
	s_waitcnt lgkmcnt(1)
	v_fma_f64 v[234:235], -v[178:179], v[0:1], v[234:235]
	ds_read2_b64 v[8:11], v53 offset0:6 offset1:7
	v_fma_f64 v[176:177], -v[178:179], v[2:3], v[176:177]
	ds_read2_b64 v[0:3], v53 offset0:8 offset1:9
	s_waitcnt lgkmcnt(2)
	v_fma_f64 v[232:233], -v[178:179], v[4:5], v[232:233]
	v_fma_f64 v[174:175], -v[178:179], v[6:7], v[174:175]
	ds_read2_b64 v[4:7], v53 offset0:10 offset1:11
	s_waitcnt lgkmcnt(2)
	v_fma_f64 v[230:231], -v[178:179], v[8:9], v[230:231]
	v_fma_f64 v[172:173], -v[178:179], v[10:11], v[172:173]
	ds_read2_b64 v[8:11], v53 offset0:12 offset1:13
	s_waitcnt lgkmcnt(2)
	v_fma_f64 v[228:229], -v[178:179], v[0:1], v[228:229]
	v_fma_f64 v[170:171], -v[178:179], v[2:3], v[170:171]
	s_waitcnt lgkmcnt(1)
	v_fma_f64 v[226:227], -v[178:179], v[4:5], v[226:227]
	ds_read2_b64 v[0:3], v53 offset0:14 offset1:15
	v_fma_f64 v[168:169], -v[178:179], v[6:7], v[168:169]
	ds_read2_b64 v[4:7], v53 offset0:16 offset1:17
	s_waitcnt lgkmcnt(2)
	v_fma_f64 v[224:225], -v[178:179], v[8:9], v[224:225]
	v_fma_f64 v[166:167], -v[178:179], v[10:11], v[166:167]
	s_waitcnt lgkmcnt(1)
	v_fma_f64 v[222:223], -v[178:179], v[0:1], v[222:223]
	ds_read2_b64 v[8:11], v53 offset0:18 offset1:19
	v_fma_f64 v[164:165], -v[178:179], v[2:3], v[164:165]
	ds_read2_b64 v[0:3], v53 offset0:20 offset1:21
	s_waitcnt lgkmcnt(2)
	v_fma_f64 v[220:221], -v[178:179], v[4:5], v[220:221]
	v_fma_f64 v[162:163], -v[178:179], v[6:7], v[162:163]
	ds_read2_b64 v[4:7], v53 offset0:22 offset1:23
	s_waitcnt lgkmcnt(2)
	v_fma_f64 v[218:219], -v[178:179], v[8:9], v[218:219]
	v_fma_f64 v[160:161], -v[178:179], v[10:11], v[160:161]
	ds_read2_b64 v[8:11], v53 offset0:24 offset1:25
	s_waitcnt lgkmcnt(2)
	v_fma_f64 v[216:217], -v[178:179], v[0:1], v[216:217]
	v_fma_f64 v[158:159], -v[178:179], v[2:3], v[158:159]
	s_waitcnt lgkmcnt(1)
	v_fma_f64 v[214:215], -v[178:179], v[4:5], v[214:215]
	ds_read2_b64 v[0:3], v53 offset0:26 offset1:27
	v_fma_f64 v[156:157], -v[178:179], v[6:7], v[156:157]
	ds_read2_b64 v[4:7], v53 offset0:28 offset1:29
	s_waitcnt lgkmcnt(2)
	v_fma_f64 v[212:213], -v[178:179], v[8:9], v[212:213]
	v_fma_f64 v[154:155], -v[178:179], v[10:11], v[154:155]
	;; [unrolled: 24-line block ×4, first 2 shown]
	s_waitcnt lgkmcnt(1)
	v_fma_f64 v[186:187], -v[178:179], v[0:1], v[186:187]
	v_fma_f64 v[128:129], -v[178:179], v[2:3], v[128:129]
	ds_read2_b64 v[0:3], v53 offset0:54 offset1:55
	ds_read2_b64 v[8:11], v53 offset0:56 offset1:57
	s_waitcnt lgkmcnt(2)
	v_fma_f64 v[184:185], -v[178:179], v[4:5], v[184:185]
	ds_read_b64 v[4:5], v53 offset:464
	v_fma_f64 v[126:127], -v[178:179], v[6:7], v[126:127]
	s_waitcnt lgkmcnt(2)
	v_fma_f64 v[182:183], -v[178:179], v[0:1], v[182:183]
	v_fma_f64 v[124:125], -v[178:179], v[2:3], v[124:125]
	s_waitcnt lgkmcnt(1)
	v_fma_f64 v[180:181], -v[178:179], v[8:9], v[180:181]
	;; [unrolled: 3-line block ×3, first 2 shown]
.LBB117_11:
	s_or_b64 exec, exec, s[2:3]
	v_cmp_eq_u32_e32 vcc, 2, v54
	s_waitcnt vmcnt(63) expcnt(7) lgkmcnt(15)
	s_barrier
	s_and_saveexec_b64 s[2:3], vcc
	s_cbranch_execz .LBB117_14
; %bb.12:
	ds_write_b64 v52, v[234:235]
	ds_write2_b64 v53, v[176:177], v[232:233] offset0:3 offset1:4
	ds_write2_b64 v53, v[174:175], v[230:231] offset0:5 offset1:6
	;; [unrolled: 1-line block ×17, first 2 shown]
	s_waitcnt vmcnt(62)
	ds_write2_b64 v53, v[142:143], v[198:199] offset0:37 offset1:38
	s_waitcnt vmcnt(58)
	ds_write2_b64 v53, v[140:141], v[196:197] offset0:39 offset1:40
	;; [unrolled: 2-line block ×11, first 2 shown]
	ds_read_b64 v[0:1], v52
	s_waitcnt lgkmcnt(0)
	v_cmp_neq_f64_e32 vcc, 0, v[0:1]
	s_and_b64 exec, exec, vcc
	s_cbranch_execz .LBB117_14
; %bb.13:
	v_div_scale_f64 v[2:3], s[6:7], v[0:1], v[0:1], 1.0
	v_rcp_f64_e32 v[4:5], v[2:3]
	v_div_scale_f64 v[6:7], vcc, 1.0, v[0:1], 1.0
	v_fma_f64 v[8:9], -v[2:3], v[4:5], 1.0
	v_fmac_f64_e32 v[4:5], v[4:5], v[8:9]
	v_fma_f64 v[8:9], -v[2:3], v[4:5], 1.0
	v_fmac_f64_e32 v[4:5], v[4:5], v[8:9]
	v_mul_f64 v[8:9], v[6:7], v[4:5]
	v_fma_f64 v[2:3], -v[2:3], v[8:9], v[6:7]
	v_div_fmas_f64 v[2:3], v[2:3], v[4:5], v[8:9]
	v_div_fixup_f64 v[0:1], v[2:3], v[0:1], 1.0
	ds_write_b64 v52, v[0:1]
.LBB117_14:
	s_or_b64 exec, exec, s[2:3]
	s_waitcnt lgkmcnt(0)
	s_barrier
	ds_read_b64 v[0:1], v52
	v_cmp_lt_u32_e32 vcc, 2, v54
	s_waitcnt lgkmcnt(0)
	buffer_store_dword v0, off, s[16:19], 0 offset:184 ; 4-byte Folded Spill
	s_nop 0
	buffer_store_dword v1, off, s[16:19], 0 offset:188 ; 4-byte Folded Spill
	s_and_saveexec_b64 s[2:3], vcc
	s_cbranch_execz .LBB117_16
; %bb.15:
	buffer_load_dword v0, off, s[16:19], 0 offset:184 ; 4-byte Folded Reload
	buffer_load_dword v1, off, s[16:19], 0 offset:188 ; 4-byte Folded Reload
	s_waitcnt vmcnt(0)
	v_mul_f64 v[234:235], v[0:1], v[234:235]
	ds_read2_b64 v[0:3], v53 offset0:3 offset1:4
	s_waitcnt lgkmcnt(0)
	v_fma_f64 v[176:177], -v[234:235], v[0:1], v[176:177]
	v_fma_f64 v[232:233], -v[234:235], v[2:3], v[232:233]
	ds_read2_b64 v[0:3], v53 offset0:5 offset1:6
	s_waitcnt lgkmcnt(0)
	v_fma_f64 v[174:175], -v[234:235], v[0:1], v[174:175]
	v_fma_f64 v[230:231], -v[234:235], v[2:3], v[230:231]
	;; [unrolled: 4-line block ×28, first 2 shown]
.LBB117_16:
	s_or_b64 exec, exec, s[2:3]
	v_cmp_eq_u32_e32 vcc, 3, v54
	s_waitcnt vmcnt(63) expcnt(7) lgkmcnt(15)
	s_barrier
	s_and_saveexec_b64 s[2:3], vcc
	s_cbranch_execz .LBB117_19
; %bb.17:
	v_mov_b32_e32 v0, v232
	v_mov_b32_e32 v1, v233
	;; [unrolled: 1-line block ×4, first 2 shown]
	ds_write_b64 v52, v[176:177]
	ds_write2_b64 v53, v[0:1], v[2:3] offset0:4 offset1:5
	v_mov_b32_e32 v0, v230
	v_mov_b32_e32 v1, v231
	v_mov_b32_e32 v2, v172
	v_mov_b32_e32 v3, v173
	ds_write2_b64 v53, v[0:1], v[2:3] offset0:6 offset1:7
	v_mov_b32_e32 v0, v228
	v_mov_b32_e32 v1, v229
	v_mov_b32_e32 v2, v170
	v_mov_b32_e32 v3, v171
	;; [unrolled: 5-line block ×17, first 2 shown]
	ds_write2_b64 v53, v[0:1], v[2:3] offset0:38 offset1:39
	s_waitcnt vmcnt(60)
	v_mov_b32_e32 v0, v196
	v_mov_b32_e32 v1, v197
	s_waitcnt vmcnt(57)
	v_mov_b32_e32 v2, v138
	v_mov_b32_e32 v3, v139
	ds_write2_b64 v53, v[0:1], v[2:3] offset0:40 offset1:41
	s_waitcnt vmcnt(54)
	v_mov_b32_e32 v0, v194
	v_mov_b32_e32 v1, v195
	s_waitcnt vmcnt(51)
	v_mov_b32_e32 v2, v136
	v_mov_b32_e32 v3, v137
	;; [unrolled: 7-line block ×9, first 2 shown]
	ds_write2_b64 v53, v[0:1], v[2:3] offset0:56 offset1:57
	s_waitcnt vmcnt(6)
	ds_write_b64 v53, v[236:237] offset:464
	ds_read_b64 v[0:1], v52
	s_waitcnt lgkmcnt(0)
	v_cmp_neq_f64_e32 vcc, 0, v[0:1]
	s_and_b64 exec, exec, vcc
	s_cbranch_execz .LBB117_19
; %bb.18:
	v_div_scale_f64 v[2:3], s[6:7], v[0:1], v[0:1], 1.0
	v_rcp_f64_e32 v[4:5], v[2:3]
	v_div_scale_f64 v[6:7], vcc, 1.0, v[0:1], 1.0
	v_fma_f64 v[8:9], -v[2:3], v[4:5], 1.0
	v_fmac_f64_e32 v[4:5], v[4:5], v[8:9]
	v_fma_f64 v[8:9], -v[2:3], v[4:5], 1.0
	v_fmac_f64_e32 v[4:5], v[4:5], v[8:9]
	v_mul_f64 v[8:9], v[6:7], v[4:5]
	v_fma_f64 v[2:3], -v[2:3], v[8:9], v[6:7]
	v_div_fmas_f64 v[2:3], v[2:3], v[4:5], v[8:9]
	v_div_fixup_f64 v[0:1], v[2:3], v[0:1], 1.0
	ds_write_b64 v52, v[0:1]
.LBB117_19:
	s_or_b64 exec, exec, s[2:3]
	s_waitcnt lgkmcnt(0)
	s_barrier
	ds_read_b64 v[0:1], v52
	v_cmp_lt_u32_e32 vcc, 3, v54
	s_waitcnt lgkmcnt(0)
	buffer_store_dword v0, off, s[16:19], 0 offset:192 ; 4-byte Folded Spill
	s_nop 0
	buffer_store_dword v1, off, s[16:19], 0 offset:196 ; 4-byte Folded Spill
	s_and_saveexec_b64 s[2:3], vcc
	s_cbranch_execz .LBB117_21
; %bb.20:
	buffer_load_dword v0, off, s[16:19], 0 offset:192 ; 4-byte Folded Reload
	buffer_load_dword v1, off, s[16:19], 0 offset:196 ; 4-byte Folded Reload
	s_waitcnt vmcnt(0)
	v_mul_f64 v[176:177], v[0:1], v[176:177]
	ds_read2_b64 v[0:3], v53 offset0:4 offset1:5
	s_waitcnt lgkmcnt(0)
	v_fma_f64 v[232:233], -v[176:177], v[0:1], v[232:233]
	v_fma_f64 v[174:175], -v[176:177], v[2:3], v[174:175]
	ds_read2_b64 v[0:3], v53 offset0:6 offset1:7
	s_waitcnt lgkmcnt(0)
	v_fma_f64 v[230:231], -v[176:177], v[0:1], v[230:231]
	v_fma_f64 v[172:173], -v[176:177], v[2:3], v[172:173]
	;; [unrolled: 4-line block ×26, first 2 shown]
	ds_read2_b64 v[0:3], v53 offset0:56 offset1:57
	s_waitcnt lgkmcnt(0)
	v_fma_f64 v[180:181], -v[176:177], v[0:1], v[180:181]
	ds_read_b64 v[0:1], v53 offset:464
	v_fma_f64 v[122:123], -v[176:177], v[2:3], v[122:123]
	s_waitcnt lgkmcnt(0)
	v_fma_f64 v[236:237], -v[176:177], v[0:1], v[236:237]
.LBB117_21:
	s_or_b64 exec, exec, s[2:3]
	v_cmp_eq_u32_e32 vcc, 4, v54
	s_waitcnt vmcnt(63) expcnt(7) lgkmcnt(15)
	s_barrier
	s_and_saveexec_b64 s[2:3], vcc
	s_cbranch_execz .LBB117_24
; %bb.22:
	ds_write_b64 v52, v[232:233]
	ds_write2_b64 v53, v[174:175], v[230:231] offset0:5 offset1:6
	ds_write2_b64 v53, v[172:173], v[228:229] offset0:7 offset1:8
	;; [unrolled: 1-line block ×17, first 2 shown]
	s_waitcnt vmcnt(62)
	ds_write2_b64 v53, v[140:141], v[196:197] offset0:39 offset1:40
	s_waitcnt vmcnt(56)
	ds_write2_b64 v53, v[138:139], v[194:195] offset0:41 offset1:42
	;; [unrolled: 2-line block ×10, first 2 shown]
	ds_read_b64 v[0:1], v52
	s_waitcnt lgkmcnt(0)
	v_cmp_neq_f64_e32 vcc, 0, v[0:1]
	s_and_b64 exec, exec, vcc
	s_cbranch_execz .LBB117_24
; %bb.23:
	v_div_scale_f64 v[2:3], s[6:7], v[0:1], v[0:1], 1.0
	v_rcp_f64_e32 v[4:5], v[2:3]
	v_div_scale_f64 v[6:7], vcc, 1.0, v[0:1], 1.0
	v_fma_f64 v[8:9], -v[2:3], v[4:5], 1.0
	v_fmac_f64_e32 v[4:5], v[4:5], v[8:9]
	v_fma_f64 v[8:9], -v[2:3], v[4:5], 1.0
	v_fmac_f64_e32 v[4:5], v[4:5], v[8:9]
	v_mul_f64 v[8:9], v[6:7], v[4:5]
	v_fma_f64 v[2:3], -v[2:3], v[8:9], v[6:7]
	v_div_fmas_f64 v[2:3], v[2:3], v[4:5], v[8:9]
	v_div_fixup_f64 v[0:1], v[2:3], v[0:1], 1.0
	ds_write_b64 v52, v[0:1]
.LBB117_24:
	s_or_b64 exec, exec, s[2:3]
	s_waitcnt lgkmcnt(0)
	s_barrier
	ds_read_b64 v[0:1], v52
	v_cmp_lt_u32_e32 vcc, 4, v54
	s_waitcnt lgkmcnt(0)
	buffer_store_dword v0, off, s[16:19], 0 offset:200 ; 4-byte Folded Spill
	s_nop 0
	buffer_store_dword v1, off, s[16:19], 0 offset:204 ; 4-byte Folded Spill
	s_and_saveexec_b64 s[2:3], vcc
	s_cbranch_execz .LBB117_26
; %bb.25:
	buffer_load_dword v0, off, s[16:19], 0 offset:200 ; 4-byte Folded Reload
	buffer_load_dword v1, off, s[16:19], 0 offset:204 ; 4-byte Folded Reload
	s_waitcnt vmcnt(0)
	v_mul_f64 v[232:233], v[0:1], v[232:233]
	ds_read2_b64 v[0:3], v53 offset0:5 offset1:6
	s_waitcnt lgkmcnt(0)
	v_fma_f64 v[174:175], -v[232:233], v[0:1], v[174:175]
	v_fma_f64 v[230:231], -v[232:233], v[2:3], v[230:231]
	ds_read2_b64 v[0:3], v53 offset0:7 offset1:8
	s_waitcnt lgkmcnt(0)
	v_fma_f64 v[172:173], -v[232:233], v[0:1], v[172:173]
	v_fma_f64 v[228:229], -v[232:233], v[2:3], v[228:229]
	ds_read2_b64 v[0:3], v53 offset0:9 offset1:10
	s_waitcnt lgkmcnt(0)
	v_fma_f64 v[170:171], -v[232:233], v[0:1], v[170:171]
	v_fma_f64 v[226:227], -v[232:233], v[2:3], v[226:227]
	ds_read2_b64 v[0:3], v53 offset0:11 offset1:12
	s_waitcnt lgkmcnt(0)
	v_fma_f64 v[168:169], -v[232:233], v[0:1], v[168:169]
	v_fma_f64 v[224:225], -v[232:233], v[2:3], v[224:225]
	ds_read2_b64 v[0:3], v53 offset0:13 offset1:14
	s_waitcnt lgkmcnt(0)
	v_fma_f64 v[166:167], -v[232:233], v[0:1], v[166:167]
	v_fma_f64 v[222:223], -v[232:233], v[2:3], v[222:223]
	ds_read2_b64 v[0:3], v53 offset0:15 offset1:16
	s_waitcnt lgkmcnt(0)
	v_fma_f64 v[164:165], -v[232:233], v[0:1], v[164:165]
	v_fma_f64 v[220:221], -v[232:233], v[2:3], v[220:221]
	ds_read2_b64 v[0:3], v53 offset0:17 offset1:18
	s_waitcnt lgkmcnt(0)
	v_fma_f64 v[162:163], -v[232:233], v[0:1], v[162:163]
	v_fma_f64 v[218:219], -v[232:233], v[2:3], v[218:219]
	ds_read2_b64 v[0:3], v53 offset0:19 offset1:20
	s_waitcnt lgkmcnt(0)
	v_fma_f64 v[160:161], -v[232:233], v[0:1], v[160:161]
	v_fma_f64 v[216:217], -v[232:233], v[2:3], v[216:217]
	ds_read2_b64 v[0:3], v53 offset0:21 offset1:22
	s_waitcnt lgkmcnt(0)
	v_fma_f64 v[158:159], -v[232:233], v[0:1], v[158:159]
	v_fma_f64 v[214:215], -v[232:233], v[2:3], v[214:215]
	ds_read2_b64 v[0:3], v53 offset0:23 offset1:24
	s_waitcnt lgkmcnt(0)
	v_fma_f64 v[156:157], -v[232:233], v[0:1], v[156:157]
	v_fma_f64 v[212:213], -v[232:233], v[2:3], v[212:213]
	ds_read2_b64 v[0:3], v53 offset0:25 offset1:26
	s_waitcnt lgkmcnt(0)
	v_fma_f64 v[154:155], -v[232:233], v[0:1], v[154:155]
	v_fma_f64 v[210:211], -v[232:233], v[2:3], v[210:211]
	ds_read2_b64 v[0:3], v53 offset0:27 offset1:28
	s_waitcnt lgkmcnt(0)
	v_fma_f64 v[152:153], -v[232:233], v[0:1], v[152:153]
	v_fma_f64 v[208:209], -v[232:233], v[2:3], v[208:209]
	ds_read2_b64 v[0:3], v53 offset0:29 offset1:30
	s_waitcnt lgkmcnt(0)
	v_fma_f64 v[150:151], -v[232:233], v[0:1], v[150:151]
	v_fma_f64 v[206:207], -v[232:233], v[2:3], v[206:207]
	ds_read2_b64 v[0:3], v53 offset0:31 offset1:32
	s_waitcnt lgkmcnt(0)
	v_fma_f64 v[148:149], -v[232:233], v[0:1], v[148:149]
	v_fma_f64 v[204:205], -v[232:233], v[2:3], v[204:205]
	ds_read2_b64 v[0:3], v53 offset0:33 offset1:34
	s_waitcnt lgkmcnt(0)
	v_fma_f64 v[146:147], -v[232:233], v[0:1], v[146:147]
	v_fma_f64 v[202:203], -v[232:233], v[2:3], v[202:203]
	ds_read2_b64 v[0:3], v53 offset0:35 offset1:36
	s_waitcnt lgkmcnt(0)
	v_fma_f64 v[144:145], -v[232:233], v[0:1], v[144:145]
	v_fma_f64 v[200:201], -v[232:233], v[2:3], v[200:201]
	ds_read2_b64 v[0:3], v53 offset0:37 offset1:38
	s_waitcnt lgkmcnt(0)
	v_fma_f64 v[142:143], -v[232:233], v[0:1], v[142:143]
	v_fma_f64 v[198:199], -v[232:233], v[2:3], v[198:199]
	ds_read2_b64 v[0:3], v53 offset0:39 offset1:40
	s_waitcnt lgkmcnt(0)
	v_fma_f64 v[140:141], -v[232:233], v[0:1], v[140:141]
	v_fma_f64 v[196:197], -v[232:233], v[2:3], v[196:197]
	ds_read2_b64 v[0:3], v53 offset0:41 offset1:42
	s_waitcnt lgkmcnt(0)
	v_fma_f64 v[138:139], -v[232:233], v[0:1], v[138:139]
	v_fma_f64 v[194:195], -v[232:233], v[2:3], v[194:195]
	ds_read2_b64 v[0:3], v53 offset0:43 offset1:44
	s_waitcnt lgkmcnt(0)
	v_fma_f64 v[136:137], -v[232:233], v[0:1], v[136:137]
	v_fma_f64 v[192:193], -v[232:233], v[2:3], v[192:193]
	ds_read2_b64 v[0:3], v53 offset0:45 offset1:46
	s_waitcnt lgkmcnt(0)
	v_fma_f64 v[134:135], -v[232:233], v[0:1], v[134:135]
	v_fma_f64 v[190:191], -v[232:233], v[2:3], v[190:191]
	ds_read2_b64 v[0:3], v53 offset0:47 offset1:48
	s_waitcnt lgkmcnt(0)
	v_fma_f64 v[132:133], -v[232:233], v[0:1], v[132:133]
	v_fma_f64 v[188:189], -v[232:233], v[2:3], v[188:189]
	ds_read2_b64 v[0:3], v53 offset0:49 offset1:50
	s_waitcnt lgkmcnt(0)
	v_fma_f64 v[130:131], -v[232:233], v[0:1], v[130:131]
	v_fma_f64 v[186:187], -v[232:233], v[2:3], v[186:187]
	ds_read2_b64 v[0:3], v53 offset0:51 offset1:52
	s_waitcnt lgkmcnt(0)
	v_fma_f64 v[128:129], -v[232:233], v[0:1], v[128:129]
	v_fma_f64 v[184:185], -v[232:233], v[2:3], v[184:185]
	ds_read2_b64 v[0:3], v53 offset0:53 offset1:54
	s_waitcnt lgkmcnt(0)
	v_fma_f64 v[126:127], -v[232:233], v[0:1], v[126:127]
	v_fma_f64 v[182:183], -v[232:233], v[2:3], v[182:183]
	ds_read2_b64 v[0:3], v53 offset0:55 offset1:56
	s_waitcnt lgkmcnt(0)
	v_fma_f64 v[124:125], -v[232:233], v[0:1], v[124:125]
	v_fma_f64 v[180:181], -v[232:233], v[2:3], v[180:181]
	ds_read2_b64 v[0:3], v53 offset0:57 offset1:58
	s_waitcnt lgkmcnt(0)
	v_fma_f64 v[122:123], -v[232:233], v[0:1], v[122:123]
	v_fma_f64 v[236:237], -v[232:233], v[2:3], v[236:237]
.LBB117_26:
	s_or_b64 exec, exec, s[2:3]
	v_cmp_eq_u32_e32 vcc, 5, v54
	s_waitcnt vmcnt(63) expcnt(7) lgkmcnt(15)
	s_barrier
	s_and_saveexec_b64 s[2:3], vcc
	s_cbranch_execz .LBB117_29
; %bb.27:
	v_mov_b32_e32 v0, v230
	v_mov_b32_e32 v1, v231
	;; [unrolled: 1-line block ×4, first 2 shown]
	ds_write_b64 v52, v[174:175]
	ds_write2_b64 v53, v[0:1], v[2:3] offset0:6 offset1:7
	v_mov_b32_e32 v0, v228
	v_mov_b32_e32 v1, v229
	v_mov_b32_e32 v2, v170
	v_mov_b32_e32 v3, v171
	ds_write2_b64 v53, v[0:1], v[2:3] offset0:8 offset1:9
	v_mov_b32_e32 v0, v226
	v_mov_b32_e32 v1, v227
	v_mov_b32_e32 v2, v168
	v_mov_b32_e32 v3, v169
	;; [unrolled: 5-line block ×16, first 2 shown]
	ds_write2_b64 v53, v[0:1], v[2:3] offset0:38 offset1:39
	v_mov_b32_e32 v0, v196
	v_mov_b32_e32 v1, v197
	s_waitcnt vmcnt(61)
	v_mov_b32_e32 v2, v138
	v_mov_b32_e32 v3, v139
	ds_write2_b64 v53, v[0:1], v[2:3] offset0:40 offset1:41
	s_waitcnt vmcnt(58)
	v_mov_b32_e32 v0, v194
	v_mov_b32_e32 v1, v195
	s_waitcnt vmcnt(55)
	v_mov_b32_e32 v2, v136
	v_mov_b32_e32 v3, v137
	ds_write2_b64 v53, v[0:1], v[2:3] offset0:42 offset1:43
	s_waitcnt vmcnt(52)
	;; [unrolled: 7-line block ×9, first 2 shown]
	ds_write_b64 v53, v[236:237] offset:464
	ds_read_b64 v[0:1], v52
	s_waitcnt lgkmcnt(0)
	v_cmp_neq_f64_e32 vcc, 0, v[0:1]
	s_and_b64 exec, exec, vcc
	s_cbranch_execz .LBB117_29
; %bb.28:
	v_div_scale_f64 v[2:3], s[6:7], v[0:1], v[0:1], 1.0
	v_rcp_f64_e32 v[4:5], v[2:3]
	v_div_scale_f64 v[6:7], vcc, 1.0, v[0:1], 1.0
	v_fma_f64 v[8:9], -v[2:3], v[4:5], 1.0
	v_fmac_f64_e32 v[4:5], v[4:5], v[8:9]
	v_fma_f64 v[8:9], -v[2:3], v[4:5], 1.0
	v_fmac_f64_e32 v[4:5], v[4:5], v[8:9]
	v_mul_f64 v[8:9], v[6:7], v[4:5]
	v_fma_f64 v[2:3], -v[2:3], v[8:9], v[6:7]
	v_div_fmas_f64 v[2:3], v[2:3], v[4:5], v[8:9]
	v_div_fixup_f64 v[0:1], v[2:3], v[0:1], 1.0
	ds_write_b64 v52, v[0:1]
.LBB117_29:
	s_or_b64 exec, exec, s[2:3]
	s_waitcnt lgkmcnt(0)
	s_barrier
	ds_read_b64 v[0:1], v52
	v_cmp_lt_u32_e32 vcc, 5, v54
	s_waitcnt lgkmcnt(0)
	buffer_store_dword v0, off, s[16:19], 0 offset:208 ; 4-byte Folded Spill
	s_nop 0
	buffer_store_dword v1, off, s[16:19], 0 offset:212 ; 4-byte Folded Spill
	s_and_saveexec_b64 s[2:3], vcc
	s_cbranch_execz .LBB117_31
; %bb.30:
	buffer_load_dword v0, off, s[16:19], 0 offset:208 ; 4-byte Folded Reload
	buffer_load_dword v1, off, s[16:19], 0 offset:212 ; 4-byte Folded Reload
	s_waitcnt vmcnt(0)
	v_mul_f64 v[174:175], v[0:1], v[174:175]
	ds_read2_b64 v[0:3], v53 offset0:6 offset1:7
	s_waitcnt lgkmcnt(0)
	v_fma_f64 v[230:231], -v[174:175], v[0:1], v[230:231]
	v_fma_f64 v[172:173], -v[174:175], v[2:3], v[172:173]
	ds_read2_b64 v[0:3], v53 offset0:8 offset1:9
	s_waitcnt lgkmcnt(0)
	v_fma_f64 v[228:229], -v[174:175], v[0:1], v[228:229]
	v_fma_f64 v[170:171], -v[174:175], v[2:3], v[170:171]
	;; [unrolled: 4-line block ×25, first 2 shown]
	ds_read2_b64 v[0:3], v53 offset0:56 offset1:57
	s_waitcnt lgkmcnt(0)
	v_fma_f64 v[180:181], -v[174:175], v[0:1], v[180:181]
	ds_read_b64 v[0:1], v53 offset:464
	v_fma_f64 v[122:123], -v[174:175], v[2:3], v[122:123]
	s_waitcnt lgkmcnt(0)
	v_fma_f64 v[236:237], -v[174:175], v[0:1], v[236:237]
.LBB117_31:
	s_or_b64 exec, exec, s[2:3]
	v_cmp_eq_u32_e32 vcc, 6, v54
	s_waitcnt vmcnt(63) expcnt(7) lgkmcnt(15)
	s_barrier
	s_and_saveexec_b64 s[2:3], vcc
	s_cbranch_execz .LBB117_34
; %bb.32:
	ds_write_b64 v52, v[230:231]
	ds_write2_b64 v53, v[172:173], v[228:229] offset0:7 offset1:8
	ds_write2_b64 v53, v[170:171], v[226:227] offset0:9 offset1:10
	;; [unrolled: 1-line block ×17, first 2 shown]
	s_waitcnt vmcnt(60)
	ds_write2_b64 v53, v[138:139], v[194:195] offset0:41 offset1:42
	s_waitcnt vmcnt(54)
	ds_write2_b64 v53, v[136:137], v[192:193] offset0:43 offset1:44
	;; [unrolled: 2-line block ×9, first 2 shown]
	ds_read_b64 v[0:1], v52
	s_waitcnt lgkmcnt(0)
	v_cmp_neq_f64_e32 vcc, 0, v[0:1]
	s_and_b64 exec, exec, vcc
	s_cbranch_execz .LBB117_34
; %bb.33:
	v_div_scale_f64 v[2:3], s[6:7], v[0:1], v[0:1], 1.0
	v_rcp_f64_e32 v[4:5], v[2:3]
	v_div_scale_f64 v[6:7], vcc, 1.0, v[0:1], 1.0
	v_fma_f64 v[8:9], -v[2:3], v[4:5], 1.0
	v_fmac_f64_e32 v[4:5], v[4:5], v[8:9]
	v_fma_f64 v[8:9], -v[2:3], v[4:5], 1.0
	v_fmac_f64_e32 v[4:5], v[4:5], v[8:9]
	v_mul_f64 v[8:9], v[6:7], v[4:5]
	v_fma_f64 v[2:3], -v[2:3], v[8:9], v[6:7]
	v_div_fmas_f64 v[2:3], v[2:3], v[4:5], v[8:9]
	v_div_fixup_f64 v[0:1], v[2:3], v[0:1], 1.0
	ds_write_b64 v52, v[0:1]
.LBB117_34:
	s_or_b64 exec, exec, s[2:3]
	s_waitcnt lgkmcnt(0)
	s_barrier
	ds_read_b64 v[0:1], v52
	v_cmp_lt_u32_e32 vcc, 6, v54
	s_waitcnt lgkmcnt(0)
	buffer_store_dword v0, off, s[16:19], 0 offset:216 ; 4-byte Folded Spill
	s_nop 0
	buffer_store_dword v1, off, s[16:19], 0 offset:220 ; 4-byte Folded Spill
	s_and_saveexec_b64 s[2:3], vcc
	s_cbranch_execz .LBB117_36
; %bb.35:
	buffer_load_dword v0, off, s[16:19], 0 offset:216 ; 4-byte Folded Reload
	buffer_load_dword v1, off, s[16:19], 0 offset:220 ; 4-byte Folded Reload
	s_waitcnt vmcnt(0)
	v_mul_f64 v[230:231], v[0:1], v[230:231]
	ds_read2_b64 v[0:3], v53 offset0:7 offset1:8
	s_waitcnt lgkmcnt(0)
	v_fma_f64 v[172:173], -v[230:231], v[0:1], v[172:173]
	v_fma_f64 v[228:229], -v[230:231], v[2:3], v[228:229]
	ds_read2_b64 v[0:3], v53 offset0:9 offset1:10
	s_waitcnt lgkmcnt(0)
	v_fma_f64 v[170:171], -v[230:231], v[0:1], v[170:171]
	v_fma_f64 v[226:227], -v[230:231], v[2:3], v[226:227]
	ds_read2_b64 v[0:3], v53 offset0:11 offset1:12
	s_waitcnt lgkmcnt(0)
	v_fma_f64 v[168:169], -v[230:231], v[0:1], v[168:169]
	v_fma_f64 v[224:225], -v[230:231], v[2:3], v[224:225]
	ds_read2_b64 v[0:3], v53 offset0:13 offset1:14
	s_waitcnt lgkmcnt(0)
	v_fma_f64 v[166:167], -v[230:231], v[0:1], v[166:167]
	v_fma_f64 v[222:223], -v[230:231], v[2:3], v[222:223]
	ds_read2_b64 v[0:3], v53 offset0:15 offset1:16
	s_waitcnt lgkmcnt(0)
	v_fma_f64 v[164:165], -v[230:231], v[0:1], v[164:165]
	v_fma_f64 v[220:221], -v[230:231], v[2:3], v[220:221]
	ds_read2_b64 v[0:3], v53 offset0:17 offset1:18
	s_waitcnt lgkmcnt(0)
	v_fma_f64 v[162:163], -v[230:231], v[0:1], v[162:163]
	v_fma_f64 v[218:219], -v[230:231], v[2:3], v[218:219]
	ds_read2_b64 v[0:3], v53 offset0:19 offset1:20
	s_waitcnt lgkmcnt(0)
	v_fma_f64 v[160:161], -v[230:231], v[0:1], v[160:161]
	v_fma_f64 v[216:217], -v[230:231], v[2:3], v[216:217]
	ds_read2_b64 v[0:3], v53 offset0:21 offset1:22
	s_waitcnt lgkmcnt(0)
	v_fma_f64 v[158:159], -v[230:231], v[0:1], v[158:159]
	v_fma_f64 v[214:215], -v[230:231], v[2:3], v[214:215]
	ds_read2_b64 v[0:3], v53 offset0:23 offset1:24
	s_waitcnt lgkmcnt(0)
	v_fma_f64 v[156:157], -v[230:231], v[0:1], v[156:157]
	v_fma_f64 v[212:213], -v[230:231], v[2:3], v[212:213]
	ds_read2_b64 v[0:3], v53 offset0:25 offset1:26
	s_waitcnt lgkmcnt(0)
	v_fma_f64 v[154:155], -v[230:231], v[0:1], v[154:155]
	v_fma_f64 v[210:211], -v[230:231], v[2:3], v[210:211]
	ds_read2_b64 v[0:3], v53 offset0:27 offset1:28
	s_waitcnt lgkmcnt(0)
	v_fma_f64 v[152:153], -v[230:231], v[0:1], v[152:153]
	v_fma_f64 v[208:209], -v[230:231], v[2:3], v[208:209]
	ds_read2_b64 v[0:3], v53 offset0:29 offset1:30
	s_waitcnt lgkmcnt(0)
	v_fma_f64 v[150:151], -v[230:231], v[0:1], v[150:151]
	v_fma_f64 v[206:207], -v[230:231], v[2:3], v[206:207]
	ds_read2_b64 v[0:3], v53 offset0:31 offset1:32
	s_waitcnt lgkmcnt(0)
	v_fma_f64 v[148:149], -v[230:231], v[0:1], v[148:149]
	v_fma_f64 v[204:205], -v[230:231], v[2:3], v[204:205]
	ds_read2_b64 v[0:3], v53 offset0:33 offset1:34
	s_waitcnt lgkmcnt(0)
	v_fma_f64 v[146:147], -v[230:231], v[0:1], v[146:147]
	v_fma_f64 v[202:203], -v[230:231], v[2:3], v[202:203]
	ds_read2_b64 v[0:3], v53 offset0:35 offset1:36
	s_waitcnt lgkmcnt(0)
	v_fma_f64 v[144:145], -v[230:231], v[0:1], v[144:145]
	v_fma_f64 v[200:201], -v[230:231], v[2:3], v[200:201]
	ds_read2_b64 v[0:3], v53 offset0:37 offset1:38
	s_waitcnt lgkmcnt(0)
	v_fma_f64 v[142:143], -v[230:231], v[0:1], v[142:143]
	v_fma_f64 v[198:199], -v[230:231], v[2:3], v[198:199]
	ds_read2_b64 v[0:3], v53 offset0:39 offset1:40
	s_waitcnt lgkmcnt(0)
	v_fma_f64 v[140:141], -v[230:231], v[0:1], v[140:141]
	v_fma_f64 v[196:197], -v[230:231], v[2:3], v[196:197]
	ds_read2_b64 v[0:3], v53 offset0:41 offset1:42
	s_waitcnt lgkmcnt(0)
	v_fma_f64 v[138:139], -v[230:231], v[0:1], v[138:139]
	v_fma_f64 v[194:195], -v[230:231], v[2:3], v[194:195]
	ds_read2_b64 v[0:3], v53 offset0:43 offset1:44
	s_waitcnt lgkmcnt(0)
	v_fma_f64 v[136:137], -v[230:231], v[0:1], v[136:137]
	v_fma_f64 v[192:193], -v[230:231], v[2:3], v[192:193]
	ds_read2_b64 v[0:3], v53 offset0:45 offset1:46
	s_waitcnt lgkmcnt(0)
	v_fma_f64 v[134:135], -v[230:231], v[0:1], v[134:135]
	v_fma_f64 v[190:191], -v[230:231], v[2:3], v[190:191]
	ds_read2_b64 v[0:3], v53 offset0:47 offset1:48
	s_waitcnt lgkmcnt(0)
	v_fma_f64 v[132:133], -v[230:231], v[0:1], v[132:133]
	v_fma_f64 v[188:189], -v[230:231], v[2:3], v[188:189]
	ds_read2_b64 v[0:3], v53 offset0:49 offset1:50
	s_waitcnt lgkmcnt(0)
	v_fma_f64 v[130:131], -v[230:231], v[0:1], v[130:131]
	v_fma_f64 v[186:187], -v[230:231], v[2:3], v[186:187]
	ds_read2_b64 v[0:3], v53 offset0:51 offset1:52
	s_waitcnt lgkmcnt(0)
	v_fma_f64 v[128:129], -v[230:231], v[0:1], v[128:129]
	v_fma_f64 v[184:185], -v[230:231], v[2:3], v[184:185]
	ds_read2_b64 v[0:3], v53 offset0:53 offset1:54
	s_waitcnt lgkmcnt(0)
	v_fma_f64 v[126:127], -v[230:231], v[0:1], v[126:127]
	v_fma_f64 v[182:183], -v[230:231], v[2:3], v[182:183]
	ds_read2_b64 v[0:3], v53 offset0:55 offset1:56
	s_waitcnt lgkmcnt(0)
	v_fma_f64 v[124:125], -v[230:231], v[0:1], v[124:125]
	v_fma_f64 v[180:181], -v[230:231], v[2:3], v[180:181]
	ds_read2_b64 v[0:3], v53 offset0:57 offset1:58
	s_waitcnt lgkmcnt(0)
	v_fma_f64 v[122:123], -v[230:231], v[0:1], v[122:123]
	v_fma_f64 v[236:237], -v[230:231], v[2:3], v[236:237]
.LBB117_36:
	s_or_b64 exec, exec, s[2:3]
	v_cmp_eq_u32_e32 vcc, 7, v54
	s_waitcnt vmcnt(63) expcnt(7) lgkmcnt(15)
	s_barrier
	s_and_saveexec_b64 s[2:3], vcc
	s_cbranch_execz .LBB117_39
; %bb.37:
	v_mov_b32_e32 v0, v228
	v_mov_b32_e32 v1, v229
	;; [unrolled: 1-line block ×4, first 2 shown]
	ds_write_b64 v52, v[172:173]
	ds_write2_b64 v53, v[0:1], v[2:3] offset0:8 offset1:9
	v_mov_b32_e32 v0, v226
	v_mov_b32_e32 v1, v227
	v_mov_b32_e32 v2, v168
	v_mov_b32_e32 v3, v169
	ds_write2_b64 v53, v[0:1], v[2:3] offset0:10 offset1:11
	v_mov_b32_e32 v0, v224
	v_mov_b32_e32 v1, v225
	v_mov_b32_e32 v2, v166
	v_mov_b32_e32 v3, v167
	;; [unrolled: 5-line block ×16, first 2 shown]
	ds_write2_b64 v53, v[0:1], v[2:3] offset0:40 offset1:41
	s_waitcnt vmcnt(62)
	v_mov_b32_e32 v0, v194
	v_mov_b32_e32 v1, v195
	s_waitcnt vmcnt(59)
	v_mov_b32_e32 v2, v136
	v_mov_b32_e32 v3, v137
	ds_write2_b64 v53, v[0:1], v[2:3] offset0:42 offset1:43
	s_waitcnt vmcnt(56)
	v_mov_b32_e32 v0, v192
	v_mov_b32_e32 v1, v193
	s_waitcnt vmcnt(53)
	v_mov_b32_e32 v2, v134
	v_mov_b32_e32 v3, v135
	;; [unrolled: 7-line block ×8, first 2 shown]
	ds_write2_b64 v53, v[0:1], v[2:3] offset0:56 offset1:57
	s_waitcnt vmcnt(14)
	ds_write_b64 v53, v[236:237] offset:464
	ds_read_b64 v[0:1], v52
	s_waitcnt lgkmcnt(0)
	v_cmp_neq_f64_e32 vcc, 0, v[0:1]
	s_and_b64 exec, exec, vcc
	s_cbranch_execz .LBB117_39
; %bb.38:
	v_div_scale_f64 v[2:3], s[6:7], v[0:1], v[0:1], 1.0
	v_rcp_f64_e32 v[4:5], v[2:3]
	v_div_scale_f64 v[6:7], vcc, 1.0, v[0:1], 1.0
	v_fma_f64 v[8:9], -v[2:3], v[4:5], 1.0
	v_fmac_f64_e32 v[4:5], v[4:5], v[8:9]
	v_fma_f64 v[8:9], -v[2:3], v[4:5], 1.0
	v_fmac_f64_e32 v[4:5], v[4:5], v[8:9]
	v_mul_f64 v[8:9], v[6:7], v[4:5]
	v_fma_f64 v[2:3], -v[2:3], v[8:9], v[6:7]
	v_div_fmas_f64 v[2:3], v[2:3], v[4:5], v[8:9]
	v_div_fixup_f64 v[0:1], v[2:3], v[0:1], 1.0
	ds_write_b64 v52, v[0:1]
.LBB117_39:
	s_or_b64 exec, exec, s[2:3]
	s_waitcnt lgkmcnt(0)
	s_barrier
	ds_read_b64 v[0:1], v52
	v_cmp_lt_u32_e32 vcc, 7, v54
	s_waitcnt lgkmcnt(0)
	buffer_store_dword v0, off, s[16:19], 0 offset:224 ; 4-byte Folded Spill
	s_nop 0
	buffer_store_dword v1, off, s[16:19], 0 offset:228 ; 4-byte Folded Spill
	s_and_saveexec_b64 s[2:3], vcc
	s_cbranch_execz .LBB117_41
; %bb.40:
	buffer_load_dword v0, off, s[16:19], 0 offset:224 ; 4-byte Folded Reload
	buffer_load_dword v1, off, s[16:19], 0 offset:228 ; 4-byte Folded Reload
	s_waitcnt vmcnt(0)
	v_mul_f64 v[172:173], v[0:1], v[172:173]
	ds_read2_b64 v[0:3], v53 offset0:8 offset1:9
	s_waitcnt lgkmcnt(0)
	v_fma_f64 v[228:229], -v[172:173], v[0:1], v[228:229]
	v_fma_f64 v[170:171], -v[172:173], v[2:3], v[170:171]
	ds_read2_b64 v[0:3], v53 offset0:10 offset1:11
	s_waitcnt lgkmcnt(0)
	v_fma_f64 v[226:227], -v[172:173], v[0:1], v[226:227]
	v_fma_f64 v[168:169], -v[172:173], v[2:3], v[168:169]
	;; [unrolled: 4-line block ×24, first 2 shown]
	ds_read2_b64 v[0:3], v53 offset0:56 offset1:57
	s_waitcnt lgkmcnt(0)
	v_fma_f64 v[180:181], -v[172:173], v[0:1], v[180:181]
	ds_read_b64 v[0:1], v53 offset:464
	v_fma_f64 v[122:123], -v[172:173], v[2:3], v[122:123]
	s_waitcnt lgkmcnt(0)
	v_fma_f64 v[236:237], -v[172:173], v[0:1], v[236:237]
.LBB117_41:
	s_or_b64 exec, exec, s[2:3]
	v_cmp_eq_u32_e32 vcc, 8, v54
	s_waitcnt vmcnt(63) expcnt(7) lgkmcnt(15)
	s_barrier
	s_and_saveexec_b64 s[2:3], vcc
	s_cbranch_execz .LBB117_44
; %bb.42:
	ds_write_b64 v52, v[228:229]
	ds_write2_b64 v53, v[170:171], v[226:227] offset0:9 offset1:10
	ds_write2_b64 v53, v[168:169], v[224:225] offset0:11 offset1:12
	;; [unrolled: 1-line block ×17, first 2 shown]
	s_waitcnt vmcnt(58)
	ds_write2_b64 v53, v[136:137], v[192:193] offset0:43 offset1:44
	s_waitcnt vmcnt(52)
	ds_write2_b64 v53, v[134:135], v[190:191] offset0:45 offset1:46
	s_waitcnt vmcnt(46)
	ds_write2_b64 v53, v[132:133], v[188:189] offset0:47 offset1:48
	s_waitcnt vmcnt(40)
	ds_write2_b64 v53, v[130:131], v[186:187] offset0:49 offset1:50
	s_waitcnt vmcnt(34)
	ds_write2_b64 v53, v[128:129], v[184:185] offset0:51 offset1:52
	s_waitcnt vmcnt(28)
	ds_write2_b64 v53, v[126:127], v[182:183] offset0:53 offset1:54
	s_waitcnt vmcnt(22)
	ds_write2_b64 v53, v[124:125], v[180:181] offset0:55 offset1:56
	s_waitcnt vmcnt(16)
	ds_write2_b64 v53, v[122:123], v[236:237] offset0:57 offset1:58
	ds_read_b64 v[0:1], v52
	s_waitcnt lgkmcnt(0)
	v_cmp_neq_f64_e32 vcc, 0, v[0:1]
	s_and_b64 exec, exec, vcc
	s_cbranch_execz .LBB117_44
; %bb.43:
	v_div_scale_f64 v[2:3], s[6:7], v[0:1], v[0:1], 1.0
	v_rcp_f64_e32 v[4:5], v[2:3]
	v_div_scale_f64 v[6:7], vcc, 1.0, v[0:1], 1.0
	v_fma_f64 v[8:9], -v[2:3], v[4:5], 1.0
	v_fmac_f64_e32 v[4:5], v[4:5], v[8:9]
	v_fma_f64 v[8:9], -v[2:3], v[4:5], 1.0
	v_fmac_f64_e32 v[4:5], v[4:5], v[8:9]
	v_mul_f64 v[8:9], v[6:7], v[4:5]
	v_fma_f64 v[2:3], -v[2:3], v[8:9], v[6:7]
	v_div_fmas_f64 v[2:3], v[2:3], v[4:5], v[8:9]
	v_div_fixup_f64 v[0:1], v[2:3], v[0:1], 1.0
	ds_write_b64 v52, v[0:1]
.LBB117_44:
	s_or_b64 exec, exec, s[2:3]
	s_waitcnt lgkmcnt(0)
	s_barrier
	ds_read_b64 v[0:1], v52
	v_cmp_lt_u32_e32 vcc, 8, v54
	s_waitcnt lgkmcnt(0)
	buffer_store_dword v0, off, s[16:19], 0 offset:232 ; 4-byte Folded Spill
	s_nop 0
	buffer_store_dword v1, off, s[16:19], 0 offset:236 ; 4-byte Folded Spill
	s_and_saveexec_b64 s[2:3], vcc
	s_cbranch_execz .LBB117_46
; %bb.45:
	buffer_load_dword v0, off, s[16:19], 0 offset:232 ; 4-byte Folded Reload
	buffer_load_dword v1, off, s[16:19], 0 offset:236 ; 4-byte Folded Reload
	s_waitcnt vmcnt(0)
	v_mul_f64 v[228:229], v[0:1], v[228:229]
	ds_read2_b64 v[0:3], v53 offset0:9 offset1:10
	s_waitcnt lgkmcnt(0)
	v_fma_f64 v[170:171], -v[228:229], v[0:1], v[170:171]
	v_fma_f64 v[226:227], -v[228:229], v[2:3], v[226:227]
	ds_read2_b64 v[0:3], v53 offset0:11 offset1:12
	s_waitcnt lgkmcnt(0)
	v_fma_f64 v[168:169], -v[228:229], v[0:1], v[168:169]
	v_fma_f64 v[224:225], -v[228:229], v[2:3], v[224:225]
	;; [unrolled: 4-line block ×25, first 2 shown]
.LBB117_46:
	s_or_b64 exec, exec, s[2:3]
	v_cmp_eq_u32_e32 vcc, 9, v54
	s_waitcnt vmcnt(63) expcnt(7) lgkmcnt(15)
	s_barrier
	s_and_saveexec_b64 s[2:3], vcc
	s_cbranch_execz .LBB117_49
; %bb.47:
	v_mov_b32_e32 v0, v226
	v_mov_b32_e32 v1, v227
	;; [unrolled: 1-line block ×4, first 2 shown]
	ds_write_b64 v52, v[170:171]
	ds_write2_b64 v53, v[0:1], v[2:3] offset0:10 offset1:11
	v_mov_b32_e32 v0, v224
	v_mov_b32_e32 v1, v225
	v_mov_b32_e32 v2, v166
	v_mov_b32_e32 v3, v167
	ds_write2_b64 v53, v[0:1], v[2:3] offset0:12 offset1:13
	v_mov_b32_e32 v0, v222
	v_mov_b32_e32 v1, v223
	v_mov_b32_e32 v2, v164
	v_mov_b32_e32 v3, v165
	;; [unrolled: 5-line block ×16, first 2 shown]
	ds_write2_b64 v53, v[0:1], v[2:3] offset0:42 offset1:43
	s_waitcnt vmcnt(60)
	v_mov_b32_e32 v0, v192
	v_mov_b32_e32 v1, v193
	s_waitcnt vmcnt(57)
	v_mov_b32_e32 v2, v134
	v_mov_b32_e32 v3, v135
	ds_write2_b64 v53, v[0:1], v[2:3] offset0:44 offset1:45
	s_waitcnt vmcnt(54)
	v_mov_b32_e32 v0, v190
	v_mov_b32_e32 v1, v191
	s_waitcnt vmcnt(51)
	v_mov_b32_e32 v2, v132
	v_mov_b32_e32 v3, v133
	;; [unrolled: 7-line block ×7, first 2 shown]
	ds_write2_b64 v53, v[0:1], v[2:3] offset0:56 offset1:57
	s_waitcnt vmcnt(18)
	ds_write_b64 v53, v[236:237] offset:464
	ds_read_b64 v[0:1], v52
	s_waitcnt lgkmcnt(0)
	v_cmp_neq_f64_e32 vcc, 0, v[0:1]
	s_and_b64 exec, exec, vcc
	s_cbranch_execz .LBB117_49
; %bb.48:
	v_div_scale_f64 v[2:3], s[6:7], v[0:1], v[0:1], 1.0
	v_rcp_f64_e32 v[4:5], v[2:3]
	v_div_scale_f64 v[6:7], vcc, 1.0, v[0:1], 1.0
	v_fma_f64 v[8:9], -v[2:3], v[4:5], 1.0
	v_fmac_f64_e32 v[4:5], v[4:5], v[8:9]
	v_fma_f64 v[8:9], -v[2:3], v[4:5], 1.0
	v_fmac_f64_e32 v[4:5], v[4:5], v[8:9]
	v_mul_f64 v[8:9], v[6:7], v[4:5]
	v_fma_f64 v[2:3], -v[2:3], v[8:9], v[6:7]
	v_div_fmas_f64 v[2:3], v[2:3], v[4:5], v[8:9]
	v_div_fixup_f64 v[0:1], v[2:3], v[0:1], 1.0
	ds_write_b64 v52, v[0:1]
.LBB117_49:
	s_or_b64 exec, exec, s[2:3]
	s_waitcnt lgkmcnt(0)
	s_barrier
	ds_read_b64 v[0:1], v52
	v_cmp_lt_u32_e32 vcc, 9, v54
	s_waitcnt lgkmcnt(0)
	buffer_store_dword v0, off, s[16:19], 0 offset:240 ; 4-byte Folded Spill
	s_nop 0
	buffer_store_dword v1, off, s[16:19], 0 offset:244 ; 4-byte Folded Spill
	s_and_saveexec_b64 s[2:3], vcc
	s_cbranch_execz .LBB117_51
; %bb.50:
	buffer_load_dword v0, off, s[16:19], 0 offset:240 ; 4-byte Folded Reload
	buffer_load_dword v1, off, s[16:19], 0 offset:244 ; 4-byte Folded Reload
	s_waitcnt vmcnt(0)
	v_mul_f64 v[170:171], v[0:1], v[170:171]
	ds_read2_b64 v[0:3], v53 offset0:10 offset1:11
	s_waitcnt lgkmcnt(0)
	v_fma_f64 v[226:227], -v[170:171], v[0:1], v[226:227]
	v_fma_f64 v[168:169], -v[170:171], v[2:3], v[168:169]
	ds_read2_b64 v[0:3], v53 offset0:12 offset1:13
	s_waitcnt lgkmcnt(0)
	v_fma_f64 v[224:225], -v[170:171], v[0:1], v[224:225]
	v_fma_f64 v[166:167], -v[170:171], v[2:3], v[166:167]
	;; [unrolled: 4-line block ×23, first 2 shown]
	ds_read2_b64 v[0:3], v53 offset0:56 offset1:57
	s_waitcnt lgkmcnt(0)
	v_fma_f64 v[180:181], -v[170:171], v[0:1], v[180:181]
	ds_read_b64 v[0:1], v53 offset:464
	v_fma_f64 v[122:123], -v[170:171], v[2:3], v[122:123]
	s_waitcnt lgkmcnt(0)
	v_fma_f64 v[236:237], -v[170:171], v[0:1], v[236:237]
.LBB117_51:
	s_or_b64 exec, exec, s[2:3]
	v_cmp_eq_u32_e32 vcc, 10, v54
	s_waitcnt vmcnt(63) expcnt(7) lgkmcnt(15)
	s_barrier
	s_and_saveexec_b64 s[2:3], vcc
	s_cbranch_execz .LBB117_54
; %bb.52:
	ds_write_b64 v52, v[226:227]
	ds_write2_b64 v53, v[168:169], v[224:225] offset0:11 offset1:12
	ds_write2_b64 v53, v[166:167], v[222:223] offset0:13 offset1:14
	;; [unrolled: 1-line block ×16, first 2 shown]
	s_waitcnt vmcnt(62)
	ds_write2_b64 v53, v[136:137], v[192:193] offset0:43 offset1:44
	s_waitcnt vmcnt(56)
	ds_write2_b64 v53, v[134:135], v[190:191] offset0:45 offset1:46
	s_waitcnt vmcnt(50)
	ds_write2_b64 v53, v[132:133], v[188:189] offset0:47 offset1:48
	s_waitcnt vmcnt(44)
	ds_write2_b64 v53, v[130:131], v[186:187] offset0:49 offset1:50
	s_waitcnt vmcnt(38)
	ds_write2_b64 v53, v[128:129], v[184:185] offset0:51 offset1:52
	s_waitcnt vmcnt(32)
	ds_write2_b64 v53, v[126:127], v[182:183] offset0:53 offset1:54
	s_waitcnt vmcnt(26)
	ds_write2_b64 v53, v[124:125], v[180:181] offset0:55 offset1:56
	s_waitcnt vmcnt(20)
	ds_write2_b64 v53, v[122:123], v[236:237] offset0:57 offset1:58
	ds_read_b64 v[0:1], v52
	s_waitcnt lgkmcnt(0)
	v_cmp_neq_f64_e32 vcc, 0, v[0:1]
	s_and_b64 exec, exec, vcc
	s_cbranch_execz .LBB117_54
; %bb.53:
	v_div_scale_f64 v[2:3], s[6:7], v[0:1], v[0:1], 1.0
	v_rcp_f64_e32 v[4:5], v[2:3]
	v_div_scale_f64 v[6:7], vcc, 1.0, v[0:1], 1.0
	v_fma_f64 v[8:9], -v[2:3], v[4:5], 1.0
	v_fmac_f64_e32 v[4:5], v[4:5], v[8:9]
	v_fma_f64 v[8:9], -v[2:3], v[4:5], 1.0
	v_fmac_f64_e32 v[4:5], v[4:5], v[8:9]
	v_mul_f64 v[8:9], v[6:7], v[4:5]
	v_fma_f64 v[2:3], -v[2:3], v[8:9], v[6:7]
	v_div_fmas_f64 v[2:3], v[2:3], v[4:5], v[8:9]
	v_div_fixup_f64 v[0:1], v[2:3], v[0:1], 1.0
	ds_write_b64 v52, v[0:1]
.LBB117_54:
	s_or_b64 exec, exec, s[2:3]
	s_waitcnt lgkmcnt(0)
	s_barrier
	ds_read_b64 v[0:1], v52
	v_cmp_lt_u32_e32 vcc, 10, v54
	s_waitcnt lgkmcnt(0)
	buffer_store_dword v0, off, s[16:19], 0 offset:248 ; 4-byte Folded Spill
	s_nop 0
	buffer_store_dword v1, off, s[16:19], 0 offset:252 ; 4-byte Folded Spill
	s_and_saveexec_b64 s[2:3], vcc
	s_cbranch_execz .LBB117_56
; %bb.55:
	buffer_load_dword v0, off, s[16:19], 0 offset:248 ; 4-byte Folded Reload
	buffer_load_dword v1, off, s[16:19], 0 offset:252 ; 4-byte Folded Reload
	s_waitcnt vmcnt(0)
	v_mul_f64 v[226:227], v[0:1], v[226:227]
	ds_read2_b64 v[0:3], v53 offset0:11 offset1:12
	s_waitcnt lgkmcnt(0)
	v_fma_f64 v[168:169], -v[226:227], v[0:1], v[168:169]
	v_fma_f64 v[224:225], -v[226:227], v[2:3], v[224:225]
	ds_read2_b64 v[0:3], v53 offset0:13 offset1:14
	s_waitcnt lgkmcnt(0)
	v_fma_f64 v[166:167], -v[226:227], v[0:1], v[166:167]
	v_fma_f64 v[222:223], -v[226:227], v[2:3], v[222:223]
	;; [unrolled: 4-line block ×24, first 2 shown]
.LBB117_56:
	s_or_b64 exec, exec, s[2:3]
	v_cmp_eq_u32_e32 vcc, 11, v54
	s_waitcnt vmcnt(63) expcnt(7) lgkmcnt(15)
	s_barrier
	s_and_saveexec_b64 s[2:3], vcc
	s_cbranch_execz .LBB117_59
; %bb.57:
	v_mov_b32_e32 v0, v224
	v_mov_b32_e32 v1, v225
	;; [unrolled: 1-line block ×4, first 2 shown]
	ds_write_b64 v52, v[168:169]
	ds_write2_b64 v53, v[0:1], v[2:3] offset0:12 offset1:13
	v_mov_b32_e32 v0, v222
	v_mov_b32_e32 v1, v223
	v_mov_b32_e32 v2, v164
	v_mov_b32_e32 v3, v165
	ds_write2_b64 v53, v[0:1], v[2:3] offset0:14 offset1:15
	v_mov_b32_e32 v0, v220
	v_mov_b32_e32 v1, v221
	v_mov_b32_e32 v2, v162
	v_mov_b32_e32 v3, v163
	;; [unrolled: 5-line block ×15, first 2 shown]
	ds_write2_b64 v53, v[0:1], v[2:3] offset0:42 offset1:43
	v_mov_b32_e32 v0, v192
	v_mov_b32_e32 v1, v193
	s_waitcnt vmcnt(61)
	v_mov_b32_e32 v2, v134
	v_mov_b32_e32 v3, v135
	ds_write2_b64 v53, v[0:1], v[2:3] offset0:44 offset1:45
	s_waitcnt vmcnt(58)
	v_mov_b32_e32 v0, v190
	v_mov_b32_e32 v1, v191
	s_waitcnt vmcnt(55)
	v_mov_b32_e32 v2, v132
	v_mov_b32_e32 v3, v133
	ds_write2_b64 v53, v[0:1], v[2:3] offset0:46 offset1:47
	s_waitcnt vmcnt(52)
	;; [unrolled: 7-line block ×7, first 2 shown]
	ds_write_b64 v53, v[236:237] offset:464
	ds_read_b64 v[0:1], v52
	s_waitcnt lgkmcnt(0)
	v_cmp_neq_f64_e32 vcc, 0, v[0:1]
	s_and_b64 exec, exec, vcc
	s_cbranch_execz .LBB117_59
; %bb.58:
	v_div_scale_f64 v[2:3], s[6:7], v[0:1], v[0:1], 1.0
	v_rcp_f64_e32 v[4:5], v[2:3]
	v_div_scale_f64 v[6:7], vcc, 1.0, v[0:1], 1.0
	v_fma_f64 v[8:9], -v[2:3], v[4:5], 1.0
	v_fmac_f64_e32 v[4:5], v[4:5], v[8:9]
	v_fma_f64 v[8:9], -v[2:3], v[4:5], 1.0
	v_fmac_f64_e32 v[4:5], v[4:5], v[8:9]
	v_mul_f64 v[8:9], v[6:7], v[4:5]
	v_fma_f64 v[2:3], -v[2:3], v[8:9], v[6:7]
	v_div_fmas_f64 v[2:3], v[2:3], v[4:5], v[8:9]
	v_div_fixup_f64 v[0:1], v[2:3], v[0:1], 1.0
	ds_write_b64 v52, v[0:1]
.LBB117_59:
	s_or_b64 exec, exec, s[2:3]
	s_waitcnt lgkmcnt(0)
	s_barrier
	ds_read_b64 v[0:1], v52
	v_cmp_lt_u32_e32 vcc, 11, v54
	s_waitcnt lgkmcnt(0)
	buffer_store_dword v0, off, s[16:19], 0 offset:256 ; 4-byte Folded Spill
	s_nop 0
	buffer_store_dword v1, off, s[16:19], 0 offset:260 ; 4-byte Folded Spill
	s_and_saveexec_b64 s[2:3], vcc
	s_cbranch_execz .LBB117_61
; %bb.60:
	buffer_load_dword v0, off, s[16:19], 0 offset:256 ; 4-byte Folded Reload
	buffer_load_dword v1, off, s[16:19], 0 offset:260 ; 4-byte Folded Reload
	s_waitcnt vmcnt(0)
	v_mul_f64 v[168:169], v[0:1], v[168:169]
	ds_read2_b64 v[0:3], v53 offset0:12 offset1:13
	s_waitcnt lgkmcnt(0)
	v_fma_f64 v[224:225], -v[168:169], v[0:1], v[224:225]
	v_fma_f64 v[166:167], -v[168:169], v[2:3], v[166:167]
	ds_read2_b64 v[0:3], v53 offset0:14 offset1:15
	s_waitcnt lgkmcnt(0)
	v_fma_f64 v[222:223], -v[168:169], v[0:1], v[222:223]
	v_fma_f64 v[164:165], -v[168:169], v[2:3], v[164:165]
	;; [unrolled: 4-line block ×22, first 2 shown]
	ds_read2_b64 v[0:3], v53 offset0:56 offset1:57
	s_waitcnt lgkmcnt(0)
	v_fma_f64 v[180:181], -v[168:169], v[0:1], v[180:181]
	ds_read_b64 v[0:1], v53 offset:464
	v_fma_f64 v[122:123], -v[168:169], v[2:3], v[122:123]
	s_waitcnt lgkmcnt(0)
	v_fma_f64 v[236:237], -v[168:169], v[0:1], v[236:237]
.LBB117_61:
	s_or_b64 exec, exec, s[2:3]
	v_cmp_eq_u32_e32 vcc, 12, v54
	s_waitcnt vmcnt(63) expcnt(7) lgkmcnt(15)
	s_barrier
	s_and_saveexec_b64 s[2:3], vcc
	s_cbranch_execz .LBB117_64
; %bb.62:
	ds_write_b64 v52, v[224:225]
	ds_write2_b64 v53, v[166:167], v[222:223] offset0:13 offset1:14
	ds_write2_b64 v53, v[164:165], v[220:221] offset0:15 offset1:16
	;; [unrolled: 1-line block ×16, first 2 shown]
	s_waitcnt vmcnt(60)
	ds_write2_b64 v53, v[134:135], v[190:191] offset0:45 offset1:46
	s_waitcnt vmcnt(54)
	ds_write2_b64 v53, v[132:133], v[188:189] offset0:47 offset1:48
	;; [unrolled: 2-line block ×7, first 2 shown]
	ds_read_b64 v[0:1], v52
	s_waitcnt lgkmcnt(0)
	v_cmp_neq_f64_e32 vcc, 0, v[0:1]
	s_and_b64 exec, exec, vcc
	s_cbranch_execz .LBB117_64
; %bb.63:
	v_div_scale_f64 v[2:3], s[6:7], v[0:1], v[0:1], 1.0
	v_rcp_f64_e32 v[4:5], v[2:3]
	v_div_scale_f64 v[6:7], vcc, 1.0, v[0:1], 1.0
	v_fma_f64 v[8:9], -v[2:3], v[4:5], 1.0
	v_fmac_f64_e32 v[4:5], v[4:5], v[8:9]
	v_fma_f64 v[8:9], -v[2:3], v[4:5], 1.0
	v_fmac_f64_e32 v[4:5], v[4:5], v[8:9]
	v_mul_f64 v[8:9], v[6:7], v[4:5]
	v_fma_f64 v[2:3], -v[2:3], v[8:9], v[6:7]
	v_div_fmas_f64 v[2:3], v[2:3], v[4:5], v[8:9]
	v_div_fixup_f64 v[0:1], v[2:3], v[0:1], 1.0
	ds_write_b64 v52, v[0:1]
.LBB117_64:
	s_or_b64 exec, exec, s[2:3]
	s_waitcnt lgkmcnt(0)
	s_barrier
	ds_read_b64 v[0:1], v52
	v_cmp_lt_u32_e32 vcc, 12, v54
	s_waitcnt lgkmcnt(0)
	buffer_store_dword v0, off, s[16:19], 0 offset:264 ; 4-byte Folded Spill
	s_nop 0
	buffer_store_dword v1, off, s[16:19], 0 offset:268 ; 4-byte Folded Spill
	s_and_saveexec_b64 s[2:3], vcc
	s_cbranch_execz .LBB117_66
; %bb.65:
	buffer_load_dword v0, off, s[16:19], 0 offset:264 ; 4-byte Folded Reload
	buffer_load_dword v1, off, s[16:19], 0 offset:268 ; 4-byte Folded Reload
	s_waitcnt vmcnt(0)
	v_mul_f64 v[224:225], v[0:1], v[224:225]
	ds_read2_b64 v[0:3], v53 offset0:13 offset1:14
	s_waitcnt lgkmcnt(0)
	v_fma_f64 v[166:167], -v[224:225], v[0:1], v[166:167]
	v_fma_f64 v[222:223], -v[224:225], v[2:3], v[222:223]
	ds_read2_b64 v[0:3], v53 offset0:15 offset1:16
	s_waitcnt lgkmcnt(0)
	v_fma_f64 v[164:165], -v[224:225], v[0:1], v[164:165]
	v_fma_f64 v[220:221], -v[224:225], v[2:3], v[220:221]
	;; [unrolled: 4-line block ×23, first 2 shown]
.LBB117_66:
	s_or_b64 exec, exec, s[2:3]
	v_cmp_eq_u32_e32 vcc, 13, v54
	s_waitcnt vmcnt(63) expcnt(7) lgkmcnt(15)
	s_barrier
	s_and_saveexec_b64 s[2:3], vcc
	s_cbranch_execz .LBB117_69
; %bb.67:
	v_mov_b32_e32 v0, v222
	v_mov_b32_e32 v1, v223
	;; [unrolled: 1-line block ×4, first 2 shown]
	ds_write_b64 v52, v[166:167]
	ds_write2_b64 v53, v[0:1], v[2:3] offset0:14 offset1:15
	v_mov_b32_e32 v0, v220
	v_mov_b32_e32 v1, v221
	v_mov_b32_e32 v2, v162
	v_mov_b32_e32 v3, v163
	ds_write2_b64 v53, v[0:1], v[2:3] offset0:16 offset1:17
	v_mov_b32_e32 v0, v218
	v_mov_b32_e32 v1, v219
	v_mov_b32_e32 v2, v160
	v_mov_b32_e32 v3, v161
	;; [unrolled: 5-line block ×15, first 2 shown]
	ds_write2_b64 v53, v[0:1], v[2:3] offset0:44 offset1:45
	s_waitcnt vmcnt(62)
	v_mov_b32_e32 v0, v190
	v_mov_b32_e32 v1, v191
	s_waitcnt vmcnt(59)
	v_mov_b32_e32 v2, v132
	v_mov_b32_e32 v3, v133
	ds_write2_b64 v53, v[0:1], v[2:3] offset0:46 offset1:47
	s_waitcnt vmcnt(56)
	v_mov_b32_e32 v0, v188
	v_mov_b32_e32 v1, v189
	s_waitcnt vmcnt(53)
	v_mov_b32_e32 v2, v130
	v_mov_b32_e32 v3, v131
	;; [unrolled: 7-line block ×6, first 2 shown]
	ds_write2_b64 v53, v[0:1], v[2:3] offset0:56 offset1:57
	s_waitcnt vmcnt(26)
	ds_write_b64 v53, v[236:237] offset:464
	ds_read_b64 v[0:1], v52
	s_waitcnt lgkmcnt(0)
	v_cmp_neq_f64_e32 vcc, 0, v[0:1]
	s_and_b64 exec, exec, vcc
	s_cbranch_execz .LBB117_69
; %bb.68:
	v_div_scale_f64 v[2:3], s[6:7], v[0:1], v[0:1], 1.0
	v_rcp_f64_e32 v[4:5], v[2:3]
	v_div_scale_f64 v[6:7], vcc, 1.0, v[0:1], 1.0
	v_fma_f64 v[8:9], -v[2:3], v[4:5], 1.0
	v_fmac_f64_e32 v[4:5], v[4:5], v[8:9]
	v_fma_f64 v[8:9], -v[2:3], v[4:5], 1.0
	v_fmac_f64_e32 v[4:5], v[4:5], v[8:9]
	v_mul_f64 v[8:9], v[6:7], v[4:5]
	v_fma_f64 v[2:3], -v[2:3], v[8:9], v[6:7]
	v_div_fmas_f64 v[2:3], v[2:3], v[4:5], v[8:9]
	v_div_fixup_f64 v[0:1], v[2:3], v[0:1], 1.0
	ds_write_b64 v52, v[0:1]
.LBB117_69:
	s_or_b64 exec, exec, s[2:3]
	s_waitcnt lgkmcnt(0)
	s_barrier
	ds_read_b64 v[0:1], v52
	v_cmp_lt_u32_e32 vcc, 13, v54
	s_waitcnt lgkmcnt(0)
	buffer_store_dword v0, off, s[16:19], 0 offset:272 ; 4-byte Folded Spill
	s_nop 0
	buffer_store_dword v1, off, s[16:19], 0 offset:276 ; 4-byte Folded Spill
	s_and_saveexec_b64 s[2:3], vcc
	s_cbranch_execz .LBB117_71
; %bb.70:
	buffer_load_dword v0, off, s[16:19], 0 offset:272 ; 4-byte Folded Reload
	buffer_load_dword v1, off, s[16:19], 0 offset:276 ; 4-byte Folded Reload
	s_waitcnt vmcnt(0)
	v_mul_f64 v[166:167], v[0:1], v[166:167]
	ds_read2_b64 v[0:3], v53 offset0:14 offset1:15
	s_waitcnt lgkmcnt(0)
	v_fma_f64 v[222:223], -v[166:167], v[0:1], v[222:223]
	v_fma_f64 v[164:165], -v[166:167], v[2:3], v[164:165]
	ds_read2_b64 v[0:3], v53 offset0:16 offset1:17
	s_waitcnt lgkmcnt(0)
	v_fma_f64 v[220:221], -v[166:167], v[0:1], v[220:221]
	v_fma_f64 v[162:163], -v[166:167], v[2:3], v[162:163]
	;; [unrolled: 4-line block ×21, first 2 shown]
	ds_read2_b64 v[0:3], v53 offset0:56 offset1:57
	s_waitcnt lgkmcnt(0)
	v_fma_f64 v[180:181], -v[166:167], v[0:1], v[180:181]
	ds_read_b64 v[0:1], v53 offset:464
	v_fma_f64 v[122:123], -v[166:167], v[2:3], v[122:123]
	s_waitcnt lgkmcnt(0)
	v_fma_f64 v[236:237], -v[166:167], v[0:1], v[236:237]
.LBB117_71:
	s_or_b64 exec, exec, s[2:3]
	v_cmp_eq_u32_e32 vcc, 14, v54
	s_waitcnt vmcnt(63) expcnt(7) lgkmcnt(15)
	s_barrier
	s_and_saveexec_b64 s[2:3], vcc
	s_cbranch_execz .LBB117_74
; %bb.72:
	ds_write_b64 v52, v[222:223]
	ds_write2_b64 v53, v[164:165], v[220:221] offset0:15 offset1:16
	ds_write2_b64 v53, v[162:163], v[218:219] offset0:17 offset1:18
	;; [unrolled: 1-line block ×16, first 2 shown]
	s_waitcnt vmcnt(58)
	ds_write2_b64 v53, v[132:133], v[188:189] offset0:47 offset1:48
	s_waitcnt vmcnt(52)
	ds_write2_b64 v53, v[130:131], v[186:187] offset0:49 offset1:50
	s_waitcnt vmcnt(46)
	ds_write2_b64 v53, v[128:129], v[184:185] offset0:51 offset1:52
	s_waitcnt vmcnt(40)
	ds_write2_b64 v53, v[126:127], v[182:183] offset0:53 offset1:54
	s_waitcnt vmcnt(34)
	ds_write2_b64 v53, v[124:125], v[180:181] offset0:55 offset1:56
	s_waitcnt vmcnt(28)
	ds_write2_b64 v53, v[122:123], v[236:237] offset0:57 offset1:58
	ds_read_b64 v[0:1], v52
	s_waitcnt lgkmcnt(0)
	v_cmp_neq_f64_e32 vcc, 0, v[0:1]
	s_and_b64 exec, exec, vcc
	s_cbranch_execz .LBB117_74
; %bb.73:
	v_div_scale_f64 v[2:3], s[6:7], v[0:1], v[0:1], 1.0
	v_rcp_f64_e32 v[4:5], v[2:3]
	v_div_scale_f64 v[6:7], vcc, 1.0, v[0:1], 1.0
	v_fma_f64 v[8:9], -v[2:3], v[4:5], 1.0
	v_fmac_f64_e32 v[4:5], v[4:5], v[8:9]
	v_fma_f64 v[8:9], -v[2:3], v[4:5], 1.0
	v_fmac_f64_e32 v[4:5], v[4:5], v[8:9]
	v_mul_f64 v[8:9], v[6:7], v[4:5]
	v_fma_f64 v[2:3], -v[2:3], v[8:9], v[6:7]
	v_div_fmas_f64 v[2:3], v[2:3], v[4:5], v[8:9]
	v_div_fixup_f64 v[0:1], v[2:3], v[0:1], 1.0
	ds_write_b64 v52, v[0:1]
.LBB117_74:
	s_or_b64 exec, exec, s[2:3]
	s_waitcnt lgkmcnt(0)
	s_barrier
	ds_read_b64 v[0:1], v52
	v_cmp_lt_u32_e32 vcc, 14, v54
	s_waitcnt lgkmcnt(0)
	buffer_store_dword v0, off, s[16:19], 0 offset:280 ; 4-byte Folded Spill
	s_nop 0
	buffer_store_dword v1, off, s[16:19], 0 offset:284 ; 4-byte Folded Spill
	s_and_saveexec_b64 s[2:3], vcc
	s_cbranch_execz .LBB117_76
; %bb.75:
	buffer_load_dword v0, off, s[16:19], 0 offset:280 ; 4-byte Folded Reload
	buffer_load_dword v1, off, s[16:19], 0 offset:284 ; 4-byte Folded Reload
	s_waitcnt vmcnt(0)
	v_mul_f64 v[222:223], v[0:1], v[222:223]
	ds_read2_b64 v[0:3], v53 offset0:15 offset1:16
	s_waitcnt lgkmcnt(0)
	v_fma_f64 v[164:165], -v[222:223], v[0:1], v[164:165]
	v_fma_f64 v[220:221], -v[222:223], v[2:3], v[220:221]
	ds_read2_b64 v[0:3], v53 offset0:17 offset1:18
	s_waitcnt lgkmcnt(0)
	v_fma_f64 v[162:163], -v[222:223], v[0:1], v[162:163]
	v_fma_f64 v[218:219], -v[222:223], v[2:3], v[218:219]
	;; [unrolled: 4-line block ×22, first 2 shown]
.LBB117_76:
	s_or_b64 exec, exec, s[2:3]
	v_cmp_eq_u32_e32 vcc, 15, v54
	s_waitcnt vmcnt(63) expcnt(7) lgkmcnt(15)
	s_barrier
	s_and_saveexec_b64 s[2:3], vcc
	s_cbranch_execz .LBB117_79
; %bb.77:
	v_mov_b32_e32 v0, v220
	v_mov_b32_e32 v1, v221
	;; [unrolled: 1-line block ×4, first 2 shown]
	ds_write_b64 v52, v[164:165]
	ds_write2_b64 v53, v[0:1], v[2:3] offset0:16 offset1:17
	v_mov_b32_e32 v0, v218
	v_mov_b32_e32 v1, v219
	v_mov_b32_e32 v2, v160
	v_mov_b32_e32 v3, v161
	ds_write2_b64 v53, v[0:1], v[2:3] offset0:18 offset1:19
	v_mov_b32_e32 v0, v216
	v_mov_b32_e32 v1, v217
	v_mov_b32_e32 v2, v158
	v_mov_b32_e32 v3, v159
	;; [unrolled: 5-line block ×15, first 2 shown]
	ds_write2_b64 v53, v[0:1], v[2:3] offset0:46 offset1:47
	s_waitcnt vmcnt(60)
	v_mov_b32_e32 v0, v188
	v_mov_b32_e32 v1, v189
	s_waitcnt vmcnt(57)
	v_mov_b32_e32 v2, v130
	v_mov_b32_e32 v3, v131
	ds_write2_b64 v53, v[0:1], v[2:3] offset0:48 offset1:49
	s_waitcnt vmcnt(54)
	v_mov_b32_e32 v0, v186
	v_mov_b32_e32 v1, v187
	s_waitcnt vmcnt(51)
	v_mov_b32_e32 v2, v128
	v_mov_b32_e32 v3, v129
	;; [unrolled: 7-line block ×5, first 2 shown]
	ds_write2_b64 v53, v[0:1], v[2:3] offset0:56 offset1:57
	s_waitcnt vmcnt(30)
	ds_write_b64 v53, v[236:237] offset:464
	ds_read_b64 v[0:1], v52
	s_waitcnt lgkmcnt(0)
	v_cmp_neq_f64_e32 vcc, 0, v[0:1]
	s_and_b64 exec, exec, vcc
	s_cbranch_execz .LBB117_79
; %bb.78:
	v_div_scale_f64 v[2:3], s[6:7], v[0:1], v[0:1], 1.0
	v_rcp_f64_e32 v[4:5], v[2:3]
	v_div_scale_f64 v[6:7], vcc, 1.0, v[0:1], 1.0
	v_fma_f64 v[8:9], -v[2:3], v[4:5], 1.0
	v_fmac_f64_e32 v[4:5], v[4:5], v[8:9]
	v_fma_f64 v[8:9], -v[2:3], v[4:5], 1.0
	v_fmac_f64_e32 v[4:5], v[4:5], v[8:9]
	v_mul_f64 v[8:9], v[6:7], v[4:5]
	v_fma_f64 v[2:3], -v[2:3], v[8:9], v[6:7]
	v_div_fmas_f64 v[2:3], v[2:3], v[4:5], v[8:9]
	v_div_fixup_f64 v[0:1], v[2:3], v[0:1], 1.0
	ds_write_b64 v52, v[0:1]
.LBB117_79:
	s_or_b64 exec, exec, s[2:3]
	s_waitcnt lgkmcnt(0)
	s_barrier
	ds_read_b64 v[0:1], v52
	v_cmp_lt_u32_e32 vcc, 15, v54
	s_waitcnt lgkmcnt(0)
	buffer_store_dword v0, off, s[16:19], 0 offset:288 ; 4-byte Folded Spill
	s_nop 0
	buffer_store_dword v1, off, s[16:19], 0 offset:292 ; 4-byte Folded Spill
	s_and_saveexec_b64 s[2:3], vcc
	s_cbranch_execz .LBB117_81
; %bb.80:
	buffer_load_dword v0, off, s[16:19], 0 offset:288 ; 4-byte Folded Reload
	buffer_load_dword v1, off, s[16:19], 0 offset:292 ; 4-byte Folded Reload
	s_waitcnt vmcnt(0)
	v_mul_f64 v[164:165], v[0:1], v[164:165]
	ds_read2_b64 v[0:3], v53 offset0:16 offset1:17
	s_waitcnt lgkmcnt(0)
	v_fma_f64 v[220:221], -v[164:165], v[0:1], v[220:221]
	v_fma_f64 v[162:163], -v[164:165], v[2:3], v[162:163]
	ds_read2_b64 v[0:3], v53 offset0:18 offset1:19
	s_waitcnt lgkmcnt(0)
	v_fma_f64 v[218:219], -v[164:165], v[0:1], v[218:219]
	v_fma_f64 v[160:161], -v[164:165], v[2:3], v[160:161]
	;; [unrolled: 4-line block ×20, first 2 shown]
	ds_read2_b64 v[0:3], v53 offset0:56 offset1:57
	s_waitcnt lgkmcnt(0)
	v_fma_f64 v[180:181], -v[164:165], v[0:1], v[180:181]
	ds_read_b64 v[0:1], v53 offset:464
	v_fma_f64 v[122:123], -v[164:165], v[2:3], v[122:123]
	s_waitcnt lgkmcnt(0)
	v_fma_f64 v[236:237], -v[164:165], v[0:1], v[236:237]
.LBB117_81:
	s_or_b64 exec, exec, s[2:3]
	v_cmp_eq_u32_e32 vcc, 16, v54
	s_waitcnt vmcnt(63) expcnt(7) lgkmcnt(15)
	s_barrier
	s_and_saveexec_b64 s[2:3], vcc
	s_cbranch_execz .LBB117_84
; %bb.82:
	ds_write_b64 v52, v[220:221]
	ds_write2_b64 v53, v[162:163], v[218:219] offset0:17 offset1:18
	ds_write2_b64 v53, v[160:161], v[216:217] offset0:19 offset1:20
	;; [unrolled: 1-line block ×15, first 2 shown]
	s_waitcnt vmcnt(62)
	ds_write2_b64 v53, v[132:133], v[188:189] offset0:47 offset1:48
	s_waitcnt vmcnt(56)
	ds_write2_b64 v53, v[130:131], v[186:187] offset0:49 offset1:50
	;; [unrolled: 2-line block ×6, first 2 shown]
	ds_read_b64 v[0:1], v52
	s_waitcnt lgkmcnt(0)
	v_cmp_neq_f64_e32 vcc, 0, v[0:1]
	s_and_b64 exec, exec, vcc
	s_cbranch_execz .LBB117_84
; %bb.83:
	v_div_scale_f64 v[2:3], s[6:7], v[0:1], v[0:1], 1.0
	v_rcp_f64_e32 v[4:5], v[2:3]
	v_div_scale_f64 v[6:7], vcc, 1.0, v[0:1], 1.0
	v_fma_f64 v[8:9], -v[2:3], v[4:5], 1.0
	v_fmac_f64_e32 v[4:5], v[4:5], v[8:9]
	v_fma_f64 v[8:9], -v[2:3], v[4:5], 1.0
	v_fmac_f64_e32 v[4:5], v[4:5], v[8:9]
	v_mul_f64 v[8:9], v[6:7], v[4:5]
	v_fma_f64 v[2:3], -v[2:3], v[8:9], v[6:7]
	v_div_fmas_f64 v[2:3], v[2:3], v[4:5], v[8:9]
	v_div_fixup_f64 v[0:1], v[2:3], v[0:1], 1.0
	ds_write_b64 v52, v[0:1]
.LBB117_84:
	s_or_b64 exec, exec, s[2:3]
	s_waitcnt lgkmcnt(0)
	s_barrier
	ds_read_b64 v[0:1], v52
	v_cmp_lt_u32_e32 vcc, 16, v54
	s_waitcnt lgkmcnt(0)
	buffer_store_dword v0, off, s[16:19], 0 offset:296 ; 4-byte Folded Spill
	s_nop 0
	buffer_store_dword v1, off, s[16:19], 0 offset:300 ; 4-byte Folded Spill
	s_and_saveexec_b64 s[2:3], vcc
	s_cbranch_execz .LBB117_86
; %bb.85:
	buffer_load_dword v0, off, s[16:19], 0 offset:296 ; 4-byte Folded Reload
	buffer_load_dword v1, off, s[16:19], 0 offset:300 ; 4-byte Folded Reload
	s_waitcnt vmcnt(0)
	v_mul_f64 v[220:221], v[0:1], v[220:221]
	ds_read2_b64 v[0:3], v53 offset0:17 offset1:18
	s_waitcnt lgkmcnt(0)
	v_fma_f64 v[162:163], -v[220:221], v[0:1], v[162:163]
	v_fma_f64 v[218:219], -v[220:221], v[2:3], v[218:219]
	ds_read2_b64 v[0:3], v53 offset0:19 offset1:20
	s_waitcnt lgkmcnt(0)
	v_fma_f64 v[160:161], -v[220:221], v[0:1], v[160:161]
	v_fma_f64 v[216:217], -v[220:221], v[2:3], v[216:217]
	;; [unrolled: 4-line block ×21, first 2 shown]
.LBB117_86:
	s_or_b64 exec, exec, s[2:3]
	v_cmp_eq_u32_e32 vcc, 17, v54
	s_waitcnt vmcnt(63) expcnt(7) lgkmcnt(15)
	s_barrier
	s_and_saveexec_b64 s[2:3], vcc
	s_cbranch_execz .LBB117_89
; %bb.87:
	v_mov_b32_e32 v0, v218
	v_mov_b32_e32 v1, v219
	;; [unrolled: 1-line block ×4, first 2 shown]
	ds_write_b64 v52, v[162:163]
	ds_write2_b64 v53, v[0:1], v[2:3] offset0:18 offset1:19
	v_mov_b32_e32 v0, v216
	v_mov_b32_e32 v1, v217
	v_mov_b32_e32 v2, v158
	v_mov_b32_e32 v3, v159
	ds_write2_b64 v53, v[0:1], v[2:3] offset0:20 offset1:21
	v_mov_b32_e32 v0, v214
	v_mov_b32_e32 v1, v215
	v_mov_b32_e32 v2, v156
	v_mov_b32_e32 v3, v157
	;; [unrolled: 5-line block ×14, first 2 shown]
	ds_write2_b64 v53, v[0:1], v[2:3] offset0:46 offset1:47
	v_mov_b32_e32 v0, v188
	v_mov_b32_e32 v1, v189
	s_waitcnt vmcnt(61)
	v_mov_b32_e32 v2, v130
	v_mov_b32_e32 v3, v131
	ds_write2_b64 v53, v[0:1], v[2:3] offset0:48 offset1:49
	s_waitcnt vmcnt(58)
	v_mov_b32_e32 v0, v186
	v_mov_b32_e32 v1, v187
	s_waitcnt vmcnt(55)
	v_mov_b32_e32 v2, v128
	v_mov_b32_e32 v3, v129
	ds_write2_b64 v53, v[0:1], v[2:3] offset0:50 offset1:51
	s_waitcnt vmcnt(52)
	;; [unrolled: 7-line block ×5, first 2 shown]
	ds_write_b64 v53, v[236:237] offset:464
	ds_read_b64 v[0:1], v52
	s_waitcnt lgkmcnt(0)
	v_cmp_neq_f64_e32 vcc, 0, v[0:1]
	s_and_b64 exec, exec, vcc
	s_cbranch_execz .LBB117_89
; %bb.88:
	v_div_scale_f64 v[2:3], s[6:7], v[0:1], v[0:1], 1.0
	v_rcp_f64_e32 v[4:5], v[2:3]
	v_div_scale_f64 v[6:7], vcc, 1.0, v[0:1], 1.0
	v_fma_f64 v[8:9], -v[2:3], v[4:5], 1.0
	v_fmac_f64_e32 v[4:5], v[4:5], v[8:9]
	v_fma_f64 v[8:9], -v[2:3], v[4:5], 1.0
	v_fmac_f64_e32 v[4:5], v[4:5], v[8:9]
	v_mul_f64 v[8:9], v[6:7], v[4:5]
	v_fma_f64 v[2:3], -v[2:3], v[8:9], v[6:7]
	v_div_fmas_f64 v[2:3], v[2:3], v[4:5], v[8:9]
	v_div_fixup_f64 v[0:1], v[2:3], v[0:1], 1.0
	ds_write_b64 v52, v[0:1]
.LBB117_89:
	s_or_b64 exec, exec, s[2:3]
	s_waitcnt lgkmcnt(0)
	s_barrier
	ds_read_b64 v[0:1], v52
	v_cmp_lt_u32_e32 vcc, 17, v54
	s_waitcnt lgkmcnt(0)
	buffer_store_dword v0, off, s[16:19], 0 offset:304 ; 4-byte Folded Spill
	s_nop 0
	buffer_store_dword v1, off, s[16:19], 0 offset:308 ; 4-byte Folded Spill
	s_and_saveexec_b64 s[2:3], vcc
	s_cbranch_execz .LBB117_91
; %bb.90:
	buffer_load_dword v0, off, s[16:19], 0 offset:304 ; 4-byte Folded Reload
	buffer_load_dword v1, off, s[16:19], 0 offset:308 ; 4-byte Folded Reload
	s_waitcnt vmcnt(0)
	v_mul_f64 v[162:163], v[0:1], v[162:163]
	ds_read2_b64 v[0:3], v53 offset0:18 offset1:19
	s_waitcnt lgkmcnt(0)
	v_fma_f64 v[218:219], -v[162:163], v[0:1], v[218:219]
	v_fma_f64 v[160:161], -v[162:163], v[2:3], v[160:161]
	ds_read2_b64 v[0:3], v53 offset0:20 offset1:21
	s_waitcnt lgkmcnt(0)
	v_fma_f64 v[216:217], -v[162:163], v[0:1], v[216:217]
	v_fma_f64 v[158:159], -v[162:163], v[2:3], v[158:159]
	;; [unrolled: 4-line block ×19, first 2 shown]
	ds_read2_b64 v[0:3], v53 offset0:56 offset1:57
	s_waitcnt lgkmcnt(0)
	v_fma_f64 v[180:181], -v[162:163], v[0:1], v[180:181]
	ds_read_b64 v[0:1], v53 offset:464
	v_fma_f64 v[122:123], -v[162:163], v[2:3], v[122:123]
	s_waitcnt lgkmcnt(0)
	v_fma_f64 v[236:237], -v[162:163], v[0:1], v[236:237]
.LBB117_91:
	s_or_b64 exec, exec, s[2:3]
	v_cmp_eq_u32_e32 vcc, 18, v54
	s_waitcnt vmcnt(63) expcnt(7) lgkmcnt(15)
	s_barrier
	s_and_saveexec_b64 s[2:3], vcc
	s_cbranch_execz .LBB117_94
; %bb.92:
	ds_write_b64 v52, v[218:219]
	ds_write2_b64 v53, v[160:161], v[216:217] offset0:19 offset1:20
	ds_write2_b64 v53, v[158:159], v[214:215] offset0:21 offset1:22
	;; [unrolled: 1-line block ×15, first 2 shown]
	s_waitcnt vmcnt(60)
	ds_write2_b64 v53, v[130:131], v[186:187] offset0:49 offset1:50
	s_waitcnt vmcnt(54)
	ds_write2_b64 v53, v[128:129], v[184:185] offset0:51 offset1:52
	;; [unrolled: 2-line block ×5, first 2 shown]
	ds_read_b64 v[0:1], v52
	s_waitcnt lgkmcnt(0)
	v_cmp_neq_f64_e32 vcc, 0, v[0:1]
	s_and_b64 exec, exec, vcc
	s_cbranch_execz .LBB117_94
; %bb.93:
	v_div_scale_f64 v[2:3], s[6:7], v[0:1], v[0:1], 1.0
	v_rcp_f64_e32 v[4:5], v[2:3]
	v_div_scale_f64 v[6:7], vcc, 1.0, v[0:1], 1.0
	v_fma_f64 v[8:9], -v[2:3], v[4:5], 1.0
	v_fmac_f64_e32 v[4:5], v[4:5], v[8:9]
	v_fma_f64 v[8:9], -v[2:3], v[4:5], 1.0
	v_fmac_f64_e32 v[4:5], v[4:5], v[8:9]
	v_mul_f64 v[8:9], v[6:7], v[4:5]
	v_fma_f64 v[2:3], -v[2:3], v[8:9], v[6:7]
	v_div_fmas_f64 v[2:3], v[2:3], v[4:5], v[8:9]
	v_div_fixup_f64 v[0:1], v[2:3], v[0:1], 1.0
	ds_write_b64 v52, v[0:1]
.LBB117_94:
	s_or_b64 exec, exec, s[2:3]
	s_waitcnt lgkmcnt(0)
	s_barrier
	ds_read_b64 v[0:1], v52
	v_cmp_lt_u32_e32 vcc, 18, v54
	s_waitcnt lgkmcnt(0)
	buffer_store_dword v0, off, s[16:19], 0 offset:312 ; 4-byte Folded Spill
	s_nop 0
	buffer_store_dword v1, off, s[16:19], 0 offset:316 ; 4-byte Folded Spill
	s_and_saveexec_b64 s[2:3], vcc
	s_cbranch_execz .LBB117_96
; %bb.95:
	buffer_load_dword v0, off, s[16:19], 0 offset:312 ; 4-byte Folded Reload
	buffer_load_dword v1, off, s[16:19], 0 offset:316 ; 4-byte Folded Reload
	s_waitcnt vmcnt(0)
	v_mul_f64 v[218:219], v[0:1], v[218:219]
	ds_read2_b64 v[0:3], v53 offset0:19 offset1:20
	s_waitcnt lgkmcnt(0)
	v_fma_f64 v[160:161], -v[218:219], v[0:1], v[160:161]
	v_fma_f64 v[216:217], -v[218:219], v[2:3], v[216:217]
	ds_read2_b64 v[0:3], v53 offset0:21 offset1:22
	s_waitcnt lgkmcnt(0)
	v_fma_f64 v[158:159], -v[218:219], v[0:1], v[158:159]
	v_fma_f64 v[214:215], -v[218:219], v[2:3], v[214:215]
	ds_read2_b64 v[0:3], v53 offset0:23 offset1:24
	s_waitcnt lgkmcnt(0)
	v_fma_f64 v[156:157], -v[218:219], v[0:1], v[156:157]
	v_fma_f64 v[212:213], -v[218:219], v[2:3], v[212:213]
	ds_read2_b64 v[0:3], v53 offset0:25 offset1:26
	s_waitcnt lgkmcnt(0)
	v_fma_f64 v[154:155], -v[218:219], v[0:1], v[154:155]
	v_fma_f64 v[210:211], -v[218:219], v[2:3], v[210:211]
	ds_read2_b64 v[0:3], v53 offset0:27 offset1:28
	s_waitcnt lgkmcnt(0)
	v_fma_f64 v[152:153], -v[218:219], v[0:1], v[152:153]
	v_fma_f64 v[208:209], -v[218:219], v[2:3], v[208:209]
	ds_read2_b64 v[0:3], v53 offset0:29 offset1:30
	s_waitcnt lgkmcnt(0)
	v_fma_f64 v[150:151], -v[218:219], v[0:1], v[150:151]
	v_fma_f64 v[206:207], -v[218:219], v[2:3], v[206:207]
	ds_read2_b64 v[0:3], v53 offset0:31 offset1:32
	s_waitcnt lgkmcnt(0)
	v_fma_f64 v[148:149], -v[218:219], v[0:1], v[148:149]
	v_fma_f64 v[204:205], -v[218:219], v[2:3], v[204:205]
	ds_read2_b64 v[0:3], v53 offset0:33 offset1:34
	s_waitcnt lgkmcnt(0)
	v_fma_f64 v[146:147], -v[218:219], v[0:1], v[146:147]
	v_fma_f64 v[202:203], -v[218:219], v[2:3], v[202:203]
	ds_read2_b64 v[0:3], v53 offset0:35 offset1:36
	s_waitcnt lgkmcnt(0)
	v_fma_f64 v[144:145], -v[218:219], v[0:1], v[144:145]
	v_fma_f64 v[200:201], -v[218:219], v[2:3], v[200:201]
	ds_read2_b64 v[0:3], v53 offset0:37 offset1:38
	s_waitcnt lgkmcnt(0)
	v_fma_f64 v[142:143], -v[218:219], v[0:1], v[142:143]
	v_fma_f64 v[198:199], -v[218:219], v[2:3], v[198:199]
	ds_read2_b64 v[0:3], v53 offset0:39 offset1:40
	s_waitcnt lgkmcnt(0)
	v_fma_f64 v[140:141], -v[218:219], v[0:1], v[140:141]
	v_fma_f64 v[196:197], -v[218:219], v[2:3], v[196:197]
	ds_read2_b64 v[0:3], v53 offset0:41 offset1:42
	s_waitcnt lgkmcnt(0)
	v_fma_f64 v[138:139], -v[218:219], v[0:1], v[138:139]
	v_fma_f64 v[194:195], -v[218:219], v[2:3], v[194:195]
	ds_read2_b64 v[0:3], v53 offset0:43 offset1:44
	s_waitcnt lgkmcnt(0)
	v_fma_f64 v[136:137], -v[218:219], v[0:1], v[136:137]
	v_fma_f64 v[192:193], -v[218:219], v[2:3], v[192:193]
	ds_read2_b64 v[0:3], v53 offset0:45 offset1:46
	s_waitcnt lgkmcnt(0)
	v_fma_f64 v[134:135], -v[218:219], v[0:1], v[134:135]
	v_fma_f64 v[190:191], -v[218:219], v[2:3], v[190:191]
	ds_read2_b64 v[0:3], v53 offset0:47 offset1:48
	s_waitcnt lgkmcnt(0)
	v_fma_f64 v[132:133], -v[218:219], v[0:1], v[132:133]
	v_fma_f64 v[188:189], -v[218:219], v[2:3], v[188:189]
	ds_read2_b64 v[0:3], v53 offset0:49 offset1:50
	s_waitcnt lgkmcnt(0)
	v_fma_f64 v[130:131], -v[218:219], v[0:1], v[130:131]
	v_fma_f64 v[186:187], -v[218:219], v[2:3], v[186:187]
	ds_read2_b64 v[0:3], v53 offset0:51 offset1:52
	s_waitcnt lgkmcnt(0)
	v_fma_f64 v[128:129], -v[218:219], v[0:1], v[128:129]
	v_fma_f64 v[184:185], -v[218:219], v[2:3], v[184:185]
	ds_read2_b64 v[0:3], v53 offset0:53 offset1:54
	s_waitcnt lgkmcnt(0)
	v_fma_f64 v[126:127], -v[218:219], v[0:1], v[126:127]
	v_fma_f64 v[182:183], -v[218:219], v[2:3], v[182:183]
	ds_read2_b64 v[0:3], v53 offset0:55 offset1:56
	s_waitcnt lgkmcnt(0)
	v_fma_f64 v[124:125], -v[218:219], v[0:1], v[124:125]
	v_fma_f64 v[180:181], -v[218:219], v[2:3], v[180:181]
	ds_read2_b64 v[0:3], v53 offset0:57 offset1:58
	s_waitcnt lgkmcnt(0)
	v_fma_f64 v[122:123], -v[218:219], v[0:1], v[122:123]
	v_fma_f64 v[236:237], -v[218:219], v[2:3], v[236:237]
.LBB117_96:
	s_or_b64 exec, exec, s[2:3]
	v_cmp_eq_u32_e32 vcc, 19, v54
	s_waitcnt vmcnt(63) expcnt(7) lgkmcnt(15)
	s_barrier
	s_and_saveexec_b64 s[2:3], vcc
	s_cbranch_execz .LBB117_99
; %bb.97:
	v_mov_b32_e32 v0, v216
	v_mov_b32_e32 v1, v217
	;; [unrolled: 1-line block ×4, first 2 shown]
	ds_write_b64 v52, v[160:161]
	ds_write2_b64 v53, v[0:1], v[2:3] offset0:20 offset1:21
	v_mov_b32_e32 v0, v214
	v_mov_b32_e32 v1, v215
	v_mov_b32_e32 v2, v156
	v_mov_b32_e32 v3, v157
	ds_write2_b64 v53, v[0:1], v[2:3] offset0:22 offset1:23
	v_mov_b32_e32 v0, v212
	v_mov_b32_e32 v1, v213
	v_mov_b32_e32 v2, v154
	v_mov_b32_e32 v3, v155
	;; [unrolled: 5-line block ×14, first 2 shown]
	ds_write2_b64 v53, v[0:1], v[2:3] offset0:48 offset1:49
	s_waitcnt vmcnt(62)
	v_mov_b32_e32 v0, v186
	v_mov_b32_e32 v1, v187
	s_waitcnt vmcnt(59)
	v_mov_b32_e32 v2, v128
	v_mov_b32_e32 v3, v129
	ds_write2_b64 v53, v[0:1], v[2:3] offset0:50 offset1:51
	s_waitcnt vmcnt(56)
	v_mov_b32_e32 v0, v184
	v_mov_b32_e32 v1, v185
	s_waitcnt vmcnt(53)
	v_mov_b32_e32 v2, v126
	v_mov_b32_e32 v3, v127
	;; [unrolled: 7-line block ×4, first 2 shown]
	ds_write2_b64 v53, v[0:1], v[2:3] offset0:56 offset1:57
	s_waitcnt vmcnt(38)
	ds_write_b64 v53, v[236:237] offset:464
	ds_read_b64 v[0:1], v52
	s_waitcnt lgkmcnt(0)
	v_cmp_neq_f64_e32 vcc, 0, v[0:1]
	s_and_b64 exec, exec, vcc
	s_cbranch_execz .LBB117_99
; %bb.98:
	v_div_scale_f64 v[2:3], s[6:7], v[0:1], v[0:1], 1.0
	v_rcp_f64_e32 v[4:5], v[2:3]
	v_div_scale_f64 v[6:7], vcc, 1.0, v[0:1], 1.0
	v_fma_f64 v[8:9], -v[2:3], v[4:5], 1.0
	v_fmac_f64_e32 v[4:5], v[4:5], v[8:9]
	v_fma_f64 v[8:9], -v[2:3], v[4:5], 1.0
	v_fmac_f64_e32 v[4:5], v[4:5], v[8:9]
	v_mul_f64 v[8:9], v[6:7], v[4:5]
	v_fma_f64 v[2:3], -v[2:3], v[8:9], v[6:7]
	v_div_fmas_f64 v[2:3], v[2:3], v[4:5], v[8:9]
	v_div_fixup_f64 v[0:1], v[2:3], v[0:1], 1.0
	ds_write_b64 v52, v[0:1]
.LBB117_99:
	s_or_b64 exec, exec, s[2:3]
	s_waitcnt lgkmcnt(0)
	s_barrier
	ds_read_b64 v[0:1], v52
	v_cmp_lt_u32_e32 vcc, 19, v54
	s_waitcnt lgkmcnt(0)
	buffer_store_dword v0, off, s[16:19], 0 offset:320 ; 4-byte Folded Spill
	s_nop 0
	buffer_store_dword v1, off, s[16:19], 0 offset:324 ; 4-byte Folded Spill
	s_and_saveexec_b64 s[2:3], vcc
	s_cbranch_execz .LBB117_101
; %bb.100:
	buffer_load_dword v0, off, s[16:19], 0 offset:320 ; 4-byte Folded Reload
	buffer_load_dword v1, off, s[16:19], 0 offset:324 ; 4-byte Folded Reload
	s_waitcnt vmcnt(0)
	v_mul_f64 v[160:161], v[0:1], v[160:161]
	ds_read2_b64 v[0:3], v53 offset0:20 offset1:21
	s_waitcnt lgkmcnt(0)
	v_fma_f64 v[216:217], -v[160:161], v[0:1], v[216:217]
	v_fma_f64 v[158:159], -v[160:161], v[2:3], v[158:159]
	ds_read2_b64 v[0:3], v53 offset0:22 offset1:23
	s_waitcnt lgkmcnt(0)
	v_fma_f64 v[214:215], -v[160:161], v[0:1], v[214:215]
	v_fma_f64 v[156:157], -v[160:161], v[2:3], v[156:157]
	;; [unrolled: 4-line block ×18, first 2 shown]
	ds_read2_b64 v[0:3], v53 offset0:56 offset1:57
	s_waitcnt lgkmcnt(0)
	v_fma_f64 v[180:181], -v[160:161], v[0:1], v[180:181]
	ds_read_b64 v[0:1], v53 offset:464
	v_fma_f64 v[122:123], -v[160:161], v[2:3], v[122:123]
	s_waitcnt lgkmcnt(0)
	v_fma_f64 v[236:237], -v[160:161], v[0:1], v[236:237]
.LBB117_101:
	s_or_b64 exec, exec, s[2:3]
	v_cmp_eq_u32_e32 vcc, 20, v54
	s_waitcnt vmcnt(63) expcnt(7) lgkmcnt(15)
	s_barrier
	s_and_saveexec_b64 s[2:3], vcc
	s_cbranch_execz .LBB117_104
; %bb.102:
	ds_write_b64 v52, v[216:217]
	ds_write2_b64 v53, v[158:159], v[214:215] offset0:21 offset1:22
	ds_write2_b64 v53, v[156:157], v[212:213] offset0:23 offset1:24
	;; [unrolled: 1-line block ×15, first 2 shown]
	s_waitcnt vmcnt(58)
	ds_write2_b64 v53, v[128:129], v[184:185] offset0:51 offset1:52
	s_waitcnt vmcnt(52)
	ds_write2_b64 v53, v[126:127], v[182:183] offset0:53 offset1:54
	;; [unrolled: 2-line block ×4, first 2 shown]
	ds_read_b64 v[0:1], v52
	s_waitcnt lgkmcnt(0)
	v_cmp_neq_f64_e32 vcc, 0, v[0:1]
	s_and_b64 exec, exec, vcc
	s_cbranch_execz .LBB117_104
; %bb.103:
	v_div_scale_f64 v[2:3], s[6:7], v[0:1], v[0:1], 1.0
	v_rcp_f64_e32 v[4:5], v[2:3]
	v_div_scale_f64 v[6:7], vcc, 1.0, v[0:1], 1.0
	v_fma_f64 v[8:9], -v[2:3], v[4:5], 1.0
	v_fmac_f64_e32 v[4:5], v[4:5], v[8:9]
	v_fma_f64 v[8:9], -v[2:3], v[4:5], 1.0
	v_fmac_f64_e32 v[4:5], v[4:5], v[8:9]
	v_mul_f64 v[8:9], v[6:7], v[4:5]
	v_fma_f64 v[2:3], -v[2:3], v[8:9], v[6:7]
	v_div_fmas_f64 v[2:3], v[2:3], v[4:5], v[8:9]
	v_div_fixup_f64 v[0:1], v[2:3], v[0:1], 1.0
	ds_write_b64 v52, v[0:1]
.LBB117_104:
	s_or_b64 exec, exec, s[2:3]
	s_waitcnt lgkmcnt(0)
	s_barrier
	ds_read_b64 v[0:1], v52
	v_cmp_lt_u32_e32 vcc, 20, v54
	s_waitcnt lgkmcnt(0)
	buffer_store_dword v0, off, s[16:19], 0 offset:328 ; 4-byte Folded Spill
	s_nop 0
	buffer_store_dword v1, off, s[16:19], 0 offset:332 ; 4-byte Folded Spill
	s_and_saveexec_b64 s[2:3], vcc
	s_cbranch_execz .LBB117_106
; %bb.105:
	buffer_load_dword v0, off, s[16:19], 0 offset:328 ; 4-byte Folded Reload
	buffer_load_dword v1, off, s[16:19], 0 offset:332 ; 4-byte Folded Reload
	s_waitcnt vmcnt(0)
	v_mul_f64 v[216:217], v[0:1], v[216:217]
	ds_read2_b64 v[0:3], v53 offset0:21 offset1:22
	s_waitcnt lgkmcnt(0)
	v_fma_f64 v[158:159], -v[216:217], v[0:1], v[158:159]
	v_fma_f64 v[214:215], -v[216:217], v[2:3], v[214:215]
	ds_read2_b64 v[0:3], v53 offset0:23 offset1:24
	s_waitcnt lgkmcnt(0)
	v_fma_f64 v[156:157], -v[216:217], v[0:1], v[156:157]
	v_fma_f64 v[212:213], -v[216:217], v[2:3], v[212:213]
	;; [unrolled: 4-line block ×19, first 2 shown]
.LBB117_106:
	s_or_b64 exec, exec, s[2:3]
	v_cmp_eq_u32_e32 vcc, 21, v54
	s_waitcnt vmcnt(63) expcnt(7) lgkmcnt(15)
	s_barrier
	s_and_saveexec_b64 s[2:3], vcc
	s_cbranch_execz .LBB117_109
; %bb.107:
	v_mov_b32_e32 v0, v214
	v_mov_b32_e32 v1, v215
	;; [unrolled: 1-line block ×4, first 2 shown]
	ds_write_b64 v52, v[158:159]
	ds_write2_b64 v53, v[0:1], v[2:3] offset0:22 offset1:23
	v_mov_b32_e32 v0, v212
	v_mov_b32_e32 v1, v213
	v_mov_b32_e32 v2, v154
	v_mov_b32_e32 v3, v155
	ds_write2_b64 v53, v[0:1], v[2:3] offset0:24 offset1:25
	v_mov_b32_e32 v0, v210
	v_mov_b32_e32 v1, v211
	v_mov_b32_e32 v2, v152
	v_mov_b32_e32 v3, v153
	;; [unrolled: 5-line block ×14, first 2 shown]
	ds_write2_b64 v53, v[0:1], v[2:3] offset0:50 offset1:51
	s_waitcnt vmcnt(60)
	v_mov_b32_e32 v0, v184
	v_mov_b32_e32 v1, v185
	s_waitcnt vmcnt(57)
	v_mov_b32_e32 v2, v126
	v_mov_b32_e32 v3, v127
	ds_write2_b64 v53, v[0:1], v[2:3] offset0:52 offset1:53
	s_waitcnt vmcnt(54)
	v_mov_b32_e32 v0, v182
	v_mov_b32_e32 v1, v183
	s_waitcnt vmcnt(51)
	v_mov_b32_e32 v2, v124
	v_mov_b32_e32 v3, v125
	;; [unrolled: 7-line block ×3, first 2 shown]
	ds_write2_b64 v53, v[0:1], v[2:3] offset0:56 offset1:57
	s_waitcnt vmcnt(42)
	ds_write_b64 v53, v[236:237] offset:464
	ds_read_b64 v[0:1], v52
	s_waitcnt lgkmcnt(0)
	v_cmp_neq_f64_e32 vcc, 0, v[0:1]
	s_and_b64 exec, exec, vcc
	s_cbranch_execz .LBB117_109
; %bb.108:
	v_div_scale_f64 v[2:3], s[6:7], v[0:1], v[0:1], 1.0
	v_rcp_f64_e32 v[4:5], v[2:3]
	v_div_scale_f64 v[6:7], vcc, 1.0, v[0:1], 1.0
	v_fma_f64 v[8:9], -v[2:3], v[4:5], 1.0
	v_fmac_f64_e32 v[4:5], v[4:5], v[8:9]
	v_fma_f64 v[8:9], -v[2:3], v[4:5], 1.0
	v_fmac_f64_e32 v[4:5], v[4:5], v[8:9]
	v_mul_f64 v[8:9], v[6:7], v[4:5]
	v_fma_f64 v[2:3], -v[2:3], v[8:9], v[6:7]
	v_div_fmas_f64 v[2:3], v[2:3], v[4:5], v[8:9]
	v_div_fixup_f64 v[0:1], v[2:3], v[0:1], 1.0
	ds_write_b64 v52, v[0:1]
.LBB117_109:
	s_or_b64 exec, exec, s[2:3]
	s_waitcnt lgkmcnt(0)
	s_barrier
	ds_read_b64 v[0:1], v52
	v_cmp_lt_u32_e32 vcc, 21, v54
	s_waitcnt lgkmcnt(0)
	buffer_store_dword v0, off, s[16:19], 0 offset:336 ; 4-byte Folded Spill
	s_nop 0
	buffer_store_dword v1, off, s[16:19], 0 offset:340 ; 4-byte Folded Spill
	s_and_saveexec_b64 s[2:3], vcc
	s_cbranch_execz .LBB117_111
; %bb.110:
	buffer_load_dword v0, off, s[16:19], 0 offset:336 ; 4-byte Folded Reload
	buffer_load_dword v1, off, s[16:19], 0 offset:340 ; 4-byte Folded Reload
	s_waitcnt vmcnt(0)
	v_mul_f64 v[158:159], v[0:1], v[158:159]
	ds_read2_b64 v[0:3], v53 offset0:22 offset1:23
	s_waitcnt lgkmcnt(0)
	v_fma_f64 v[214:215], -v[158:159], v[0:1], v[214:215]
	v_fma_f64 v[156:157], -v[158:159], v[2:3], v[156:157]
	ds_read2_b64 v[0:3], v53 offset0:24 offset1:25
	s_waitcnt lgkmcnt(0)
	v_fma_f64 v[212:213], -v[158:159], v[0:1], v[212:213]
	v_fma_f64 v[154:155], -v[158:159], v[2:3], v[154:155]
	;; [unrolled: 4-line block ×17, first 2 shown]
	ds_read2_b64 v[0:3], v53 offset0:56 offset1:57
	s_waitcnt lgkmcnt(0)
	v_fma_f64 v[180:181], -v[158:159], v[0:1], v[180:181]
	ds_read_b64 v[0:1], v53 offset:464
	v_fma_f64 v[122:123], -v[158:159], v[2:3], v[122:123]
	s_waitcnt lgkmcnt(0)
	v_fma_f64 v[236:237], -v[158:159], v[0:1], v[236:237]
.LBB117_111:
	s_or_b64 exec, exec, s[2:3]
	v_cmp_eq_u32_e32 vcc, 22, v54
	s_waitcnt vmcnt(63) expcnt(7) lgkmcnt(15)
	s_barrier
	s_and_saveexec_b64 s[2:3], vcc
	s_cbranch_execz .LBB117_114
; %bb.112:
	ds_write_b64 v52, v[214:215]
	ds_write2_b64 v53, v[156:157], v[212:213] offset0:23 offset1:24
	ds_write2_b64 v53, v[154:155], v[210:211] offset0:25 offset1:26
	ds_write2_b64 v53, v[152:153], v[208:209] offset0:27 offset1:28
	ds_write2_b64 v53, v[150:151], v[206:207] offset0:29 offset1:30
	ds_write2_b64 v53, v[148:149], v[204:205] offset0:31 offset1:32
	ds_write2_b64 v53, v[146:147], v[202:203] offset0:33 offset1:34
	ds_write2_b64 v53, v[144:145], v[200:201] offset0:35 offset1:36
	ds_write2_b64 v53, v[142:143], v[198:199] offset0:37 offset1:38
	ds_write2_b64 v53, v[140:141], v[196:197] offset0:39 offset1:40
	ds_write2_b64 v53, v[138:139], v[194:195] offset0:41 offset1:42
	ds_write2_b64 v53, v[136:137], v[192:193] offset0:43 offset1:44
	ds_write2_b64 v53, v[134:135], v[190:191] offset0:45 offset1:46
	ds_write2_b64 v53, v[132:133], v[188:189] offset0:47 offset1:48
	ds_write2_b64 v53, v[130:131], v[186:187] offset0:49 offset1:50
	s_waitcnt vmcnt(62)
	ds_write2_b64 v53, v[128:129], v[184:185] offset0:51 offset1:52
	s_waitcnt vmcnt(56)
	ds_write2_b64 v53, v[126:127], v[182:183] offset0:53 offset1:54
	;; [unrolled: 2-line block ×4, first 2 shown]
	ds_read_b64 v[0:1], v52
	s_waitcnt lgkmcnt(0)
	v_cmp_neq_f64_e32 vcc, 0, v[0:1]
	s_and_b64 exec, exec, vcc
	s_cbranch_execz .LBB117_114
; %bb.113:
	v_div_scale_f64 v[2:3], s[6:7], v[0:1], v[0:1], 1.0
	v_rcp_f64_e32 v[4:5], v[2:3]
	v_div_scale_f64 v[6:7], vcc, 1.0, v[0:1], 1.0
	v_fma_f64 v[8:9], -v[2:3], v[4:5], 1.0
	v_fmac_f64_e32 v[4:5], v[4:5], v[8:9]
	v_fma_f64 v[8:9], -v[2:3], v[4:5], 1.0
	v_fmac_f64_e32 v[4:5], v[4:5], v[8:9]
	v_mul_f64 v[8:9], v[6:7], v[4:5]
	v_fma_f64 v[2:3], -v[2:3], v[8:9], v[6:7]
	v_div_fmas_f64 v[2:3], v[2:3], v[4:5], v[8:9]
	v_div_fixup_f64 v[0:1], v[2:3], v[0:1], 1.0
	ds_write_b64 v52, v[0:1]
.LBB117_114:
	s_or_b64 exec, exec, s[2:3]
	s_waitcnt lgkmcnt(0)
	s_barrier
	ds_read_b64 v[0:1], v52
	v_cmp_lt_u32_e32 vcc, 22, v54
	s_waitcnt lgkmcnt(0)
	buffer_store_dword v0, off, s[16:19], 0 offset:344 ; 4-byte Folded Spill
	s_nop 0
	buffer_store_dword v1, off, s[16:19], 0 offset:348 ; 4-byte Folded Spill
	s_and_saveexec_b64 s[2:3], vcc
	s_cbranch_execz .LBB117_116
; %bb.115:
	buffer_load_dword v0, off, s[16:19], 0 offset:344 ; 4-byte Folded Reload
	buffer_load_dword v1, off, s[16:19], 0 offset:348 ; 4-byte Folded Reload
	s_waitcnt vmcnt(0)
	v_mul_f64 v[214:215], v[0:1], v[214:215]
	ds_read2_b64 v[0:3], v53 offset0:23 offset1:24
	s_waitcnt lgkmcnt(0)
	v_fma_f64 v[156:157], -v[214:215], v[0:1], v[156:157]
	v_fma_f64 v[212:213], -v[214:215], v[2:3], v[212:213]
	ds_read2_b64 v[0:3], v53 offset0:25 offset1:26
	s_waitcnt lgkmcnt(0)
	v_fma_f64 v[154:155], -v[214:215], v[0:1], v[154:155]
	v_fma_f64 v[210:211], -v[214:215], v[2:3], v[210:211]
	;; [unrolled: 4-line block ×18, first 2 shown]
.LBB117_116:
	s_or_b64 exec, exec, s[2:3]
	v_cmp_eq_u32_e32 vcc, 23, v54
	s_waitcnt vmcnt(63) expcnt(7) lgkmcnt(15)
	s_barrier
	s_and_saveexec_b64 s[2:3], vcc
	s_cbranch_execz .LBB117_119
; %bb.117:
	v_mov_b32_e32 v0, v212
	v_mov_b32_e32 v1, v213
	;; [unrolled: 1-line block ×4, first 2 shown]
	ds_write_b64 v52, v[156:157]
	ds_write2_b64 v53, v[0:1], v[2:3] offset0:24 offset1:25
	v_mov_b32_e32 v0, v210
	v_mov_b32_e32 v1, v211
	v_mov_b32_e32 v2, v152
	v_mov_b32_e32 v3, v153
	ds_write2_b64 v53, v[0:1], v[2:3] offset0:26 offset1:27
	v_mov_b32_e32 v0, v208
	v_mov_b32_e32 v1, v209
	v_mov_b32_e32 v2, v150
	v_mov_b32_e32 v3, v151
	ds_write2_b64 v53, v[0:1], v[2:3] offset0:28 offset1:29
	v_mov_b32_e32 v0, v206
	v_mov_b32_e32 v1, v207
	v_mov_b32_e32 v2, v148
	v_mov_b32_e32 v3, v149
	ds_write2_b64 v53, v[0:1], v[2:3] offset0:30 offset1:31
	v_mov_b32_e32 v0, v204
	v_mov_b32_e32 v1, v205
	v_mov_b32_e32 v2, v146
	v_mov_b32_e32 v3, v147
	ds_write2_b64 v53, v[0:1], v[2:3] offset0:32 offset1:33
	v_mov_b32_e32 v0, v202
	v_mov_b32_e32 v1, v203
	v_mov_b32_e32 v2, v144
	v_mov_b32_e32 v3, v145
	ds_write2_b64 v53, v[0:1], v[2:3] offset0:34 offset1:35
	v_mov_b32_e32 v0, v200
	v_mov_b32_e32 v1, v201
	v_mov_b32_e32 v2, v142
	v_mov_b32_e32 v3, v143
	ds_write2_b64 v53, v[0:1], v[2:3] offset0:36 offset1:37
	v_mov_b32_e32 v0, v198
	v_mov_b32_e32 v1, v199
	v_mov_b32_e32 v2, v140
	v_mov_b32_e32 v3, v141
	ds_write2_b64 v53, v[0:1], v[2:3] offset0:38 offset1:39
	v_mov_b32_e32 v0, v196
	v_mov_b32_e32 v1, v197
	v_mov_b32_e32 v2, v138
	v_mov_b32_e32 v3, v139
	ds_write2_b64 v53, v[0:1], v[2:3] offset0:40 offset1:41
	v_mov_b32_e32 v0, v194
	v_mov_b32_e32 v1, v195
	v_mov_b32_e32 v2, v136
	v_mov_b32_e32 v3, v137
	ds_write2_b64 v53, v[0:1], v[2:3] offset0:42 offset1:43
	v_mov_b32_e32 v0, v192
	v_mov_b32_e32 v1, v193
	v_mov_b32_e32 v2, v134
	v_mov_b32_e32 v3, v135
	ds_write2_b64 v53, v[0:1], v[2:3] offset0:44 offset1:45
	v_mov_b32_e32 v0, v190
	v_mov_b32_e32 v1, v191
	v_mov_b32_e32 v2, v132
	v_mov_b32_e32 v3, v133
	ds_write2_b64 v53, v[0:1], v[2:3] offset0:46 offset1:47
	v_mov_b32_e32 v0, v188
	v_mov_b32_e32 v1, v189
	v_mov_b32_e32 v2, v130
	v_mov_b32_e32 v3, v131
	ds_write2_b64 v53, v[0:1], v[2:3] offset0:48 offset1:49
	v_mov_b32_e32 v0, v186
	v_mov_b32_e32 v1, v187
	v_mov_b32_e32 v2, v128
	v_mov_b32_e32 v3, v129
	ds_write2_b64 v53, v[0:1], v[2:3] offset0:50 offset1:51
	v_mov_b32_e32 v0, v184
	v_mov_b32_e32 v1, v185
	s_waitcnt vmcnt(61)
	v_mov_b32_e32 v2, v126
	v_mov_b32_e32 v3, v127
	ds_write2_b64 v53, v[0:1], v[2:3] offset0:52 offset1:53
	s_waitcnt vmcnt(58)
	v_mov_b32_e32 v0, v182
	v_mov_b32_e32 v1, v183
	s_waitcnt vmcnt(55)
	v_mov_b32_e32 v2, v124
	v_mov_b32_e32 v3, v125
	ds_write2_b64 v53, v[0:1], v[2:3] offset0:54 offset1:55
	s_waitcnt vmcnt(52)
	;; [unrolled: 7-line block ×3, first 2 shown]
	ds_write_b64 v53, v[236:237] offset:464
	ds_read_b64 v[0:1], v52
	s_waitcnt lgkmcnt(0)
	v_cmp_neq_f64_e32 vcc, 0, v[0:1]
	s_and_b64 exec, exec, vcc
	s_cbranch_execz .LBB117_119
; %bb.118:
	v_div_scale_f64 v[2:3], s[6:7], v[0:1], v[0:1], 1.0
	v_rcp_f64_e32 v[4:5], v[2:3]
	v_div_scale_f64 v[6:7], vcc, 1.0, v[0:1], 1.0
	v_fma_f64 v[8:9], -v[2:3], v[4:5], 1.0
	v_fmac_f64_e32 v[4:5], v[4:5], v[8:9]
	v_fma_f64 v[8:9], -v[2:3], v[4:5], 1.0
	v_fmac_f64_e32 v[4:5], v[4:5], v[8:9]
	v_mul_f64 v[8:9], v[6:7], v[4:5]
	v_fma_f64 v[2:3], -v[2:3], v[8:9], v[6:7]
	v_div_fmas_f64 v[2:3], v[2:3], v[4:5], v[8:9]
	v_div_fixup_f64 v[0:1], v[2:3], v[0:1], 1.0
	ds_write_b64 v52, v[0:1]
.LBB117_119:
	s_or_b64 exec, exec, s[2:3]
	s_waitcnt lgkmcnt(0)
	s_barrier
	ds_read_b64 v[0:1], v52
	v_cmp_lt_u32_e32 vcc, 23, v54
	s_waitcnt lgkmcnt(0)
	buffer_store_dword v0, off, s[16:19], 0 offset:352 ; 4-byte Folded Spill
	s_nop 0
	buffer_store_dword v1, off, s[16:19], 0 offset:356 ; 4-byte Folded Spill
	s_and_saveexec_b64 s[2:3], vcc
	s_cbranch_execz .LBB117_121
; %bb.120:
	buffer_load_dword v0, off, s[16:19], 0 offset:352 ; 4-byte Folded Reload
	buffer_load_dword v1, off, s[16:19], 0 offset:356 ; 4-byte Folded Reload
	s_waitcnt vmcnt(0)
	v_mul_f64 v[156:157], v[0:1], v[156:157]
	ds_read2_b64 v[0:3], v53 offset0:24 offset1:25
	s_waitcnt lgkmcnt(0)
	v_fma_f64 v[212:213], -v[156:157], v[0:1], v[212:213]
	v_fma_f64 v[154:155], -v[156:157], v[2:3], v[154:155]
	ds_read2_b64 v[0:3], v53 offset0:26 offset1:27
	s_waitcnt lgkmcnt(0)
	v_fma_f64 v[210:211], -v[156:157], v[0:1], v[210:211]
	v_fma_f64 v[152:153], -v[156:157], v[2:3], v[152:153]
	;; [unrolled: 4-line block ×16, first 2 shown]
	ds_read2_b64 v[0:3], v53 offset0:56 offset1:57
	s_waitcnt lgkmcnt(0)
	v_fma_f64 v[180:181], -v[156:157], v[0:1], v[180:181]
	ds_read_b64 v[0:1], v53 offset:464
	v_fma_f64 v[122:123], -v[156:157], v[2:3], v[122:123]
	s_waitcnt lgkmcnt(0)
	v_fma_f64 v[236:237], -v[156:157], v[0:1], v[236:237]
.LBB117_121:
	s_or_b64 exec, exec, s[2:3]
	v_cmp_eq_u32_e32 vcc, 24, v54
	s_waitcnt vmcnt(63) expcnt(7) lgkmcnt(15)
	s_barrier
	s_and_saveexec_b64 s[2:3], vcc
	s_cbranch_execz .LBB117_124
; %bb.122:
	ds_write_b64 v52, v[212:213]
	ds_write2_b64 v53, v[154:155], v[210:211] offset0:25 offset1:26
	ds_write2_b64 v53, v[152:153], v[208:209] offset0:27 offset1:28
	;; [unrolled: 1-line block ×14, first 2 shown]
	s_waitcnt vmcnt(60)
	ds_write2_b64 v53, v[126:127], v[182:183] offset0:53 offset1:54
	s_waitcnt vmcnt(54)
	ds_write2_b64 v53, v[124:125], v[180:181] offset0:55 offset1:56
	;; [unrolled: 2-line block ×3, first 2 shown]
	ds_read_b64 v[0:1], v52
	s_waitcnt lgkmcnt(0)
	v_cmp_neq_f64_e32 vcc, 0, v[0:1]
	s_and_b64 exec, exec, vcc
	s_cbranch_execz .LBB117_124
; %bb.123:
	v_div_scale_f64 v[2:3], s[6:7], v[0:1], v[0:1], 1.0
	v_rcp_f64_e32 v[4:5], v[2:3]
	v_div_scale_f64 v[6:7], vcc, 1.0, v[0:1], 1.0
	v_fma_f64 v[8:9], -v[2:3], v[4:5], 1.0
	v_fmac_f64_e32 v[4:5], v[4:5], v[8:9]
	v_fma_f64 v[8:9], -v[2:3], v[4:5], 1.0
	v_fmac_f64_e32 v[4:5], v[4:5], v[8:9]
	v_mul_f64 v[8:9], v[6:7], v[4:5]
	v_fma_f64 v[2:3], -v[2:3], v[8:9], v[6:7]
	v_div_fmas_f64 v[2:3], v[2:3], v[4:5], v[8:9]
	v_div_fixup_f64 v[0:1], v[2:3], v[0:1], 1.0
	ds_write_b64 v52, v[0:1]
.LBB117_124:
	s_or_b64 exec, exec, s[2:3]
	s_waitcnt lgkmcnt(0)
	s_barrier
	ds_read_b64 v[0:1], v52
	v_cmp_lt_u32_e32 vcc, 24, v54
	s_waitcnt lgkmcnt(0)
	buffer_store_dword v0, off, s[16:19], 0 offset:360 ; 4-byte Folded Spill
	s_nop 0
	buffer_store_dword v1, off, s[16:19], 0 offset:364 ; 4-byte Folded Spill
	s_and_saveexec_b64 s[2:3], vcc
	s_cbranch_execz .LBB117_126
; %bb.125:
	buffer_load_dword v0, off, s[16:19], 0 offset:360 ; 4-byte Folded Reload
	buffer_load_dword v1, off, s[16:19], 0 offset:364 ; 4-byte Folded Reload
	s_waitcnt vmcnt(0)
	v_mul_f64 v[212:213], v[0:1], v[212:213]
	ds_read2_b64 v[0:3], v53 offset0:25 offset1:26
	s_waitcnt lgkmcnt(0)
	v_fma_f64 v[154:155], -v[212:213], v[0:1], v[154:155]
	v_fma_f64 v[210:211], -v[212:213], v[2:3], v[210:211]
	ds_read2_b64 v[0:3], v53 offset0:27 offset1:28
	s_waitcnt lgkmcnt(0)
	v_fma_f64 v[152:153], -v[212:213], v[0:1], v[152:153]
	v_fma_f64 v[208:209], -v[212:213], v[2:3], v[208:209]
	;; [unrolled: 4-line block ×17, first 2 shown]
.LBB117_126:
	s_or_b64 exec, exec, s[2:3]
	v_cmp_eq_u32_e32 vcc, 25, v54
	s_waitcnt vmcnt(63) expcnt(7) lgkmcnt(15)
	s_barrier
	s_and_saveexec_b64 s[2:3], vcc
	s_cbranch_execz .LBB117_129
; %bb.127:
	v_mov_b32_e32 v0, v210
	v_mov_b32_e32 v1, v211
	;; [unrolled: 1-line block ×4, first 2 shown]
	ds_write_b64 v52, v[154:155]
	ds_write2_b64 v53, v[0:1], v[2:3] offset0:26 offset1:27
	v_mov_b32_e32 v0, v208
	v_mov_b32_e32 v1, v209
	v_mov_b32_e32 v2, v150
	v_mov_b32_e32 v3, v151
	ds_write2_b64 v53, v[0:1], v[2:3] offset0:28 offset1:29
	v_mov_b32_e32 v0, v206
	v_mov_b32_e32 v1, v207
	v_mov_b32_e32 v2, v148
	v_mov_b32_e32 v3, v149
	;; [unrolled: 5-line block ×13, first 2 shown]
	ds_write2_b64 v53, v[0:1], v[2:3] offset0:52 offset1:53
	s_waitcnt vmcnt(62)
	v_mov_b32_e32 v0, v182
	v_mov_b32_e32 v1, v183
	s_waitcnt vmcnt(59)
	v_mov_b32_e32 v2, v124
	v_mov_b32_e32 v3, v125
	ds_write2_b64 v53, v[0:1], v[2:3] offset0:54 offset1:55
	s_waitcnt vmcnt(56)
	v_mov_b32_e32 v0, v180
	v_mov_b32_e32 v1, v181
	s_waitcnt vmcnt(53)
	v_mov_b32_e32 v2, v122
	v_mov_b32_e32 v3, v123
	ds_write2_b64 v53, v[0:1], v[2:3] offset0:56 offset1:57
	s_waitcnt vmcnt(50)
	ds_write_b64 v53, v[236:237] offset:464
	ds_read_b64 v[0:1], v52
	s_waitcnt lgkmcnt(0)
	v_cmp_neq_f64_e32 vcc, 0, v[0:1]
	s_and_b64 exec, exec, vcc
	s_cbranch_execz .LBB117_129
; %bb.128:
	v_div_scale_f64 v[2:3], s[6:7], v[0:1], v[0:1], 1.0
	v_rcp_f64_e32 v[4:5], v[2:3]
	v_div_scale_f64 v[6:7], vcc, 1.0, v[0:1], 1.0
	v_fma_f64 v[8:9], -v[2:3], v[4:5], 1.0
	v_fmac_f64_e32 v[4:5], v[4:5], v[8:9]
	v_fma_f64 v[8:9], -v[2:3], v[4:5], 1.0
	v_fmac_f64_e32 v[4:5], v[4:5], v[8:9]
	v_mul_f64 v[8:9], v[6:7], v[4:5]
	v_fma_f64 v[2:3], -v[2:3], v[8:9], v[6:7]
	v_div_fmas_f64 v[2:3], v[2:3], v[4:5], v[8:9]
	v_div_fixup_f64 v[0:1], v[2:3], v[0:1], 1.0
	ds_write_b64 v52, v[0:1]
.LBB117_129:
	s_or_b64 exec, exec, s[2:3]
	s_waitcnt lgkmcnt(0)
	s_barrier
	ds_read_b64 v[0:1], v52
	v_cmp_lt_u32_e32 vcc, 25, v54
	s_waitcnt lgkmcnt(0)
	buffer_store_dword v0, off, s[16:19], 0 offset:368 ; 4-byte Folded Spill
	s_nop 0
	buffer_store_dword v1, off, s[16:19], 0 offset:372 ; 4-byte Folded Spill
	s_and_saveexec_b64 s[2:3], vcc
	s_cbranch_execz .LBB117_131
; %bb.130:
	buffer_load_dword v0, off, s[16:19], 0 offset:368 ; 4-byte Folded Reload
	buffer_load_dword v1, off, s[16:19], 0 offset:372 ; 4-byte Folded Reload
	s_waitcnt vmcnt(0)
	v_mul_f64 v[154:155], v[0:1], v[154:155]
	ds_read2_b64 v[0:3], v53 offset0:26 offset1:27
	s_waitcnt lgkmcnt(0)
	v_fma_f64 v[210:211], -v[154:155], v[0:1], v[210:211]
	v_fma_f64 v[152:153], -v[154:155], v[2:3], v[152:153]
	ds_read2_b64 v[0:3], v53 offset0:28 offset1:29
	s_waitcnt lgkmcnt(0)
	v_fma_f64 v[208:209], -v[154:155], v[0:1], v[208:209]
	v_fma_f64 v[150:151], -v[154:155], v[2:3], v[150:151]
	;; [unrolled: 4-line block ×15, first 2 shown]
	ds_read2_b64 v[0:3], v53 offset0:56 offset1:57
	s_waitcnt lgkmcnt(0)
	v_fma_f64 v[180:181], -v[154:155], v[0:1], v[180:181]
	ds_read_b64 v[0:1], v53 offset:464
	v_fma_f64 v[122:123], -v[154:155], v[2:3], v[122:123]
	s_waitcnt lgkmcnt(0)
	v_fma_f64 v[236:237], -v[154:155], v[0:1], v[236:237]
.LBB117_131:
	s_or_b64 exec, exec, s[2:3]
	v_cmp_eq_u32_e32 vcc, 26, v54
	s_waitcnt vmcnt(63) expcnt(7) lgkmcnt(15)
	s_barrier
	s_and_saveexec_b64 s[2:3], vcc
	s_cbranch_execz .LBB117_134
; %bb.132:
	ds_write_b64 v52, v[210:211]
	ds_write2_b64 v53, v[152:153], v[208:209] offset0:27 offset1:28
	ds_write2_b64 v53, v[150:151], v[206:207] offset0:29 offset1:30
	ds_write2_b64 v53, v[148:149], v[204:205] offset0:31 offset1:32
	ds_write2_b64 v53, v[146:147], v[202:203] offset0:33 offset1:34
	ds_write2_b64 v53, v[144:145], v[200:201] offset0:35 offset1:36
	ds_write2_b64 v53, v[142:143], v[198:199] offset0:37 offset1:38
	ds_write2_b64 v53, v[140:141], v[196:197] offset0:39 offset1:40
	ds_write2_b64 v53, v[138:139], v[194:195] offset0:41 offset1:42
	ds_write2_b64 v53, v[136:137], v[192:193] offset0:43 offset1:44
	ds_write2_b64 v53, v[134:135], v[190:191] offset0:45 offset1:46
	ds_write2_b64 v53, v[132:133], v[188:189] offset0:47 offset1:48
	ds_write2_b64 v53, v[130:131], v[186:187] offset0:49 offset1:50
	ds_write2_b64 v53, v[128:129], v[184:185] offset0:51 offset1:52
	ds_write2_b64 v53, v[126:127], v[182:183] offset0:53 offset1:54
	s_waitcnt vmcnt(58)
	ds_write2_b64 v53, v[124:125], v[180:181] offset0:55 offset1:56
	s_waitcnt vmcnt(52)
	ds_write2_b64 v53, v[122:123], v[236:237] offset0:57 offset1:58
	ds_read_b64 v[0:1], v52
	s_waitcnt lgkmcnt(0)
	v_cmp_neq_f64_e32 vcc, 0, v[0:1]
	s_and_b64 exec, exec, vcc
	s_cbranch_execz .LBB117_134
; %bb.133:
	v_div_scale_f64 v[2:3], s[6:7], v[0:1], v[0:1], 1.0
	v_rcp_f64_e32 v[4:5], v[2:3]
	v_div_scale_f64 v[6:7], vcc, 1.0, v[0:1], 1.0
	v_fma_f64 v[8:9], -v[2:3], v[4:5], 1.0
	v_fmac_f64_e32 v[4:5], v[4:5], v[8:9]
	v_fma_f64 v[8:9], -v[2:3], v[4:5], 1.0
	v_fmac_f64_e32 v[4:5], v[4:5], v[8:9]
	v_mul_f64 v[8:9], v[6:7], v[4:5]
	v_fma_f64 v[2:3], -v[2:3], v[8:9], v[6:7]
	v_div_fmas_f64 v[2:3], v[2:3], v[4:5], v[8:9]
	v_div_fixup_f64 v[0:1], v[2:3], v[0:1], 1.0
	ds_write_b64 v52, v[0:1]
.LBB117_134:
	s_or_b64 exec, exec, s[2:3]
	s_waitcnt lgkmcnt(0)
	s_barrier
	ds_read_b64 v[0:1], v52
	v_cmp_lt_u32_e32 vcc, 26, v54
	s_and_saveexec_b64 s[2:3], vcc
	s_cbranch_execz .LBB117_136
; %bb.135:
	ds_read2_b64 v[4:7], v53 offset0:27 offset1:28
	s_waitcnt lgkmcnt(1)
	v_mul_f64 v[210:211], v[0:1], v[210:211]
	s_waitcnt lgkmcnt(0)
	v_fma_f64 v[152:153], -v[210:211], v[4:5], v[152:153]
	v_fma_f64 v[208:209], -v[210:211], v[6:7], v[208:209]
	ds_read2_b64 v[4:7], v53 offset0:29 offset1:30
	s_waitcnt lgkmcnt(0)
	v_fma_f64 v[150:151], -v[210:211], v[4:5], v[150:151]
	v_fma_f64 v[206:207], -v[210:211], v[6:7], v[206:207]
	ds_read2_b64 v[4:7], v53 offset0:31 offset1:32
	;; [unrolled: 4-line block ×14, first 2 shown]
	s_waitcnt vmcnt(61) lgkmcnt(0)
	v_fma_f64 v[124:125], -v[210:211], v[4:5], v[124:125]
	s_waitcnt vmcnt(58)
	v_fma_f64 v[180:181], -v[210:211], v[6:7], v[180:181]
	ds_read2_b64 v[4:7], v53 offset0:57 offset1:58
	s_waitcnt vmcnt(55) lgkmcnt(0)
	v_fma_f64 v[122:123], -v[210:211], v[4:5], v[122:123]
	s_waitcnt vmcnt(52)
	v_fma_f64 v[236:237], -v[210:211], v[6:7], v[236:237]
.LBB117_136:
	s_or_b64 exec, exec, s[2:3]
	v_cmp_eq_u32_e32 vcc, 27, v54
	s_waitcnt lgkmcnt(0)
	buffer_store_dword v0, off, s[16:19], 0 offset:408 ; 4-byte Folded Spill
	s_nop 0
	buffer_store_dword v1, off, s[16:19], 0 offset:412 ; 4-byte Folded Spill
	s_waitcnt vmcnt(63) expcnt(7) lgkmcnt(15)
	s_barrier
	s_and_saveexec_b64 s[2:3], vcc
	s_cbranch_execz .LBB117_139
; %bb.137:
	v_mov_b32_e32 v0, v208
	v_mov_b32_e32 v1, v209
	;; [unrolled: 1-line block ×4, first 2 shown]
	ds_write_b64 v52, v[152:153]
	ds_write2_b64 v53, v[0:1], v[4:5] offset0:28 offset1:29
	v_mov_b32_e32 v0, v206
	v_mov_b32_e32 v1, v207
	v_mov_b32_e32 v4, v148
	v_mov_b32_e32 v5, v149
	ds_write2_b64 v53, v[0:1], v[4:5] offset0:30 offset1:31
	v_mov_b32_e32 v0, v204
	v_mov_b32_e32 v1, v205
	v_mov_b32_e32 v4, v146
	v_mov_b32_e32 v5, v147
	;; [unrolled: 5-line block ×13, first 2 shown]
	ds_write2_b64 v53, v[0:1], v[4:5] offset0:54 offset1:55
	s_waitcnt vmcnt(60)
	v_mov_b32_e32 v0, v180
	v_mov_b32_e32 v1, v181
	s_waitcnt vmcnt(57)
	v_mov_b32_e32 v4, v122
	v_mov_b32_e32 v5, v123
	ds_write2_b64 v53, v[0:1], v[4:5] offset0:56 offset1:57
	s_waitcnt vmcnt(54)
	ds_write_b64 v53, v[236:237] offset:464
	ds_read_b64 v[0:1], v52
	s_waitcnt lgkmcnt(0)
	v_cmp_neq_f64_e32 vcc, 0, v[0:1]
	s_and_b64 exec, exec, vcc
	s_cbranch_execz .LBB117_139
; %bb.138:
	v_div_scale_f64 v[4:5], s[6:7], v[0:1], v[0:1], 1.0
	v_rcp_f64_e32 v[6:7], v[4:5]
	v_div_scale_f64 v[8:9], vcc, 1.0, v[0:1], 1.0
	v_fma_f64 v[10:11], -v[4:5], v[6:7], 1.0
	v_fmac_f64_e32 v[6:7], v[6:7], v[10:11]
	v_fma_f64 v[10:11], -v[4:5], v[6:7], 1.0
	v_fmac_f64_e32 v[6:7], v[6:7], v[10:11]
	v_mul_f64 v[10:11], v[8:9], v[6:7]
	v_fma_f64 v[4:5], -v[4:5], v[10:11], v[8:9]
	v_div_fmas_f64 v[4:5], v[4:5], v[6:7], v[10:11]
	v_div_fixup_f64 v[0:1], v[4:5], v[0:1], 1.0
	ds_write_b64 v52, v[0:1]
.LBB117_139:
	s_or_b64 exec, exec, s[2:3]
	s_waitcnt lgkmcnt(0)
	s_barrier
	ds_read_b64 v[0:1], v52
	v_cmp_lt_u32_e32 vcc, 27, v54
	s_waitcnt lgkmcnt(0)
	buffer_store_dword v0, off, s[16:19], 0 offset:376 ; 4-byte Folded Spill
	s_nop 0
	buffer_store_dword v1, off, s[16:19], 0 offset:380 ; 4-byte Folded Spill
	s_and_saveexec_b64 s[2:3], vcc
	s_cbranch_execz .LBB117_141
; %bb.140:
	buffer_load_dword v0, off, s[16:19], 0 offset:376 ; 4-byte Folded Reload
	buffer_load_dword v1, off, s[16:19], 0 offset:380 ; 4-byte Folded Reload
	ds_read2_b64 v[4:7], v53 offset0:28 offset1:29
	s_waitcnt vmcnt(0)
	v_mul_f64 v[152:153], v[0:1], v[152:153]
	ds_read_b64 v[0:1], v53 offset:464
	s_waitcnt lgkmcnt(1)
	v_fma_f64 v[208:209], -v[152:153], v[4:5], v[208:209]
	v_fma_f64 v[150:151], -v[152:153], v[6:7], v[150:151]
	ds_read2_b64 v[4:7], v53 offset0:30 offset1:31
	s_waitcnt lgkmcnt(1)
	v_fma_f64 v[236:237], -v[152:153], v[0:1], v[236:237]
	s_waitcnt lgkmcnt(0)
	v_fma_f64 v[206:207], -v[152:153], v[4:5], v[206:207]
	v_fma_f64 v[148:149], -v[152:153], v[6:7], v[148:149]
	ds_read2_b64 v[4:7], v53 offset0:32 offset1:33
	s_waitcnt lgkmcnt(0)
	v_fma_f64 v[204:205], -v[152:153], v[4:5], v[204:205]
	v_fma_f64 v[146:147], -v[152:153], v[6:7], v[146:147]
	ds_read2_b64 v[4:7], v53 offset0:34 offset1:35
	;; [unrolled: 4-line block ×13, first 2 shown]
	s_waitcnt lgkmcnt(0)
	v_fma_f64 v[180:181], -v[152:153], v[4:5], v[180:181]
	v_fma_f64 v[122:123], -v[152:153], v[6:7], v[122:123]
.LBB117_141:
	s_or_b64 exec, exec, s[2:3]
	v_cmp_eq_u32_e32 vcc, 28, v54
	s_waitcnt vmcnt(63) expcnt(7) lgkmcnt(15)
	s_barrier
	s_and_saveexec_b64 s[2:3], vcc
	s_cbranch_execz .LBB117_144
; %bb.142:
	ds_write_b64 v52, v[208:209]
	ds_write2_b64 v53, v[150:151], v[206:207] offset0:29 offset1:30
	ds_write2_b64 v53, v[148:149], v[204:205] offset0:31 offset1:32
	ds_write2_b64 v53, v[146:147], v[202:203] offset0:33 offset1:34
	ds_write2_b64 v53, v[144:145], v[200:201] offset0:35 offset1:36
	ds_write2_b64 v53, v[142:143], v[198:199] offset0:37 offset1:38
	ds_write2_b64 v53, v[140:141], v[196:197] offset0:39 offset1:40
	ds_write2_b64 v53, v[138:139], v[194:195] offset0:41 offset1:42
	ds_write2_b64 v53, v[136:137], v[192:193] offset0:43 offset1:44
	ds_write2_b64 v53, v[134:135], v[190:191] offset0:45 offset1:46
	ds_write2_b64 v53, v[132:133], v[188:189] offset0:47 offset1:48
	ds_write2_b64 v53, v[130:131], v[186:187] offset0:49 offset1:50
	ds_write2_b64 v53, v[128:129], v[184:185] offset0:51 offset1:52
	ds_write2_b64 v53, v[126:127], v[182:183] offset0:53 offset1:54
	s_waitcnt vmcnt(62)
	ds_write2_b64 v53, v[124:125], v[180:181] offset0:55 offset1:56
	s_waitcnt vmcnt(56)
	ds_write2_b64 v53, v[122:123], v[236:237] offset0:57 offset1:58
	ds_read_b64 v[0:1], v52
	s_waitcnt lgkmcnt(0)
	v_cmp_neq_f64_e32 vcc, 0, v[0:1]
	s_and_b64 exec, exec, vcc
	s_cbranch_execz .LBB117_144
; %bb.143:
	v_div_scale_f64 v[4:5], s[6:7], v[0:1], v[0:1], 1.0
	v_rcp_f64_e32 v[6:7], v[4:5]
	v_div_scale_f64 v[8:9], vcc, 1.0, v[0:1], 1.0
	v_fma_f64 v[10:11], -v[4:5], v[6:7], 1.0
	v_fmac_f64_e32 v[6:7], v[6:7], v[10:11]
	v_fma_f64 v[10:11], -v[4:5], v[6:7], 1.0
	v_fmac_f64_e32 v[6:7], v[6:7], v[10:11]
	v_mul_f64 v[10:11], v[8:9], v[6:7]
	v_fma_f64 v[4:5], -v[4:5], v[10:11], v[8:9]
	v_div_fmas_f64 v[4:5], v[4:5], v[6:7], v[10:11]
	v_div_fixup_f64 v[0:1], v[4:5], v[0:1], 1.0
	ds_write_b64 v52, v[0:1]
.LBB117_144:
	s_or_b64 exec, exec, s[2:3]
	s_waitcnt lgkmcnt(0)
	s_barrier
	ds_read_b64 v[0:1], v52
	v_cmp_lt_u32_e32 vcc, 28, v54
	s_and_saveexec_b64 s[2:3], vcc
	s_cbranch_execz .LBB117_146
; %bb.145:
	ds_read2_b64 v[4:7], v53 offset0:29 offset1:30
	s_waitcnt lgkmcnt(1)
	v_mul_f64 v[208:209], v[0:1], v[208:209]
	s_waitcnt lgkmcnt(0)
	v_fma_f64 v[150:151], -v[208:209], v[4:5], v[150:151]
	v_fma_f64 v[206:207], -v[208:209], v[6:7], v[206:207]
	ds_read2_b64 v[4:7], v53 offset0:31 offset1:32
	s_waitcnt lgkmcnt(0)
	v_fma_f64 v[148:149], -v[208:209], v[4:5], v[148:149]
	v_fma_f64 v[204:205], -v[208:209], v[6:7], v[204:205]
	ds_read2_b64 v[4:7], v53 offset0:33 offset1:34
	;; [unrolled: 4-line block ×13, first 2 shown]
	s_waitcnt lgkmcnt(0)
	v_fma_f64 v[124:125], -v[208:209], v[4:5], v[124:125]
	s_waitcnt vmcnt(62)
	v_fma_f64 v[180:181], -v[208:209], v[6:7], v[180:181]
	ds_read2_b64 v[4:7], v53 offset0:57 offset1:58
	s_waitcnt vmcnt(59) lgkmcnt(0)
	v_fma_f64 v[122:123], -v[208:209], v[4:5], v[122:123]
	s_waitcnt vmcnt(56)
	v_fma_f64 v[236:237], -v[208:209], v[6:7], v[236:237]
.LBB117_146:
	s_or_b64 exec, exec, s[2:3]
	v_cmp_eq_u32_e32 vcc, 29, v54
	s_waitcnt lgkmcnt(0)
	buffer_store_dword v0, off, s[16:19], 0 offset:416 ; 4-byte Folded Spill
	s_nop 0
	buffer_store_dword v1, off, s[16:19], 0 offset:420 ; 4-byte Folded Spill
	s_waitcnt vmcnt(63) expcnt(7) lgkmcnt(15)
	s_barrier
	s_and_saveexec_b64 s[2:3], vcc
	s_cbranch_execz .LBB117_149
; %bb.147:
	v_mov_b32_e32 v0, v206
	v_mov_b32_e32 v1, v207
	;; [unrolled: 1-line block ×4, first 2 shown]
	ds_write_b64 v52, v[150:151]
	ds_write2_b64 v53, v[0:1], v[4:5] offset0:30 offset1:31
	v_mov_b32_e32 v0, v204
	v_mov_b32_e32 v1, v205
	v_mov_b32_e32 v4, v146
	v_mov_b32_e32 v5, v147
	ds_write2_b64 v53, v[0:1], v[4:5] offset0:32 offset1:33
	v_mov_b32_e32 v0, v202
	v_mov_b32_e32 v1, v203
	v_mov_b32_e32 v4, v144
	v_mov_b32_e32 v5, v145
	;; [unrolled: 5-line block ×12, first 2 shown]
	ds_write2_b64 v53, v[0:1], v[4:5] offset0:54 offset1:55
	v_mov_b32_e32 v0, v180
	v_mov_b32_e32 v1, v181
	s_waitcnt vmcnt(61)
	v_mov_b32_e32 v4, v122
	v_mov_b32_e32 v5, v123
	ds_write2_b64 v53, v[0:1], v[4:5] offset0:56 offset1:57
	s_waitcnt vmcnt(58)
	ds_write_b64 v53, v[236:237] offset:464
	ds_read_b64 v[0:1], v52
	s_waitcnt lgkmcnt(0)
	v_cmp_neq_f64_e32 vcc, 0, v[0:1]
	s_and_b64 exec, exec, vcc
	s_cbranch_execz .LBB117_149
; %bb.148:
	v_div_scale_f64 v[4:5], s[6:7], v[0:1], v[0:1], 1.0
	v_rcp_f64_e32 v[6:7], v[4:5]
	v_div_scale_f64 v[8:9], vcc, 1.0, v[0:1], 1.0
	v_fma_f64 v[10:11], -v[4:5], v[6:7], 1.0
	v_fmac_f64_e32 v[6:7], v[6:7], v[10:11]
	v_fma_f64 v[10:11], -v[4:5], v[6:7], 1.0
	v_fmac_f64_e32 v[6:7], v[6:7], v[10:11]
	v_mul_f64 v[10:11], v[8:9], v[6:7]
	v_fma_f64 v[4:5], -v[4:5], v[10:11], v[8:9]
	v_div_fmas_f64 v[4:5], v[4:5], v[6:7], v[10:11]
	v_div_fixup_f64 v[0:1], v[4:5], v[0:1], 1.0
	ds_write_b64 v52, v[0:1]
.LBB117_149:
	s_or_b64 exec, exec, s[2:3]
	s_waitcnt lgkmcnt(0)
	s_barrier
	ds_read_b64 v[0:1], v52
	v_cmp_lt_u32_e32 vcc, 29, v54
	s_waitcnt lgkmcnt(0)
	buffer_store_dword v0, off, s[16:19], 0 offset:384 ; 4-byte Folded Spill
	s_nop 0
	buffer_store_dword v1, off, s[16:19], 0 offset:388 ; 4-byte Folded Spill
	s_and_saveexec_b64 s[2:3], vcc
	s_cbranch_execz .LBB117_151
; %bb.150:
	buffer_load_dword v0, off, s[16:19], 0 offset:384 ; 4-byte Folded Reload
	buffer_load_dword v1, off, s[16:19], 0 offset:388 ; 4-byte Folded Reload
	ds_read2_b64 v[4:7], v53 offset0:30 offset1:31
	s_waitcnt vmcnt(0)
	v_mul_f64 v[150:151], v[0:1], v[150:151]
	ds_read_b64 v[0:1], v53 offset:464
	s_waitcnt lgkmcnt(1)
	v_fma_f64 v[206:207], -v[150:151], v[4:5], v[206:207]
	v_fma_f64 v[148:149], -v[150:151], v[6:7], v[148:149]
	ds_read2_b64 v[4:7], v53 offset0:32 offset1:33
	s_waitcnt lgkmcnt(1)
	v_fma_f64 v[236:237], -v[150:151], v[0:1], v[236:237]
	s_waitcnt lgkmcnt(0)
	v_fma_f64 v[204:205], -v[150:151], v[4:5], v[204:205]
	v_fma_f64 v[146:147], -v[150:151], v[6:7], v[146:147]
	ds_read2_b64 v[4:7], v53 offset0:34 offset1:35
	s_waitcnt lgkmcnt(0)
	v_fma_f64 v[202:203], -v[150:151], v[4:5], v[202:203]
	v_fma_f64 v[144:145], -v[150:151], v[6:7], v[144:145]
	ds_read2_b64 v[4:7], v53 offset0:36 offset1:37
	s_waitcnt lgkmcnt(0)
	v_fma_f64 v[200:201], -v[150:151], v[4:5], v[200:201]
	v_fma_f64 v[142:143], -v[150:151], v[6:7], v[142:143]
	ds_read2_b64 v[4:7], v53 offset0:38 offset1:39
	s_waitcnt lgkmcnt(0)
	v_fma_f64 v[198:199], -v[150:151], v[4:5], v[198:199]
	v_fma_f64 v[140:141], -v[150:151], v[6:7], v[140:141]
	ds_read2_b64 v[4:7], v53 offset0:40 offset1:41
	s_waitcnt lgkmcnt(0)
	v_fma_f64 v[196:197], -v[150:151], v[4:5], v[196:197]
	v_fma_f64 v[138:139], -v[150:151], v[6:7], v[138:139]
	ds_read2_b64 v[4:7], v53 offset0:42 offset1:43
	s_waitcnt lgkmcnt(0)
	v_fma_f64 v[194:195], -v[150:151], v[4:5], v[194:195]
	v_fma_f64 v[136:137], -v[150:151], v[6:7], v[136:137]
	ds_read2_b64 v[4:7], v53 offset0:44 offset1:45
	s_waitcnt lgkmcnt(0)
	v_fma_f64 v[192:193], -v[150:151], v[4:5], v[192:193]
	v_fma_f64 v[134:135], -v[150:151], v[6:7], v[134:135]
	ds_read2_b64 v[4:7], v53 offset0:46 offset1:47
	s_waitcnt lgkmcnt(0)
	v_fma_f64 v[190:191], -v[150:151], v[4:5], v[190:191]
	v_fma_f64 v[132:133], -v[150:151], v[6:7], v[132:133]
	ds_read2_b64 v[4:7], v53 offset0:48 offset1:49
	s_waitcnt lgkmcnt(0)
	v_fma_f64 v[188:189], -v[150:151], v[4:5], v[188:189]
	v_fma_f64 v[130:131], -v[150:151], v[6:7], v[130:131]
	ds_read2_b64 v[4:7], v53 offset0:50 offset1:51
	s_waitcnt lgkmcnt(0)
	v_fma_f64 v[186:187], -v[150:151], v[4:5], v[186:187]
	v_fma_f64 v[128:129], -v[150:151], v[6:7], v[128:129]
	ds_read2_b64 v[4:7], v53 offset0:52 offset1:53
	s_waitcnt lgkmcnt(0)
	v_fma_f64 v[184:185], -v[150:151], v[4:5], v[184:185]
	v_fma_f64 v[126:127], -v[150:151], v[6:7], v[126:127]
	ds_read2_b64 v[4:7], v53 offset0:54 offset1:55
	s_waitcnt lgkmcnt(0)
	v_fma_f64 v[182:183], -v[150:151], v[4:5], v[182:183]
	v_fma_f64 v[124:125], -v[150:151], v[6:7], v[124:125]
	ds_read2_b64 v[4:7], v53 offset0:56 offset1:57
	s_waitcnt lgkmcnt(0)
	v_fma_f64 v[180:181], -v[150:151], v[4:5], v[180:181]
	v_fma_f64 v[122:123], -v[150:151], v[6:7], v[122:123]
.LBB117_151:
	s_or_b64 exec, exec, s[2:3]
	v_cmp_eq_u32_e32 vcc, 30, v54
	s_waitcnt vmcnt(63) expcnt(7) lgkmcnt(15)
	s_barrier
	s_and_saveexec_b64 s[2:3], vcc
	s_cbranch_execz .LBB117_154
; %bb.152:
	ds_write_b64 v52, v[206:207]
	ds_write2_b64 v53, v[148:149], v[204:205] offset0:31 offset1:32
	ds_write2_b64 v53, v[146:147], v[202:203] offset0:33 offset1:34
	;; [unrolled: 1-line block ×13, first 2 shown]
	s_waitcnt vmcnt(60)
	ds_write2_b64 v53, v[122:123], v[236:237] offset0:57 offset1:58
	ds_read_b64 v[0:1], v52
	s_waitcnt lgkmcnt(0)
	v_cmp_neq_f64_e32 vcc, 0, v[0:1]
	s_and_b64 exec, exec, vcc
	s_cbranch_execz .LBB117_154
; %bb.153:
	v_div_scale_f64 v[4:5], s[6:7], v[0:1], v[0:1], 1.0
	v_rcp_f64_e32 v[6:7], v[4:5]
	v_div_scale_f64 v[8:9], vcc, 1.0, v[0:1], 1.0
	v_fma_f64 v[10:11], -v[4:5], v[6:7], 1.0
	v_fmac_f64_e32 v[6:7], v[6:7], v[10:11]
	v_fma_f64 v[10:11], -v[4:5], v[6:7], 1.0
	v_fmac_f64_e32 v[6:7], v[6:7], v[10:11]
	v_mul_f64 v[10:11], v[8:9], v[6:7]
	v_fma_f64 v[4:5], -v[4:5], v[10:11], v[8:9]
	v_div_fmas_f64 v[4:5], v[4:5], v[6:7], v[10:11]
	v_div_fixup_f64 v[0:1], v[4:5], v[0:1], 1.0
	ds_write_b64 v52, v[0:1]
.LBB117_154:
	s_or_b64 exec, exec, s[2:3]
	s_waitcnt lgkmcnt(0)
	s_barrier
	ds_read_b64 v[0:1], v52
	v_cmp_lt_u32_e32 vcc, 30, v54
	s_and_saveexec_b64 s[2:3], vcc
	s_cbranch_execz .LBB117_156
; %bb.155:
	ds_read2_b64 v[4:7], v53 offset0:31 offset1:32
	s_waitcnt lgkmcnt(1)
	v_mul_f64 v[206:207], v[0:1], v[206:207]
	s_waitcnt lgkmcnt(0)
	v_fma_f64 v[148:149], -v[206:207], v[4:5], v[148:149]
	v_fma_f64 v[204:205], -v[206:207], v[6:7], v[204:205]
	ds_read2_b64 v[4:7], v53 offset0:33 offset1:34
	s_waitcnt lgkmcnt(0)
	v_fma_f64 v[146:147], -v[206:207], v[4:5], v[146:147]
	v_fma_f64 v[202:203], -v[206:207], v[6:7], v[202:203]
	ds_read2_b64 v[4:7], v53 offset0:35 offset1:36
	s_waitcnt lgkmcnt(0)
	v_fma_f64 v[144:145], -v[206:207], v[4:5], v[144:145]
	v_fma_f64 v[200:201], -v[206:207], v[6:7], v[200:201]
	ds_read2_b64 v[4:7], v53 offset0:37 offset1:38
	s_waitcnt lgkmcnt(0)
	v_fma_f64 v[142:143], -v[206:207], v[4:5], v[142:143]
	v_fma_f64 v[198:199], -v[206:207], v[6:7], v[198:199]
	ds_read2_b64 v[4:7], v53 offset0:39 offset1:40
	s_waitcnt lgkmcnt(0)
	v_fma_f64 v[140:141], -v[206:207], v[4:5], v[140:141]
	v_fma_f64 v[196:197], -v[206:207], v[6:7], v[196:197]
	ds_read2_b64 v[4:7], v53 offset0:41 offset1:42
	s_waitcnt lgkmcnt(0)
	v_fma_f64 v[138:139], -v[206:207], v[4:5], v[138:139]
	v_fma_f64 v[194:195], -v[206:207], v[6:7], v[194:195]
	ds_read2_b64 v[4:7], v53 offset0:43 offset1:44
	s_waitcnt lgkmcnt(0)
	v_fma_f64 v[136:137], -v[206:207], v[4:5], v[136:137]
	v_fma_f64 v[192:193], -v[206:207], v[6:7], v[192:193]
	ds_read2_b64 v[4:7], v53 offset0:45 offset1:46
	s_waitcnt lgkmcnt(0)
	v_fma_f64 v[134:135], -v[206:207], v[4:5], v[134:135]
	v_fma_f64 v[190:191], -v[206:207], v[6:7], v[190:191]
	ds_read2_b64 v[4:7], v53 offset0:47 offset1:48
	s_waitcnt lgkmcnt(0)
	v_fma_f64 v[132:133], -v[206:207], v[4:5], v[132:133]
	v_fma_f64 v[188:189], -v[206:207], v[6:7], v[188:189]
	ds_read2_b64 v[4:7], v53 offset0:49 offset1:50
	s_waitcnt lgkmcnt(0)
	v_fma_f64 v[130:131], -v[206:207], v[4:5], v[130:131]
	v_fma_f64 v[186:187], -v[206:207], v[6:7], v[186:187]
	ds_read2_b64 v[4:7], v53 offset0:51 offset1:52
	s_waitcnt lgkmcnt(0)
	v_fma_f64 v[128:129], -v[206:207], v[4:5], v[128:129]
	v_fma_f64 v[184:185], -v[206:207], v[6:7], v[184:185]
	ds_read2_b64 v[4:7], v53 offset0:53 offset1:54
	s_waitcnt lgkmcnt(0)
	v_fma_f64 v[126:127], -v[206:207], v[4:5], v[126:127]
	v_fma_f64 v[182:183], -v[206:207], v[6:7], v[182:183]
	ds_read2_b64 v[4:7], v53 offset0:55 offset1:56
	s_waitcnt lgkmcnt(0)
	v_fma_f64 v[124:125], -v[206:207], v[4:5], v[124:125]
	v_fma_f64 v[180:181], -v[206:207], v[6:7], v[180:181]
	ds_read2_b64 v[4:7], v53 offset0:57 offset1:58
	s_waitcnt lgkmcnt(0)
	v_fma_f64 v[122:123], -v[206:207], v[4:5], v[122:123]
	s_waitcnt vmcnt(60)
	v_fma_f64 v[236:237], -v[206:207], v[6:7], v[236:237]
.LBB117_156:
	s_or_b64 exec, exec, s[2:3]
	v_cmp_eq_u32_e32 vcc, 31, v54
	s_waitcnt lgkmcnt(0)
	buffer_store_dword v0, off, s[16:19], 0 offset:424 ; 4-byte Folded Spill
	s_nop 0
	buffer_store_dword v1, off, s[16:19], 0 offset:428 ; 4-byte Folded Spill
	s_waitcnt vmcnt(63) expcnt(7) lgkmcnt(15)
	s_barrier
	s_and_saveexec_b64 s[2:3], vcc
	s_cbranch_execz .LBB117_159
; %bb.157:
	v_mov_b32_e32 v0, v204
	v_mov_b32_e32 v1, v205
	;; [unrolled: 1-line block ×4, first 2 shown]
	ds_write_b64 v52, v[148:149]
	ds_write2_b64 v53, v[0:1], v[4:5] offset0:32 offset1:33
	v_mov_b32_e32 v0, v202
	v_mov_b32_e32 v1, v203
	v_mov_b32_e32 v4, v144
	v_mov_b32_e32 v5, v145
	ds_write2_b64 v53, v[0:1], v[4:5] offset0:34 offset1:35
	v_mov_b32_e32 v0, v200
	v_mov_b32_e32 v1, v201
	v_mov_b32_e32 v4, v142
	v_mov_b32_e32 v5, v143
	;; [unrolled: 5-line block ×12, first 2 shown]
	ds_write2_b64 v53, v[0:1], v[4:5] offset0:56 offset1:57
	s_waitcnt vmcnt(62)
	ds_write_b64 v53, v[236:237] offset:464
	ds_read_b64 v[0:1], v52
	s_waitcnt lgkmcnt(0)
	v_cmp_neq_f64_e32 vcc, 0, v[0:1]
	s_and_b64 exec, exec, vcc
	s_cbranch_execz .LBB117_159
; %bb.158:
	v_div_scale_f64 v[4:5], s[6:7], v[0:1], v[0:1], 1.0
	v_rcp_f64_e32 v[6:7], v[4:5]
	v_div_scale_f64 v[8:9], vcc, 1.0, v[0:1], 1.0
	v_fma_f64 v[10:11], -v[4:5], v[6:7], 1.0
	v_fmac_f64_e32 v[6:7], v[6:7], v[10:11]
	v_fma_f64 v[10:11], -v[4:5], v[6:7], 1.0
	v_fmac_f64_e32 v[6:7], v[6:7], v[10:11]
	v_mul_f64 v[10:11], v[8:9], v[6:7]
	v_fma_f64 v[4:5], -v[4:5], v[10:11], v[8:9]
	v_div_fmas_f64 v[4:5], v[4:5], v[6:7], v[10:11]
	v_div_fixup_f64 v[0:1], v[4:5], v[0:1], 1.0
	ds_write_b64 v52, v[0:1]
.LBB117_159:
	s_or_b64 exec, exec, s[2:3]
	s_waitcnt lgkmcnt(0)
	s_barrier
	ds_read_b64 v[0:1], v52
	v_cmp_lt_u32_e32 vcc, 31, v54
	s_waitcnt lgkmcnt(0)
	buffer_store_dword v0, off, s[16:19], 0 offset:392 ; 4-byte Folded Spill
	s_nop 0
	buffer_store_dword v1, off, s[16:19], 0 offset:396 ; 4-byte Folded Spill
	s_and_saveexec_b64 s[2:3], vcc
	s_cbranch_execz .LBB117_161
; %bb.160:
	buffer_load_dword v0, off, s[16:19], 0 offset:392 ; 4-byte Folded Reload
	buffer_load_dword v1, off, s[16:19], 0 offset:396 ; 4-byte Folded Reload
	ds_read2_b64 v[4:7], v53 offset0:32 offset1:33
	s_waitcnt vmcnt(0)
	v_mul_f64 v[148:149], v[0:1], v[148:149]
	ds_read_b64 v[0:1], v53 offset:464
	s_waitcnt lgkmcnt(1)
	v_fma_f64 v[204:205], -v[148:149], v[4:5], v[204:205]
	v_fma_f64 v[146:147], -v[148:149], v[6:7], v[146:147]
	ds_read2_b64 v[4:7], v53 offset0:34 offset1:35
	s_waitcnt lgkmcnt(1)
	v_fma_f64 v[236:237], -v[148:149], v[0:1], v[236:237]
	s_waitcnt lgkmcnt(0)
	v_fma_f64 v[202:203], -v[148:149], v[4:5], v[202:203]
	v_fma_f64 v[144:145], -v[148:149], v[6:7], v[144:145]
	ds_read2_b64 v[4:7], v53 offset0:36 offset1:37
	s_waitcnt lgkmcnt(0)
	v_fma_f64 v[200:201], -v[148:149], v[4:5], v[200:201]
	v_fma_f64 v[142:143], -v[148:149], v[6:7], v[142:143]
	ds_read2_b64 v[4:7], v53 offset0:38 offset1:39
	;; [unrolled: 4-line block ×11, first 2 shown]
	s_waitcnt lgkmcnt(0)
	v_fma_f64 v[180:181], -v[148:149], v[4:5], v[180:181]
	v_fma_f64 v[122:123], -v[148:149], v[6:7], v[122:123]
.LBB117_161:
	s_or_b64 exec, exec, s[2:3]
	v_cmp_eq_u32_e32 vcc, 32, v54
	s_waitcnt vmcnt(63) expcnt(7) lgkmcnt(15)
	s_barrier
	s_and_saveexec_b64 s[2:3], vcc
	s_cbranch_execz .LBB117_164
; %bb.162:
	ds_write_b64 v52, v[204:205]
	ds_write2_b64 v53, v[146:147], v[202:203] offset0:33 offset1:34
	ds_write2_b64 v53, v[144:145], v[200:201] offset0:35 offset1:36
	;; [unrolled: 1-line block ×13, first 2 shown]
	ds_read_b64 v[0:1], v52
	s_waitcnt lgkmcnt(0)
	v_cmp_neq_f64_e32 vcc, 0, v[0:1]
	s_and_b64 exec, exec, vcc
	s_cbranch_execz .LBB117_164
; %bb.163:
	v_div_scale_f64 v[4:5], s[6:7], v[0:1], v[0:1], 1.0
	v_rcp_f64_e32 v[6:7], v[4:5]
	v_div_scale_f64 v[8:9], vcc, 1.0, v[0:1], 1.0
	v_fma_f64 v[10:11], -v[4:5], v[6:7], 1.0
	v_fmac_f64_e32 v[6:7], v[6:7], v[10:11]
	v_fma_f64 v[10:11], -v[4:5], v[6:7], 1.0
	v_fmac_f64_e32 v[6:7], v[6:7], v[10:11]
	v_mul_f64 v[10:11], v[8:9], v[6:7]
	v_fma_f64 v[4:5], -v[4:5], v[10:11], v[8:9]
	v_div_fmas_f64 v[4:5], v[4:5], v[6:7], v[10:11]
	v_div_fixup_f64 v[0:1], v[4:5], v[0:1], 1.0
	ds_write_b64 v52, v[0:1]
.LBB117_164:
	s_or_b64 exec, exec, s[2:3]
	s_waitcnt lgkmcnt(0)
	s_barrier
	ds_read_b64 v[0:1], v52
	v_cmp_lt_u32_e32 vcc, 32, v54
	s_and_saveexec_b64 s[2:3], vcc
	s_cbranch_execz .LBB117_166
; %bb.165:
	ds_read2_b64 v[4:7], v53 offset0:33 offset1:34
	s_waitcnt lgkmcnt(1)
	v_mul_f64 v[204:205], v[0:1], v[204:205]
	s_waitcnt lgkmcnt(0)
	v_fma_f64 v[146:147], -v[204:205], v[4:5], v[146:147]
	v_fma_f64 v[202:203], -v[204:205], v[6:7], v[202:203]
	ds_read2_b64 v[4:7], v53 offset0:35 offset1:36
	s_waitcnt lgkmcnt(0)
	v_fma_f64 v[144:145], -v[204:205], v[4:5], v[144:145]
	v_fma_f64 v[200:201], -v[204:205], v[6:7], v[200:201]
	ds_read2_b64 v[4:7], v53 offset0:37 offset1:38
	;; [unrolled: 4-line block ×12, first 2 shown]
	s_waitcnt lgkmcnt(0)
	v_fma_f64 v[122:123], -v[204:205], v[4:5], v[122:123]
	v_fma_f64 v[236:237], -v[204:205], v[6:7], v[236:237]
.LBB117_166:
	s_or_b64 exec, exec, s[2:3]
	v_cmp_eq_u32_e32 vcc, 33, v54
	s_waitcnt lgkmcnt(0)
	buffer_store_dword v0, off, s[16:19], 0 offset:432 ; 4-byte Folded Spill
	s_nop 0
	buffer_store_dword v1, off, s[16:19], 0 offset:436 ; 4-byte Folded Spill
	s_waitcnt vmcnt(63) expcnt(7) lgkmcnt(15)
	s_barrier
	s_and_saveexec_b64 s[2:3], vcc
	s_cbranch_execz .LBB117_169
; %bb.167:
	v_mov_b32_e32 v0, v202
	v_mov_b32_e32 v1, v203
	v_mov_b32_e32 v4, v144
	v_mov_b32_e32 v5, v145
	ds_write_b64 v52, v[146:147]
	ds_write2_b64 v53, v[0:1], v[4:5] offset0:34 offset1:35
	v_mov_b32_e32 v0, v200
	v_mov_b32_e32 v1, v201
	v_mov_b32_e32 v4, v142
	v_mov_b32_e32 v5, v143
	ds_write2_b64 v53, v[0:1], v[4:5] offset0:36 offset1:37
	v_mov_b32_e32 v0, v198
	v_mov_b32_e32 v1, v199
	v_mov_b32_e32 v4, v140
	v_mov_b32_e32 v5, v141
	;; [unrolled: 5-line block ×11, first 2 shown]
	ds_write2_b64 v53, v[0:1], v[4:5] offset0:56 offset1:57
	ds_write_b64 v53, v[236:237] offset:464
	ds_read_b64 v[0:1], v52
	s_waitcnt lgkmcnt(0)
	v_cmp_neq_f64_e32 vcc, 0, v[0:1]
	s_and_b64 exec, exec, vcc
	s_cbranch_execz .LBB117_169
; %bb.168:
	v_div_scale_f64 v[4:5], s[6:7], v[0:1], v[0:1], 1.0
	v_rcp_f64_e32 v[6:7], v[4:5]
	v_div_scale_f64 v[8:9], vcc, 1.0, v[0:1], 1.0
	v_fma_f64 v[10:11], -v[4:5], v[6:7], 1.0
	v_fmac_f64_e32 v[6:7], v[6:7], v[10:11]
	v_fma_f64 v[10:11], -v[4:5], v[6:7], 1.0
	v_fmac_f64_e32 v[6:7], v[6:7], v[10:11]
	v_mul_f64 v[10:11], v[8:9], v[6:7]
	v_fma_f64 v[4:5], -v[4:5], v[10:11], v[8:9]
	v_div_fmas_f64 v[4:5], v[4:5], v[6:7], v[10:11]
	v_div_fixup_f64 v[0:1], v[4:5], v[0:1], 1.0
	ds_write_b64 v52, v[0:1]
.LBB117_169:
	s_or_b64 exec, exec, s[2:3]
	s_waitcnt lgkmcnt(0)
	s_barrier
	ds_read_b64 v[0:1], v52
	v_cmp_lt_u32_e32 vcc, 33, v54
	s_waitcnt lgkmcnt(0)
	buffer_store_dword v0, off, s[16:19], 0 offset:400 ; 4-byte Folded Spill
	s_nop 0
	buffer_store_dword v1, off, s[16:19], 0 offset:404 ; 4-byte Folded Spill
	s_and_saveexec_b64 s[2:3], vcc
	s_cbranch_execz .LBB117_171
; %bb.170:
	buffer_load_dword v0, off, s[16:19], 0 offset:400 ; 4-byte Folded Reload
	buffer_load_dword v1, off, s[16:19], 0 offset:404 ; 4-byte Folded Reload
	ds_read2_b64 v[4:7], v53 offset0:34 offset1:35
	s_waitcnt vmcnt(0)
	v_mul_f64 v[146:147], v[0:1], v[146:147]
	s_waitcnt lgkmcnt(0)
	v_fma_f64 v[202:203], -v[146:147], v[4:5], v[202:203]
	v_fma_f64 v[144:145], -v[146:147], v[6:7], v[144:145]
	ds_read2_b64 v[4:7], v53 offset0:36 offset1:37
	s_waitcnt lgkmcnt(0)
	v_fma_f64 v[200:201], -v[146:147], v[4:5], v[200:201]
	v_fma_f64 v[142:143], -v[146:147], v[6:7], v[142:143]
	ds_read2_b64 v[4:7], v53 offset0:38 offset1:39
	;; [unrolled: 4-line block ×11, first 2 shown]
	s_waitcnt lgkmcnt(0)
	v_fma_f64 v[180:181], -v[146:147], v[4:5], v[180:181]
	ds_read_b64 v[4:5], v53 offset:464
	v_fma_f64 v[122:123], -v[146:147], v[6:7], v[122:123]
	s_waitcnt lgkmcnt(0)
	v_fma_f64 v[236:237], -v[146:147], v[4:5], v[236:237]
.LBB117_171:
	s_or_b64 exec, exec, s[2:3]
	v_cmp_eq_u32_e32 vcc, 34, v54
	s_waitcnt vmcnt(63) expcnt(7) lgkmcnt(15)
	s_barrier
	s_and_saveexec_b64 s[2:3], vcc
	s_cbranch_execz .LBB117_174
; %bb.172:
	ds_write_b64 v52, v[202:203]
	ds_write2_b64 v53, v[144:145], v[200:201] offset0:35 offset1:36
	ds_write2_b64 v53, v[142:143], v[198:199] offset0:37 offset1:38
	ds_write2_b64 v53, v[140:141], v[196:197] offset0:39 offset1:40
	ds_write2_b64 v53, v[138:139], v[194:195] offset0:41 offset1:42
	ds_write2_b64 v53, v[136:137], v[192:193] offset0:43 offset1:44
	ds_write2_b64 v53, v[134:135], v[190:191] offset0:45 offset1:46
	ds_write2_b64 v53, v[132:133], v[188:189] offset0:47 offset1:48
	ds_write2_b64 v53, v[130:131], v[186:187] offset0:49 offset1:50
	ds_write2_b64 v53, v[128:129], v[184:185] offset0:51 offset1:52
	ds_write2_b64 v53, v[126:127], v[182:183] offset0:53 offset1:54
	ds_write2_b64 v53, v[124:125], v[180:181] offset0:55 offset1:56
	ds_write2_b64 v53, v[122:123], v[236:237] offset0:57 offset1:58
	ds_read_b64 v[4:5], v52
	s_waitcnt lgkmcnt(0)
	v_cmp_neq_f64_e32 vcc, 0, v[4:5]
	s_and_b64 exec, exec, vcc
	s_cbranch_execz .LBB117_174
; %bb.173:
	v_div_scale_f64 v[6:7], s[6:7], v[4:5], v[4:5], 1.0
	v_rcp_f64_e32 v[8:9], v[6:7]
	v_div_scale_f64 v[10:11], vcc, 1.0, v[4:5], 1.0
	v_fma_f64 v[12:13], -v[6:7], v[8:9], 1.0
	v_fmac_f64_e32 v[8:9], v[8:9], v[12:13]
	v_fma_f64 v[12:13], -v[6:7], v[8:9], 1.0
	v_fmac_f64_e32 v[8:9], v[8:9], v[12:13]
	v_mul_f64 v[12:13], v[10:11], v[8:9]
	v_fma_f64 v[6:7], -v[6:7], v[12:13], v[10:11]
	v_div_fmas_f64 v[6:7], v[6:7], v[8:9], v[12:13]
	v_div_fixup_f64 v[4:5], v[6:7], v[4:5], 1.0
	ds_write_b64 v52, v[4:5]
.LBB117_174:
	s_or_b64 exec, exec, s[2:3]
	s_waitcnt lgkmcnt(0)
	s_barrier
	ds_read_b64 v[4:5], v52
	v_cmp_lt_u32_e32 vcc, 34, v54
	s_and_saveexec_b64 s[2:3], vcc
	s_cbranch_execz .LBB117_176
; %bb.175:
	ds_read2_b64 v[6:9], v53 offset0:35 offset1:36
	s_waitcnt lgkmcnt(1)
	v_mul_f64 v[202:203], v[4:5], v[202:203]
	s_waitcnt lgkmcnt(0)
	v_fma_f64 v[144:145], -v[202:203], v[6:7], v[144:145]
	v_fma_f64 v[200:201], -v[202:203], v[8:9], v[200:201]
	ds_read2_b64 v[6:9], v53 offset0:37 offset1:38
	s_waitcnt lgkmcnt(0)
	v_fma_f64 v[142:143], -v[202:203], v[6:7], v[142:143]
	v_fma_f64 v[198:199], -v[202:203], v[8:9], v[198:199]
	ds_read2_b64 v[6:9], v53 offset0:39 offset1:40
	;; [unrolled: 4-line block ×11, first 2 shown]
	s_waitcnt lgkmcnt(0)
	v_fma_f64 v[122:123], -v[202:203], v[6:7], v[122:123]
	v_fma_f64 v[236:237], -v[202:203], v[8:9], v[236:237]
.LBB117_176:
	s_or_b64 exec, exec, s[2:3]
	v_cmp_eq_u32_e32 vcc, 35, v54
	s_waitcnt lgkmcnt(0)
	s_barrier
	s_and_saveexec_b64 s[2:3], vcc
	s_cbranch_execz .LBB117_179
; %bb.177:
	v_mov_b32_e32 v6, v200
	v_mov_b32_e32 v7, v201
	;; [unrolled: 1-line block ×4, first 2 shown]
	ds_write_b64 v52, v[144:145]
	ds_write2_b64 v53, v[6:7], v[8:9] offset0:36 offset1:37
	v_mov_b32_e32 v6, v198
	v_mov_b32_e32 v7, v199
	v_mov_b32_e32 v8, v140
	v_mov_b32_e32 v9, v141
	ds_write2_b64 v53, v[6:7], v[8:9] offset0:38 offset1:39
	v_mov_b32_e32 v6, v196
	v_mov_b32_e32 v7, v197
	v_mov_b32_e32 v8, v138
	v_mov_b32_e32 v9, v139
	;; [unrolled: 5-line block ×10, first 2 shown]
	ds_write2_b64 v53, v[6:7], v[8:9] offset0:56 offset1:57
	ds_write_b64 v53, v[236:237] offset:464
	ds_read_b64 v[6:7], v52
	s_waitcnt lgkmcnt(0)
	v_cmp_neq_f64_e32 vcc, 0, v[6:7]
	s_and_b64 exec, exec, vcc
	s_cbranch_execz .LBB117_179
; %bb.178:
	v_div_scale_f64 v[8:9], s[6:7], v[6:7], v[6:7], 1.0
	v_rcp_f64_e32 v[10:11], v[8:9]
	v_div_scale_f64 v[12:13], vcc, 1.0, v[6:7], 1.0
	v_fma_f64 v[14:15], -v[8:9], v[10:11], 1.0
	v_fmac_f64_e32 v[10:11], v[10:11], v[14:15]
	v_fma_f64 v[14:15], -v[8:9], v[10:11], 1.0
	v_fmac_f64_e32 v[10:11], v[10:11], v[14:15]
	v_mul_f64 v[14:15], v[12:13], v[10:11]
	v_fma_f64 v[8:9], -v[8:9], v[14:15], v[12:13]
	v_div_fmas_f64 v[8:9], v[8:9], v[10:11], v[14:15]
	v_div_fixup_f64 v[6:7], v[8:9], v[6:7], 1.0
	ds_write_b64 v52, v[6:7]
.LBB117_179:
	s_or_b64 exec, exec, s[2:3]
	s_waitcnt lgkmcnt(0)
	s_barrier
	ds_read_b64 v[6:7], v52
	v_cmp_lt_u32_e32 vcc, 35, v54
	s_and_saveexec_b64 s[2:3], vcc
	s_cbranch_execz .LBB117_181
; %bb.180:
	ds_read2_b64 v[8:11], v53 offset0:36 offset1:37
	s_waitcnt lgkmcnt(1)
	v_mul_f64 v[144:145], v[6:7], v[144:145]
	s_waitcnt lgkmcnt(0)
	v_fma_f64 v[200:201], -v[144:145], v[8:9], v[200:201]
	v_fma_f64 v[142:143], -v[144:145], v[10:11], v[142:143]
	ds_read2_b64 v[8:11], v53 offset0:38 offset1:39
	s_waitcnt lgkmcnt(0)
	v_fma_f64 v[198:199], -v[144:145], v[8:9], v[198:199]
	v_fma_f64 v[140:141], -v[144:145], v[10:11], v[140:141]
	ds_read2_b64 v[8:11], v53 offset0:40 offset1:41
	;; [unrolled: 4-line block ×10, first 2 shown]
	s_waitcnt lgkmcnt(0)
	v_fma_f64 v[180:181], -v[144:145], v[8:9], v[180:181]
	ds_read_b64 v[8:9], v53 offset:464
	v_fma_f64 v[122:123], -v[144:145], v[10:11], v[122:123]
	s_waitcnt lgkmcnt(0)
	v_fma_f64 v[236:237], -v[144:145], v[8:9], v[236:237]
.LBB117_181:
	s_or_b64 exec, exec, s[2:3]
	v_cmp_eq_u32_e32 vcc, 36, v54
	s_waitcnt lgkmcnt(0)
	s_barrier
	s_and_saveexec_b64 s[2:3], vcc
	s_cbranch_execz .LBB117_184
; %bb.182:
	ds_write_b64 v52, v[200:201]
	ds_write2_b64 v53, v[142:143], v[198:199] offset0:37 offset1:38
	ds_write2_b64 v53, v[140:141], v[196:197] offset0:39 offset1:40
	;; [unrolled: 1-line block ×11, first 2 shown]
	ds_read_b64 v[8:9], v52
	s_waitcnt lgkmcnt(0)
	v_cmp_neq_f64_e32 vcc, 0, v[8:9]
	s_and_b64 exec, exec, vcc
	s_cbranch_execz .LBB117_184
; %bb.183:
	v_div_scale_f64 v[10:11], s[6:7], v[8:9], v[8:9], 1.0
	v_rcp_f64_e32 v[12:13], v[10:11]
	v_div_scale_f64 v[14:15], vcc, 1.0, v[8:9], 1.0
	v_fma_f64 v[16:17], -v[10:11], v[12:13], 1.0
	v_fmac_f64_e32 v[12:13], v[12:13], v[16:17]
	v_fma_f64 v[16:17], -v[10:11], v[12:13], 1.0
	v_fmac_f64_e32 v[12:13], v[12:13], v[16:17]
	v_mul_f64 v[16:17], v[14:15], v[12:13]
	v_fma_f64 v[10:11], -v[10:11], v[16:17], v[14:15]
	v_div_fmas_f64 v[10:11], v[10:11], v[12:13], v[16:17]
	v_div_fixup_f64 v[8:9], v[10:11], v[8:9], 1.0
	ds_write_b64 v52, v[8:9]
.LBB117_184:
	s_or_b64 exec, exec, s[2:3]
	s_waitcnt lgkmcnt(0)
	s_barrier
	ds_read_b64 v[8:9], v52
	v_cmp_lt_u32_e32 vcc, 36, v54
	s_and_saveexec_b64 s[2:3], vcc
	s_cbranch_execz .LBB117_186
; %bb.185:
	ds_read2_b64 v[10:13], v53 offset0:37 offset1:38
	s_waitcnt lgkmcnt(1)
	v_mul_f64 v[200:201], v[8:9], v[200:201]
	s_waitcnt lgkmcnt(0)
	v_fma_f64 v[142:143], -v[200:201], v[10:11], v[142:143]
	v_fma_f64 v[198:199], -v[200:201], v[12:13], v[198:199]
	ds_read2_b64 v[10:13], v53 offset0:39 offset1:40
	s_waitcnt lgkmcnt(0)
	v_fma_f64 v[140:141], -v[200:201], v[10:11], v[140:141]
	v_fma_f64 v[196:197], -v[200:201], v[12:13], v[196:197]
	ds_read2_b64 v[10:13], v53 offset0:41 offset1:42
	;; [unrolled: 4-line block ×10, first 2 shown]
	s_waitcnt lgkmcnt(0)
	v_fma_f64 v[122:123], -v[200:201], v[10:11], v[122:123]
	v_fma_f64 v[236:237], -v[200:201], v[12:13], v[236:237]
.LBB117_186:
	s_or_b64 exec, exec, s[2:3]
	v_cmp_eq_u32_e32 vcc, 37, v54
	s_waitcnt lgkmcnt(0)
	s_barrier
	s_and_saveexec_b64 s[2:3], vcc
	s_cbranch_execz .LBB117_189
; %bb.187:
	v_mov_b32_e32 v10, v198
	v_mov_b32_e32 v11, v199
	;; [unrolled: 1-line block ×4, first 2 shown]
	ds_write_b64 v52, v[142:143]
	ds_write2_b64 v53, v[10:11], v[12:13] offset0:38 offset1:39
	v_mov_b32_e32 v10, v196
	v_mov_b32_e32 v11, v197
	v_mov_b32_e32 v12, v138
	v_mov_b32_e32 v13, v139
	ds_write2_b64 v53, v[10:11], v[12:13] offset0:40 offset1:41
	v_mov_b32_e32 v10, v194
	v_mov_b32_e32 v11, v195
	v_mov_b32_e32 v12, v136
	v_mov_b32_e32 v13, v137
	ds_write2_b64 v53, v[10:11], v[12:13] offset0:42 offset1:43
	v_mov_b32_e32 v10, v192
	v_mov_b32_e32 v11, v193
	v_mov_b32_e32 v12, v134
	v_mov_b32_e32 v13, v135
	ds_write2_b64 v53, v[10:11], v[12:13] offset0:44 offset1:45
	v_mov_b32_e32 v10, v190
	v_mov_b32_e32 v11, v191
	v_mov_b32_e32 v12, v132
	v_mov_b32_e32 v13, v133
	ds_write2_b64 v53, v[10:11], v[12:13] offset0:46 offset1:47
	v_mov_b32_e32 v10, v188
	v_mov_b32_e32 v11, v189
	v_mov_b32_e32 v12, v130
	v_mov_b32_e32 v13, v131
	ds_write2_b64 v53, v[10:11], v[12:13] offset0:48 offset1:49
	v_mov_b32_e32 v10, v186
	v_mov_b32_e32 v11, v187
	v_mov_b32_e32 v12, v128
	v_mov_b32_e32 v13, v129
	ds_write2_b64 v53, v[10:11], v[12:13] offset0:50 offset1:51
	v_mov_b32_e32 v10, v184
	v_mov_b32_e32 v11, v185
	v_mov_b32_e32 v12, v126
	v_mov_b32_e32 v13, v127
	ds_write2_b64 v53, v[10:11], v[12:13] offset0:52 offset1:53
	v_mov_b32_e32 v10, v182
	v_mov_b32_e32 v11, v183
	v_mov_b32_e32 v12, v124
	v_mov_b32_e32 v13, v125
	ds_write2_b64 v53, v[10:11], v[12:13] offset0:54 offset1:55
	v_mov_b32_e32 v10, v180
	v_mov_b32_e32 v11, v181
	v_mov_b32_e32 v12, v122
	v_mov_b32_e32 v13, v123
	ds_write2_b64 v53, v[10:11], v[12:13] offset0:56 offset1:57
	ds_write_b64 v53, v[236:237] offset:464
	ds_read_b64 v[10:11], v52
	s_waitcnt lgkmcnt(0)
	v_cmp_neq_f64_e32 vcc, 0, v[10:11]
	s_and_b64 exec, exec, vcc
	s_cbranch_execz .LBB117_189
; %bb.188:
	v_div_scale_f64 v[12:13], s[6:7], v[10:11], v[10:11], 1.0
	v_rcp_f64_e32 v[14:15], v[12:13]
	v_div_scale_f64 v[16:17], vcc, 1.0, v[10:11], 1.0
	v_fma_f64 v[18:19], -v[12:13], v[14:15], 1.0
	v_fmac_f64_e32 v[14:15], v[14:15], v[18:19]
	v_fma_f64 v[18:19], -v[12:13], v[14:15], 1.0
	v_fmac_f64_e32 v[14:15], v[14:15], v[18:19]
	v_mul_f64 v[18:19], v[16:17], v[14:15]
	v_fma_f64 v[12:13], -v[12:13], v[18:19], v[16:17]
	v_div_fmas_f64 v[12:13], v[12:13], v[14:15], v[18:19]
	v_div_fixup_f64 v[10:11], v[12:13], v[10:11], 1.0
	ds_write_b64 v52, v[10:11]
.LBB117_189:
	s_or_b64 exec, exec, s[2:3]
	s_waitcnt lgkmcnt(0)
	s_barrier
	ds_read_b64 v[10:11], v52
	v_cmp_lt_u32_e32 vcc, 37, v54
	s_and_saveexec_b64 s[2:3], vcc
	s_cbranch_execz .LBB117_191
; %bb.190:
	ds_read2_b64 v[12:15], v53 offset0:38 offset1:39
	s_waitcnt lgkmcnt(1)
	v_mul_f64 v[142:143], v[10:11], v[142:143]
	s_waitcnt lgkmcnt(0)
	v_fma_f64 v[198:199], -v[142:143], v[12:13], v[198:199]
	v_fma_f64 v[140:141], -v[142:143], v[14:15], v[140:141]
	ds_read2_b64 v[12:15], v53 offset0:40 offset1:41
	s_waitcnt lgkmcnt(0)
	v_fma_f64 v[196:197], -v[142:143], v[12:13], v[196:197]
	v_fma_f64 v[138:139], -v[142:143], v[14:15], v[138:139]
	ds_read2_b64 v[12:15], v53 offset0:42 offset1:43
	;; [unrolled: 4-line block ×9, first 2 shown]
	s_waitcnt lgkmcnt(0)
	v_fma_f64 v[180:181], -v[142:143], v[12:13], v[180:181]
	ds_read_b64 v[12:13], v53 offset:464
	v_fma_f64 v[122:123], -v[142:143], v[14:15], v[122:123]
	s_waitcnt lgkmcnt(0)
	v_fma_f64 v[236:237], -v[142:143], v[12:13], v[236:237]
.LBB117_191:
	s_or_b64 exec, exec, s[2:3]
	v_cmp_eq_u32_e32 vcc, 38, v54
	s_waitcnt lgkmcnt(0)
	s_barrier
	s_and_saveexec_b64 s[2:3], vcc
	s_cbranch_execz .LBB117_194
; %bb.192:
	ds_write_b64 v52, v[198:199]
	ds_write2_b64 v53, v[140:141], v[196:197] offset0:39 offset1:40
	ds_write2_b64 v53, v[138:139], v[194:195] offset0:41 offset1:42
	;; [unrolled: 1-line block ×10, first 2 shown]
	ds_read_b64 v[12:13], v52
	s_waitcnt lgkmcnt(0)
	v_cmp_neq_f64_e32 vcc, 0, v[12:13]
	s_and_b64 exec, exec, vcc
	s_cbranch_execz .LBB117_194
; %bb.193:
	v_div_scale_f64 v[14:15], s[6:7], v[12:13], v[12:13], 1.0
	v_rcp_f64_e32 v[16:17], v[14:15]
	v_div_scale_f64 v[18:19], vcc, 1.0, v[12:13], 1.0
	v_fma_f64 v[20:21], -v[14:15], v[16:17], 1.0
	v_fmac_f64_e32 v[16:17], v[16:17], v[20:21]
	v_fma_f64 v[20:21], -v[14:15], v[16:17], 1.0
	v_fmac_f64_e32 v[16:17], v[16:17], v[20:21]
	v_mul_f64 v[20:21], v[18:19], v[16:17]
	v_fma_f64 v[14:15], -v[14:15], v[20:21], v[18:19]
	v_div_fmas_f64 v[14:15], v[14:15], v[16:17], v[20:21]
	v_div_fixup_f64 v[12:13], v[14:15], v[12:13], 1.0
	ds_write_b64 v52, v[12:13]
.LBB117_194:
	s_or_b64 exec, exec, s[2:3]
	s_waitcnt lgkmcnt(0)
	s_barrier
	ds_read_b64 v[12:13], v52
	v_cmp_lt_u32_e32 vcc, 38, v54
	s_and_saveexec_b64 s[2:3], vcc
	s_cbranch_execz .LBB117_196
; %bb.195:
	ds_read2_b64 v[14:17], v53 offset0:39 offset1:40
	s_waitcnt lgkmcnt(1)
	v_mul_f64 v[198:199], v[12:13], v[198:199]
	s_waitcnt lgkmcnt(0)
	v_fma_f64 v[140:141], -v[198:199], v[14:15], v[140:141]
	v_fma_f64 v[196:197], -v[198:199], v[16:17], v[196:197]
	ds_read2_b64 v[14:17], v53 offset0:41 offset1:42
	s_waitcnt lgkmcnt(0)
	v_fma_f64 v[138:139], -v[198:199], v[14:15], v[138:139]
	v_fma_f64 v[194:195], -v[198:199], v[16:17], v[194:195]
	ds_read2_b64 v[14:17], v53 offset0:43 offset1:44
	;; [unrolled: 4-line block ×9, first 2 shown]
	s_waitcnt lgkmcnt(0)
	v_fma_f64 v[122:123], -v[198:199], v[14:15], v[122:123]
	v_fma_f64 v[236:237], -v[198:199], v[16:17], v[236:237]
.LBB117_196:
	s_or_b64 exec, exec, s[2:3]
	v_cmp_eq_u32_e32 vcc, 39, v54
	s_waitcnt lgkmcnt(0)
	s_barrier
	s_and_saveexec_b64 s[2:3], vcc
	s_cbranch_execz .LBB117_199
; %bb.197:
	v_mov_b32_e32 v14, v196
	v_mov_b32_e32 v15, v197
	;; [unrolled: 1-line block ×4, first 2 shown]
	ds_write_b64 v52, v[140:141]
	ds_write2_b64 v53, v[14:15], v[16:17] offset0:40 offset1:41
	v_mov_b32_e32 v14, v194
	v_mov_b32_e32 v15, v195
	v_mov_b32_e32 v16, v136
	v_mov_b32_e32 v17, v137
	ds_write2_b64 v53, v[14:15], v[16:17] offset0:42 offset1:43
	v_mov_b32_e32 v14, v192
	v_mov_b32_e32 v15, v193
	v_mov_b32_e32 v16, v134
	v_mov_b32_e32 v17, v135
	ds_write2_b64 v53, v[14:15], v[16:17] offset0:44 offset1:45
	v_mov_b32_e32 v14, v190
	v_mov_b32_e32 v15, v191
	v_mov_b32_e32 v16, v132
	v_mov_b32_e32 v17, v133
	ds_write2_b64 v53, v[14:15], v[16:17] offset0:46 offset1:47
	v_mov_b32_e32 v14, v188
	v_mov_b32_e32 v15, v189
	v_mov_b32_e32 v16, v130
	v_mov_b32_e32 v17, v131
	ds_write2_b64 v53, v[14:15], v[16:17] offset0:48 offset1:49
	v_mov_b32_e32 v14, v186
	v_mov_b32_e32 v15, v187
	v_mov_b32_e32 v16, v128
	v_mov_b32_e32 v17, v129
	ds_write2_b64 v53, v[14:15], v[16:17] offset0:50 offset1:51
	v_mov_b32_e32 v14, v184
	v_mov_b32_e32 v15, v185
	v_mov_b32_e32 v16, v126
	v_mov_b32_e32 v17, v127
	ds_write2_b64 v53, v[14:15], v[16:17] offset0:52 offset1:53
	v_mov_b32_e32 v14, v182
	v_mov_b32_e32 v15, v183
	v_mov_b32_e32 v16, v124
	v_mov_b32_e32 v17, v125
	ds_write2_b64 v53, v[14:15], v[16:17] offset0:54 offset1:55
	v_mov_b32_e32 v14, v180
	v_mov_b32_e32 v15, v181
	v_mov_b32_e32 v16, v122
	v_mov_b32_e32 v17, v123
	ds_write2_b64 v53, v[14:15], v[16:17] offset0:56 offset1:57
	ds_write_b64 v53, v[236:237] offset:464
	ds_read_b64 v[14:15], v52
	s_waitcnt lgkmcnt(0)
	v_cmp_neq_f64_e32 vcc, 0, v[14:15]
	s_and_b64 exec, exec, vcc
	s_cbranch_execz .LBB117_199
; %bb.198:
	v_div_scale_f64 v[16:17], s[6:7], v[14:15], v[14:15], 1.0
	v_rcp_f64_e32 v[18:19], v[16:17]
	v_div_scale_f64 v[20:21], vcc, 1.0, v[14:15], 1.0
	v_fma_f64 v[22:23], -v[16:17], v[18:19], 1.0
	v_fmac_f64_e32 v[18:19], v[18:19], v[22:23]
	v_fma_f64 v[22:23], -v[16:17], v[18:19], 1.0
	v_fmac_f64_e32 v[18:19], v[18:19], v[22:23]
	v_mul_f64 v[22:23], v[20:21], v[18:19]
	v_fma_f64 v[16:17], -v[16:17], v[22:23], v[20:21]
	v_div_fmas_f64 v[16:17], v[16:17], v[18:19], v[22:23]
	v_div_fixup_f64 v[14:15], v[16:17], v[14:15], 1.0
	ds_write_b64 v52, v[14:15]
.LBB117_199:
	s_or_b64 exec, exec, s[2:3]
	s_waitcnt lgkmcnt(0)
	s_barrier
	ds_read_b64 v[14:15], v52
	v_cmp_lt_u32_e32 vcc, 39, v54
	s_and_saveexec_b64 s[2:3], vcc
	s_cbranch_execz .LBB117_201
; %bb.200:
	ds_read2_b64 v[16:19], v53 offset0:40 offset1:41
	s_waitcnt lgkmcnt(1)
	v_mul_f64 v[140:141], v[14:15], v[140:141]
	s_waitcnt lgkmcnt(0)
	v_fma_f64 v[196:197], -v[140:141], v[16:17], v[196:197]
	v_fma_f64 v[138:139], -v[140:141], v[18:19], v[138:139]
	ds_read2_b64 v[16:19], v53 offset0:42 offset1:43
	s_waitcnt lgkmcnt(0)
	v_fma_f64 v[194:195], -v[140:141], v[16:17], v[194:195]
	v_fma_f64 v[136:137], -v[140:141], v[18:19], v[136:137]
	ds_read2_b64 v[16:19], v53 offset0:44 offset1:45
	;; [unrolled: 4-line block ×8, first 2 shown]
	s_waitcnt lgkmcnt(0)
	v_fma_f64 v[180:181], -v[140:141], v[16:17], v[180:181]
	ds_read_b64 v[16:17], v53 offset:464
	v_fma_f64 v[122:123], -v[140:141], v[18:19], v[122:123]
	s_waitcnt lgkmcnt(0)
	v_fma_f64 v[236:237], -v[140:141], v[16:17], v[236:237]
.LBB117_201:
	s_or_b64 exec, exec, s[2:3]
	v_cmp_eq_u32_e32 vcc, 40, v54
	s_waitcnt lgkmcnt(0)
	s_barrier
	s_and_saveexec_b64 s[2:3], vcc
	s_cbranch_execz .LBB117_204
; %bb.202:
	ds_write_b64 v52, v[196:197]
	ds_write2_b64 v53, v[138:139], v[194:195] offset0:41 offset1:42
	ds_write2_b64 v53, v[136:137], v[192:193] offset0:43 offset1:44
	;; [unrolled: 1-line block ×9, first 2 shown]
	ds_read_b64 v[16:17], v52
	s_waitcnt lgkmcnt(0)
	v_cmp_neq_f64_e32 vcc, 0, v[16:17]
	s_and_b64 exec, exec, vcc
	s_cbranch_execz .LBB117_204
; %bb.203:
	v_div_scale_f64 v[18:19], s[6:7], v[16:17], v[16:17], 1.0
	v_rcp_f64_e32 v[20:21], v[18:19]
	v_div_scale_f64 v[22:23], vcc, 1.0, v[16:17], 1.0
	v_fma_f64 v[24:25], -v[18:19], v[20:21], 1.0
	v_fmac_f64_e32 v[20:21], v[20:21], v[24:25]
	v_fma_f64 v[24:25], -v[18:19], v[20:21], 1.0
	v_fmac_f64_e32 v[20:21], v[20:21], v[24:25]
	v_mul_f64 v[24:25], v[22:23], v[20:21]
	v_fma_f64 v[18:19], -v[18:19], v[24:25], v[22:23]
	v_div_fmas_f64 v[18:19], v[18:19], v[20:21], v[24:25]
	v_div_fixup_f64 v[16:17], v[18:19], v[16:17], 1.0
	ds_write_b64 v52, v[16:17]
.LBB117_204:
	s_or_b64 exec, exec, s[2:3]
	s_waitcnt lgkmcnt(0)
	s_barrier
	ds_read_b64 v[16:17], v52
	v_cmp_lt_u32_e32 vcc, 40, v54
	s_and_saveexec_b64 s[2:3], vcc
	s_cbranch_execz .LBB117_206
; %bb.205:
	ds_read2_b64 v[18:21], v53 offset0:41 offset1:42
	s_waitcnt lgkmcnt(1)
	v_mul_f64 v[196:197], v[16:17], v[196:197]
	s_waitcnt lgkmcnt(0)
	v_fma_f64 v[138:139], -v[196:197], v[18:19], v[138:139]
	v_fma_f64 v[194:195], -v[196:197], v[20:21], v[194:195]
	ds_read2_b64 v[18:21], v53 offset0:43 offset1:44
	s_waitcnt lgkmcnt(0)
	v_fma_f64 v[136:137], -v[196:197], v[18:19], v[136:137]
	v_fma_f64 v[192:193], -v[196:197], v[20:21], v[192:193]
	ds_read2_b64 v[18:21], v53 offset0:45 offset1:46
	;; [unrolled: 4-line block ×8, first 2 shown]
	s_waitcnt lgkmcnt(0)
	v_fma_f64 v[122:123], -v[196:197], v[18:19], v[122:123]
	v_fma_f64 v[236:237], -v[196:197], v[20:21], v[236:237]
.LBB117_206:
	s_or_b64 exec, exec, s[2:3]
	v_cmp_eq_u32_e32 vcc, 41, v54
	s_waitcnt lgkmcnt(0)
	s_barrier
	s_and_saveexec_b64 s[2:3], vcc
	s_cbranch_execz .LBB117_209
; %bb.207:
	v_mov_b32_e32 v18, v194
	v_mov_b32_e32 v19, v195
	;; [unrolled: 1-line block ×4, first 2 shown]
	ds_write_b64 v52, v[138:139]
	ds_write2_b64 v53, v[18:19], v[20:21] offset0:42 offset1:43
	v_mov_b32_e32 v18, v192
	v_mov_b32_e32 v19, v193
	v_mov_b32_e32 v20, v134
	v_mov_b32_e32 v21, v135
	ds_write2_b64 v53, v[18:19], v[20:21] offset0:44 offset1:45
	v_mov_b32_e32 v18, v190
	v_mov_b32_e32 v19, v191
	v_mov_b32_e32 v20, v132
	v_mov_b32_e32 v21, v133
	;; [unrolled: 5-line block ×7, first 2 shown]
	ds_write2_b64 v53, v[18:19], v[20:21] offset0:56 offset1:57
	ds_write_b64 v53, v[236:237] offset:464
	ds_read_b64 v[18:19], v52
	s_waitcnt lgkmcnt(0)
	v_cmp_neq_f64_e32 vcc, 0, v[18:19]
	s_and_b64 exec, exec, vcc
	s_cbranch_execz .LBB117_209
; %bb.208:
	v_div_scale_f64 v[20:21], s[6:7], v[18:19], v[18:19], 1.0
	v_rcp_f64_e32 v[22:23], v[20:21]
	v_div_scale_f64 v[24:25], vcc, 1.0, v[18:19], 1.0
	v_fma_f64 v[26:27], -v[20:21], v[22:23], 1.0
	v_fmac_f64_e32 v[22:23], v[22:23], v[26:27]
	v_fma_f64 v[26:27], -v[20:21], v[22:23], 1.0
	v_fmac_f64_e32 v[22:23], v[22:23], v[26:27]
	v_mul_f64 v[26:27], v[24:25], v[22:23]
	v_fma_f64 v[20:21], -v[20:21], v[26:27], v[24:25]
	v_div_fmas_f64 v[20:21], v[20:21], v[22:23], v[26:27]
	v_div_fixup_f64 v[18:19], v[20:21], v[18:19], 1.0
	ds_write_b64 v52, v[18:19]
.LBB117_209:
	s_or_b64 exec, exec, s[2:3]
	s_waitcnt lgkmcnt(0)
	s_barrier
	ds_read_b64 v[18:19], v52
	v_cmp_lt_u32_e32 vcc, 41, v54
	s_and_saveexec_b64 s[2:3], vcc
	s_cbranch_execz .LBB117_211
; %bb.210:
	ds_read2_b64 v[20:23], v53 offset0:42 offset1:43
	s_waitcnt lgkmcnt(1)
	v_mul_f64 v[138:139], v[18:19], v[138:139]
	s_waitcnt lgkmcnt(0)
	v_fma_f64 v[194:195], -v[138:139], v[20:21], v[194:195]
	v_fma_f64 v[136:137], -v[138:139], v[22:23], v[136:137]
	ds_read2_b64 v[20:23], v53 offset0:44 offset1:45
	s_waitcnt lgkmcnt(0)
	v_fma_f64 v[192:193], -v[138:139], v[20:21], v[192:193]
	v_fma_f64 v[134:135], -v[138:139], v[22:23], v[134:135]
	ds_read2_b64 v[20:23], v53 offset0:46 offset1:47
	;; [unrolled: 4-line block ×7, first 2 shown]
	s_waitcnt lgkmcnt(0)
	v_fma_f64 v[180:181], -v[138:139], v[20:21], v[180:181]
	ds_read_b64 v[20:21], v53 offset:464
	v_fma_f64 v[122:123], -v[138:139], v[22:23], v[122:123]
	s_waitcnt lgkmcnt(0)
	v_fma_f64 v[236:237], -v[138:139], v[20:21], v[236:237]
.LBB117_211:
	s_or_b64 exec, exec, s[2:3]
	v_cmp_eq_u32_e32 vcc, 42, v54
	s_waitcnt lgkmcnt(0)
	s_barrier
	s_and_saveexec_b64 s[2:3], vcc
	s_cbranch_execz .LBB117_214
; %bb.212:
	ds_write_b64 v52, v[194:195]
	ds_write2_b64 v53, v[136:137], v[192:193] offset0:43 offset1:44
	ds_write2_b64 v53, v[134:135], v[190:191] offset0:45 offset1:46
	;; [unrolled: 1-line block ×8, first 2 shown]
	ds_read_b64 v[20:21], v52
	s_waitcnt lgkmcnt(0)
	v_cmp_neq_f64_e32 vcc, 0, v[20:21]
	s_and_b64 exec, exec, vcc
	s_cbranch_execz .LBB117_214
; %bb.213:
	v_div_scale_f64 v[22:23], s[6:7], v[20:21], v[20:21], 1.0
	v_rcp_f64_e32 v[24:25], v[22:23]
	v_div_scale_f64 v[26:27], vcc, 1.0, v[20:21], 1.0
	v_fma_f64 v[28:29], -v[22:23], v[24:25], 1.0
	v_fmac_f64_e32 v[24:25], v[24:25], v[28:29]
	v_fma_f64 v[28:29], -v[22:23], v[24:25], 1.0
	v_fmac_f64_e32 v[24:25], v[24:25], v[28:29]
	v_mul_f64 v[28:29], v[26:27], v[24:25]
	v_fma_f64 v[22:23], -v[22:23], v[28:29], v[26:27]
	v_div_fmas_f64 v[22:23], v[22:23], v[24:25], v[28:29]
	v_div_fixup_f64 v[20:21], v[22:23], v[20:21], 1.0
	ds_write_b64 v52, v[20:21]
.LBB117_214:
	s_or_b64 exec, exec, s[2:3]
	s_waitcnt lgkmcnt(0)
	s_barrier
	ds_read_b64 v[20:21], v52
	v_cmp_lt_u32_e32 vcc, 42, v54
	s_and_saveexec_b64 s[2:3], vcc
	s_cbranch_execz .LBB117_216
; %bb.215:
	ds_read2_b64 v[22:25], v53 offset0:43 offset1:44
	s_waitcnt lgkmcnt(1)
	v_mul_f64 v[194:195], v[20:21], v[194:195]
	s_waitcnt lgkmcnt(0)
	v_fma_f64 v[136:137], -v[194:195], v[22:23], v[136:137]
	v_fma_f64 v[192:193], -v[194:195], v[24:25], v[192:193]
	ds_read2_b64 v[22:25], v53 offset0:45 offset1:46
	s_waitcnt lgkmcnt(0)
	v_fma_f64 v[134:135], -v[194:195], v[22:23], v[134:135]
	v_fma_f64 v[190:191], -v[194:195], v[24:25], v[190:191]
	ds_read2_b64 v[22:25], v53 offset0:47 offset1:48
	;; [unrolled: 4-line block ×7, first 2 shown]
	s_waitcnt lgkmcnt(0)
	v_fma_f64 v[122:123], -v[194:195], v[22:23], v[122:123]
	v_fma_f64 v[236:237], -v[194:195], v[24:25], v[236:237]
.LBB117_216:
	s_or_b64 exec, exec, s[2:3]
	v_cmp_eq_u32_e32 vcc, 43, v54
	s_waitcnt lgkmcnt(0)
	s_barrier
	s_and_saveexec_b64 s[2:3], vcc
	s_cbranch_execz .LBB117_219
; %bb.217:
	v_mov_b32_e32 v22, v192
	v_mov_b32_e32 v23, v193
	;; [unrolled: 1-line block ×4, first 2 shown]
	ds_write_b64 v52, v[136:137]
	ds_write2_b64 v53, v[22:23], v[24:25] offset0:44 offset1:45
	v_mov_b32_e32 v22, v190
	v_mov_b32_e32 v23, v191
	v_mov_b32_e32 v24, v132
	v_mov_b32_e32 v25, v133
	ds_write2_b64 v53, v[22:23], v[24:25] offset0:46 offset1:47
	v_mov_b32_e32 v22, v188
	v_mov_b32_e32 v23, v189
	v_mov_b32_e32 v24, v130
	v_mov_b32_e32 v25, v131
	ds_write2_b64 v53, v[22:23], v[24:25] offset0:48 offset1:49
	v_mov_b32_e32 v22, v186
	v_mov_b32_e32 v23, v187
	v_mov_b32_e32 v24, v128
	v_mov_b32_e32 v25, v129
	ds_write2_b64 v53, v[22:23], v[24:25] offset0:50 offset1:51
	v_mov_b32_e32 v22, v184
	v_mov_b32_e32 v23, v185
	v_mov_b32_e32 v24, v126
	v_mov_b32_e32 v25, v127
	ds_write2_b64 v53, v[22:23], v[24:25] offset0:52 offset1:53
	v_mov_b32_e32 v22, v182
	v_mov_b32_e32 v23, v183
	v_mov_b32_e32 v24, v124
	v_mov_b32_e32 v25, v125
	ds_write2_b64 v53, v[22:23], v[24:25] offset0:54 offset1:55
	v_mov_b32_e32 v22, v180
	v_mov_b32_e32 v23, v181
	v_mov_b32_e32 v24, v122
	v_mov_b32_e32 v25, v123
	ds_write2_b64 v53, v[22:23], v[24:25] offset0:56 offset1:57
	ds_write_b64 v53, v[236:237] offset:464
	ds_read_b64 v[22:23], v52
	s_waitcnt lgkmcnt(0)
	v_cmp_neq_f64_e32 vcc, 0, v[22:23]
	s_and_b64 exec, exec, vcc
	s_cbranch_execz .LBB117_219
; %bb.218:
	v_div_scale_f64 v[24:25], s[6:7], v[22:23], v[22:23], 1.0
	v_rcp_f64_e32 v[26:27], v[24:25]
	v_div_scale_f64 v[28:29], vcc, 1.0, v[22:23], 1.0
	v_fma_f64 v[30:31], -v[24:25], v[26:27], 1.0
	v_fmac_f64_e32 v[26:27], v[26:27], v[30:31]
	v_fma_f64 v[30:31], -v[24:25], v[26:27], 1.0
	v_fmac_f64_e32 v[26:27], v[26:27], v[30:31]
	v_mul_f64 v[30:31], v[28:29], v[26:27]
	v_fma_f64 v[24:25], -v[24:25], v[30:31], v[28:29]
	v_div_fmas_f64 v[24:25], v[24:25], v[26:27], v[30:31]
	v_div_fixup_f64 v[22:23], v[24:25], v[22:23], 1.0
	ds_write_b64 v52, v[22:23]
.LBB117_219:
	s_or_b64 exec, exec, s[2:3]
	s_waitcnt lgkmcnt(0)
	s_barrier
	ds_read_b64 v[22:23], v52
	v_cmp_lt_u32_e32 vcc, 43, v54
	s_and_saveexec_b64 s[2:3], vcc
	s_cbranch_execz .LBB117_221
; %bb.220:
	ds_read2_b64 v[24:27], v53 offset0:44 offset1:45
	s_waitcnt lgkmcnt(1)
	v_mul_f64 v[136:137], v[22:23], v[136:137]
	s_waitcnt lgkmcnt(0)
	v_fma_f64 v[192:193], -v[136:137], v[24:25], v[192:193]
	v_fma_f64 v[134:135], -v[136:137], v[26:27], v[134:135]
	ds_read2_b64 v[24:27], v53 offset0:46 offset1:47
	s_waitcnt lgkmcnt(0)
	v_fma_f64 v[190:191], -v[136:137], v[24:25], v[190:191]
	v_fma_f64 v[132:133], -v[136:137], v[26:27], v[132:133]
	ds_read2_b64 v[24:27], v53 offset0:48 offset1:49
	;; [unrolled: 4-line block ×6, first 2 shown]
	s_waitcnt lgkmcnt(0)
	v_fma_f64 v[180:181], -v[136:137], v[24:25], v[180:181]
	ds_read_b64 v[24:25], v53 offset:464
	v_fma_f64 v[122:123], -v[136:137], v[26:27], v[122:123]
	s_waitcnt lgkmcnt(0)
	v_fma_f64 v[236:237], -v[136:137], v[24:25], v[236:237]
.LBB117_221:
	s_or_b64 exec, exec, s[2:3]
	v_cmp_eq_u32_e32 vcc, 44, v54
	s_waitcnt lgkmcnt(0)
	s_barrier
	s_and_saveexec_b64 s[2:3], vcc
	s_cbranch_execz .LBB117_224
; %bb.222:
	ds_write_b64 v52, v[192:193]
	ds_write2_b64 v53, v[134:135], v[190:191] offset0:45 offset1:46
	ds_write2_b64 v53, v[132:133], v[188:189] offset0:47 offset1:48
	;; [unrolled: 1-line block ×7, first 2 shown]
	ds_read_b64 v[24:25], v52
	s_waitcnt lgkmcnt(0)
	v_cmp_neq_f64_e32 vcc, 0, v[24:25]
	s_and_b64 exec, exec, vcc
	s_cbranch_execz .LBB117_224
; %bb.223:
	v_div_scale_f64 v[26:27], s[6:7], v[24:25], v[24:25], 1.0
	v_rcp_f64_e32 v[28:29], v[26:27]
	v_div_scale_f64 v[30:31], vcc, 1.0, v[24:25], 1.0
	v_fma_f64 v[32:33], -v[26:27], v[28:29], 1.0
	v_fmac_f64_e32 v[28:29], v[28:29], v[32:33]
	v_fma_f64 v[32:33], -v[26:27], v[28:29], 1.0
	v_fmac_f64_e32 v[28:29], v[28:29], v[32:33]
	v_mul_f64 v[32:33], v[30:31], v[28:29]
	v_fma_f64 v[26:27], -v[26:27], v[32:33], v[30:31]
	v_div_fmas_f64 v[26:27], v[26:27], v[28:29], v[32:33]
	v_div_fixup_f64 v[24:25], v[26:27], v[24:25], 1.0
	ds_write_b64 v52, v[24:25]
.LBB117_224:
	s_or_b64 exec, exec, s[2:3]
	s_waitcnt lgkmcnt(0)
	s_barrier
	ds_read_b64 v[24:25], v52
	v_cmp_lt_u32_e32 vcc, 44, v54
	s_and_saveexec_b64 s[2:3], vcc
	s_cbranch_execz .LBB117_226
; %bb.225:
	ds_read2_b64 v[26:29], v53 offset0:45 offset1:46
	s_waitcnt lgkmcnt(1)
	v_mul_f64 v[192:193], v[24:25], v[192:193]
	s_waitcnt lgkmcnt(0)
	v_fma_f64 v[134:135], -v[192:193], v[26:27], v[134:135]
	v_fma_f64 v[190:191], -v[192:193], v[28:29], v[190:191]
	ds_read2_b64 v[26:29], v53 offset0:47 offset1:48
	s_waitcnt lgkmcnt(0)
	v_fma_f64 v[132:133], -v[192:193], v[26:27], v[132:133]
	v_fma_f64 v[188:189], -v[192:193], v[28:29], v[188:189]
	ds_read2_b64 v[26:29], v53 offset0:49 offset1:50
	;; [unrolled: 4-line block ×6, first 2 shown]
	s_waitcnt lgkmcnt(0)
	v_fma_f64 v[122:123], -v[192:193], v[26:27], v[122:123]
	v_fma_f64 v[236:237], -v[192:193], v[28:29], v[236:237]
.LBB117_226:
	s_or_b64 exec, exec, s[2:3]
	v_cmp_eq_u32_e32 vcc, 45, v54
	s_waitcnt lgkmcnt(0)
	s_barrier
	s_and_saveexec_b64 s[2:3], vcc
	s_cbranch_execz .LBB117_229
; %bb.227:
	v_mov_b32_e32 v26, v190
	v_mov_b32_e32 v27, v191
	;; [unrolled: 1-line block ×4, first 2 shown]
	ds_write_b64 v52, v[134:135]
	ds_write2_b64 v53, v[26:27], v[28:29] offset0:46 offset1:47
	v_mov_b32_e32 v26, v188
	v_mov_b32_e32 v27, v189
	v_mov_b32_e32 v28, v130
	v_mov_b32_e32 v29, v131
	ds_write2_b64 v53, v[26:27], v[28:29] offset0:48 offset1:49
	v_mov_b32_e32 v26, v186
	v_mov_b32_e32 v27, v187
	v_mov_b32_e32 v28, v128
	v_mov_b32_e32 v29, v129
	;; [unrolled: 5-line block ×5, first 2 shown]
	ds_write2_b64 v53, v[26:27], v[28:29] offset0:56 offset1:57
	ds_write_b64 v53, v[236:237] offset:464
	ds_read_b64 v[26:27], v52
	s_waitcnt lgkmcnt(0)
	v_cmp_neq_f64_e32 vcc, 0, v[26:27]
	s_and_b64 exec, exec, vcc
	s_cbranch_execz .LBB117_229
; %bb.228:
	v_div_scale_f64 v[28:29], s[6:7], v[26:27], v[26:27], 1.0
	v_rcp_f64_e32 v[30:31], v[28:29]
	v_div_scale_f64 v[32:33], vcc, 1.0, v[26:27], 1.0
	v_fma_f64 v[34:35], -v[28:29], v[30:31], 1.0
	v_fmac_f64_e32 v[30:31], v[30:31], v[34:35]
	v_fma_f64 v[34:35], -v[28:29], v[30:31], 1.0
	v_fmac_f64_e32 v[30:31], v[30:31], v[34:35]
	v_mul_f64 v[34:35], v[32:33], v[30:31]
	v_fma_f64 v[28:29], -v[28:29], v[34:35], v[32:33]
	v_div_fmas_f64 v[28:29], v[28:29], v[30:31], v[34:35]
	v_div_fixup_f64 v[26:27], v[28:29], v[26:27], 1.0
	ds_write_b64 v52, v[26:27]
.LBB117_229:
	s_or_b64 exec, exec, s[2:3]
	s_waitcnt lgkmcnt(0)
	s_barrier
	ds_read_b64 v[26:27], v52
	v_cmp_lt_u32_e32 vcc, 45, v54
	s_and_saveexec_b64 s[2:3], vcc
	s_cbranch_execz .LBB117_231
; %bb.230:
	ds_read2_b64 v[28:31], v53 offset0:46 offset1:47
	s_waitcnt lgkmcnt(1)
	v_mul_f64 v[134:135], v[26:27], v[134:135]
	s_waitcnt lgkmcnt(0)
	v_fma_f64 v[190:191], -v[134:135], v[28:29], v[190:191]
	v_fma_f64 v[132:133], -v[134:135], v[30:31], v[132:133]
	ds_read2_b64 v[28:31], v53 offset0:48 offset1:49
	s_waitcnt lgkmcnt(0)
	v_fma_f64 v[188:189], -v[134:135], v[28:29], v[188:189]
	v_fma_f64 v[130:131], -v[134:135], v[30:31], v[130:131]
	ds_read2_b64 v[28:31], v53 offset0:50 offset1:51
	;; [unrolled: 4-line block ×5, first 2 shown]
	s_waitcnt lgkmcnt(0)
	v_fma_f64 v[180:181], -v[134:135], v[28:29], v[180:181]
	ds_read_b64 v[28:29], v53 offset:464
	v_fma_f64 v[122:123], -v[134:135], v[30:31], v[122:123]
	s_waitcnt lgkmcnt(0)
	v_fma_f64 v[236:237], -v[134:135], v[28:29], v[236:237]
.LBB117_231:
	s_or_b64 exec, exec, s[2:3]
	v_cmp_eq_u32_e32 vcc, 46, v54
	s_waitcnt lgkmcnt(0)
	s_barrier
	s_and_saveexec_b64 s[2:3], vcc
	s_cbranch_execz .LBB117_234
; %bb.232:
	ds_write_b64 v52, v[190:191]
	ds_write2_b64 v53, v[132:133], v[188:189] offset0:47 offset1:48
	ds_write2_b64 v53, v[130:131], v[186:187] offset0:49 offset1:50
	;; [unrolled: 1-line block ×6, first 2 shown]
	ds_read_b64 v[28:29], v52
	s_waitcnt lgkmcnt(0)
	v_cmp_neq_f64_e32 vcc, 0, v[28:29]
	s_and_b64 exec, exec, vcc
	s_cbranch_execz .LBB117_234
; %bb.233:
	v_div_scale_f64 v[30:31], s[6:7], v[28:29], v[28:29], 1.0
	v_rcp_f64_e32 v[32:33], v[30:31]
	v_div_scale_f64 v[34:35], vcc, 1.0, v[28:29], 1.0
	v_fma_f64 v[36:37], -v[30:31], v[32:33], 1.0
	v_fmac_f64_e32 v[32:33], v[32:33], v[36:37]
	v_fma_f64 v[36:37], -v[30:31], v[32:33], 1.0
	v_fmac_f64_e32 v[32:33], v[32:33], v[36:37]
	v_mul_f64 v[36:37], v[34:35], v[32:33]
	v_fma_f64 v[30:31], -v[30:31], v[36:37], v[34:35]
	v_div_fmas_f64 v[30:31], v[30:31], v[32:33], v[36:37]
	v_div_fixup_f64 v[28:29], v[30:31], v[28:29], 1.0
	ds_write_b64 v52, v[28:29]
.LBB117_234:
	s_or_b64 exec, exec, s[2:3]
	s_waitcnt lgkmcnt(0)
	s_barrier
	ds_read_b64 v[28:29], v52
	v_cmp_lt_u32_e32 vcc, 46, v54
	s_and_saveexec_b64 s[2:3], vcc
	s_cbranch_execz .LBB117_236
; %bb.235:
	ds_read2_b64 v[30:33], v53 offset0:47 offset1:48
	s_waitcnt lgkmcnt(1)
	v_mul_f64 v[190:191], v[28:29], v[190:191]
	s_waitcnt lgkmcnt(0)
	v_fma_f64 v[132:133], -v[190:191], v[30:31], v[132:133]
	v_fma_f64 v[188:189], -v[190:191], v[32:33], v[188:189]
	ds_read2_b64 v[30:33], v53 offset0:49 offset1:50
	s_waitcnt lgkmcnt(0)
	v_fma_f64 v[130:131], -v[190:191], v[30:31], v[130:131]
	v_fma_f64 v[186:187], -v[190:191], v[32:33], v[186:187]
	ds_read2_b64 v[30:33], v53 offset0:51 offset1:52
	;; [unrolled: 4-line block ×5, first 2 shown]
	s_waitcnt lgkmcnt(0)
	v_fma_f64 v[122:123], -v[190:191], v[30:31], v[122:123]
	v_fma_f64 v[236:237], -v[190:191], v[32:33], v[236:237]
.LBB117_236:
	s_or_b64 exec, exec, s[2:3]
	v_cmp_eq_u32_e32 vcc, 47, v54
	s_waitcnt lgkmcnt(0)
	s_barrier
	s_and_saveexec_b64 s[2:3], vcc
	s_cbranch_execz .LBB117_239
; %bb.237:
	v_mov_b32_e32 v30, v188
	v_mov_b32_e32 v31, v189
	;; [unrolled: 1-line block ×4, first 2 shown]
	ds_write_b64 v52, v[132:133]
	ds_write2_b64 v53, v[30:31], v[32:33] offset0:48 offset1:49
	v_mov_b32_e32 v30, v186
	v_mov_b32_e32 v31, v187
	v_mov_b32_e32 v32, v128
	v_mov_b32_e32 v33, v129
	ds_write2_b64 v53, v[30:31], v[32:33] offset0:50 offset1:51
	v_mov_b32_e32 v30, v184
	v_mov_b32_e32 v31, v185
	v_mov_b32_e32 v32, v126
	v_mov_b32_e32 v33, v127
	;; [unrolled: 5-line block ×4, first 2 shown]
	ds_write2_b64 v53, v[30:31], v[32:33] offset0:56 offset1:57
	ds_write_b64 v53, v[236:237] offset:464
	ds_read_b64 v[30:31], v52
	s_waitcnt lgkmcnt(0)
	v_cmp_neq_f64_e32 vcc, 0, v[30:31]
	s_and_b64 exec, exec, vcc
	s_cbranch_execz .LBB117_239
; %bb.238:
	v_div_scale_f64 v[32:33], s[6:7], v[30:31], v[30:31], 1.0
	v_rcp_f64_e32 v[34:35], v[32:33]
	v_div_scale_f64 v[36:37], vcc, 1.0, v[30:31], 1.0
	v_fma_f64 v[38:39], -v[32:33], v[34:35], 1.0
	v_fmac_f64_e32 v[34:35], v[34:35], v[38:39]
	v_fma_f64 v[38:39], -v[32:33], v[34:35], 1.0
	v_fmac_f64_e32 v[34:35], v[34:35], v[38:39]
	v_mul_f64 v[38:39], v[36:37], v[34:35]
	v_fma_f64 v[32:33], -v[32:33], v[38:39], v[36:37]
	v_div_fmas_f64 v[32:33], v[32:33], v[34:35], v[38:39]
	v_div_fixup_f64 v[30:31], v[32:33], v[30:31], 1.0
	ds_write_b64 v52, v[30:31]
.LBB117_239:
	s_or_b64 exec, exec, s[2:3]
	s_waitcnt lgkmcnt(0)
	s_barrier
	ds_read_b64 v[30:31], v52
	v_cmp_lt_u32_e32 vcc, 47, v54
	s_and_saveexec_b64 s[2:3], vcc
	s_cbranch_execz .LBB117_241
; %bb.240:
	ds_read2_b64 v[32:35], v53 offset0:48 offset1:49
	s_waitcnt lgkmcnt(1)
	v_mul_f64 v[132:133], v[30:31], v[132:133]
	s_waitcnt lgkmcnt(0)
	v_fma_f64 v[188:189], -v[132:133], v[32:33], v[188:189]
	v_fma_f64 v[130:131], -v[132:133], v[34:35], v[130:131]
	ds_read2_b64 v[32:35], v53 offset0:50 offset1:51
	s_waitcnt lgkmcnt(0)
	v_fma_f64 v[186:187], -v[132:133], v[32:33], v[186:187]
	v_fma_f64 v[128:129], -v[132:133], v[34:35], v[128:129]
	ds_read2_b64 v[32:35], v53 offset0:52 offset1:53
	;; [unrolled: 4-line block ×4, first 2 shown]
	s_waitcnt lgkmcnt(0)
	v_fma_f64 v[180:181], -v[132:133], v[32:33], v[180:181]
	ds_read_b64 v[32:33], v53 offset:464
	v_fma_f64 v[122:123], -v[132:133], v[34:35], v[122:123]
	s_waitcnt lgkmcnt(0)
	v_fma_f64 v[236:237], -v[132:133], v[32:33], v[236:237]
.LBB117_241:
	s_or_b64 exec, exec, s[2:3]
	v_cmp_eq_u32_e32 vcc, 48, v54
	s_waitcnt lgkmcnt(0)
	s_barrier
	s_and_saveexec_b64 s[2:3], vcc
	s_cbranch_execz .LBB117_244
; %bb.242:
	ds_write_b64 v52, v[188:189]
	ds_write2_b64 v53, v[130:131], v[186:187] offset0:49 offset1:50
	ds_write2_b64 v53, v[128:129], v[184:185] offset0:51 offset1:52
	;; [unrolled: 1-line block ×5, first 2 shown]
	ds_read_b64 v[32:33], v52
	s_waitcnt lgkmcnt(0)
	v_cmp_neq_f64_e32 vcc, 0, v[32:33]
	s_and_b64 exec, exec, vcc
	s_cbranch_execz .LBB117_244
; %bb.243:
	v_div_scale_f64 v[34:35], s[6:7], v[32:33], v[32:33], 1.0
	v_rcp_f64_e32 v[36:37], v[34:35]
	v_div_scale_f64 v[38:39], vcc, 1.0, v[32:33], 1.0
	v_fma_f64 v[40:41], -v[34:35], v[36:37], 1.0
	v_fmac_f64_e32 v[36:37], v[36:37], v[40:41]
	v_fma_f64 v[40:41], -v[34:35], v[36:37], 1.0
	v_fmac_f64_e32 v[36:37], v[36:37], v[40:41]
	v_mul_f64 v[40:41], v[38:39], v[36:37]
	v_fma_f64 v[34:35], -v[34:35], v[40:41], v[38:39]
	v_div_fmas_f64 v[34:35], v[34:35], v[36:37], v[40:41]
	v_div_fixup_f64 v[32:33], v[34:35], v[32:33], 1.0
	ds_write_b64 v52, v[32:33]
.LBB117_244:
	s_or_b64 exec, exec, s[2:3]
	s_waitcnt lgkmcnt(0)
	s_barrier
	ds_read_b64 v[32:33], v52
	v_cmp_lt_u32_e32 vcc, 48, v54
	s_and_saveexec_b64 s[2:3], vcc
	s_cbranch_execz .LBB117_246
; %bb.245:
	ds_read2_b64 v[34:37], v53 offset0:49 offset1:50
	s_waitcnt lgkmcnt(1)
	v_mul_f64 v[188:189], v[32:33], v[188:189]
	s_waitcnt lgkmcnt(0)
	v_fma_f64 v[130:131], -v[188:189], v[34:35], v[130:131]
	v_fma_f64 v[186:187], -v[188:189], v[36:37], v[186:187]
	ds_read2_b64 v[34:37], v53 offset0:51 offset1:52
	s_waitcnt lgkmcnt(0)
	v_fma_f64 v[128:129], -v[188:189], v[34:35], v[128:129]
	v_fma_f64 v[184:185], -v[188:189], v[36:37], v[184:185]
	ds_read2_b64 v[34:37], v53 offset0:53 offset1:54
	;; [unrolled: 4-line block ×4, first 2 shown]
	s_waitcnt lgkmcnt(0)
	v_fma_f64 v[122:123], -v[188:189], v[34:35], v[122:123]
	v_fma_f64 v[236:237], -v[188:189], v[36:37], v[236:237]
.LBB117_246:
	s_or_b64 exec, exec, s[2:3]
	v_cmp_eq_u32_e32 vcc, 49, v54
	s_waitcnt lgkmcnt(0)
	s_barrier
	s_and_saveexec_b64 s[2:3], vcc
	s_cbranch_execz .LBB117_249
; %bb.247:
	v_mov_b32_e32 v34, v186
	v_mov_b32_e32 v35, v187
	v_mov_b32_e32 v36, v128
	v_mov_b32_e32 v37, v129
	ds_write_b64 v52, v[130:131]
	ds_write2_b64 v53, v[34:35], v[36:37] offset0:50 offset1:51
	v_mov_b32_e32 v34, v184
	v_mov_b32_e32 v35, v185
	v_mov_b32_e32 v36, v126
	v_mov_b32_e32 v37, v127
	ds_write2_b64 v53, v[34:35], v[36:37] offset0:52 offset1:53
	v_mov_b32_e32 v34, v182
	v_mov_b32_e32 v35, v183
	v_mov_b32_e32 v36, v124
	v_mov_b32_e32 v37, v125
	;; [unrolled: 5-line block ×3, first 2 shown]
	ds_write2_b64 v53, v[34:35], v[36:37] offset0:56 offset1:57
	ds_write_b64 v53, v[236:237] offset:464
	ds_read_b64 v[34:35], v52
	s_waitcnt lgkmcnt(0)
	v_cmp_neq_f64_e32 vcc, 0, v[34:35]
	s_and_b64 exec, exec, vcc
	s_cbranch_execz .LBB117_249
; %bb.248:
	v_div_scale_f64 v[36:37], s[6:7], v[34:35], v[34:35], 1.0
	v_rcp_f64_e32 v[38:39], v[36:37]
	v_div_scale_f64 v[40:41], vcc, 1.0, v[34:35], 1.0
	v_fma_f64 v[42:43], -v[36:37], v[38:39], 1.0
	v_fmac_f64_e32 v[38:39], v[38:39], v[42:43]
	v_fma_f64 v[42:43], -v[36:37], v[38:39], 1.0
	v_fmac_f64_e32 v[38:39], v[38:39], v[42:43]
	v_mul_f64 v[42:43], v[40:41], v[38:39]
	v_fma_f64 v[36:37], -v[36:37], v[42:43], v[40:41]
	v_div_fmas_f64 v[36:37], v[36:37], v[38:39], v[42:43]
	v_div_fixup_f64 v[34:35], v[36:37], v[34:35], 1.0
	ds_write_b64 v52, v[34:35]
.LBB117_249:
	s_or_b64 exec, exec, s[2:3]
	s_waitcnt lgkmcnt(0)
	s_barrier
	ds_read_b64 v[34:35], v52
	v_cmp_lt_u32_e32 vcc, 49, v54
	s_and_saveexec_b64 s[2:3], vcc
	s_cbranch_execz .LBB117_251
; %bb.250:
	ds_read2_b64 v[36:39], v53 offset0:50 offset1:51
	s_waitcnt lgkmcnt(1)
	v_mul_f64 v[130:131], v[34:35], v[130:131]
	s_waitcnt lgkmcnt(0)
	v_fma_f64 v[186:187], -v[130:131], v[36:37], v[186:187]
	v_fma_f64 v[128:129], -v[130:131], v[38:39], v[128:129]
	ds_read2_b64 v[36:39], v53 offset0:52 offset1:53
	s_waitcnt lgkmcnt(0)
	v_fma_f64 v[184:185], -v[130:131], v[36:37], v[184:185]
	v_fma_f64 v[126:127], -v[130:131], v[38:39], v[126:127]
	ds_read2_b64 v[36:39], v53 offset0:54 offset1:55
	;; [unrolled: 4-line block ×3, first 2 shown]
	s_waitcnt lgkmcnt(0)
	v_fma_f64 v[180:181], -v[130:131], v[36:37], v[180:181]
	ds_read_b64 v[36:37], v53 offset:464
	v_fma_f64 v[122:123], -v[130:131], v[38:39], v[122:123]
	s_waitcnt lgkmcnt(0)
	v_fma_f64 v[236:237], -v[130:131], v[36:37], v[236:237]
.LBB117_251:
	s_or_b64 exec, exec, s[2:3]
	v_cmp_eq_u32_e32 vcc, 50, v54
	s_waitcnt lgkmcnt(0)
	s_barrier
	s_and_saveexec_b64 s[2:3], vcc
	s_cbranch_execz .LBB117_254
; %bb.252:
	ds_write_b64 v52, v[186:187]
	ds_write2_b64 v53, v[128:129], v[184:185] offset0:51 offset1:52
	ds_write2_b64 v53, v[126:127], v[182:183] offset0:53 offset1:54
	ds_write2_b64 v53, v[124:125], v[180:181] offset0:55 offset1:56
	ds_write2_b64 v53, v[122:123], v[236:237] offset0:57 offset1:58
	ds_read_b64 v[36:37], v52
	s_waitcnt lgkmcnt(0)
	v_cmp_neq_f64_e32 vcc, 0, v[36:37]
	s_and_b64 exec, exec, vcc
	s_cbranch_execz .LBB117_254
; %bb.253:
	v_div_scale_f64 v[38:39], s[6:7], v[36:37], v[36:37], 1.0
	v_rcp_f64_e32 v[40:41], v[38:39]
	v_div_scale_f64 v[42:43], vcc, 1.0, v[36:37], 1.0
	v_fma_f64 v[44:45], -v[38:39], v[40:41], 1.0
	v_fmac_f64_e32 v[40:41], v[40:41], v[44:45]
	v_fma_f64 v[44:45], -v[38:39], v[40:41], 1.0
	v_fmac_f64_e32 v[40:41], v[40:41], v[44:45]
	v_mul_f64 v[44:45], v[42:43], v[40:41]
	v_fma_f64 v[38:39], -v[38:39], v[44:45], v[42:43]
	v_div_fmas_f64 v[38:39], v[38:39], v[40:41], v[44:45]
	v_div_fixup_f64 v[36:37], v[38:39], v[36:37], 1.0
	ds_write_b64 v52, v[36:37]
.LBB117_254:
	s_or_b64 exec, exec, s[2:3]
	s_waitcnt lgkmcnt(0)
	s_barrier
	ds_read_b64 v[36:37], v52
	v_cmp_lt_u32_e32 vcc, 50, v54
	s_and_saveexec_b64 s[2:3], vcc
	s_cbranch_execz .LBB117_256
; %bb.255:
	ds_read2_b64 v[38:41], v53 offset0:51 offset1:52
	s_waitcnt lgkmcnt(1)
	v_mul_f64 v[186:187], v[36:37], v[186:187]
	s_waitcnt lgkmcnt(0)
	v_fma_f64 v[128:129], -v[186:187], v[38:39], v[128:129]
	v_fma_f64 v[184:185], -v[186:187], v[40:41], v[184:185]
	ds_read2_b64 v[38:41], v53 offset0:53 offset1:54
	s_waitcnt lgkmcnt(0)
	v_fma_f64 v[126:127], -v[186:187], v[38:39], v[126:127]
	v_fma_f64 v[182:183], -v[186:187], v[40:41], v[182:183]
	ds_read2_b64 v[38:41], v53 offset0:55 offset1:56
	;; [unrolled: 4-line block ×3, first 2 shown]
	s_waitcnt lgkmcnt(0)
	v_fma_f64 v[122:123], -v[186:187], v[38:39], v[122:123]
	v_fma_f64 v[236:237], -v[186:187], v[40:41], v[236:237]
.LBB117_256:
	s_or_b64 exec, exec, s[2:3]
	v_cmp_eq_u32_e32 vcc, 51, v54
	s_waitcnt lgkmcnt(0)
	s_barrier
	s_and_saveexec_b64 s[2:3], vcc
	s_cbranch_execz .LBB117_259
; %bb.257:
	v_mov_b32_e32 v38, v184
	v_mov_b32_e32 v39, v185
	;; [unrolled: 1-line block ×4, first 2 shown]
	ds_write_b64 v52, v[128:129]
	ds_write2_b64 v53, v[38:39], v[40:41] offset0:52 offset1:53
	v_mov_b32_e32 v38, v182
	v_mov_b32_e32 v39, v183
	;; [unrolled: 1-line block ×4, first 2 shown]
	ds_write2_b64 v53, v[38:39], v[40:41] offset0:54 offset1:55
	v_mov_b32_e32 v38, v180
	v_mov_b32_e32 v39, v181
	;; [unrolled: 1-line block ×4, first 2 shown]
	ds_write2_b64 v53, v[38:39], v[40:41] offset0:56 offset1:57
	ds_write_b64 v53, v[236:237] offset:464
	ds_read_b64 v[38:39], v52
	s_waitcnt lgkmcnt(0)
	v_cmp_neq_f64_e32 vcc, 0, v[38:39]
	s_and_b64 exec, exec, vcc
	s_cbranch_execz .LBB117_259
; %bb.258:
	v_div_scale_f64 v[40:41], s[6:7], v[38:39], v[38:39], 1.0
	v_rcp_f64_e32 v[42:43], v[40:41]
	v_div_scale_f64 v[44:45], vcc, 1.0, v[38:39], 1.0
	v_fma_f64 v[46:47], -v[40:41], v[42:43], 1.0
	v_fmac_f64_e32 v[42:43], v[42:43], v[46:47]
	v_fma_f64 v[46:47], -v[40:41], v[42:43], 1.0
	v_fmac_f64_e32 v[42:43], v[42:43], v[46:47]
	v_mul_f64 v[46:47], v[44:45], v[42:43]
	v_fma_f64 v[40:41], -v[40:41], v[46:47], v[44:45]
	v_div_fmas_f64 v[40:41], v[40:41], v[42:43], v[46:47]
	v_div_fixup_f64 v[38:39], v[40:41], v[38:39], 1.0
	ds_write_b64 v52, v[38:39]
.LBB117_259:
	s_or_b64 exec, exec, s[2:3]
	s_waitcnt lgkmcnt(0)
	s_barrier
	ds_read_b64 v[38:39], v52
	v_cmp_lt_u32_e32 vcc, 51, v54
	s_and_saveexec_b64 s[2:3], vcc
	s_cbranch_execz .LBB117_261
; %bb.260:
	ds_read2_b64 v[40:43], v53 offset0:52 offset1:53
	s_waitcnt lgkmcnt(1)
	v_mul_f64 v[128:129], v[38:39], v[128:129]
	s_waitcnt lgkmcnt(0)
	v_fma_f64 v[184:185], -v[128:129], v[40:41], v[184:185]
	v_fma_f64 v[126:127], -v[128:129], v[42:43], v[126:127]
	ds_read2_b64 v[40:43], v53 offset0:54 offset1:55
	s_waitcnt lgkmcnt(0)
	v_fma_f64 v[182:183], -v[128:129], v[40:41], v[182:183]
	v_fma_f64 v[124:125], -v[128:129], v[42:43], v[124:125]
	ds_read2_b64 v[40:43], v53 offset0:56 offset1:57
	s_waitcnt lgkmcnt(0)
	v_fma_f64 v[180:181], -v[128:129], v[40:41], v[180:181]
	ds_read_b64 v[40:41], v53 offset:464
	v_fma_f64 v[122:123], -v[128:129], v[42:43], v[122:123]
	s_waitcnt lgkmcnt(0)
	v_fma_f64 v[236:237], -v[128:129], v[40:41], v[236:237]
.LBB117_261:
	s_or_b64 exec, exec, s[2:3]
	v_cmp_eq_u32_e32 vcc, 52, v54
	s_waitcnt lgkmcnt(0)
	s_barrier
	s_and_saveexec_b64 s[2:3], vcc
	s_cbranch_execz .LBB117_264
; %bb.262:
	ds_write_b64 v52, v[184:185]
	ds_write2_b64 v53, v[126:127], v[182:183] offset0:53 offset1:54
	ds_write2_b64 v53, v[124:125], v[180:181] offset0:55 offset1:56
	;; [unrolled: 1-line block ×3, first 2 shown]
	ds_read_b64 v[40:41], v52
	s_waitcnt lgkmcnt(0)
	v_cmp_neq_f64_e32 vcc, 0, v[40:41]
	s_and_b64 exec, exec, vcc
	s_cbranch_execz .LBB117_264
; %bb.263:
	v_div_scale_f64 v[42:43], s[6:7], v[40:41], v[40:41], 1.0
	v_rcp_f64_e32 v[44:45], v[42:43]
	v_div_scale_f64 v[46:47], vcc, 1.0, v[40:41], 1.0
	v_fma_f64 v[48:49], -v[42:43], v[44:45], 1.0
	v_fmac_f64_e32 v[44:45], v[44:45], v[48:49]
	v_fma_f64 v[48:49], -v[42:43], v[44:45], 1.0
	v_fmac_f64_e32 v[44:45], v[44:45], v[48:49]
	v_mul_f64 v[48:49], v[46:47], v[44:45]
	v_fma_f64 v[42:43], -v[42:43], v[48:49], v[46:47]
	v_div_fmas_f64 v[42:43], v[42:43], v[44:45], v[48:49]
	v_div_fixup_f64 v[40:41], v[42:43], v[40:41], 1.0
	ds_write_b64 v52, v[40:41]
.LBB117_264:
	s_or_b64 exec, exec, s[2:3]
	s_waitcnt lgkmcnt(0)
	s_barrier
	ds_read_b64 v[40:41], v52
	v_cmp_lt_u32_e32 vcc, 52, v54
	s_and_saveexec_b64 s[2:3], vcc
	s_cbranch_execz .LBB117_266
; %bb.265:
	ds_read2_b64 v[42:45], v53 offset0:53 offset1:54
	s_waitcnt lgkmcnt(1)
	v_mul_f64 v[184:185], v[40:41], v[184:185]
	s_waitcnt lgkmcnt(0)
	v_fma_f64 v[126:127], -v[184:185], v[42:43], v[126:127]
	v_fma_f64 v[182:183], -v[184:185], v[44:45], v[182:183]
	ds_read2_b64 v[42:45], v53 offset0:55 offset1:56
	s_waitcnt lgkmcnt(0)
	v_fma_f64 v[124:125], -v[184:185], v[42:43], v[124:125]
	v_fma_f64 v[180:181], -v[184:185], v[44:45], v[180:181]
	ds_read2_b64 v[42:45], v53 offset0:57 offset1:58
	s_waitcnt lgkmcnt(0)
	v_fma_f64 v[122:123], -v[184:185], v[42:43], v[122:123]
	v_fma_f64 v[236:237], -v[184:185], v[44:45], v[236:237]
.LBB117_266:
	s_or_b64 exec, exec, s[2:3]
	v_cmp_eq_u32_e32 vcc, 53, v54
	s_waitcnt lgkmcnt(0)
	s_barrier
	s_and_saveexec_b64 s[2:3], vcc
	s_cbranch_execz .LBB117_269
; %bb.267:
	v_mov_b32_e32 v42, v182
	v_mov_b32_e32 v43, v183
	;; [unrolled: 1-line block ×4, first 2 shown]
	ds_write_b64 v52, v[126:127]
	ds_write2_b64 v53, v[42:43], v[44:45] offset0:54 offset1:55
	v_mov_b32_e32 v42, v180
	v_mov_b32_e32 v43, v181
	;; [unrolled: 1-line block ×4, first 2 shown]
	ds_write2_b64 v53, v[42:43], v[44:45] offset0:56 offset1:57
	ds_write_b64 v53, v[236:237] offset:464
	ds_read_b64 v[42:43], v52
	s_waitcnt lgkmcnt(0)
	v_cmp_neq_f64_e32 vcc, 0, v[42:43]
	s_and_b64 exec, exec, vcc
	s_cbranch_execz .LBB117_269
; %bb.268:
	v_div_scale_f64 v[44:45], s[6:7], v[42:43], v[42:43], 1.0
	v_rcp_f64_e32 v[46:47], v[44:45]
	v_div_scale_f64 v[48:49], vcc, 1.0, v[42:43], 1.0
	v_fma_f64 v[50:51], -v[44:45], v[46:47], 1.0
	v_fmac_f64_e32 v[46:47], v[46:47], v[50:51]
	v_fma_f64 v[50:51], -v[44:45], v[46:47], 1.0
	v_fmac_f64_e32 v[46:47], v[46:47], v[50:51]
	v_mul_f64 v[50:51], v[48:49], v[46:47]
	v_fma_f64 v[44:45], -v[44:45], v[50:51], v[48:49]
	v_div_fmas_f64 v[44:45], v[44:45], v[46:47], v[50:51]
	v_div_fixup_f64 v[42:43], v[44:45], v[42:43], 1.0
	ds_write_b64 v52, v[42:43]
.LBB117_269:
	s_or_b64 exec, exec, s[2:3]
	s_waitcnt lgkmcnt(0)
	s_barrier
	ds_read_b64 v[42:43], v52
	v_cmp_lt_u32_e32 vcc, 53, v54
	s_and_saveexec_b64 s[2:3], vcc
	s_cbranch_execz .LBB117_271
; %bb.270:
	ds_read2_b64 v[44:47], v53 offset0:54 offset1:55
	s_waitcnt lgkmcnt(1)
	v_mul_f64 v[126:127], v[42:43], v[126:127]
	s_waitcnt lgkmcnt(0)
	v_fma_f64 v[182:183], -v[126:127], v[44:45], v[182:183]
	v_fma_f64 v[124:125], -v[126:127], v[46:47], v[124:125]
	ds_read2_b64 v[44:47], v53 offset0:56 offset1:57
	s_waitcnt lgkmcnt(0)
	v_fma_f64 v[180:181], -v[126:127], v[44:45], v[180:181]
	ds_read_b64 v[44:45], v53 offset:464
	v_fma_f64 v[122:123], -v[126:127], v[46:47], v[122:123]
	s_waitcnt lgkmcnt(0)
	v_fma_f64 v[236:237], -v[126:127], v[44:45], v[236:237]
.LBB117_271:
	s_or_b64 exec, exec, s[2:3]
	v_cmp_eq_u32_e32 vcc, 54, v54
	s_waitcnt lgkmcnt(0)
	s_barrier
	s_and_saveexec_b64 s[2:3], vcc
	s_cbranch_execz .LBB117_274
; %bb.272:
	ds_write_b64 v52, v[182:183]
	ds_write2_b64 v53, v[124:125], v[180:181] offset0:55 offset1:56
	ds_write2_b64 v53, v[122:123], v[236:237] offset0:57 offset1:58
	ds_read_b64 v[44:45], v52
	s_waitcnt lgkmcnt(0)
	v_cmp_neq_f64_e32 vcc, 0, v[44:45]
	s_and_b64 exec, exec, vcc
	s_cbranch_execz .LBB117_274
; %bb.273:
	v_div_scale_f64 v[46:47], s[6:7], v[44:45], v[44:45], 1.0
	v_rcp_f64_e32 v[48:49], v[46:47]
	v_div_scale_f64 v[50:51], vcc, 1.0, v[44:45], 1.0
	v_fma_f64 v[56:57], -v[46:47], v[48:49], 1.0
	v_fmac_f64_e32 v[48:49], v[48:49], v[56:57]
	v_fma_f64 v[56:57], -v[46:47], v[48:49], 1.0
	v_fmac_f64_e32 v[48:49], v[48:49], v[56:57]
	v_mul_f64 v[56:57], v[50:51], v[48:49]
	v_fma_f64 v[46:47], -v[46:47], v[56:57], v[50:51]
	v_div_fmas_f64 v[46:47], v[46:47], v[48:49], v[56:57]
	v_div_fixup_f64 v[44:45], v[46:47], v[44:45], 1.0
	ds_write_b64 v52, v[44:45]
.LBB117_274:
	s_or_b64 exec, exec, s[2:3]
	s_waitcnt lgkmcnt(0)
	s_barrier
	ds_read_b64 v[44:45], v52
	v_cmp_lt_u32_e32 vcc, 54, v54
	s_and_saveexec_b64 s[2:3], vcc
	s_cbranch_execz .LBB117_276
; %bb.275:
	ds_read2_b64 v[46:49], v53 offset0:55 offset1:56
	s_waitcnt lgkmcnt(1)
	v_mul_f64 v[182:183], v[44:45], v[182:183]
	s_waitcnt lgkmcnt(0)
	v_fma_f64 v[124:125], -v[182:183], v[46:47], v[124:125]
	v_fma_f64 v[180:181], -v[182:183], v[48:49], v[180:181]
	ds_read2_b64 v[46:49], v53 offset0:57 offset1:58
	s_waitcnt lgkmcnt(0)
	v_fma_f64 v[122:123], -v[182:183], v[46:47], v[122:123]
	v_fma_f64 v[236:237], -v[182:183], v[48:49], v[236:237]
.LBB117_276:
	s_or_b64 exec, exec, s[2:3]
	v_cmp_eq_u32_e32 vcc, 55, v54
	s_waitcnt lgkmcnt(0)
	s_barrier
	s_and_saveexec_b64 s[2:3], vcc
	s_cbranch_execz .LBB117_279
; %bb.277:
	v_mov_b32_e32 v46, v180
	v_mov_b32_e32 v47, v181
	;; [unrolled: 1-line block ×4, first 2 shown]
	ds_write_b64 v52, v[124:125]
	ds_write2_b64 v53, v[46:47], v[48:49] offset0:56 offset1:57
	ds_write_b64 v53, v[236:237] offset:464
	ds_read_b64 v[46:47], v52
	s_waitcnt lgkmcnt(0)
	v_cmp_neq_f64_e32 vcc, 0, v[46:47]
	s_and_b64 exec, exec, vcc
	s_cbranch_execz .LBB117_279
; %bb.278:
	v_div_scale_f64 v[48:49], s[6:7], v[46:47], v[46:47], 1.0
	v_rcp_f64_e32 v[50:51], v[48:49]
	v_div_scale_f64 v[56:57], vcc, 1.0, v[46:47], 1.0
	v_fma_f64 v[58:59], -v[48:49], v[50:51], 1.0
	v_fmac_f64_e32 v[50:51], v[50:51], v[58:59]
	v_fma_f64 v[58:59], -v[48:49], v[50:51], 1.0
	v_fmac_f64_e32 v[50:51], v[50:51], v[58:59]
	v_mul_f64 v[58:59], v[56:57], v[50:51]
	v_fma_f64 v[48:49], -v[48:49], v[58:59], v[56:57]
	v_div_fmas_f64 v[48:49], v[48:49], v[50:51], v[58:59]
	v_div_fixup_f64 v[46:47], v[48:49], v[46:47], 1.0
	ds_write_b64 v52, v[46:47]
.LBB117_279:
	s_or_b64 exec, exec, s[2:3]
	s_waitcnt lgkmcnt(0)
	s_barrier
	ds_read_b64 v[46:47], v52
	v_cmp_lt_u32_e32 vcc, 55, v54
	s_and_saveexec_b64 s[2:3], vcc
	s_cbranch_execz .LBB117_281
; %bb.280:
	ds_read2_b64 v[48:51], v53 offset0:56 offset1:57
	s_waitcnt lgkmcnt(1)
	v_mul_f64 v[124:125], v[46:47], v[124:125]
	s_waitcnt lgkmcnt(0)
	v_fma_f64 v[180:181], -v[124:125], v[48:49], v[180:181]
	ds_read_b64 v[48:49], v53 offset:464
	v_fma_f64 v[122:123], -v[124:125], v[50:51], v[122:123]
	s_waitcnt lgkmcnt(0)
	v_fma_f64 v[236:237], -v[124:125], v[48:49], v[236:237]
.LBB117_281:
	s_or_b64 exec, exec, s[2:3]
	v_cmp_eq_u32_e32 vcc, 56, v54
	s_waitcnt lgkmcnt(0)
	s_barrier
	s_and_saveexec_b64 s[2:3], vcc
	s_cbranch_execz .LBB117_284
; %bb.282:
	ds_write_b64 v52, v[180:181]
	ds_write2_b64 v53, v[122:123], v[236:237] offset0:57 offset1:58
	ds_read_b64 v[48:49], v52
	s_waitcnt lgkmcnt(0)
	v_cmp_neq_f64_e32 vcc, 0, v[48:49]
	s_and_b64 exec, exec, vcc
	s_cbranch_execz .LBB117_284
; %bb.283:
	v_div_scale_f64 v[50:51], s[6:7], v[48:49], v[48:49], 1.0
	v_rcp_f64_e32 v[56:57], v[50:51]
	v_pk_mov_b32 v[2:3], v[60:61], v[60:61] op_sel:[0,1]
	v_div_scale_f64 v[58:59], vcc, 1.0, v[48:49], 1.0
	v_fma_f64 v[60:61], -v[50:51], v[56:57], 1.0
	v_fmac_f64_e32 v[56:57], v[56:57], v[60:61]
	v_fma_f64 v[60:61], -v[50:51], v[56:57], 1.0
	v_fmac_f64_e32 v[56:57], v[56:57], v[60:61]
	v_mul_f64 v[60:61], v[58:59], v[56:57]
	v_fma_f64 v[50:51], -v[50:51], v[60:61], v[58:59]
	v_div_fmas_f64 v[50:51], v[50:51], v[56:57], v[60:61]
	v_pk_mov_b32 v[60:61], v[2:3], v[2:3] op_sel:[0,1]
	v_div_fixup_f64 v[48:49], v[50:51], v[48:49], 1.0
	ds_write_b64 v52, v[48:49]
.LBB117_284:
	s_or_b64 exec, exec, s[2:3]
	s_waitcnt lgkmcnt(0)
	s_barrier
	ds_read_b64 v[48:49], v52
	v_cmp_lt_u32_e32 vcc, 56, v54
	s_and_saveexec_b64 s[2:3], vcc
	s_cbranch_execz .LBB117_286
; %bb.285:
	ds_read2_b64 v[56:59], v53 offset0:57 offset1:58
	s_waitcnt lgkmcnt(1)
	v_mul_f64 v[180:181], v[48:49], v[180:181]
	s_waitcnt lgkmcnt(0)
	v_fma_f64 v[122:123], -v[180:181], v[56:57], v[122:123]
	v_fma_f64 v[236:237], -v[180:181], v[58:59], v[236:237]
.LBB117_286:
	s_or_b64 exec, exec, s[2:3]
	v_cmp_eq_u32_e32 vcc, 57, v54
	s_waitcnt lgkmcnt(0)
	s_barrier
	s_and_saveexec_b64 s[2:3], vcc
	s_cbranch_execz .LBB117_289
; %bb.287:
	ds_write_b64 v52, v[122:123]
	ds_write_b64 v53, v[236:237] offset:464
	ds_read_b64 v[50:51], v52
	s_waitcnt lgkmcnt(0)
	v_cmp_neq_f64_e32 vcc, 0, v[50:51]
	s_and_b64 exec, exec, vcc
	s_cbranch_execz .LBB117_289
; %bb.288:
	v_div_scale_f64 v[56:57], s[6:7], v[50:51], v[50:51], 1.0
	v_rcp_f64_e32 v[58:59], v[56:57]
	v_pk_mov_b32 v[2:3], v[252:253], v[252:253] op_sel:[0,1]
	v_pk_mov_b32 v[252:253], v[250:251], v[250:251] op_sel:[0,1]
	;; [unrolled: 1-line block ×30, first 2 shown]
	v_fma_f64 v[62:63], -v[56:57], v[58:59], 1.0
	v_fmac_f64_e32 v[58:59], v[58:59], v[62:63]
	v_fma_f64 v[62:63], -v[56:57], v[58:59], 1.0
	v_pk_mov_b32 v[0:1], v[246:247], v[246:247] op_sel:[0,1]
	v_pk_mov_b32 v[246:247], v[244:245], v[244:245] op_sel:[0,1]
	;; [unrolled: 1-line block ×8, first 2 shown]
	v_div_scale_f64 v[60:61], vcc, 1.0, v[50:51], 1.0
	v_fmac_f64_e32 v[58:59], v[58:59], v[62:63]
	v_mul_f64 v[62:63], v[60:61], v[58:59]
	v_fma_f64 v[56:57], -v[56:57], v[62:63], v[60:61]
	s_nop 0
	v_div_fmas_f64 v[56:57], v[56:57], v[58:59], v[62:63]
	v_pk_mov_b32 v[60:61], v[254:255], v[254:255] op_sel:[0,1]
	v_pk_mov_b32 v[254:255], v[238:239], v[238:239] op_sel:[0,1]
	v_pk_mov_b32 v[238:239], v[116:117], v[116:117] op_sel:[0,1]
	v_pk_mov_b32 v[116:117], v[240:241], v[240:241] op_sel:[0,1]
	v_pk_mov_b32 v[240:241], v[242:243], v[242:243] op_sel:[0,1]
	v_pk_mov_b32 v[242:243], v[244:245], v[244:245] op_sel:[0,1]
	v_pk_mov_b32 v[244:245], v[246:247], v[246:247] op_sel:[0,1]
	v_pk_mov_b32 v[246:247], v[0:1], v[0:1] op_sel:[0,1]
	v_pk_mov_b32 v[62:63], v[66:67], v[66:67] op_sel:[0,1]
	v_pk_mov_b32 v[66:67], v[68:69], v[68:69] op_sel:[0,1]
	v_pk_mov_b32 v[68:69], v[70:71], v[70:71] op_sel:[0,1]
	v_pk_mov_b32 v[70:71], v[72:73], v[72:73] op_sel:[0,1]
	v_pk_mov_b32 v[72:73], v[74:75], v[74:75] op_sel:[0,1]
	v_pk_mov_b32 v[74:75], v[76:77], v[76:77] op_sel:[0,1]
	v_pk_mov_b32 v[76:77], v[78:79], v[78:79] op_sel:[0,1]
	v_pk_mov_b32 v[78:79], v[80:81], v[80:81] op_sel:[0,1]
	v_pk_mov_b32 v[80:81], v[82:83], v[82:83] op_sel:[0,1]
	v_pk_mov_b32 v[82:83], v[84:85], v[84:85] op_sel:[0,1]
	v_pk_mov_b32 v[84:85], v[86:87], v[86:87] op_sel:[0,1]
	v_pk_mov_b32 v[86:87], v[88:89], v[88:89] op_sel:[0,1]
	v_pk_mov_b32 v[88:89], v[90:91], v[90:91] op_sel:[0,1]
	v_pk_mov_b32 v[90:91], v[92:93], v[92:93] op_sel:[0,1]
	v_pk_mov_b32 v[92:93], v[94:95], v[94:95] op_sel:[0,1]
	v_pk_mov_b32 v[94:95], v[96:97], v[96:97] op_sel:[0,1]
	v_pk_mov_b32 v[96:97], v[98:99], v[98:99] op_sel:[0,1]
	v_pk_mov_b32 v[98:99], v[100:101], v[100:101] op_sel:[0,1]
	v_pk_mov_b32 v[100:101], v[102:103], v[102:103] op_sel:[0,1]
	v_pk_mov_b32 v[102:103], v[104:105], v[104:105] op_sel:[0,1]
	v_pk_mov_b32 v[104:105], v[106:107], v[106:107] op_sel:[0,1]
	v_pk_mov_b32 v[106:107], v[108:109], v[108:109] op_sel:[0,1]
	v_pk_mov_b32 v[108:109], v[110:111], v[110:111] op_sel:[0,1]
	v_pk_mov_b32 v[110:111], v[112:113], v[112:113] op_sel:[0,1]
	v_pk_mov_b32 v[112:113], v[114:115], v[114:115] op_sel:[0,1]
	v_pk_mov_b32 v[114:115], v[118:119], v[118:119] op_sel:[0,1]
	v_pk_mov_b32 v[118:119], v[248:249], v[248:249] op_sel:[0,1]
	v_pk_mov_b32 v[248:249], v[250:251], v[250:251] op_sel:[0,1]
	v_pk_mov_b32 v[250:251], v[252:253], v[252:253] op_sel:[0,1]
	v_pk_mov_b32 v[252:253], v[2:3], v[2:3] op_sel:[0,1]
	v_div_fixup_f64 v[50:51], v[56:57], v[50:51], 1.0
	ds_write_b64 v52, v[50:51]
.LBB117_289:
	s_or_b64 exec, exec, s[2:3]
	s_waitcnt lgkmcnt(0)
	s_barrier
	ds_read_b64 v[50:51], v52
	v_cmp_lt_u32_e32 vcc, 57, v54
	s_and_saveexec_b64 s[2:3], vcc
	s_cbranch_execz .LBB117_291
; %bb.290:
	ds_read_b64 v[56:57], v53 offset:464
	s_waitcnt lgkmcnt(1)
	v_mul_f64 v[122:123], v[50:51], v[122:123]
	s_waitcnt lgkmcnt(0)
	v_fma_f64 v[236:237], -v[122:123], v[56:57], v[236:237]
.LBB117_291:
	s_or_b64 exec, exec, s[2:3]
	v_cmp_eq_u32_e32 vcc, 58, v54
	s_waitcnt lgkmcnt(0)
	s_barrier
	s_and_saveexec_b64 s[2:3], vcc
	s_cbranch_execz .LBB117_294
; %bb.292:
	v_cmp_neq_f64_e32 vcc, 0, v[236:237]
	ds_write_b64 v52, v[236:237]
	s_and_b64 exec, exec, vcc
	s_cbranch_execz .LBB117_294
; %bb.293:
	v_div_scale_f64 v[56:57], s[6:7], v[236:237], v[236:237], 1.0
	v_rcp_f64_e32 v[58:59], v[56:57]
	v_pk_mov_b32 v[2:3], v[252:253], v[252:253] op_sel:[0,1]
	v_pk_mov_b32 v[252:253], v[250:251], v[250:251] op_sel:[0,1]
	;; [unrolled: 1-line block ×31, first 2 shown]
	v_fma_f64 v[62:63], -v[56:57], v[58:59], 1.0
	v_fmac_f64_e32 v[58:59], v[58:59], v[62:63]
	v_fma_f64 v[62:63], -v[56:57], v[58:59], 1.0
	v_pk_mov_b32 v[0:1], v[246:247], v[246:247] op_sel:[0,1]
	v_pk_mov_b32 v[246:247], v[244:245], v[244:245] op_sel:[0,1]
	;; [unrolled: 1-line block ×8, first 2 shown]
	v_div_scale_f64 v[60:61], vcc, 1.0, v[236:237], 1.0
	v_fmac_f64_e32 v[58:59], v[58:59], v[62:63]
	v_mul_f64 v[62:63], v[60:61], v[58:59]
	v_fma_f64 v[56:57], -v[56:57], v[62:63], v[60:61]
	s_nop 0
	v_div_fmas_f64 v[56:57], v[56:57], v[58:59], v[62:63]
	v_pk_mov_b32 v[60:61], v[254:255], v[254:255] op_sel:[0,1]
	v_pk_mov_b32 v[254:255], v[238:239], v[238:239] op_sel:[0,1]
	;; [unrolled: 1-line block ×39, first 2 shown]
	v_div_fixup_f64 v[56:57], v[56:57], v[236:237], 1.0
	ds_write_b64 v52, v[56:57]
.LBB117_294:
	s_or_b64 exec, exec, s[2:3]
	s_waitcnt lgkmcnt(0)
	s_barrier
	ds_read_b64 v[52:53], v52
	s_waitcnt lgkmcnt(0)
	s_barrier
	s_and_saveexec_b64 s[2:3], s[0:1]
	s_cbranch_execz .LBB117_297
; %bb.295:
	buffer_load_dword v0, off, s[16:19], 0 offset:168 ; 4-byte Folded Reload
	buffer_load_dword v1, off, s[16:19], 0 offset:172 ; 4-byte Folded Reload
	s_load_dwordx2 s[4:5], s[4:5], 0x28
	s_waitcnt lgkmcnt(0)
	v_mov_b32_e32 v3, s5
	s_waitcnt vmcnt(0)
	v_cmp_eq_f64_e32 vcc, 0, v[0:1]
	buffer_load_dword v0, off, s[16:19], 0 offset:176 ; 4-byte Folded Reload
	buffer_load_dword v1, off, s[16:19], 0 offset:180 ; 4-byte Folded Reload
	v_cndmask_b32_e64 v55, 0, 1, vcc
	s_waitcnt vmcnt(0)
	v_cmp_neq_f64_e64 s[0:1], 0, v[0:1]
	buffer_load_dword v0, off, s[16:19], 0 offset:184 ; 4-byte Folded Reload
	buffer_load_dword v1, off, s[16:19], 0 offset:188 ; 4-byte Folded Reload
	s_or_b64 vcc, s[0:1], vcc
	v_cndmask_b32_e32 v55, 2, v55, vcc
	v_cmp_eq_u32_e64 s[0:1], 0, v55
	s_waitcnt vmcnt(0)
	v_cmp_eq_f64_e32 vcc, 0, v[0:1]
	buffer_load_dword v0, off, s[16:19], 0 offset:192 ; 4-byte Folded Reload
	buffer_load_dword v1, off, s[16:19], 0 offset:196 ; 4-byte Folded Reload
	s_and_b64 s[0:1], vcc, s[0:1]
	v_cndmask_b32_e64 v55, v55, 3, s[0:1]
	v_cmp_eq_u32_e64 s[0:1], 0, v55
	s_waitcnt vmcnt(0)
	v_cmp_eq_f64_e32 vcc, 0, v[0:1]
	buffer_load_dword v0, off, s[16:19], 0 offset:200 ; 4-byte Folded Reload
	buffer_load_dword v1, off, s[16:19], 0 offset:204 ; 4-byte Folded Reload
	s_and_b64 s[0:1], vcc, s[0:1]
	v_cndmask_b32_e64 v55, v55, 4, s[0:1]
	;; [unrolled: 7-line block ×31, first 2 shown]
	v_cmp_eq_u32_e64 s[0:1], 0, v2
	s_waitcnt vmcnt(0)
	v_cmp_eq_f64_e32 vcc, 0, v[0:1]
	s_and_b64 s[0:1], vcc, s[0:1]
	v_cndmask_b32_e64 v0, v2, 34, s[0:1]
	v_cmp_eq_f64_e32 vcc, 0, v[4:5]
	v_cmp_eq_u32_e64 s[0:1], 0, v0
	s_and_b64 s[0:1], vcc, s[0:1]
	v_cndmask_b32_e64 v0, v0, 35, s[0:1]
	v_cmp_eq_f64_e32 vcc, 0, v[6:7]
	v_cmp_eq_u32_e64 s[0:1], 0, v0
	;; [unrolled: 4-line block ×5, first 2 shown]
	s_and_b64 s[0:1], vcc, s[0:1]
	v_cndmask_b32_e64 v2, v0, 39, s[0:1]
	v_lshlrev_b64 v[0:1], 2, v[62:63]
	v_add_co_u32_e64 v0, s[0:1], s4, v0
	v_addc_co_u32_e64 v1, s[0:1], v3, v1, s[0:1]
	global_load_dword v3, v[0:1], off
	v_cmp_eq_f64_e32 vcc, 0, v[14:15]
	v_cmp_eq_u32_e64 s[0:1], 0, v2
	s_and_b64 s[0:1], vcc, s[0:1]
	v_cndmask_b32_e64 v2, v2, 40, s[0:1]
	v_cmp_eq_f64_e32 vcc, 0, v[16:17]
	v_cmp_eq_u32_e64 s[0:1], 0, v2
	s_and_b64 s[0:1], vcc, s[0:1]
	v_cndmask_b32_e64 v2, v2, 41, s[0:1]
	;; [unrolled: 4-line block ×20, first 2 shown]
	s_waitcnt vmcnt(0)
	v_cmp_eq_u32_e32 vcc, 0, v3
	v_cmp_ne_u32_e64 s[0:1], 0, v2
	s_and_b64 s[0:1], vcc, s[0:1]
	s_and_b64 exec, exec, s[0:1]
	s_cbranch_execz .LBB117_297
; %bb.296:
	v_add_u32_e32 v2, s9, v2
	global_store_dword v[0:1], v2, off
.LBB117_297:
	s_or_b64 exec, exec, s[2:3]
	buffer_load_dword v2, off, s[16:19], 0 offset:152 ; 4-byte Folded Reload
	buffer_load_dword v3, off, s[16:19], 0 offset:156 ; 4-byte Folded Reload
	v_mul_f64 v[0:1], v[52:53], v[236:237]
	v_cmp_lt_u32_e32 vcc, 58, v54
	v_cndmask_b32_e32 v1, v237, v1, vcc
	v_cndmask_b32_e32 v0, v236, v0, vcc
	s_waitcnt vmcnt(0)
	global_store_dwordx2 v[2:3], v[120:121], off
	buffer_load_dword v2, off, s[16:19], 0 offset:160 ; 4-byte Folded Reload
	s_nop 0
	buffer_load_dword v3, off, s[16:19], 0 offset:164 ; 4-byte Folded Reload
	s_waitcnt vmcnt(0)
	global_store_dwordx2 v[2:3], v[178:179], off
	global_store_dwordx2 v[64:65], v[234:235], off
	;; [unrolled: 1-line block ×39, first 2 shown]
	buffer_load_dword v2, off, s[16:19], 0  ; 4-byte Folded Reload
	buffer_load_dword v3, off, s[16:19], 0 offset:4 ; 4-byte Folded Reload
	s_waitcnt vmcnt(0)
	global_store_dwordx2 v[2:3], v[196:197], off
	buffer_load_dword v2, off, s[16:19], 0 offset:8 ; 4-byte Folded Reload
	s_nop 0
	buffer_load_dword v3, off, s[16:19], 0 offset:12 ; 4-byte Folded Reload
	s_waitcnt vmcnt(0)
	global_store_dwordx2 v[2:3], v[138:139], off
	buffer_load_dword v2, off, s[16:19], 0 offset:16 ; 4-byte Folded Reload
	s_nop 0
	;; [unrolled: 5-line block ×18, first 2 shown]
	buffer_load_dword v3, off, s[16:19], 0 offset:148 ; 4-byte Folded Reload
	s_waitcnt vmcnt(0)
	global_store_dwordx2 v[2:3], v[0:1], off
.LBB117_298:
	s_endpgm
	.section	.rodata,"a",@progbits
	.p2align	6, 0x0
	.amdhsa_kernel _ZN9rocsolver6v33100L23getf2_npvt_small_kernelILi59EdiiPKPdEEvT1_T3_lS5_lPT2_S5_S5_
		.amdhsa_group_segment_fixed_size 0
		.amdhsa_private_segment_fixed_size 444
		.amdhsa_kernarg_size 312
		.amdhsa_user_sgpr_count 6
		.amdhsa_user_sgpr_private_segment_buffer 1
		.amdhsa_user_sgpr_dispatch_ptr 0
		.amdhsa_user_sgpr_queue_ptr 0
		.amdhsa_user_sgpr_kernarg_segment_ptr 1
		.amdhsa_user_sgpr_dispatch_id 0
		.amdhsa_user_sgpr_flat_scratch_init 0
		.amdhsa_user_sgpr_kernarg_preload_length 0
		.amdhsa_user_sgpr_kernarg_preload_offset 0
		.amdhsa_user_sgpr_private_segment_size 0
		.amdhsa_uses_dynamic_stack 0
		.amdhsa_system_sgpr_private_segment_wavefront_offset 1
		.amdhsa_system_sgpr_workgroup_id_x 1
		.amdhsa_system_sgpr_workgroup_id_y 1
		.amdhsa_system_sgpr_workgroup_id_z 0
		.amdhsa_system_sgpr_workgroup_info 0
		.amdhsa_system_vgpr_workitem_id 1
		.amdhsa_next_free_vgpr 256
		.amdhsa_next_free_sgpr 20
		.amdhsa_accum_offset 256
		.amdhsa_reserve_vcc 1
		.amdhsa_reserve_flat_scratch 0
		.amdhsa_float_round_mode_32 0
		.amdhsa_float_round_mode_16_64 0
		.amdhsa_float_denorm_mode_32 3
		.amdhsa_float_denorm_mode_16_64 3
		.amdhsa_dx10_clamp 1
		.amdhsa_ieee_mode 1
		.amdhsa_fp16_overflow 0
		.amdhsa_tg_split 0
		.amdhsa_exception_fp_ieee_invalid_op 0
		.amdhsa_exception_fp_denorm_src 0
		.amdhsa_exception_fp_ieee_div_zero 0
		.amdhsa_exception_fp_ieee_overflow 0
		.amdhsa_exception_fp_ieee_underflow 0
		.amdhsa_exception_fp_ieee_inexact 0
		.amdhsa_exception_int_div_zero 0
	.end_amdhsa_kernel
	.section	.text._ZN9rocsolver6v33100L23getf2_npvt_small_kernelILi59EdiiPKPdEEvT1_T3_lS5_lPT2_S5_S5_,"axG",@progbits,_ZN9rocsolver6v33100L23getf2_npvt_small_kernelILi59EdiiPKPdEEvT1_T3_lS5_lPT2_S5_S5_,comdat
.Lfunc_end117:
	.size	_ZN9rocsolver6v33100L23getf2_npvt_small_kernelILi59EdiiPKPdEEvT1_T3_lS5_lPT2_S5_S5_, .Lfunc_end117-_ZN9rocsolver6v33100L23getf2_npvt_small_kernelILi59EdiiPKPdEEvT1_T3_lS5_lPT2_S5_S5_
                                        ; -- End function
	.section	.AMDGPU.csdata,"",@progbits
; Kernel info:
; codeLenInByte = 57788
; NumSgprs: 24
; NumVgprs: 256
; NumAgprs: 0
; TotalNumVgprs: 256
; ScratchSize: 444
; MemoryBound: 0
; FloatMode: 240
; IeeeMode: 1
; LDSByteSize: 0 bytes/workgroup (compile time only)
; SGPRBlocks: 2
; VGPRBlocks: 31
; NumSGPRsForWavesPerEU: 24
; NumVGPRsForWavesPerEU: 256
; AccumOffset: 256
; Occupancy: 2
; WaveLimiterHint : 1
; COMPUTE_PGM_RSRC2:SCRATCH_EN: 1
; COMPUTE_PGM_RSRC2:USER_SGPR: 6
; COMPUTE_PGM_RSRC2:TRAP_HANDLER: 0
; COMPUTE_PGM_RSRC2:TGID_X_EN: 1
; COMPUTE_PGM_RSRC2:TGID_Y_EN: 1
; COMPUTE_PGM_RSRC2:TGID_Z_EN: 0
; COMPUTE_PGM_RSRC2:TIDIG_COMP_CNT: 1
; COMPUTE_PGM_RSRC3_GFX90A:ACCUM_OFFSET: 63
; COMPUTE_PGM_RSRC3_GFX90A:TG_SPLIT: 0
	.section	.text._ZN9rocsolver6v33100L18getf2_small_kernelILi60EdiiPKPdEEvT1_T3_lS5_lPS5_llPT2_S5_S5_S7_l,"axG",@progbits,_ZN9rocsolver6v33100L18getf2_small_kernelILi60EdiiPKPdEEvT1_T3_lS5_lPS5_llPT2_S5_S5_S7_l,comdat
	.globl	_ZN9rocsolver6v33100L18getf2_small_kernelILi60EdiiPKPdEEvT1_T3_lS5_lPS5_llPT2_S5_S5_S7_l ; -- Begin function _ZN9rocsolver6v33100L18getf2_small_kernelILi60EdiiPKPdEEvT1_T3_lS5_lPS5_llPT2_S5_S5_S7_l
	.p2align	8
	.type	_ZN9rocsolver6v33100L18getf2_small_kernelILi60EdiiPKPdEEvT1_T3_lS5_lPS5_llPT2_S5_S5_S7_l,@function
_ZN9rocsolver6v33100L18getf2_small_kernelILi60EdiiPKPdEEvT1_T3_lS5_lPS5_llPT2_S5_S5_S7_l: ; @_ZN9rocsolver6v33100L18getf2_small_kernelILi60EdiiPKPdEEvT1_T3_lS5_lPS5_llPT2_S5_S5_S7_l
; %bb.0:
	s_load_dword s0, s[4:5], 0x6c
	s_load_dwordx2 s[12:13], s[4:5], 0x48
	v_bfe_u32 v124, v0, 10, 10
	s_waitcnt lgkmcnt(0)
	s_lshr_b32 s0, s0, 16
	s_mul_i32 s7, s7, s0
	v_add_u32_e32 v2, s7, v124
	v_cmp_gt_i32_e32 vcc, s12, v2
	s_and_saveexec_b64 s[0:1], vcc
	s_cbranch_execz .LBB118_1017
; %bb.1:
	s_load_dwordx4 s[0:3], s[4:5], 0x8
	s_load_dwordx4 s[8:11], s[4:5], 0x50
	v_ashrrev_i32_e32 v3, 31, v2
	v_lshlrev_b64 v[4:5], 3, v[2:3]
	s_waitcnt lgkmcnt(0)
	v_mov_b32_e32 v1, s1
	v_add_co_u32_e32 v4, vcc, s0, v4
	v_addc_co_u32_e32 v5, vcc, v1, v5, vcc
	global_load_dwordx2 v[6:7], v[4:5], off
	s_cmp_eq_u64 s[8:9], 0
	s_cselect_b64 s[6:7], -1, 0
	s_and_b64 vcc, exec, s[6:7]
	v_pk_mov_b32 v[4:5], 0, 0
	s_cbranch_vccnz .LBB118_3
; %bb.2:
	v_mul_lo_u32 v1, v3, s10
	v_mul_lo_u32 v8, v2, s11
	v_mad_u64_u32 v[4:5], s[0:1], v2, s10, 0
	v_add3_u32 v5, v5, v8, v1
	v_lshlrev_b64 v[4:5], 2, v[4:5]
	v_mov_b32_e32 v1, s9
	v_add_co_u32_e32 v4, vcc, s8, v4
	v_addc_co_u32_e32 v5, vcc, v1, v5, vcc
.LBB118_3:
	s_load_dword s8, s[4:5], 0x18
	s_load_dword s18, s[4:5], 0x0
	s_lshl_b64 s[0:1], s[2:3], 3
	v_and_b32_e32 v132, 0x3ff, v0
	v_mov_b32_e32 v1, s1
	s_waitcnt lgkmcnt(0)
	s_add_i32 s12, s8, s8
	s_waitcnt vmcnt(0)
	v_add_co_u32_e32 v130, vcc, s0, v6
	v_add_u32_e32 v6, s12, v132
	v_addc_co_u32_e32 v131, vcc, v7, v1, vcc
	v_ashrrev_i32_e32 v7, 31, v6
	v_lshlrev_b64 v[0:1], 3, v[6:7]
	v_add_u32_e32 v8, s8, v6
	v_add_co_u32_e32 v0, vcc, v130, v0
	v_ashrrev_i32_e32 v9, 31, v8
	v_addc_co_u32_e32 v1, vcc, v131, v1, vcc
	v_lshlrev_b64 v[6:7], 3, v[8:9]
	v_add_u32_e32 v10, s8, v8
	v_add_co_u32_e32 v6, vcc, v130, v6
	v_ashrrev_i32_e32 v11, 31, v10
	v_addc_co_u32_e32 v7, vcc, v131, v7, vcc
	v_lshlrev_b64 v[8:9], 3, v[10:11]
	v_add_u32_e32 v12, s8, v10
	v_add_co_u32_e32 v8, vcc, v130, v8
	v_ashrrev_i32_e32 v13, 31, v12
	v_addc_co_u32_e32 v9, vcc, v131, v9, vcc
	v_lshlrev_b64 v[10:11], 3, v[12:13]
	v_add_u32_e32 v14, s8, v12
	v_add_co_u32_e32 v10, vcc, v130, v10
	v_ashrrev_i32_e32 v15, 31, v14
	v_addc_co_u32_e32 v11, vcc, v131, v11, vcc
	v_lshlrev_b64 v[12:13], 3, v[14:15]
	v_add_u32_e32 v16, s8, v14
	v_add_co_u32_e32 v12, vcc, v130, v12
	v_ashrrev_i32_e32 v17, 31, v16
	v_addc_co_u32_e32 v13, vcc, v131, v13, vcc
	v_lshlrev_b64 v[14:15], 3, v[16:17]
	v_add_u32_e32 v18, s8, v16
	v_add_co_u32_e32 v14, vcc, v130, v14
	v_ashrrev_i32_e32 v19, 31, v18
	v_addc_co_u32_e32 v15, vcc, v131, v15, vcc
	v_lshlrev_b64 v[16:17], 3, v[18:19]
	v_add_u32_e32 v20, s8, v18
	v_add_co_u32_e32 v16, vcc, v130, v16
	v_ashrrev_i32_e32 v21, 31, v20
	v_addc_co_u32_e32 v17, vcc, v131, v17, vcc
	v_lshlrev_b64 v[18:19], 3, v[20:21]
	v_add_u32_e32 v22, s8, v20
	v_add_co_u32_e32 v18, vcc, v130, v18
	v_ashrrev_i32_e32 v23, 31, v22
	v_addc_co_u32_e32 v19, vcc, v131, v19, vcc
	v_lshlrev_b64 v[20:21], 3, v[22:23]
	v_add_u32_e32 v24, s8, v22
	v_add_co_u32_e32 v20, vcc, v130, v20
	v_ashrrev_i32_e32 v25, 31, v24
	v_addc_co_u32_e32 v21, vcc, v131, v21, vcc
	v_lshlrev_b64 v[22:23], 3, v[24:25]
	v_add_u32_e32 v26, s8, v24
	v_add_co_u32_e32 v22, vcc, v130, v22
	v_ashrrev_i32_e32 v27, 31, v26
	v_addc_co_u32_e32 v23, vcc, v131, v23, vcc
	v_lshlrev_b64 v[24:25], 3, v[26:27]
	v_add_u32_e32 v28, s8, v26
	v_add_co_u32_e32 v24, vcc, v130, v24
	v_ashrrev_i32_e32 v29, 31, v28
	v_addc_co_u32_e32 v25, vcc, v131, v25, vcc
	v_lshlrev_b64 v[26:27], 3, v[28:29]
	v_add_u32_e32 v30, s8, v28
	v_add_co_u32_e32 v26, vcc, v130, v26
	v_ashrrev_i32_e32 v31, 31, v30
	v_addc_co_u32_e32 v27, vcc, v131, v27, vcc
	v_lshlrev_b64 v[28:29], 3, v[30:31]
	v_add_u32_e32 v30, s8, v30
	v_add_co_u32_e32 v28, vcc, v130, v28
	v_ashrrev_i32_e32 v31, 31, v30
	v_addc_co_u32_e32 v29, vcc, v131, v29, vcc
	v_lshlrev_b64 v[32:33], 3, v[30:31]
	v_add_u32_e32 v30, s8, v30
	v_add_co_u32_e32 v32, vcc, v130, v32
	v_ashrrev_i32_e32 v31, 31, v30
	v_addc_co_u32_e32 v33, vcc, v131, v33, vcc
	v_lshlrev_b64 v[34:35], 3, v[30:31]
	v_add_u32_e32 v30, s8, v30
	v_add_co_u32_e32 v34, vcc, v130, v34
	v_ashrrev_i32_e32 v31, 31, v30
	v_addc_co_u32_e32 v35, vcc, v131, v35, vcc
	v_lshlrev_b64 v[36:37], 3, v[30:31]
	v_add_u32_e32 v30, s8, v30
	v_add_co_u32_e32 v36, vcc, v130, v36
	v_ashrrev_i32_e32 v31, 31, v30
	v_addc_co_u32_e32 v37, vcc, v131, v37, vcc
	v_lshlrev_b64 v[38:39], 3, v[30:31]
	v_add_u32_e32 v30, s8, v30
	v_add_co_u32_e32 v38, vcc, v130, v38
	v_ashrrev_i32_e32 v31, 31, v30
	v_addc_co_u32_e32 v39, vcc, v131, v39, vcc
	v_lshlrev_b64 v[40:41], 3, v[30:31]
	v_add_u32_e32 v30, s8, v30
	v_add_co_u32_e32 v40, vcc, v130, v40
	v_ashrrev_i32_e32 v31, 31, v30
	v_addc_co_u32_e32 v41, vcc, v131, v41, vcc
	v_lshlrev_b64 v[42:43], 3, v[30:31]
	v_add_u32_e32 v30, s8, v30
	v_add_co_u32_e32 v42, vcc, v130, v42
	v_ashrrev_i32_e32 v31, 31, v30
	v_addc_co_u32_e32 v43, vcc, v131, v43, vcc
	v_lshlrev_b64 v[44:45], 3, v[30:31]
	v_add_u32_e32 v30, s8, v30
	v_add_co_u32_e32 v44, vcc, v130, v44
	v_ashrrev_i32_e32 v31, 31, v30
	v_addc_co_u32_e32 v45, vcc, v131, v45, vcc
	v_lshlrev_b64 v[46:47], 3, v[30:31]
	v_add_u32_e32 v30, s8, v30
	v_add_co_u32_e32 v46, vcc, v130, v46
	v_ashrrev_i32_e32 v31, 31, v30
	v_addc_co_u32_e32 v47, vcc, v131, v47, vcc
	v_lshlrev_b64 v[48:49], 3, v[30:31]
	v_add_u32_e32 v30, s8, v30
	v_add_co_u32_e32 v48, vcc, v130, v48
	v_ashrrev_i32_e32 v31, 31, v30
	v_addc_co_u32_e32 v49, vcc, v131, v49, vcc
	v_lshlrev_b64 v[50:51], 3, v[30:31]
	v_add_u32_e32 v30, s8, v30
	v_add_co_u32_e32 v50, vcc, v130, v50
	v_ashrrev_i32_e32 v31, 31, v30
	v_addc_co_u32_e32 v51, vcc, v131, v51, vcc
	v_lshlrev_b64 v[52:53], 3, v[30:31]
	v_add_u32_e32 v30, s8, v30
	v_add_co_u32_e32 v52, vcc, v130, v52
	v_ashrrev_i32_e32 v31, 31, v30
	v_addc_co_u32_e32 v53, vcc, v131, v53, vcc
	v_lshlrev_b64 v[54:55], 3, v[30:31]
	v_add_u32_e32 v30, s8, v30
	v_add_co_u32_e32 v54, vcc, v130, v54
	v_ashrrev_i32_e32 v31, 31, v30
	v_addc_co_u32_e32 v55, vcc, v131, v55, vcc
	v_lshlrev_b64 v[56:57], 3, v[30:31]
	v_add_u32_e32 v30, s8, v30
	v_add_co_u32_e32 v56, vcc, v130, v56
	v_ashrrev_i32_e32 v31, 31, v30
	v_addc_co_u32_e32 v57, vcc, v131, v57, vcc
	v_lshlrev_b64 v[58:59], 3, v[30:31]
	v_add_u32_e32 v30, s8, v30
	v_add_co_u32_e32 v58, vcc, v130, v58
	v_ashrrev_i32_e32 v31, 31, v30
	v_addc_co_u32_e32 v59, vcc, v131, v59, vcc
	v_lshlrev_b64 v[60:61], 3, v[30:31]
	v_add_u32_e32 v30, s8, v30
	v_add_co_u32_e32 v60, vcc, v130, v60
	v_ashrrev_i32_e32 v31, 31, v30
	v_addc_co_u32_e32 v61, vcc, v131, v61, vcc
	v_lshlrev_b64 v[62:63], 3, v[30:31]
	v_add_u32_e32 v30, s8, v30
	v_add_co_u32_e32 v122, vcc, v130, v62
	v_ashrrev_i32_e32 v31, 31, v30
	v_addc_co_u32_e32 v123, vcc, v131, v63, vcc
	v_lshlrev_b64 v[62:63], 3, v[30:31]
	v_add_u32_e32 v30, s8, v30
	v_add_co_u32_e32 v126, vcc, v130, v62
	v_ashrrev_i32_e32 v31, 31, v30
	v_addc_co_u32_e32 v127, vcc, v131, v63, vcc
	v_lshlrev_b64 v[62:63], 3, v[30:31]
	v_add_u32_e32 v30, s8, v30
	v_add_co_u32_e32 v128, vcc, v130, v62
	v_ashrrev_i32_e32 v31, 31, v30
	v_addc_co_u32_e32 v129, vcc, v131, v63, vcc
	v_lshlrev_b64 v[62:63], 3, v[30:31]
	v_add_u32_e32 v30, s8, v30
	v_add_co_u32_e32 v134, vcc, v130, v62
	v_ashrrev_i32_e32 v31, 31, v30
	v_addc_co_u32_e32 v135, vcc, v131, v63, vcc
	v_lshlrev_b64 v[62:63], 3, v[30:31]
	v_add_u32_e32 v30, s8, v30
	v_add_co_u32_e32 v136, vcc, v130, v62
	v_ashrrev_i32_e32 v31, 31, v30
	v_addc_co_u32_e32 v137, vcc, v131, v63, vcc
	v_lshlrev_b64 v[62:63], 3, v[30:31]
	v_add_u32_e32 v30, s8, v30
	v_add_co_u32_e32 v138, vcc, v130, v62
	v_ashrrev_i32_e32 v31, 31, v30
	v_addc_co_u32_e32 v139, vcc, v131, v63, vcc
	v_lshlrev_b64 v[62:63], 3, v[30:31]
	v_add_u32_e32 v30, s8, v30
	v_add_co_u32_e32 v140, vcc, v130, v62
	v_ashrrev_i32_e32 v31, 31, v30
	v_addc_co_u32_e32 v141, vcc, v131, v63, vcc
	v_lshlrev_b64 v[62:63], 3, v[30:31]
	v_add_u32_e32 v30, s8, v30
	v_add_co_u32_e32 v142, vcc, v130, v62
	v_ashrrev_i32_e32 v31, 31, v30
	v_addc_co_u32_e32 v143, vcc, v131, v63, vcc
	v_lshlrev_b64 v[62:63], 3, v[30:31]
	v_add_u32_e32 v30, s8, v30
	v_add_co_u32_e32 v144, vcc, v130, v62
	v_ashrrev_i32_e32 v31, 31, v30
	v_addc_co_u32_e32 v145, vcc, v131, v63, vcc
	v_lshlrev_b64 v[62:63], 3, v[30:31]
	v_add_u32_e32 v30, s8, v30
	v_add_co_u32_e32 v146, vcc, v130, v62
	v_ashrrev_i32_e32 v31, 31, v30
	v_addc_co_u32_e32 v147, vcc, v131, v63, vcc
	v_lshlrev_b64 v[62:63], 3, v[30:31]
	v_add_u32_e32 v30, s8, v30
	v_add_co_u32_e32 v148, vcc, v130, v62
	v_ashrrev_i32_e32 v31, 31, v30
	v_addc_co_u32_e32 v149, vcc, v131, v63, vcc
	v_lshlrev_b64 v[62:63], 3, v[30:31]
	v_add_u32_e32 v30, s8, v30
	v_add_co_u32_e32 v150, vcc, v130, v62
	v_ashrrev_i32_e32 v31, 31, v30
	v_addc_co_u32_e32 v151, vcc, v131, v63, vcc
	v_lshlrev_b64 v[62:63], 3, v[30:31]
	v_add_u32_e32 v30, s8, v30
	v_add_co_u32_e32 v152, vcc, v130, v62
	v_ashrrev_i32_e32 v31, 31, v30
	v_addc_co_u32_e32 v153, vcc, v131, v63, vcc
	v_lshlrev_b64 v[62:63], 3, v[30:31]
	v_add_u32_e32 v30, s8, v30
	v_add_co_u32_e32 v154, vcc, v130, v62
	v_ashrrev_i32_e32 v31, 31, v30
	v_addc_co_u32_e32 v155, vcc, v131, v63, vcc
	v_lshlrev_b64 v[62:63], 3, v[30:31]
	v_add_u32_e32 v30, s8, v30
	v_add_co_u32_e32 v156, vcc, v130, v62
	v_ashrrev_i32_e32 v31, 31, v30
	v_addc_co_u32_e32 v157, vcc, v131, v63, vcc
	v_lshlrev_b64 v[62:63], 3, v[30:31]
	v_add_u32_e32 v30, s8, v30
	v_add_co_u32_e32 v158, vcc, v130, v62
	v_ashrrev_i32_e32 v31, 31, v30
	v_addc_co_u32_e32 v159, vcc, v131, v63, vcc
	v_lshlrev_b64 v[62:63], 3, v[30:31]
	v_add_u32_e32 v30, s8, v30
	v_add_co_u32_e32 v160, vcc, v130, v62
	v_ashrrev_i32_e32 v31, 31, v30
	v_addc_co_u32_e32 v161, vcc, v131, v63, vcc
	v_lshlrev_b64 v[62:63], 3, v[30:31]
	v_add_u32_e32 v30, s8, v30
	v_add_co_u32_e32 v162, vcc, v130, v62
	v_ashrrev_i32_e32 v31, 31, v30
	v_addc_co_u32_e32 v163, vcc, v131, v63, vcc
	v_lshlrev_b64 v[62:63], 3, v[30:31]
	v_add_u32_e32 v30, s8, v30
	v_add_co_u32_e32 v164, vcc, v130, v62
	v_ashrrev_i32_e32 v31, 31, v30
	v_addc_co_u32_e32 v165, vcc, v131, v63, vcc
	v_lshlrev_b64 v[62:63], 3, v[30:31]
	v_add_u32_e32 v30, s8, v30
	v_add_co_u32_e32 v166, vcc, v130, v62
	v_ashrrev_i32_e32 v31, 31, v30
	v_addc_co_u32_e32 v167, vcc, v131, v63, vcc
	v_lshlrev_b64 v[62:63], 3, v[30:31]
	v_add_u32_e32 v30, s8, v30
	v_add_co_u32_e32 v168, vcc, v130, v62
	v_ashrrev_i32_e32 v31, 31, v30
	v_addc_co_u32_e32 v169, vcc, v131, v63, vcc
	v_lshlrev_b64 v[62:63], 3, v[30:31]
	v_add_u32_e32 v30, s8, v30
	v_add_co_u32_e32 v170, vcc, v130, v62
	v_ashrrev_i32_e32 v31, 31, v30
	v_addc_co_u32_e32 v171, vcc, v131, v63, vcc
	v_lshlrev_b64 v[62:63], 3, v[30:31]
	v_add_u32_e32 v30, s8, v30
	v_add_co_u32_e32 v172, vcc, v130, v62
	v_ashrrev_i32_e32 v31, 31, v30
	v_addc_co_u32_e32 v173, vcc, v131, v63, vcc
	v_lshlrev_b64 v[62:63], 3, v[30:31]
	v_add_u32_e32 v30, s8, v30
	v_add_co_u32_e32 v174, vcc, v130, v62
	v_ashrrev_i32_e32 v31, 31, v30
	v_addc_co_u32_e32 v175, vcc, v131, v63, vcc
	v_lshlrev_b64 v[62:63], 3, v[30:31]
	v_add_u32_e32 v30, s8, v30
	v_add_co_u32_e32 v176, vcc, v130, v62
	v_ashrrev_i32_e32 v31, 31, v30
	v_addc_co_u32_e32 v177, vcc, v131, v63, vcc
	v_lshlrev_b64 v[62:63], 3, v[30:31]
	v_add_u32_e32 v30, s8, v30
	v_add_co_u32_e32 v178, vcc, v130, v62
	v_ashrrev_i32_e32 v31, 31, v30
	v_addc_co_u32_e32 v179, vcc, v131, v63, vcc
	v_lshlrev_b64 v[62:63], 3, v[30:31]
	v_add_u32_e32 v30, s8, v30
	v_add_co_u32_e32 v180, vcc, v130, v62
	v_ashrrev_i32_e32 v31, 31, v30
	v_addc_co_u32_e32 v181, vcc, v131, v63, vcc
	v_lshlrev_b64 v[62:63], 3, v[30:31]
	v_add_u32_e32 v30, s8, v30
	v_add_co_u32_e32 v182, vcc, v130, v62
	v_ashrrev_i32_e32 v31, 31, v30
	v_addc_co_u32_e32 v183, vcc, v131, v63, vcc
	v_lshlrev_b64 v[62:63], 3, v[30:31]
	v_add_u32_e32 v30, s8, v30
	v_add_co_u32_e32 v184, vcc, v130, v62
	v_ashrrev_i32_e32 v31, 31, v30
	v_addc_co_u32_e32 v185, vcc, v131, v63, vcc
	v_lshlrev_b64 v[30:31], 3, v[30:31]
	v_add_co_u32_e32 v186, vcc, v130, v30
	v_addc_co_u32_e32 v187, vcc, v131, v31, vcc
	v_lshlrev_b32_e32 v125, 3, v132
	v_add_co_u32_e32 v30, vcc, v130, v125
	s_ashr_i32 s9, s8, 31
	v_addc_co_u32_e32 v31, vcc, 0, v131, vcc
	s_lshl_b64 s[10:11], s[8:9], 3
	v_mov_b32_e32 v63, s11
	v_add_co_u32_e32 v62, vcc, s10, v30
	v_addc_co_u32_e32 v63, vcc, v31, v63, vcc
	global_load_dwordx2 v[118:119], v[30:31], off
	global_load_dwordx2 v[120:121], v[62:63], off
	;; [unrolled: 1-line block ×30, first 2 shown]
	s_nop 0
	global_load_dwordx2 v[60:61], v[122:123], off
	global_load_dwordx2 v[58:59], v[126:127], off
	;; [unrolled: 1-line block ×30, first 2 shown]
	s_max_i32 s0, s18, 60
	v_mul_lo_u32 v126, s0, v124
	v_lshl_add_u32 v128, v126, 3, 0
	v_add_u32_e32 v124, v128, v125
	s_cmp_lt_i32 s18, 2
	v_lshlrev_b32_e32 v133, 3, v126
	v_mov_b32_e32 v126, 0
	s_waitcnt vmcnt(59)
	ds_write_b64 v124, v[118:119]
	s_waitcnt lgkmcnt(0)
	s_barrier
	ds_read_b64 v[124:125], v128
	s_cbranch_scc1 .LBB118_6
; %bb.4:
	v_add3_u32 v127, v133, 0, 8
	s_mov_b32 s0, 1
	v_mov_b32_e32 v126, 0
.LBB118_5:                              ; =>This Inner Loop Header: Depth=1
	ds_read_b64 v[134:135], v127
	v_mov_b32_e32 v129, s0
	s_add_i32 s0, s0, 1
	v_add_u32_e32 v127, 8, v127
	s_cmp_eq_u32 s18, s0
	s_waitcnt lgkmcnt(0)
	v_cmp_lt_f64_e64 vcc, |v[124:125]|, |v[134:135]|
	v_cndmask_b32_e32 v125, v125, v135, vcc
	v_cndmask_b32_e32 v124, v124, v134, vcc
	;; [unrolled: 1-line block ×3, first 2 shown]
	s_cbranch_scc0 .LBB118_5
.LBB118_6:
	v_cmp_ne_u32_e32 vcc, v132, v126
                                        ; implicit-def: $vgpr129
	s_and_saveexec_b64 s[0:1], vcc
	s_xor_b64 s[0:1], exec, s[0:1]
	s_cbranch_execz .LBB118_12
; %bb.7:
	v_cmp_eq_u32_e32 vcc, 0, v132
	s_and_saveexec_b64 s[2:3], vcc
	s_cbranch_execz .LBB118_11
; %bb.8:
	v_cmp_ne_u32_e32 vcc, 0, v126
	s_xor_b64 s[14:15], s[6:7], -1
	s_and_b64 s[16:17], s[14:15], vcc
	s_and_saveexec_b64 s[14:15], s[16:17]
	s_cbranch_execz .LBB118_10
; %bb.9:
	v_ashrrev_i32_e32 v127, 31, v126
	v_lshlrev_b64 v[134:135], 2, v[126:127]
	v_add_co_u32_e32 v134, vcc, v4, v134
	v_addc_co_u32_e32 v135, vcc, v5, v135, vcc
	flat_load_dword v127, v[134:135]
	flat_load_dword v129, v[4:5]
	s_waitcnt vmcnt(0) lgkmcnt(0)
	flat_store_dword v[4:5], v127
	flat_store_dword v[134:135], v129
.LBB118_10:
	s_or_b64 exec, exec, s[14:15]
	v_mov_b32_e32 v132, v126
.LBB118_11:
	s_or_b64 exec, exec, s[2:3]
	v_mov_b32_e32 v129, v132
                                        ; implicit-def: $vgpr132
.LBB118_12:
	s_or_saveexec_b64 s[0:1], s[0:1]
	v_mov_b32_e32 v127, v129
	s_xor_b64 exec, exec, s[0:1]
	s_cbranch_execz .LBB118_14
; %bb.13:
	v_mov_b32_e32 v129, 0
	v_mov_b32_e32 v127, v132
	s_waitcnt vmcnt(0)
	ds_write2_b64 v128, v[120:121], v[116:117] offset0:1 offset1:2
	ds_write2_b64 v128, v[114:115], v[112:113] offset0:3 offset1:4
	;; [unrolled: 1-line block ×29, first 2 shown]
	ds_write_b64 v128, v[122:123] offset:472
.LBB118_14:
	s_or_b64 exec, exec, s[0:1]
	s_waitcnt lgkmcnt(0)
	v_cmp_eq_f64_e64 s[0:1], 0, v[124:125]
	v_cmp_lt_i32_e32 vcc, 0, v129
	s_barrier
	s_and_saveexec_b64 s[2:3], vcc
	s_cbranch_execz .LBB118_16
; %bb.15:
	v_div_scale_f64 v[134:135], s[14:15], v[124:125], v[124:125], 1.0
	v_rcp_f64_e32 v[136:137], v[134:135]
	v_div_scale_f64 v[138:139], vcc, 1.0, v[124:125], 1.0
	ds_read2_b64 v[142:145], v128 offset0:5 offset1:6
	v_fma_f64 v[140:141], -v[134:135], v[136:137], 1.0
	v_fmac_f64_e32 v[136:137], v[136:137], v[140:141]
	v_fma_f64 v[140:141], -v[134:135], v[136:137], 1.0
	v_fmac_f64_e32 v[136:137], v[136:137], v[140:141]
	v_mul_f64 v[140:141], v[138:139], v[136:137]
	v_fma_f64 v[134:135], -v[134:135], v[140:141], v[138:139]
	v_div_fmas_f64 v[134:135], v[134:135], v[136:137], v[140:141]
	v_div_fixup_f64 v[138:139], v[134:135], v[124:125], 1.0
	ds_read2_b64 v[134:137], v128 offset0:1 offset1:2
	v_cndmask_b32_e64 v125, v139, v125, s[0:1]
	v_cndmask_b32_e64 v124, v138, v124, s[0:1]
	ds_read2_b64 v[138:141], v128 offset0:3 offset1:4
	v_mul_f64 v[118:119], v[124:125], v[118:119]
	s_waitcnt vmcnt(0) lgkmcnt(0)
	v_fma_f64 v[120:121], -v[118:119], v[134:135], v[120:121]
	v_fma_f64 v[116:117], -v[118:119], v[136:137], v[116:117]
	ds_read2_b64 v[134:137], v128 offset0:7 offset1:8
	v_fma_f64 v[114:115], -v[118:119], v[138:139], v[114:115]
	v_fma_f64 v[112:113], -v[118:119], v[140:141], v[112:113]
	ds_read2_b64 v[138:141], v128 offset0:9 offset1:10
	;; [unrolled: 3-line block ×3, first 2 shown]
	s_waitcnt lgkmcnt(2)
	v_fma_f64 v[106:107], -v[118:119], v[134:135], v[106:107]
	v_fma_f64 v[104:105], -v[118:119], v[136:137], v[104:105]
	s_waitcnt lgkmcnt(1)
	v_fma_f64 v[102:103], -v[118:119], v[138:139], v[102:103]
	ds_read2_b64 v[134:137], v128 offset0:13 offset1:14
	v_fma_f64 v[100:101], -v[118:119], v[140:141], v[100:101]
	ds_read2_b64 v[138:141], v128 offset0:15 offset1:16
	s_waitcnt lgkmcnt(2)
	v_fma_f64 v[98:99], -v[118:119], v[142:143], v[98:99]
	v_fma_f64 v[96:97], -v[118:119], v[144:145], v[96:97]
	s_waitcnt lgkmcnt(1)
	v_fma_f64 v[94:95], -v[118:119], v[134:135], v[94:95]
	ds_read2_b64 v[142:145], v128 offset0:17 offset1:18
	v_fma_f64 v[92:93], -v[118:119], v[136:137], v[92:93]
	ds_read2_b64 v[134:137], v128 offset0:19 offset1:20
	s_waitcnt lgkmcnt(2)
	v_fma_f64 v[90:91], -v[118:119], v[138:139], v[90:91]
	v_fma_f64 v[88:89], -v[118:119], v[140:141], v[88:89]
	ds_read2_b64 v[138:141], v128 offset0:21 offset1:22
	s_waitcnt lgkmcnt(2)
	v_fma_f64 v[86:87], -v[118:119], v[142:143], v[86:87]
	v_fma_f64 v[84:85], -v[118:119], v[144:145], v[84:85]
	ds_read2_b64 v[142:145], v128 offset0:23 offset1:24
	s_waitcnt lgkmcnt(2)
	v_fma_f64 v[82:83], -v[118:119], v[134:135], v[82:83]
	v_fma_f64 v[80:81], -v[118:119], v[136:137], v[80:81]
	s_waitcnt lgkmcnt(1)
	v_fma_f64 v[78:79], -v[118:119], v[138:139], v[78:79]
	ds_read2_b64 v[134:137], v128 offset0:25 offset1:26
	v_fma_f64 v[76:77], -v[118:119], v[140:141], v[76:77]
	ds_read2_b64 v[138:141], v128 offset0:27 offset1:28
	s_waitcnt lgkmcnt(2)
	v_fma_f64 v[74:75], -v[118:119], v[142:143], v[74:75]
	v_fma_f64 v[72:73], -v[118:119], v[144:145], v[72:73]
	s_waitcnt lgkmcnt(1)
	v_fma_f64 v[70:71], -v[118:119], v[134:135], v[70:71]
	ds_read2_b64 v[142:145], v128 offset0:29 offset1:30
	v_fma_f64 v[68:69], -v[118:119], v[136:137], v[68:69]
	ds_read2_b64 v[134:137], v128 offset0:31 offset1:32
	s_waitcnt lgkmcnt(2)
	v_fma_f64 v[66:67], -v[118:119], v[138:139], v[66:67]
	v_fma_f64 v[64:65], -v[118:119], v[140:141], v[64:65]
	ds_read2_b64 v[138:141], v128 offset0:33 offset1:34
	s_waitcnt lgkmcnt(2)
	v_fma_f64 v[62:63], -v[118:119], v[142:143], v[62:63]
	v_fma_f64 v[60:61], -v[118:119], v[144:145], v[60:61]
	ds_read2_b64 v[142:145], v128 offset0:35 offset1:36
	;; [unrolled: 24-line block ×3, first 2 shown]
	s_waitcnt lgkmcnt(2)
	v_fma_f64 v[34:35], -v[118:119], v[134:135], v[34:35]
	v_fma_f64 v[32:33], -v[118:119], v[136:137], v[32:33]
	s_waitcnt lgkmcnt(1)
	v_fma_f64 v[30:31], -v[118:119], v[138:139], v[30:31]
	ds_read2_b64 v[134:137], v128 offset0:49 offset1:50
	v_fma_f64 v[28:29], -v[118:119], v[140:141], v[28:29]
	ds_read2_b64 v[138:141], v128 offset0:51 offset1:52
	s_waitcnt lgkmcnt(2)
	v_fma_f64 v[26:27], -v[118:119], v[142:143], v[26:27]
	v_fma_f64 v[24:25], -v[118:119], v[144:145], v[24:25]
	s_waitcnt lgkmcnt(1)
	v_fma_f64 v[22:23], -v[118:119], v[134:135], v[22:23]
	ds_read2_b64 v[142:145], v128 offset0:53 offset1:54
	v_fma_f64 v[20:21], -v[118:119], v[136:137], v[20:21]
	ds_read2_b64 v[134:137], v128 offset0:55 offset1:56
	s_waitcnt lgkmcnt(2)
	v_fma_f64 v[18:19], -v[118:119], v[138:139], v[18:19]
	v_fma_f64 v[16:17], -v[118:119], v[140:141], v[16:17]
	ds_read2_b64 v[138:141], v128 offset0:57 offset1:58
	ds_read_b64 v[124:125], v128 offset:472
	s_waitcnt lgkmcnt(3)
	v_fma_f64 v[14:15], -v[118:119], v[142:143], v[14:15]
	v_fma_f64 v[12:13], -v[118:119], v[144:145], v[12:13]
	s_waitcnt lgkmcnt(2)
	v_fma_f64 v[10:11], -v[118:119], v[134:135], v[10:11]
	v_fma_f64 v[8:9], -v[118:119], v[136:137], v[8:9]
	;; [unrolled: 3-line block ×3, first 2 shown]
	s_waitcnt lgkmcnt(0)
	v_fma_f64 v[122:123], -v[118:119], v[124:125], v[122:123]
.LBB118_16:
	s_or_b64 exec, exec, s[2:3]
	v_lshl_add_u32 v124, v129, 3, v128
	s_barrier
	s_waitcnt vmcnt(0)
	ds_write_b64 v124, v[120:121]
	s_waitcnt lgkmcnt(0)
	s_barrier
	ds_read_b64 v[124:125], v128 offset:8
	s_cmp_lt_i32 s18, 3
	v_mov_b32_e32 v126, 1
	s_cbranch_scc1 .LBB118_19
; %bb.17:
	v_add3_u32 v132, v133, 0, 16
	s_mov_b32 s2, 2
	v_mov_b32_e32 v126, 1
.LBB118_18:                             ; =>This Inner Loop Header: Depth=1
	ds_read_b64 v[134:135], v132
	v_mov_b32_e32 v136, s2
	s_add_i32 s2, s2, 1
	v_add_u32_e32 v132, 8, v132
	s_cmp_lg_u32 s18, s2
	s_waitcnt lgkmcnt(0)
	v_cmp_lt_f64_e64 vcc, |v[124:125]|, |v[134:135]|
	v_cndmask_b32_e32 v125, v125, v135, vcc
	v_cndmask_b32_e32 v124, v124, v134, vcc
	;; [unrolled: 1-line block ×3, first 2 shown]
	s_cbranch_scc1 .LBB118_18
.LBB118_19:
	v_cmp_ne_u32_e32 vcc, v129, v126
	s_and_saveexec_b64 s[2:3], vcc
	s_xor_b64 s[2:3], exec, s[2:3]
	s_cbranch_execz .LBB118_25
; %bb.20:
	v_cmp_eq_u32_e32 vcc, 1, v129
	s_and_saveexec_b64 s[14:15], vcc
	s_cbranch_execz .LBB118_24
; %bb.21:
	v_cmp_ne_u32_e32 vcc, 1, v126
	s_xor_b64 s[16:17], s[6:7], -1
	s_and_b64 s[20:21], s[16:17], vcc
	s_and_saveexec_b64 s[16:17], s[20:21]
	s_cbranch_execz .LBB118_23
; %bb.22:
	v_ashrrev_i32_e32 v127, 31, v126
	v_lshlrev_b64 v[134:135], 2, v[126:127]
	v_add_co_u32_e32 v134, vcc, v4, v134
	v_addc_co_u32_e32 v135, vcc, v5, v135, vcc
	flat_load_dword v127, v[134:135]
	flat_load_dword v129, v[4:5] offset:4
	s_waitcnt vmcnt(0) lgkmcnt(0)
	flat_store_dword v[4:5], v127 offset:4
	flat_store_dword v[134:135], v129
.LBB118_23:
	s_or_b64 exec, exec, s[16:17]
	v_mov_b32_e32 v127, v126
	v_mov_b32_e32 v129, v126
.LBB118_24:
	s_or_b64 exec, exec, s[14:15]
.LBB118_25:
	s_andn2_saveexec_b64 s[2:3], s[2:3]
	s_cbranch_execz .LBB118_27
; %bb.26:
	v_mov_b32_e32 v134, v116
	v_mov_b32_e32 v135, v117
	v_mov_b32_e32 v136, v114
	v_mov_b32_e32 v137, v115
	ds_write2_b64 v128, v[134:135], v[136:137] offset0:2 offset1:3
	v_mov_b32_e32 v134, v112
	v_mov_b32_e32 v135, v113
	v_mov_b32_e32 v136, v110
	v_mov_b32_e32 v137, v111
	ds_write2_b64 v128, v[134:135], v[136:137] offset0:4 offset1:5
	;; [unrolled: 5-line block ×28, first 2 shown]
	v_mov_b32_e32 v134, v0
	v_mov_b32_e32 v135, v1
	;; [unrolled: 1-line block ×3, first 2 shown]
	ds_write2_b64 v128, v[134:135], v[122:123] offset0:58 offset1:59
.LBB118_27:
	s_or_b64 exec, exec, s[2:3]
	s_waitcnt lgkmcnt(0)
	v_cmp_neq_f64_e64 s[2:3], 0, v[124:125]
	v_cmp_lt_i32_e32 vcc, 1, v129
	s_barrier
	s_and_saveexec_b64 s[14:15], vcc
	s_cbranch_execz .LBB118_29
; %bb.28:
	v_div_scale_f64 v[134:135], s[16:17], v[124:125], v[124:125], 1.0
	v_rcp_f64_e32 v[136:137], v[134:135]
	v_div_scale_f64 v[138:139], vcc, 1.0, v[124:125], 1.0
	ds_read2_b64 v[142:145], v128 offset0:6 offset1:7
	v_fma_f64 v[140:141], -v[134:135], v[136:137], 1.0
	v_fmac_f64_e32 v[136:137], v[136:137], v[140:141]
	v_fma_f64 v[140:141], -v[134:135], v[136:137], 1.0
	v_fmac_f64_e32 v[136:137], v[136:137], v[140:141]
	v_mul_f64 v[140:141], v[138:139], v[136:137]
	v_fma_f64 v[134:135], -v[134:135], v[140:141], v[138:139]
	v_div_fmas_f64 v[134:135], v[134:135], v[136:137], v[140:141]
	v_div_fixup_f64 v[138:139], v[134:135], v[124:125], 1.0
	ds_read2_b64 v[134:137], v128 offset0:2 offset1:3
	v_cndmask_b32_e64 v125, v125, v139, s[2:3]
	v_cndmask_b32_e64 v124, v124, v138, s[2:3]
	ds_read2_b64 v[138:141], v128 offset0:4 offset1:5
	v_mul_f64 v[120:121], v[124:125], v[120:121]
	s_waitcnt lgkmcnt(0)
	v_fma_f64 v[116:117], -v[120:121], v[134:135], v[116:117]
	v_fma_f64 v[114:115], -v[120:121], v[136:137], v[114:115]
	ds_read2_b64 v[134:137], v128 offset0:8 offset1:9
	v_fma_f64 v[112:113], -v[120:121], v[138:139], v[112:113]
	v_fma_f64 v[110:111], -v[120:121], v[140:141], v[110:111]
	ds_read2_b64 v[138:141], v128 offset0:10 offset1:11
	;; [unrolled: 3-line block ×3, first 2 shown]
	s_waitcnt lgkmcnt(0)
	v_fma_f64 v[104:105], -v[120:121], v[134:135], v[104:105]
	v_fma_f64 v[102:103], -v[120:121], v[136:137], v[102:103]
	;; [unrolled: 1-line block ×3, first 2 shown]
	ds_read2_b64 v[134:137], v128 offset0:14 offset1:15
	v_fma_f64 v[98:99], -v[120:121], v[140:141], v[98:99]
	ds_read2_b64 v[138:141], v128 offset0:16 offset1:17
	v_fma_f64 v[96:97], -v[120:121], v[142:143], v[96:97]
	v_fma_f64 v[94:95], -v[120:121], v[144:145], v[94:95]
	s_waitcnt lgkmcnt(0)
	v_fma_f64 v[92:93], -v[120:121], v[134:135], v[92:93]
	ds_read2_b64 v[142:145], v128 offset0:18 offset1:19
	v_fma_f64 v[90:91], -v[120:121], v[136:137], v[90:91]
	ds_read2_b64 v[134:137], v128 offset0:20 offset1:21
	v_fma_f64 v[88:89], -v[120:121], v[138:139], v[88:89]
	v_fma_f64 v[86:87], -v[120:121], v[140:141], v[86:87]
	ds_read2_b64 v[138:141], v128 offset0:22 offset1:23
	s_waitcnt lgkmcnt(0)
	v_fma_f64 v[84:85], -v[120:121], v[142:143], v[84:85]
	v_fma_f64 v[82:83], -v[120:121], v[144:145], v[82:83]
	ds_read2_b64 v[142:145], v128 offset0:24 offset1:25
	v_fma_f64 v[80:81], -v[120:121], v[134:135], v[80:81]
	v_fma_f64 v[78:79], -v[120:121], v[136:137], v[78:79]
	v_fma_f64 v[76:77], -v[120:121], v[138:139], v[76:77]
	ds_read2_b64 v[134:137], v128 offset0:26 offset1:27
	v_fma_f64 v[74:75], -v[120:121], v[140:141], v[74:75]
	ds_read2_b64 v[138:141], v128 offset0:28 offset1:29
	s_waitcnt lgkmcnt(0)
	v_fma_f64 v[72:73], -v[120:121], v[142:143], v[72:73]
	v_fma_f64 v[70:71], -v[120:121], v[144:145], v[70:71]
	v_fma_f64 v[68:69], -v[120:121], v[134:135], v[68:69]
	ds_read2_b64 v[142:145], v128 offset0:30 offset1:31
	v_fma_f64 v[66:67], -v[120:121], v[136:137], v[66:67]
	ds_read2_b64 v[134:137], v128 offset0:32 offset1:33
	v_fma_f64 v[64:65], -v[120:121], v[138:139], v[64:65]
	v_fma_f64 v[62:63], -v[120:121], v[140:141], v[62:63]
	ds_read2_b64 v[138:141], v128 offset0:34 offset1:35
	s_waitcnt lgkmcnt(0)
	v_fma_f64 v[60:61], -v[120:121], v[142:143], v[60:61]
	v_fma_f64 v[58:59], -v[120:121], v[144:145], v[58:59]
	ds_read2_b64 v[142:145], v128 offset0:36 offset1:37
	v_fma_f64 v[56:57], -v[120:121], v[134:135], v[56:57]
	v_fma_f64 v[54:55], -v[120:121], v[136:137], v[54:55]
	v_fma_f64 v[52:53], -v[120:121], v[138:139], v[52:53]
	ds_read2_b64 v[134:137], v128 offset0:38 offset1:39
	v_fma_f64 v[50:51], -v[120:121], v[140:141], v[50:51]
	ds_read2_b64 v[138:141], v128 offset0:40 offset1:41
	s_waitcnt lgkmcnt(0)
	v_fma_f64 v[48:49], -v[120:121], v[142:143], v[48:49]
	v_fma_f64 v[46:47], -v[120:121], v[144:145], v[46:47]
	;; [unrolled: 20-line block ×3, first 2 shown]
	v_fma_f64 v[20:21], -v[120:121], v[134:135], v[20:21]
	v_fma_f64 v[18:19], -v[120:121], v[136:137], v[18:19]
	ds_read2_b64 v[134:137], v128 offset0:54 offset1:55
	ds_read2_b64 v[142:145], v128 offset0:56 offset1:57
	v_fma_f64 v[16:17], -v[120:121], v[138:139], v[16:17]
	v_fma_f64 v[14:15], -v[120:121], v[140:141], v[14:15]
	ds_read2_b64 v[138:141], v128 offset0:58 offset1:59
	s_waitcnt lgkmcnt(0)
	v_fma_f64 v[12:13], -v[120:121], v[134:135], v[12:13]
	v_fma_f64 v[10:11], -v[120:121], v[136:137], v[10:11]
	;; [unrolled: 1-line block ×6, first 2 shown]
.LBB118_29:
	s_or_b64 exec, exec, s[14:15]
	v_lshl_add_u32 v124, v129, 3, v128
	s_barrier
	ds_write_b64 v124, v[116:117]
	s_waitcnt lgkmcnt(0)
	s_barrier
	ds_read_b64 v[124:125], v128 offset:16
	s_mov_b32 s9, 3
	s_cmp_lt_i32 s18, 4
	v_mov_b32_e32 v126, 2
	s_cbranch_scc1 .LBB118_32
; %bb.30:
	v_add3_u32 v132, v133, 0, 24
	v_mov_b32_e32 v126, 2
.LBB118_31:                             ; =>This Inner Loop Header: Depth=1
	ds_read_b64 v[134:135], v132
	v_mov_b32_e32 v136, s9
	s_add_i32 s9, s9, 1
	v_add_u32_e32 v132, 8, v132
	s_cmp_lg_u32 s18, s9
	s_waitcnt lgkmcnt(0)
	v_cmp_lt_f64_e64 vcc, |v[124:125]|, |v[134:135]|
	v_cndmask_b32_e32 v125, v125, v135, vcc
	v_cndmask_b32_e32 v124, v124, v134, vcc
	;; [unrolled: 1-line block ×3, first 2 shown]
	s_cbranch_scc1 .LBB118_31
.LBB118_32:
	v_cndmask_b32_e64 v132, 2, 1, s[0:1]
	v_cndmask_b32_e64 v134, 0, 1, s[0:1]
	;; [unrolled: 1-line block ×3, first 2 shown]
	s_waitcnt lgkmcnt(0)
	v_cmp_eq_f64_e32 vcc, 0, v[124:125]
	s_and_saveexec_b64 s[0:1], vcc
	s_xor_b64 s[0:1], exec, s[0:1]
; %bb.33:
	v_cmp_ne_u32_e32 vcc, 0, v132
	v_cndmask_b32_e32 v132, 3, v132, vcc
; %bb.34:
	s_andn2_saveexec_b64 s[0:1], s[0:1]
; %bb.35:
	v_div_scale_f64 v[134:135], s[2:3], v[124:125], v[124:125], 1.0
	v_rcp_f64_e32 v[136:137], v[134:135]
	v_div_scale_f64 v[138:139], vcc, 1.0, v[124:125], 1.0
	v_fma_f64 v[140:141], -v[134:135], v[136:137], 1.0
	v_fmac_f64_e32 v[136:137], v[136:137], v[140:141]
	v_fma_f64 v[140:141], -v[134:135], v[136:137], 1.0
	v_fmac_f64_e32 v[136:137], v[136:137], v[140:141]
	v_mul_f64 v[140:141], v[138:139], v[136:137]
	v_fma_f64 v[134:135], -v[134:135], v[140:141], v[138:139]
	v_div_fmas_f64 v[134:135], v[134:135], v[136:137], v[140:141]
	v_div_fixup_f64 v[124:125], v[134:135], v[124:125], 1.0
; %bb.36:
	s_or_b64 exec, exec, s[0:1]
	v_cmp_ne_u32_e32 vcc, v129, v126
	s_and_saveexec_b64 s[0:1], vcc
	s_xor_b64 s[0:1], exec, s[0:1]
	s_cbranch_execz .LBB118_42
; %bb.37:
	v_cmp_eq_u32_e32 vcc, 2, v129
	s_and_saveexec_b64 s[2:3], vcc
	s_cbranch_execz .LBB118_41
; %bb.38:
	v_cmp_ne_u32_e32 vcc, 2, v126
	s_xor_b64 s[14:15], s[6:7], -1
	s_and_b64 s[16:17], s[14:15], vcc
	s_and_saveexec_b64 s[14:15], s[16:17]
	s_cbranch_execz .LBB118_40
; %bb.39:
	v_ashrrev_i32_e32 v127, 31, v126
	v_lshlrev_b64 v[134:135], 2, v[126:127]
	v_add_co_u32_e32 v134, vcc, v4, v134
	v_addc_co_u32_e32 v135, vcc, v5, v135, vcc
	flat_load_dword v127, v[134:135]
	flat_load_dword v129, v[4:5] offset:8
	s_waitcnt vmcnt(0) lgkmcnt(0)
	flat_store_dword v[4:5], v127 offset:8
	flat_store_dword v[134:135], v129
.LBB118_40:
	s_or_b64 exec, exec, s[14:15]
	v_mov_b32_e32 v127, v126
	v_mov_b32_e32 v129, v126
.LBB118_41:
	s_or_b64 exec, exec, s[2:3]
.LBB118_42:
	s_andn2_saveexec_b64 s[0:1], s[0:1]
	s_cbranch_execz .LBB118_44
; %bb.43:
	v_mov_b32_e32 v129, 2
	ds_write2_b64 v128, v[114:115], v[112:113] offset0:3 offset1:4
	ds_write2_b64 v128, v[110:111], v[108:109] offset0:5 offset1:6
	;; [unrolled: 1-line block ×28, first 2 shown]
	ds_write_b64 v128, v[122:123] offset:472
.LBB118_44:
	s_or_b64 exec, exec, s[0:1]
	v_cmp_lt_i32_e32 vcc, 2, v129
	s_waitcnt lgkmcnt(0)
	s_barrier
	s_and_saveexec_b64 s[0:1], vcc
	s_cbranch_execz .LBB118_46
; %bb.45:
	ds_read2_b64 v[134:137], v128 offset0:3 offset1:4
	ds_read2_b64 v[138:141], v128 offset0:5 offset1:6
	v_mul_f64 v[116:117], v[124:125], v[116:117]
	ds_read2_b64 v[142:145], v128 offset0:7 offset1:8
	ds_read_b64 v[124:125], v128 offset:472
	s_waitcnt lgkmcnt(0)
	v_fma_f64 v[114:115], -v[116:117], v[134:135], v[114:115]
	v_fma_f64 v[112:113], -v[116:117], v[136:137], v[112:113]
	ds_read2_b64 v[134:137], v128 offset0:9 offset1:10
	v_fma_f64 v[110:111], -v[116:117], v[138:139], v[110:111]
	v_fma_f64 v[108:109], -v[116:117], v[140:141], v[108:109]
	;; [unrolled: 1-line block ×3, first 2 shown]
	ds_read2_b64 v[138:141], v128 offset0:11 offset1:12
	v_fma_f64 v[104:105], -v[116:117], v[144:145], v[104:105]
	ds_read2_b64 v[142:145], v128 offset0:13 offset1:14
	s_waitcnt lgkmcnt(0)
	v_fma_f64 v[102:103], -v[116:117], v[134:135], v[102:103]
	v_fma_f64 v[100:101], -v[116:117], v[136:137], v[100:101]
	ds_read2_b64 v[134:137], v128 offset0:15 offset1:16
	v_fma_f64 v[98:99], -v[116:117], v[138:139], v[98:99]
	v_fma_f64 v[96:97], -v[116:117], v[140:141], v[96:97]
	ds_read2_b64 v[138:141], v128 offset0:17 offset1:18
	v_fma_f64 v[94:95], -v[116:117], v[142:143], v[94:95]
	v_fma_f64 v[92:93], -v[116:117], v[144:145], v[92:93]
	s_waitcnt lgkmcnt(0)
	v_fma_f64 v[90:91], -v[116:117], v[134:135], v[90:91]
	ds_read2_b64 v[142:145], v128 offset0:19 offset1:20
	v_fma_f64 v[88:89], -v[116:117], v[136:137], v[88:89]
	ds_read2_b64 v[134:137], v128 offset0:21 offset1:22
	v_fma_f64 v[86:87], -v[116:117], v[138:139], v[86:87]
	v_fma_f64 v[84:85], -v[116:117], v[140:141], v[84:85]
	s_waitcnt lgkmcnt(0)
	v_fma_f64 v[82:83], -v[116:117], v[142:143], v[82:83]
	ds_read2_b64 v[138:141], v128 offset0:23 offset1:24
	v_fma_f64 v[80:81], -v[116:117], v[144:145], v[80:81]
	ds_read2_b64 v[142:145], v128 offset0:25 offset1:26
	v_fma_f64 v[78:79], -v[116:117], v[134:135], v[78:79]
	v_fma_f64 v[76:77], -v[116:117], v[136:137], v[76:77]
	ds_read2_b64 v[134:137], v128 offset0:27 offset1:28
	s_waitcnt lgkmcnt(0)
	v_fma_f64 v[74:75], -v[116:117], v[138:139], v[74:75]
	v_fma_f64 v[72:73], -v[116:117], v[140:141], v[72:73]
	ds_read2_b64 v[138:141], v128 offset0:29 offset1:30
	v_fma_f64 v[70:71], -v[116:117], v[142:143], v[70:71]
	v_fma_f64 v[68:69], -v[116:117], v[144:145], v[68:69]
	;; [unrolled: 1-line block ×3, first 2 shown]
	ds_read2_b64 v[142:145], v128 offset0:31 offset1:32
	v_fma_f64 v[64:65], -v[116:117], v[136:137], v[64:65]
	ds_read2_b64 v[134:137], v128 offset0:33 offset1:34
	s_waitcnt lgkmcnt(0)
	v_fma_f64 v[62:63], -v[116:117], v[138:139], v[62:63]
	v_fma_f64 v[60:61], -v[116:117], v[140:141], v[60:61]
	;; [unrolled: 1-line block ×3, first 2 shown]
	ds_read2_b64 v[138:141], v128 offset0:35 offset1:36
	v_fma_f64 v[56:57], -v[116:117], v[144:145], v[56:57]
	ds_read2_b64 v[142:145], v128 offset0:37 offset1:38
	v_fma_f64 v[54:55], -v[116:117], v[134:135], v[54:55]
	v_fma_f64 v[52:53], -v[116:117], v[136:137], v[52:53]
	ds_read2_b64 v[134:137], v128 offset0:39 offset1:40
	s_waitcnt lgkmcnt(0)
	v_fma_f64 v[50:51], -v[116:117], v[138:139], v[50:51]
	v_fma_f64 v[48:49], -v[116:117], v[140:141], v[48:49]
	ds_read2_b64 v[138:141], v128 offset0:41 offset1:42
	v_fma_f64 v[46:47], -v[116:117], v[142:143], v[46:47]
	v_fma_f64 v[44:45], -v[116:117], v[144:145], v[44:45]
	;; [unrolled: 1-line block ×3, first 2 shown]
	ds_read2_b64 v[142:145], v128 offset0:43 offset1:44
	v_fma_f64 v[40:41], -v[116:117], v[136:137], v[40:41]
	ds_read2_b64 v[134:137], v128 offset0:45 offset1:46
	s_waitcnt lgkmcnt(0)
	v_fma_f64 v[38:39], -v[116:117], v[138:139], v[38:39]
	v_fma_f64 v[36:37], -v[116:117], v[140:141], v[36:37]
	;; [unrolled: 1-line block ×3, first 2 shown]
	ds_read2_b64 v[138:141], v128 offset0:47 offset1:48
	v_fma_f64 v[32:33], -v[116:117], v[144:145], v[32:33]
	ds_read2_b64 v[142:145], v128 offset0:49 offset1:50
	v_fma_f64 v[30:31], -v[116:117], v[134:135], v[30:31]
	v_fma_f64 v[28:29], -v[116:117], v[136:137], v[28:29]
	ds_read2_b64 v[134:137], v128 offset0:51 offset1:52
	s_waitcnt lgkmcnt(0)
	v_fma_f64 v[26:27], -v[116:117], v[138:139], v[26:27]
	v_fma_f64 v[24:25], -v[116:117], v[140:141], v[24:25]
	ds_read2_b64 v[138:141], v128 offset0:53 offset1:54
	v_fma_f64 v[22:23], -v[116:117], v[142:143], v[22:23]
	v_fma_f64 v[20:21], -v[116:117], v[144:145], v[20:21]
	;; [unrolled: 1-line block ×4, first 2 shown]
	ds_read2_b64 v[134:137], v128 offset0:55 offset1:56
	ds_read2_b64 v[142:145], v128 offset0:57 offset1:58
	s_waitcnt lgkmcnt(0)
	v_fma_f64 v[14:15], -v[116:117], v[138:139], v[14:15]
	v_fma_f64 v[12:13], -v[116:117], v[140:141], v[12:13]
	;; [unrolled: 1-line block ×7, first 2 shown]
.LBB118_46:
	s_or_b64 exec, exec, s[0:1]
	v_lshl_add_u32 v124, v129, 3, v128
	s_barrier
	ds_write_b64 v124, v[114:115]
	s_waitcnt lgkmcnt(0)
	s_barrier
	ds_read_b64 v[124:125], v128 offset:24
	s_cmp_lt_i32 s18, 5
	v_mov_b32_e32 v126, 3
	s_cbranch_scc1 .LBB118_49
; %bb.47:
	v_add3_u32 v134, v133, 0, 32
	s_mov_b32 s0, 4
	v_mov_b32_e32 v126, 3
.LBB118_48:                             ; =>This Inner Loop Header: Depth=1
	ds_read_b64 v[136:137], v134
	v_mov_b32_e32 v135, s0
	s_add_i32 s0, s0, 1
	v_add_u32_e32 v134, 8, v134
	s_cmp_lg_u32 s18, s0
	s_waitcnt lgkmcnt(0)
	v_cmp_lt_f64_e64 vcc, |v[124:125]|, |v[136:137]|
	v_cndmask_b32_e32 v125, v125, v137, vcc
	v_cndmask_b32_e32 v124, v124, v136, vcc
	;; [unrolled: 1-line block ×3, first 2 shown]
	s_cbranch_scc1 .LBB118_48
.LBB118_49:
	s_waitcnt lgkmcnt(0)
	v_cmp_eq_f64_e32 vcc, 0, v[124:125]
	s_and_saveexec_b64 s[0:1], vcc
	s_xor_b64 s[0:1], exec, s[0:1]
; %bb.50:
	v_cmp_ne_u32_e32 vcc, 0, v132
	v_cndmask_b32_e32 v132, 4, v132, vcc
; %bb.51:
	s_andn2_saveexec_b64 s[0:1], s[0:1]
; %bb.52:
	v_div_scale_f64 v[134:135], s[2:3], v[124:125], v[124:125], 1.0
	v_rcp_f64_e32 v[136:137], v[134:135]
	v_div_scale_f64 v[138:139], vcc, 1.0, v[124:125], 1.0
	v_fma_f64 v[140:141], -v[134:135], v[136:137], 1.0
	v_fmac_f64_e32 v[136:137], v[136:137], v[140:141]
	v_fma_f64 v[140:141], -v[134:135], v[136:137], 1.0
	v_fmac_f64_e32 v[136:137], v[136:137], v[140:141]
	v_mul_f64 v[140:141], v[138:139], v[136:137]
	v_fma_f64 v[134:135], -v[134:135], v[140:141], v[138:139]
	v_div_fmas_f64 v[134:135], v[134:135], v[136:137], v[140:141]
	v_div_fixup_f64 v[124:125], v[134:135], v[124:125], 1.0
; %bb.53:
	s_or_b64 exec, exec, s[0:1]
	v_cmp_ne_u32_e32 vcc, v129, v126
	s_and_saveexec_b64 s[0:1], vcc
	s_xor_b64 s[0:1], exec, s[0:1]
	s_cbranch_execz .LBB118_59
; %bb.54:
	v_cmp_eq_u32_e32 vcc, 3, v129
	s_and_saveexec_b64 s[2:3], vcc
	s_cbranch_execz .LBB118_58
; %bb.55:
	v_cmp_ne_u32_e32 vcc, 3, v126
	s_xor_b64 s[14:15], s[6:7], -1
	s_and_b64 s[16:17], s[14:15], vcc
	s_and_saveexec_b64 s[14:15], s[16:17]
	s_cbranch_execz .LBB118_57
; %bb.56:
	v_ashrrev_i32_e32 v127, 31, v126
	v_lshlrev_b64 v[134:135], 2, v[126:127]
	v_add_co_u32_e32 v134, vcc, v4, v134
	v_addc_co_u32_e32 v135, vcc, v5, v135, vcc
	flat_load_dword v127, v[134:135]
	flat_load_dword v129, v[4:5] offset:12
	s_waitcnt vmcnt(0) lgkmcnt(0)
	flat_store_dword v[4:5], v127 offset:12
	flat_store_dword v[134:135], v129
.LBB118_57:
	s_or_b64 exec, exec, s[14:15]
	v_mov_b32_e32 v127, v126
	v_mov_b32_e32 v129, v126
.LBB118_58:
	s_or_b64 exec, exec, s[2:3]
.LBB118_59:
	s_andn2_saveexec_b64 s[0:1], s[0:1]
	s_cbranch_execz .LBB118_61
; %bb.60:
	v_mov_b32_e32 v134, v112
	v_mov_b32_e32 v135, v113
	v_mov_b32_e32 v136, v110
	v_mov_b32_e32 v137, v111
	ds_write2_b64 v128, v[134:135], v[136:137] offset0:4 offset1:5
	v_mov_b32_e32 v134, v108
	v_mov_b32_e32 v135, v109
	v_mov_b32_e32 v136, v106
	v_mov_b32_e32 v137, v107
	ds_write2_b64 v128, v[134:135], v[136:137] offset0:6 offset1:7
	;; [unrolled: 5-line block ×27, first 2 shown]
	v_mov_b32_e32 v134, v0
	v_mov_b32_e32 v135, v1
	;; [unrolled: 1-line block ×3, first 2 shown]
	ds_write2_b64 v128, v[134:135], v[122:123] offset0:58 offset1:59
.LBB118_61:
	s_or_b64 exec, exec, s[0:1]
	v_cmp_lt_i32_e32 vcc, 3, v129
	s_waitcnt lgkmcnt(0)
	s_barrier
	s_and_saveexec_b64 s[0:1], vcc
	s_cbranch_execz .LBB118_63
; %bb.62:
	ds_read2_b64 v[134:137], v128 offset0:4 offset1:5
	ds_read2_b64 v[138:141], v128 offset0:6 offset1:7
	v_mul_f64 v[114:115], v[124:125], v[114:115]
	ds_read2_b64 v[142:145], v128 offset0:8 offset1:9
	s_waitcnt lgkmcnt(0)
	v_fma_f64 v[112:113], -v[114:115], v[134:135], v[112:113]
	v_fma_f64 v[110:111], -v[114:115], v[136:137], v[110:111]
	ds_read2_b64 v[134:137], v128 offset0:10 offset1:11
	v_fma_f64 v[108:109], -v[114:115], v[138:139], v[108:109]
	v_fma_f64 v[106:107], -v[114:115], v[140:141], v[106:107]
	;; [unrolled: 1-line block ×3, first 2 shown]
	ds_read2_b64 v[138:141], v128 offset0:12 offset1:13
	v_fma_f64 v[102:103], -v[114:115], v[144:145], v[102:103]
	ds_read2_b64 v[142:145], v128 offset0:14 offset1:15
	s_waitcnt lgkmcnt(0)
	v_fma_f64 v[100:101], -v[114:115], v[134:135], v[100:101]
	v_fma_f64 v[98:99], -v[114:115], v[136:137], v[98:99]
	ds_read2_b64 v[134:137], v128 offset0:16 offset1:17
	v_fma_f64 v[96:97], -v[114:115], v[138:139], v[96:97]
	v_fma_f64 v[94:95], -v[114:115], v[140:141], v[94:95]
	ds_read2_b64 v[138:141], v128 offset0:18 offset1:19
	v_fma_f64 v[92:93], -v[114:115], v[142:143], v[92:93]
	v_fma_f64 v[90:91], -v[114:115], v[144:145], v[90:91]
	s_waitcnt lgkmcnt(0)
	v_fma_f64 v[88:89], -v[114:115], v[134:135], v[88:89]
	ds_read2_b64 v[142:145], v128 offset0:20 offset1:21
	v_fma_f64 v[86:87], -v[114:115], v[136:137], v[86:87]
	ds_read2_b64 v[134:137], v128 offset0:22 offset1:23
	v_fma_f64 v[84:85], -v[114:115], v[138:139], v[84:85]
	v_fma_f64 v[82:83], -v[114:115], v[140:141], v[82:83]
	s_waitcnt lgkmcnt(0)
	v_fma_f64 v[80:81], -v[114:115], v[142:143], v[80:81]
	ds_read2_b64 v[138:141], v128 offset0:24 offset1:25
	v_fma_f64 v[78:79], -v[114:115], v[144:145], v[78:79]
	ds_read2_b64 v[142:145], v128 offset0:26 offset1:27
	v_fma_f64 v[76:77], -v[114:115], v[134:135], v[76:77]
	v_fma_f64 v[74:75], -v[114:115], v[136:137], v[74:75]
	ds_read2_b64 v[134:137], v128 offset0:28 offset1:29
	s_waitcnt lgkmcnt(0)
	v_fma_f64 v[72:73], -v[114:115], v[138:139], v[72:73]
	v_fma_f64 v[70:71], -v[114:115], v[140:141], v[70:71]
	ds_read2_b64 v[138:141], v128 offset0:30 offset1:31
	v_fma_f64 v[68:69], -v[114:115], v[142:143], v[68:69]
	v_fma_f64 v[66:67], -v[114:115], v[144:145], v[66:67]
	v_fma_f64 v[64:65], -v[114:115], v[134:135], v[64:65]
	ds_read2_b64 v[142:145], v128 offset0:32 offset1:33
	v_fma_f64 v[62:63], -v[114:115], v[136:137], v[62:63]
	ds_read2_b64 v[134:137], v128 offset0:34 offset1:35
	s_waitcnt lgkmcnt(0)
	v_fma_f64 v[60:61], -v[114:115], v[138:139], v[60:61]
	v_fma_f64 v[58:59], -v[114:115], v[140:141], v[58:59]
	v_fma_f64 v[56:57], -v[114:115], v[142:143], v[56:57]
	ds_read2_b64 v[138:141], v128 offset0:36 offset1:37
	v_fma_f64 v[54:55], -v[114:115], v[144:145], v[54:55]
	ds_read2_b64 v[142:145], v128 offset0:38 offset1:39
	v_fma_f64 v[52:53], -v[114:115], v[134:135], v[52:53]
	v_fma_f64 v[50:51], -v[114:115], v[136:137], v[50:51]
	ds_read2_b64 v[134:137], v128 offset0:40 offset1:41
	s_waitcnt lgkmcnt(0)
	v_fma_f64 v[48:49], -v[114:115], v[138:139], v[48:49]
	v_fma_f64 v[46:47], -v[114:115], v[140:141], v[46:47]
	ds_read2_b64 v[138:141], v128 offset0:42 offset1:43
	v_fma_f64 v[44:45], -v[114:115], v[142:143], v[44:45]
	v_fma_f64 v[42:43], -v[114:115], v[144:145], v[42:43]
	v_fma_f64 v[40:41], -v[114:115], v[134:135], v[40:41]
	ds_read2_b64 v[142:145], v128 offset0:44 offset1:45
	v_fma_f64 v[38:39], -v[114:115], v[136:137], v[38:39]
	ds_read2_b64 v[134:137], v128 offset0:46 offset1:47
	s_waitcnt lgkmcnt(0)
	v_fma_f64 v[36:37], -v[114:115], v[138:139], v[36:37]
	v_fma_f64 v[34:35], -v[114:115], v[140:141], v[34:35]
	;; [unrolled: 20-line block ×3, first 2 shown]
	v_fma_f64 v[8:9], -v[114:115], v[142:143], v[8:9]
	v_fma_f64 v[6:7], -v[114:115], v[144:145], v[6:7]
	;; [unrolled: 1-line block ×4, first 2 shown]
.LBB118_63:
	s_or_b64 exec, exec, s[0:1]
	v_lshl_add_u32 v124, v129, 3, v128
	s_barrier
	ds_write_b64 v124, v[112:113]
	s_waitcnt lgkmcnt(0)
	s_barrier
	ds_read_b64 v[124:125], v128 offset:32
	s_cmp_lt_i32 s18, 6
	v_mov_b32_e32 v126, 4
	s_cbranch_scc1 .LBB118_66
; %bb.64:
	v_add3_u32 v134, v133, 0, 40
	s_mov_b32 s0, 5
	v_mov_b32_e32 v126, 4
.LBB118_65:                             ; =>This Inner Loop Header: Depth=1
	ds_read_b64 v[136:137], v134
	v_mov_b32_e32 v135, s0
	s_add_i32 s0, s0, 1
	v_add_u32_e32 v134, 8, v134
	s_cmp_lg_u32 s18, s0
	s_waitcnt lgkmcnt(0)
	v_cmp_lt_f64_e64 vcc, |v[124:125]|, |v[136:137]|
	v_cndmask_b32_e32 v125, v125, v137, vcc
	v_cndmask_b32_e32 v124, v124, v136, vcc
	;; [unrolled: 1-line block ×3, first 2 shown]
	s_cbranch_scc1 .LBB118_65
.LBB118_66:
	s_waitcnt lgkmcnt(0)
	v_cmp_eq_f64_e32 vcc, 0, v[124:125]
	s_and_saveexec_b64 s[0:1], vcc
	s_xor_b64 s[0:1], exec, s[0:1]
; %bb.67:
	v_cmp_ne_u32_e32 vcc, 0, v132
	v_cndmask_b32_e32 v132, 5, v132, vcc
; %bb.68:
	s_andn2_saveexec_b64 s[0:1], s[0:1]
; %bb.69:
	v_div_scale_f64 v[134:135], s[2:3], v[124:125], v[124:125], 1.0
	v_rcp_f64_e32 v[136:137], v[134:135]
	v_div_scale_f64 v[138:139], vcc, 1.0, v[124:125], 1.0
	v_fma_f64 v[140:141], -v[134:135], v[136:137], 1.0
	v_fmac_f64_e32 v[136:137], v[136:137], v[140:141]
	v_fma_f64 v[140:141], -v[134:135], v[136:137], 1.0
	v_fmac_f64_e32 v[136:137], v[136:137], v[140:141]
	v_mul_f64 v[140:141], v[138:139], v[136:137]
	v_fma_f64 v[134:135], -v[134:135], v[140:141], v[138:139]
	v_div_fmas_f64 v[134:135], v[134:135], v[136:137], v[140:141]
	v_div_fixup_f64 v[124:125], v[134:135], v[124:125], 1.0
; %bb.70:
	s_or_b64 exec, exec, s[0:1]
	v_cmp_ne_u32_e32 vcc, v129, v126
	s_and_saveexec_b64 s[0:1], vcc
	s_xor_b64 s[0:1], exec, s[0:1]
	s_cbranch_execz .LBB118_76
; %bb.71:
	v_cmp_eq_u32_e32 vcc, 4, v129
	s_and_saveexec_b64 s[2:3], vcc
	s_cbranch_execz .LBB118_75
; %bb.72:
	v_cmp_ne_u32_e32 vcc, 4, v126
	s_xor_b64 s[14:15], s[6:7], -1
	s_and_b64 s[16:17], s[14:15], vcc
	s_and_saveexec_b64 s[14:15], s[16:17]
	s_cbranch_execz .LBB118_74
; %bb.73:
	v_ashrrev_i32_e32 v127, 31, v126
	v_lshlrev_b64 v[134:135], 2, v[126:127]
	v_add_co_u32_e32 v134, vcc, v4, v134
	v_addc_co_u32_e32 v135, vcc, v5, v135, vcc
	flat_load_dword v127, v[134:135]
	flat_load_dword v129, v[4:5] offset:16
	s_waitcnt vmcnt(0) lgkmcnt(0)
	flat_store_dword v[4:5], v127 offset:16
	flat_store_dword v[134:135], v129
.LBB118_74:
	s_or_b64 exec, exec, s[14:15]
	v_mov_b32_e32 v127, v126
	v_mov_b32_e32 v129, v126
.LBB118_75:
	s_or_b64 exec, exec, s[2:3]
.LBB118_76:
	s_andn2_saveexec_b64 s[0:1], s[0:1]
	s_cbranch_execz .LBB118_78
; %bb.77:
	v_mov_b32_e32 v129, 4
	ds_write2_b64 v128, v[110:111], v[108:109] offset0:5 offset1:6
	ds_write2_b64 v128, v[106:107], v[104:105] offset0:7 offset1:8
	ds_write2_b64 v128, v[102:103], v[100:101] offset0:9 offset1:10
	ds_write2_b64 v128, v[98:99], v[96:97] offset0:11 offset1:12
	ds_write2_b64 v128, v[94:95], v[92:93] offset0:13 offset1:14
	ds_write2_b64 v128, v[90:91], v[88:89] offset0:15 offset1:16
	ds_write2_b64 v128, v[86:87], v[84:85] offset0:17 offset1:18
	ds_write2_b64 v128, v[82:83], v[80:81] offset0:19 offset1:20
	ds_write2_b64 v128, v[78:79], v[76:77] offset0:21 offset1:22
	ds_write2_b64 v128, v[74:75], v[72:73] offset0:23 offset1:24
	ds_write2_b64 v128, v[70:71], v[68:69] offset0:25 offset1:26
	ds_write2_b64 v128, v[66:67], v[64:65] offset0:27 offset1:28
	ds_write2_b64 v128, v[62:63], v[60:61] offset0:29 offset1:30
	ds_write2_b64 v128, v[58:59], v[56:57] offset0:31 offset1:32
	ds_write2_b64 v128, v[54:55], v[52:53] offset0:33 offset1:34
	ds_write2_b64 v128, v[50:51], v[48:49] offset0:35 offset1:36
	ds_write2_b64 v128, v[46:47], v[44:45] offset0:37 offset1:38
	ds_write2_b64 v128, v[42:43], v[40:41] offset0:39 offset1:40
	ds_write2_b64 v128, v[38:39], v[36:37] offset0:41 offset1:42
	ds_write2_b64 v128, v[34:35], v[32:33] offset0:43 offset1:44
	ds_write2_b64 v128, v[30:31], v[28:29] offset0:45 offset1:46
	ds_write2_b64 v128, v[26:27], v[24:25] offset0:47 offset1:48
	ds_write2_b64 v128, v[22:23], v[20:21] offset0:49 offset1:50
	ds_write2_b64 v128, v[18:19], v[16:17] offset0:51 offset1:52
	ds_write2_b64 v128, v[14:15], v[12:13] offset0:53 offset1:54
	ds_write2_b64 v128, v[10:11], v[8:9] offset0:55 offset1:56
	ds_write2_b64 v128, v[6:7], v[0:1] offset0:57 offset1:58
	ds_write_b64 v128, v[122:123] offset:472
.LBB118_78:
	s_or_b64 exec, exec, s[0:1]
	v_cmp_lt_i32_e32 vcc, 4, v129
	s_waitcnt lgkmcnt(0)
	s_barrier
	s_and_saveexec_b64 s[0:1], vcc
	s_cbranch_execz .LBB118_80
; %bb.79:
	ds_read2_b64 v[134:137], v128 offset0:5 offset1:6
	ds_read2_b64 v[138:141], v128 offset0:7 offset1:8
	;; [unrolled: 1-line block ×3, first 2 shown]
	v_mul_f64 v[112:113], v[124:125], v[112:113]
	ds_read_b64 v[124:125], v128 offset:472
	s_waitcnt lgkmcnt(0)
	v_fma_f64 v[110:111], -v[112:113], v[134:135], v[110:111]
	v_fma_f64 v[108:109], -v[112:113], v[136:137], v[108:109]
	ds_read2_b64 v[134:137], v128 offset0:11 offset1:12
	v_fma_f64 v[106:107], -v[112:113], v[138:139], v[106:107]
	v_fma_f64 v[104:105], -v[112:113], v[140:141], v[104:105]
	v_fma_f64 v[102:103], -v[112:113], v[142:143], v[102:103]
	ds_read2_b64 v[138:141], v128 offset0:13 offset1:14
	v_fma_f64 v[100:101], -v[112:113], v[144:145], v[100:101]
	ds_read2_b64 v[142:145], v128 offset0:15 offset1:16
	s_waitcnt lgkmcnt(0)
	v_fma_f64 v[98:99], -v[112:113], v[134:135], v[98:99]
	v_fma_f64 v[96:97], -v[112:113], v[136:137], v[96:97]
	v_fma_f64 v[94:95], -v[112:113], v[138:139], v[94:95]
	ds_read2_b64 v[134:137], v128 offset0:17 offset1:18
	v_fma_f64 v[92:93], -v[112:113], v[140:141], v[92:93]
	ds_read2_b64 v[138:141], v128 offset0:19 offset1:20
	v_fma_f64 v[90:91], -v[112:113], v[142:143], v[90:91]
	v_fma_f64 v[88:89], -v[112:113], v[144:145], v[88:89]
	ds_read2_b64 v[142:145], v128 offset0:21 offset1:22
	s_waitcnt lgkmcnt(0)
	v_fma_f64 v[86:87], -v[112:113], v[134:135], v[86:87]
	v_fma_f64 v[84:85], -v[112:113], v[136:137], v[84:85]
	ds_read2_b64 v[134:137], v128 offset0:23 offset1:24
	v_fma_f64 v[82:83], -v[112:113], v[138:139], v[82:83]
	v_fma_f64 v[80:81], -v[112:113], v[140:141], v[80:81]
	v_fma_f64 v[78:79], -v[112:113], v[142:143], v[78:79]
	ds_read2_b64 v[138:141], v128 offset0:25 offset1:26
	v_fma_f64 v[76:77], -v[112:113], v[144:145], v[76:77]
	ds_read2_b64 v[142:145], v128 offset0:27 offset1:28
	s_waitcnt lgkmcnt(0)
	v_fma_f64 v[74:75], -v[112:113], v[134:135], v[74:75]
	v_fma_f64 v[72:73], -v[112:113], v[136:137], v[72:73]
	v_fma_f64 v[70:71], -v[112:113], v[138:139], v[70:71]
	ds_read2_b64 v[134:137], v128 offset0:29 offset1:30
	v_fma_f64 v[68:69], -v[112:113], v[140:141], v[68:69]
	ds_read2_b64 v[138:141], v128 offset0:31 offset1:32
	v_fma_f64 v[66:67], -v[112:113], v[142:143], v[66:67]
	v_fma_f64 v[64:65], -v[112:113], v[144:145], v[64:65]
	ds_read2_b64 v[142:145], v128 offset0:33 offset1:34
	;; [unrolled: 20-line block ×4, first 2 shown]
	s_waitcnt lgkmcnt(0)
	v_fma_f64 v[14:15], -v[112:113], v[134:135], v[14:15]
	v_fma_f64 v[12:13], -v[112:113], v[136:137], v[12:13]
	;; [unrolled: 1-line block ×7, first 2 shown]
.LBB118_80:
	s_or_b64 exec, exec, s[0:1]
	v_lshl_add_u32 v124, v129, 3, v128
	s_barrier
	ds_write_b64 v124, v[110:111]
	s_waitcnt lgkmcnt(0)
	s_barrier
	ds_read_b64 v[124:125], v128 offset:40
	s_cmp_lt_i32 s18, 7
	v_mov_b32_e32 v126, 5
	s_cbranch_scc1 .LBB118_83
; %bb.81:
	v_add3_u32 v134, v133, 0, 48
	s_mov_b32 s0, 6
	v_mov_b32_e32 v126, 5
.LBB118_82:                             ; =>This Inner Loop Header: Depth=1
	ds_read_b64 v[136:137], v134
	v_mov_b32_e32 v135, s0
	s_add_i32 s0, s0, 1
	v_add_u32_e32 v134, 8, v134
	s_cmp_lg_u32 s18, s0
	s_waitcnt lgkmcnt(0)
	v_cmp_lt_f64_e64 vcc, |v[124:125]|, |v[136:137]|
	v_cndmask_b32_e32 v125, v125, v137, vcc
	v_cndmask_b32_e32 v124, v124, v136, vcc
	;; [unrolled: 1-line block ×3, first 2 shown]
	s_cbranch_scc1 .LBB118_82
.LBB118_83:
	s_waitcnt lgkmcnt(0)
	v_cmp_eq_f64_e32 vcc, 0, v[124:125]
	s_and_saveexec_b64 s[0:1], vcc
	s_xor_b64 s[0:1], exec, s[0:1]
; %bb.84:
	v_cmp_ne_u32_e32 vcc, 0, v132
	v_cndmask_b32_e32 v132, 6, v132, vcc
; %bb.85:
	s_andn2_saveexec_b64 s[0:1], s[0:1]
; %bb.86:
	v_div_scale_f64 v[134:135], s[2:3], v[124:125], v[124:125], 1.0
	v_rcp_f64_e32 v[136:137], v[134:135]
	v_div_scale_f64 v[138:139], vcc, 1.0, v[124:125], 1.0
	v_fma_f64 v[140:141], -v[134:135], v[136:137], 1.0
	v_fmac_f64_e32 v[136:137], v[136:137], v[140:141]
	v_fma_f64 v[140:141], -v[134:135], v[136:137], 1.0
	v_fmac_f64_e32 v[136:137], v[136:137], v[140:141]
	v_mul_f64 v[140:141], v[138:139], v[136:137]
	v_fma_f64 v[134:135], -v[134:135], v[140:141], v[138:139]
	v_div_fmas_f64 v[134:135], v[134:135], v[136:137], v[140:141]
	v_div_fixup_f64 v[124:125], v[134:135], v[124:125], 1.0
; %bb.87:
	s_or_b64 exec, exec, s[0:1]
	v_cmp_ne_u32_e32 vcc, v129, v126
	s_and_saveexec_b64 s[0:1], vcc
	s_xor_b64 s[0:1], exec, s[0:1]
	s_cbranch_execz .LBB118_93
; %bb.88:
	v_cmp_eq_u32_e32 vcc, 5, v129
	s_and_saveexec_b64 s[2:3], vcc
	s_cbranch_execz .LBB118_92
; %bb.89:
	v_cmp_ne_u32_e32 vcc, 5, v126
	s_xor_b64 s[14:15], s[6:7], -1
	s_and_b64 s[16:17], s[14:15], vcc
	s_and_saveexec_b64 s[14:15], s[16:17]
	s_cbranch_execz .LBB118_91
; %bb.90:
	v_ashrrev_i32_e32 v127, 31, v126
	v_lshlrev_b64 v[134:135], 2, v[126:127]
	v_add_co_u32_e32 v134, vcc, v4, v134
	v_addc_co_u32_e32 v135, vcc, v5, v135, vcc
	flat_load_dword v127, v[134:135]
	flat_load_dword v129, v[4:5] offset:20
	s_waitcnt vmcnt(0) lgkmcnt(0)
	flat_store_dword v[4:5], v127 offset:20
	flat_store_dword v[134:135], v129
.LBB118_91:
	s_or_b64 exec, exec, s[14:15]
	v_mov_b32_e32 v127, v126
	v_mov_b32_e32 v129, v126
.LBB118_92:
	s_or_b64 exec, exec, s[2:3]
.LBB118_93:
	s_andn2_saveexec_b64 s[0:1], s[0:1]
	s_cbranch_execz .LBB118_95
; %bb.94:
	v_mov_b32_e32 v134, v108
	v_mov_b32_e32 v135, v109
	v_mov_b32_e32 v136, v106
	v_mov_b32_e32 v137, v107
	ds_write2_b64 v128, v[134:135], v[136:137] offset0:6 offset1:7
	v_mov_b32_e32 v134, v104
	v_mov_b32_e32 v135, v105
	v_mov_b32_e32 v136, v102
	v_mov_b32_e32 v137, v103
	ds_write2_b64 v128, v[134:135], v[136:137] offset0:8 offset1:9
	;; [unrolled: 5-line block ×26, first 2 shown]
	v_mov_b32_e32 v134, v0
	v_mov_b32_e32 v135, v1
	;; [unrolled: 1-line block ×3, first 2 shown]
	ds_write2_b64 v128, v[134:135], v[122:123] offset0:58 offset1:59
.LBB118_95:
	s_or_b64 exec, exec, s[0:1]
	v_cmp_lt_i32_e32 vcc, 5, v129
	s_waitcnt lgkmcnt(0)
	s_barrier
	s_and_saveexec_b64 s[0:1], vcc
	s_cbranch_execz .LBB118_97
; %bb.96:
	ds_read2_b64 v[134:137], v128 offset0:6 offset1:7
	ds_read2_b64 v[138:141], v128 offset0:8 offset1:9
	ds_read2_b64 v[142:145], v128 offset0:10 offset1:11
	v_mul_f64 v[110:111], v[124:125], v[110:111]
	s_waitcnt lgkmcnt(0)
	v_fma_f64 v[108:109], -v[110:111], v[134:135], v[108:109]
	v_fma_f64 v[106:107], -v[110:111], v[136:137], v[106:107]
	ds_read2_b64 v[134:137], v128 offset0:12 offset1:13
	v_fma_f64 v[104:105], -v[110:111], v[138:139], v[104:105]
	v_fma_f64 v[102:103], -v[110:111], v[140:141], v[102:103]
	v_fma_f64 v[100:101], -v[110:111], v[142:143], v[100:101]
	ds_read2_b64 v[138:141], v128 offset0:14 offset1:15
	v_fma_f64 v[98:99], -v[110:111], v[144:145], v[98:99]
	ds_read2_b64 v[142:145], v128 offset0:16 offset1:17
	s_waitcnt lgkmcnt(0)
	v_fma_f64 v[96:97], -v[110:111], v[134:135], v[96:97]
	v_fma_f64 v[94:95], -v[110:111], v[136:137], v[94:95]
	v_fma_f64 v[92:93], -v[110:111], v[138:139], v[92:93]
	ds_read2_b64 v[134:137], v128 offset0:18 offset1:19
	v_fma_f64 v[90:91], -v[110:111], v[140:141], v[90:91]
	ds_read2_b64 v[138:141], v128 offset0:20 offset1:21
	v_fma_f64 v[88:89], -v[110:111], v[142:143], v[88:89]
	v_fma_f64 v[86:87], -v[110:111], v[144:145], v[86:87]
	ds_read2_b64 v[142:145], v128 offset0:22 offset1:23
	s_waitcnt lgkmcnt(0)
	v_fma_f64 v[84:85], -v[110:111], v[134:135], v[84:85]
	v_fma_f64 v[82:83], -v[110:111], v[136:137], v[82:83]
	ds_read2_b64 v[134:137], v128 offset0:24 offset1:25
	v_fma_f64 v[80:81], -v[110:111], v[138:139], v[80:81]
	v_fma_f64 v[78:79], -v[110:111], v[140:141], v[78:79]
	v_fma_f64 v[76:77], -v[110:111], v[142:143], v[76:77]
	ds_read2_b64 v[138:141], v128 offset0:26 offset1:27
	v_fma_f64 v[74:75], -v[110:111], v[144:145], v[74:75]
	ds_read2_b64 v[142:145], v128 offset0:28 offset1:29
	s_waitcnt lgkmcnt(0)
	v_fma_f64 v[72:73], -v[110:111], v[134:135], v[72:73]
	v_fma_f64 v[70:71], -v[110:111], v[136:137], v[70:71]
	v_fma_f64 v[68:69], -v[110:111], v[138:139], v[68:69]
	ds_read2_b64 v[134:137], v128 offset0:30 offset1:31
	v_fma_f64 v[66:67], -v[110:111], v[140:141], v[66:67]
	ds_read2_b64 v[138:141], v128 offset0:32 offset1:33
	v_fma_f64 v[64:65], -v[110:111], v[142:143], v[64:65]
	v_fma_f64 v[62:63], -v[110:111], v[144:145], v[62:63]
	ds_read2_b64 v[142:145], v128 offset0:34 offset1:35
	;; [unrolled: 20-line block ×3, first 2 shown]
	s_waitcnt lgkmcnt(0)
	v_fma_f64 v[36:37], -v[110:111], v[134:135], v[36:37]
	v_fma_f64 v[34:35], -v[110:111], v[136:137], v[34:35]
	ds_read2_b64 v[134:137], v128 offset0:48 offset1:49
	v_fma_f64 v[32:33], -v[110:111], v[138:139], v[32:33]
	v_fma_f64 v[30:31], -v[110:111], v[140:141], v[30:31]
	;; [unrolled: 1-line block ×3, first 2 shown]
	ds_read2_b64 v[138:141], v128 offset0:50 offset1:51
	v_fma_f64 v[26:27], -v[110:111], v[144:145], v[26:27]
	ds_read2_b64 v[142:145], v128 offset0:52 offset1:53
	s_waitcnt lgkmcnt(0)
	v_fma_f64 v[24:25], -v[110:111], v[134:135], v[24:25]
	v_fma_f64 v[22:23], -v[110:111], v[136:137], v[22:23]
	;; [unrolled: 1-line block ×4, first 2 shown]
	ds_read2_b64 v[134:137], v128 offset0:54 offset1:55
	ds_read2_b64 v[138:141], v128 offset0:56 offset1:57
	v_fma_f64 v[16:17], -v[110:111], v[142:143], v[16:17]
	v_fma_f64 v[14:15], -v[110:111], v[144:145], v[14:15]
	ds_read2_b64 v[142:145], v128 offset0:58 offset1:59
	s_waitcnt lgkmcnt(0)
	v_fma_f64 v[12:13], -v[110:111], v[134:135], v[12:13]
	v_fma_f64 v[10:11], -v[110:111], v[136:137], v[10:11]
	;; [unrolled: 1-line block ×6, first 2 shown]
.LBB118_97:
	s_or_b64 exec, exec, s[0:1]
	v_lshl_add_u32 v124, v129, 3, v128
	s_barrier
	ds_write_b64 v124, v[108:109]
	s_waitcnt lgkmcnt(0)
	s_barrier
	ds_read_b64 v[124:125], v128 offset:48
	s_cmp_lt_i32 s18, 8
	v_mov_b32_e32 v126, 6
	s_cbranch_scc1 .LBB118_100
; %bb.98:
	v_add3_u32 v134, v133, 0, 56
	s_mov_b32 s0, 7
	v_mov_b32_e32 v126, 6
.LBB118_99:                             ; =>This Inner Loop Header: Depth=1
	ds_read_b64 v[136:137], v134
	v_mov_b32_e32 v135, s0
	s_add_i32 s0, s0, 1
	v_add_u32_e32 v134, 8, v134
	s_cmp_lg_u32 s18, s0
	s_waitcnt lgkmcnt(0)
	v_cmp_lt_f64_e64 vcc, |v[124:125]|, |v[136:137]|
	v_cndmask_b32_e32 v125, v125, v137, vcc
	v_cndmask_b32_e32 v124, v124, v136, vcc
	;; [unrolled: 1-line block ×3, first 2 shown]
	s_cbranch_scc1 .LBB118_99
.LBB118_100:
	s_waitcnt lgkmcnt(0)
	v_cmp_eq_f64_e32 vcc, 0, v[124:125]
	s_and_saveexec_b64 s[0:1], vcc
	s_xor_b64 s[0:1], exec, s[0:1]
; %bb.101:
	v_cmp_ne_u32_e32 vcc, 0, v132
	v_cndmask_b32_e32 v132, 7, v132, vcc
; %bb.102:
	s_andn2_saveexec_b64 s[0:1], s[0:1]
; %bb.103:
	v_div_scale_f64 v[134:135], s[2:3], v[124:125], v[124:125], 1.0
	v_rcp_f64_e32 v[136:137], v[134:135]
	v_div_scale_f64 v[138:139], vcc, 1.0, v[124:125], 1.0
	v_fma_f64 v[140:141], -v[134:135], v[136:137], 1.0
	v_fmac_f64_e32 v[136:137], v[136:137], v[140:141]
	v_fma_f64 v[140:141], -v[134:135], v[136:137], 1.0
	v_fmac_f64_e32 v[136:137], v[136:137], v[140:141]
	v_mul_f64 v[140:141], v[138:139], v[136:137]
	v_fma_f64 v[134:135], -v[134:135], v[140:141], v[138:139]
	v_div_fmas_f64 v[134:135], v[134:135], v[136:137], v[140:141]
	v_div_fixup_f64 v[124:125], v[134:135], v[124:125], 1.0
; %bb.104:
	s_or_b64 exec, exec, s[0:1]
	v_cmp_ne_u32_e32 vcc, v129, v126
	s_and_saveexec_b64 s[0:1], vcc
	s_xor_b64 s[0:1], exec, s[0:1]
	s_cbranch_execz .LBB118_110
; %bb.105:
	v_cmp_eq_u32_e32 vcc, 6, v129
	s_and_saveexec_b64 s[2:3], vcc
	s_cbranch_execz .LBB118_109
; %bb.106:
	v_cmp_ne_u32_e32 vcc, 6, v126
	s_xor_b64 s[14:15], s[6:7], -1
	s_and_b64 s[16:17], s[14:15], vcc
	s_and_saveexec_b64 s[14:15], s[16:17]
	s_cbranch_execz .LBB118_108
; %bb.107:
	v_ashrrev_i32_e32 v127, 31, v126
	v_lshlrev_b64 v[134:135], 2, v[126:127]
	v_add_co_u32_e32 v134, vcc, v4, v134
	v_addc_co_u32_e32 v135, vcc, v5, v135, vcc
	flat_load_dword v127, v[134:135]
	flat_load_dword v129, v[4:5] offset:24
	s_waitcnt vmcnt(0) lgkmcnt(0)
	flat_store_dword v[4:5], v127 offset:24
	flat_store_dword v[134:135], v129
.LBB118_108:
	s_or_b64 exec, exec, s[14:15]
	v_mov_b32_e32 v127, v126
	v_mov_b32_e32 v129, v126
.LBB118_109:
	s_or_b64 exec, exec, s[2:3]
.LBB118_110:
	s_andn2_saveexec_b64 s[0:1], s[0:1]
	s_cbranch_execz .LBB118_112
; %bb.111:
	v_mov_b32_e32 v129, 6
	ds_write2_b64 v128, v[106:107], v[104:105] offset0:7 offset1:8
	ds_write2_b64 v128, v[102:103], v[100:101] offset0:9 offset1:10
	;; [unrolled: 1-line block ×26, first 2 shown]
	ds_write_b64 v128, v[122:123] offset:472
.LBB118_112:
	s_or_b64 exec, exec, s[0:1]
	v_cmp_lt_i32_e32 vcc, 6, v129
	s_waitcnt lgkmcnt(0)
	s_barrier
	s_and_saveexec_b64 s[0:1], vcc
	s_cbranch_execz .LBB118_114
; %bb.113:
	ds_read2_b64 v[134:137], v128 offset0:7 offset1:8
	ds_read2_b64 v[138:141], v128 offset0:9 offset1:10
	v_mul_f64 v[108:109], v[124:125], v[108:109]
	ds_read2_b64 v[142:145], v128 offset0:11 offset1:12
	ds_read_b64 v[124:125], v128 offset:472
	s_waitcnt lgkmcnt(0)
	v_fma_f64 v[106:107], -v[108:109], v[134:135], v[106:107]
	v_fma_f64 v[104:105], -v[108:109], v[136:137], v[104:105]
	ds_read2_b64 v[134:137], v128 offset0:13 offset1:14
	v_fma_f64 v[102:103], -v[108:109], v[138:139], v[102:103]
	v_fma_f64 v[100:101], -v[108:109], v[140:141], v[100:101]
	ds_read2_b64 v[138:141], v128 offset0:15 offset1:16
	v_fma_f64 v[98:99], -v[108:109], v[142:143], v[98:99]
	v_fma_f64 v[96:97], -v[108:109], v[144:145], v[96:97]
	ds_read2_b64 v[142:145], v128 offset0:17 offset1:18
	s_waitcnt lgkmcnt(0)
	v_fma_f64 v[94:95], -v[108:109], v[134:135], v[94:95]
	v_fma_f64 v[92:93], -v[108:109], v[136:137], v[92:93]
	;; [unrolled: 1-line block ×3, first 2 shown]
	ds_read2_b64 v[134:137], v128 offset0:19 offset1:20
	v_fma_f64 v[88:89], -v[108:109], v[140:141], v[88:89]
	ds_read2_b64 v[138:141], v128 offset0:21 offset1:22
	v_fma_f64 v[86:87], -v[108:109], v[142:143], v[86:87]
	v_fma_f64 v[84:85], -v[108:109], v[144:145], v[84:85]
	s_waitcnt lgkmcnt(0)
	v_fma_f64 v[82:83], -v[108:109], v[134:135], v[82:83]
	ds_read2_b64 v[142:145], v128 offset0:23 offset1:24
	v_fma_f64 v[80:81], -v[108:109], v[136:137], v[80:81]
	ds_read2_b64 v[134:137], v128 offset0:25 offset1:26
	v_fma_f64 v[78:79], -v[108:109], v[138:139], v[78:79]
	v_fma_f64 v[76:77], -v[108:109], v[140:141], v[76:77]
	ds_read2_b64 v[138:141], v128 offset0:27 offset1:28
	s_waitcnt lgkmcnt(0)
	v_fma_f64 v[74:75], -v[108:109], v[142:143], v[74:75]
	v_fma_f64 v[72:73], -v[108:109], v[144:145], v[72:73]
	ds_read2_b64 v[142:145], v128 offset0:29 offset1:30
	v_fma_f64 v[70:71], -v[108:109], v[134:135], v[70:71]
	v_fma_f64 v[68:69], -v[108:109], v[136:137], v[68:69]
	v_fma_f64 v[66:67], -v[108:109], v[138:139], v[66:67]
	ds_read2_b64 v[134:137], v128 offset0:31 offset1:32
	v_fma_f64 v[64:65], -v[108:109], v[140:141], v[64:65]
	ds_read2_b64 v[138:141], v128 offset0:33 offset1:34
	s_waitcnt lgkmcnt(0)
	v_fma_f64 v[62:63], -v[108:109], v[142:143], v[62:63]
	v_fma_f64 v[60:61], -v[108:109], v[144:145], v[60:61]
	;; [unrolled: 1-line block ×3, first 2 shown]
	ds_read2_b64 v[142:145], v128 offset0:35 offset1:36
	v_fma_f64 v[56:57], -v[108:109], v[136:137], v[56:57]
	ds_read2_b64 v[134:137], v128 offset0:37 offset1:38
	v_fma_f64 v[54:55], -v[108:109], v[138:139], v[54:55]
	v_fma_f64 v[52:53], -v[108:109], v[140:141], v[52:53]
	ds_read2_b64 v[138:141], v128 offset0:39 offset1:40
	s_waitcnt lgkmcnt(0)
	v_fma_f64 v[50:51], -v[108:109], v[142:143], v[50:51]
	v_fma_f64 v[48:49], -v[108:109], v[144:145], v[48:49]
	ds_read2_b64 v[142:145], v128 offset0:41 offset1:42
	v_fma_f64 v[46:47], -v[108:109], v[134:135], v[46:47]
	v_fma_f64 v[44:45], -v[108:109], v[136:137], v[44:45]
	;; [unrolled: 1-line block ×3, first 2 shown]
	ds_read2_b64 v[134:137], v128 offset0:43 offset1:44
	v_fma_f64 v[40:41], -v[108:109], v[140:141], v[40:41]
	ds_read2_b64 v[138:141], v128 offset0:45 offset1:46
	s_waitcnt lgkmcnt(0)
	v_fma_f64 v[38:39], -v[108:109], v[142:143], v[38:39]
	v_fma_f64 v[36:37], -v[108:109], v[144:145], v[36:37]
	;; [unrolled: 1-line block ×3, first 2 shown]
	ds_read2_b64 v[142:145], v128 offset0:47 offset1:48
	v_fma_f64 v[32:33], -v[108:109], v[136:137], v[32:33]
	ds_read2_b64 v[134:137], v128 offset0:49 offset1:50
	v_fma_f64 v[30:31], -v[108:109], v[138:139], v[30:31]
	v_fma_f64 v[28:29], -v[108:109], v[140:141], v[28:29]
	ds_read2_b64 v[138:141], v128 offset0:51 offset1:52
	s_waitcnt lgkmcnt(0)
	v_fma_f64 v[26:27], -v[108:109], v[142:143], v[26:27]
	v_fma_f64 v[24:25], -v[108:109], v[144:145], v[24:25]
	ds_read2_b64 v[142:145], v128 offset0:53 offset1:54
	v_fma_f64 v[22:23], -v[108:109], v[134:135], v[22:23]
	v_fma_f64 v[20:21], -v[108:109], v[136:137], v[20:21]
	;; [unrolled: 1-line block ×4, first 2 shown]
	ds_read2_b64 v[134:137], v128 offset0:55 offset1:56
	ds_read2_b64 v[138:141], v128 offset0:57 offset1:58
	s_waitcnt lgkmcnt(0)
	v_fma_f64 v[14:15], -v[108:109], v[142:143], v[14:15]
	v_fma_f64 v[12:13], -v[108:109], v[144:145], v[12:13]
	;; [unrolled: 1-line block ×7, first 2 shown]
.LBB118_114:
	s_or_b64 exec, exec, s[0:1]
	v_lshl_add_u32 v124, v129, 3, v128
	s_barrier
	ds_write_b64 v124, v[106:107]
	s_waitcnt lgkmcnt(0)
	s_barrier
	ds_read_b64 v[124:125], v128 offset:56
	s_cmp_lt_i32 s18, 9
	v_mov_b32_e32 v126, 7
	s_cbranch_scc1 .LBB118_117
; %bb.115:
	v_add3_u32 v133, v133, 0, 64
	s_mov_b32 s0, 8
	v_mov_b32_e32 v126, 7
.LBB118_116:                            ; =>This Inner Loop Header: Depth=1
	ds_read_b64 v[134:135], v133
	v_mov_b32_e32 v136, s0
	s_add_i32 s0, s0, 1
	v_add_u32_e32 v133, 8, v133
	s_cmp_lg_u32 s18, s0
	s_waitcnt lgkmcnt(0)
	v_cmp_lt_f64_e64 vcc, |v[124:125]|, |v[134:135]|
	v_cndmask_b32_e32 v125, v125, v135, vcc
	v_cndmask_b32_e32 v124, v124, v134, vcc
	;; [unrolled: 1-line block ×3, first 2 shown]
	s_cbranch_scc1 .LBB118_116
.LBB118_117:
	s_waitcnt lgkmcnt(0)
	v_cmp_eq_f64_e32 vcc, 0, v[124:125]
	s_and_saveexec_b64 s[0:1], vcc
	s_xor_b64 s[0:1], exec, s[0:1]
; %bb.118:
	v_cmp_ne_u32_e32 vcc, 0, v132
	v_cndmask_b32_e32 v132, 8, v132, vcc
; %bb.119:
	s_andn2_saveexec_b64 s[0:1], s[0:1]
; %bb.120:
	v_div_scale_f64 v[134:135], s[2:3], v[124:125], v[124:125], 1.0
	v_rcp_f64_e32 v[136:137], v[134:135]
	v_div_scale_f64 v[138:139], vcc, 1.0, v[124:125], 1.0
	v_fma_f64 v[140:141], -v[134:135], v[136:137], 1.0
	v_fmac_f64_e32 v[136:137], v[136:137], v[140:141]
	v_fma_f64 v[140:141], -v[134:135], v[136:137], 1.0
	v_fmac_f64_e32 v[136:137], v[136:137], v[140:141]
	v_mul_f64 v[140:141], v[138:139], v[136:137]
	v_fma_f64 v[134:135], -v[134:135], v[140:141], v[138:139]
	v_div_fmas_f64 v[134:135], v[134:135], v[136:137], v[140:141]
	v_div_fixup_f64 v[124:125], v[134:135], v[124:125], 1.0
; %bb.121:
	s_or_b64 exec, exec, s[0:1]
	v_cmp_ne_u32_e32 vcc, v129, v126
	s_and_saveexec_b64 s[0:1], vcc
	s_xor_b64 s[0:1], exec, s[0:1]
	s_cbranch_execz .LBB118_127
; %bb.122:
	v_cmp_eq_u32_e32 vcc, 7, v129
	s_and_saveexec_b64 s[2:3], vcc
	s_cbranch_execz .LBB118_126
; %bb.123:
	v_cmp_ne_u32_e32 vcc, 7, v126
	s_xor_b64 s[14:15], s[6:7], -1
	s_and_b64 s[16:17], s[14:15], vcc
	s_and_saveexec_b64 s[14:15], s[16:17]
	s_cbranch_execz .LBB118_125
; %bb.124:
	v_ashrrev_i32_e32 v127, 31, v126
	v_lshlrev_b64 v[134:135], 2, v[126:127]
	v_add_co_u32_e32 v134, vcc, v4, v134
	v_addc_co_u32_e32 v135, vcc, v5, v135, vcc
	flat_load_dword v127, v[134:135]
	flat_load_dword v129, v[4:5] offset:28
	s_waitcnt vmcnt(0) lgkmcnt(0)
	flat_store_dword v[4:5], v127 offset:28
	flat_store_dword v[134:135], v129
.LBB118_125:
	s_or_b64 exec, exec, s[14:15]
	v_mov_b32_e32 v127, v126
	v_mov_b32_e32 v129, v126
.LBB118_126:
	s_or_b64 exec, exec, s[2:3]
.LBB118_127:
	s_andn2_saveexec_b64 s[0:1], s[0:1]
	s_cbranch_execz .LBB118_129
; %bb.128:
	v_mov_b32_e32 v134, v104
	v_mov_b32_e32 v135, v105
	v_mov_b32_e32 v136, v102
	v_mov_b32_e32 v137, v103
	ds_write2_b64 v128, v[134:135], v[136:137] offset0:8 offset1:9
	v_mov_b32_e32 v134, v100
	v_mov_b32_e32 v135, v101
	v_mov_b32_e32 v136, v98
	v_mov_b32_e32 v137, v99
	ds_write2_b64 v128, v[134:135], v[136:137] offset0:10 offset1:11
	;; [unrolled: 5-line block ×25, first 2 shown]
	v_mov_b32_e32 v134, v0
	v_mov_b32_e32 v135, v1
	;; [unrolled: 1-line block ×3, first 2 shown]
	ds_write2_b64 v128, v[134:135], v[122:123] offset0:58 offset1:59
.LBB118_129:
	s_or_b64 exec, exec, s[0:1]
	v_cmp_lt_i32_e32 vcc, 7, v129
	s_waitcnt lgkmcnt(0)
	s_barrier
	s_and_saveexec_b64 s[0:1], vcc
	s_cbranch_execz .LBB118_131
; %bb.130:
	ds_read2_b64 v[134:137], v128 offset0:8 offset1:9
	ds_read2_b64 v[138:141], v128 offset0:10 offset1:11
	v_mul_f64 v[106:107], v[124:125], v[106:107]
	ds_read2_b64 v[142:145], v128 offset0:12 offset1:13
	s_waitcnt lgkmcnt(0)
	v_fma_f64 v[104:105], -v[106:107], v[134:135], v[104:105]
	v_fma_f64 v[102:103], -v[106:107], v[136:137], v[102:103]
	ds_read2_b64 v[134:137], v128 offset0:14 offset1:15
	v_fma_f64 v[100:101], -v[106:107], v[138:139], v[100:101]
	v_fma_f64 v[98:99], -v[106:107], v[140:141], v[98:99]
	ds_read2_b64 v[138:141], v128 offset0:16 offset1:17
	;; [unrolled: 3-line block ×3, first 2 shown]
	s_waitcnt lgkmcnt(0)
	v_fma_f64 v[92:93], -v[106:107], v[134:135], v[92:93]
	v_fma_f64 v[90:91], -v[106:107], v[136:137], v[90:91]
	;; [unrolled: 1-line block ×3, first 2 shown]
	ds_read2_b64 v[134:137], v128 offset0:20 offset1:21
	v_fma_f64 v[86:87], -v[106:107], v[140:141], v[86:87]
	ds_read2_b64 v[138:141], v128 offset0:22 offset1:23
	v_fma_f64 v[84:85], -v[106:107], v[142:143], v[84:85]
	v_fma_f64 v[82:83], -v[106:107], v[144:145], v[82:83]
	s_waitcnt lgkmcnt(0)
	v_fma_f64 v[80:81], -v[106:107], v[134:135], v[80:81]
	ds_read2_b64 v[142:145], v128 offset0:24 offset1:25
	v_fma_f64 v[78:79], -v[106:107], v[136:137], v[78:79]
	ds_read2_b64 v[134:137], v128 offset0:26 offset1:27
	v_fma_f64 v[76:77], -v[106:107], v[138:139], v[76:77]
	v_fma_f64 v[74:75], -v[106:107], v[140:141], v[74:75]
	ds_read2_b64 v[138:141], v128 offset0:28 offset1:29
	s_waitcnt lgkmcnt(0)
	v_fma_f64 v[72:73], -v[106:107], v[142:143], v[72:73]
	v_fma_f64 v[70:71], -v[106:107], v[144:145], v[70:71]
	ds_read2_b64 v[142:145], v128 offset0:30 offset1:31
	v_fma_f64 v[68:69], -v[106:107], v[134:135], v[68:69]
	v_fma_f64 v[66:67], -v[106:107], v[136:137], v[66:67]
	;; [unrolled: 1-line block ×3, first 2 shown]
	ds_read2_b64 v[134:137], v128 offset0:32 offset1:33
	v_fma_f64 v[62:63], -v[106:107], v[140:141], v[62:63]
	ds_read2_b64 v[138:141], v128 offset0:34 offset1:35
	s_waitcnt lgkmcnt(0)
	v_fma_f64 v[60:61], -v[106:107], v[142:143], v[60:61]
	v_fma_f64 v[58:59], -v[106:107], v[144:145], v[58:59]
	;; [unrolled: 1-line block ×3, first 2 shown]
	ds_read2_b64 v[142:145], v128 offset0:36 offset1:37
	v_fma_f64 v[54:55], -v[106:107], v[136:137], v[54:55]
	ds_read2_b64 v[134:137], v128 offset0:38 offset1:39
	v_fma_f64 v[52:53], -v[106:107], v[138:139], v[52:53]
	v_fma_f64 v[50:51], -v[106:107], v[140:141], v[50:51]
	ds_read2_b64 v[138:141], v128 offset0:40 offset1:41
	s_waitcnt lgkmcnt(0)
	v_fma_f64 v[48:49], -v[106:107], v[142:143], v[48:49]
	v_fma_f64 v[46:47], -v[106:107], v[144:145], v[46:47]
	ds_read2_b64 v[142:145], v128 offset0:42 offset1:43
	v_fma_f64 v[44:45], -v[106:107], v[134:135], v[44:45]
	v_fma_f64 v[42:43], -v[106:107], v[136:137], v[42:43]
	;; [unrolled: 1-line block ×3, first 2 shown]
	ds_read2_b64 v[134:137], v128 offset0:44 offset1:45
	v_fma_f64 v[38:39], -v[106:107], v[140:141], v[38:39]
	ds_read2_b64 v[138:141], v128 offset0:46 offset1:47
	s_waitcnt lgkmcnt(0)
	v_fma_f64 v[36:37], -v[106:107], v[142:143], v[36:37]
	v_fma_f64 v[34:35], -v[106:107], v[144:145], v[34:35]
	;; [unrolled: 1-line block ×3, first 2 shown]
	ds_read2_b64 v[142:145], v128 offset0:48 offset1:49
	v_fma_f64 v[30:31], -v[106:107], v[136:137], v[30:31]
	ds_read2_b64 v[134:137], v128 offset0:50 offset1:51
	v_fma_f64 v[28:29], -v[106:107], v[138:139], v[28:29]
	v_fma_f64 v[26:27], -v[106:107], v[140:141], v[26:27]
	ds_read2_b64 v[138:141], v128 offset0:52 offset1:53
	s_waitcnt lgkmcnt(0)
	v_fma_f64 v[24:25], -v[106:107], v[142:143], v[24:25]
	v_fma_f64 v[22:23], -v[106:107], v[144:145], v[22:23]
	;; [unrolled: 1-line block ×4, first 2 shown]
	ds_read2_b64 v[134:137], v128 offset0:54 offset1:55
	v_fma_f64 v[16:17], -v[106:107], v[138:139], v[16:17]
	ds_read2_b64 v[142:145], v128 offset0:56 offset1:57
	v_fma_f64 v[14:15], -v[106:107], v[140:141], v[14:15]
	ds_read2_b64 v[138:141], v128 offset0:58 offset1:59
	s_waitcnt lgkmcnt(0)
	v_fma_f64 v[12:13], -v[106:107], v[134:135], v[12:13]
	v_fma_f64 v[10:11], -v[106:107], v[136:137], v[10:11]
	;; [unrolled: 1-line block ×6, first 2 shown]
.LBB118_131:
	s_or_b64 exec, exec, s[0:1]
	v_lshl_add_u32 v124, v129, 3, v128
	s_barrier
	ds_write_b64 v124, v[104:105]
	s_waitcnt lgkmcnt(0)
	s_barrier
	ds_read_b64 v[124:125], v128 offset:64
	s_cmp_lt_i32 s18, 10
	v_mov_b32_e32 v126, 8
	s_cbranch_scc1 .LBB118_134
; %bb.132:
	v_add_u32_e32 v133, 0x48, v128
	s_mov_b32 s0, 9
	v_mov_b32_e32 v126, 8
.LBB118_133:                            ; =>This Inner Loop Header: Depth=1
	ds_read_b64 v[134:135], v133
	v_mov_b32_e32 v136, s0
	s_add_i32 s0, s0, 1
	v_add_u32_e32 v133, 8, v133
	s_cmp_lg_u32 s18, s0
	s_waitcnt lgkmcnt(0)
	v_cmp_lt_f64_e64 vcc, |v[124:125]|, |v[134:135]|
	v_cndmask_b32_e32 v125, v125, v135, vcc
	v_cndmask_b32_e32 v124, v124, v134, vcc
	;; [unrolled: 1-line block ×3, first 2 shown]
	s_cbranch_scc1 .LBB118_133
.LBB118_134:
	s_waitcnt lgkmcnt(0)
	v_cmp_eq_f64_e32 vcc, 0, v[124:125]
	s_and_saveexec_b64 s[0:1], vcc
	s_xor_b64 s[0:1], exec, s[0:1]
; %bb.135:
	v_cmp_ne_u32_e32 vcc, 0, v132
	v_cndmask_b32_e32 v132, 9, v132, vcc
; %bb.136:
	s_andn2_saveexec_b64 s[0:1], s[0:1]
; %bb.137:
	v_div_scale_f64 v[134:135], s[2:3], v[124:125], v[124:125], 1.0
	v_rcp_f64_e32 v[136:137], v[134:135]
	v_div_scale_f64 v[138:139], vcc, 1.0, v[124:125], 1.0
	v_fma_f64 v[140:141], -v[134:135], v[136:137], 1.0
	v_fmac_f64_e32 v[136:137], v[136:137], v[140:141]
	v_fma_f64 v[140:141], -v[134:135], v[136:137], 1.0
	v_fmac_f64_e32 v[136:137], v[136:137], v[140:141]
	v_mul_f64 v[140:141], v[138:139], v[136:137]
	v_fma_f64 v[134:135], -v[134:135], v[140:141], v[138:139]
	v_div_fmas_f64 v[134:135], v[134:135], v[136:137], v[140:141]
	v_div_fixup_f64 v[124:125], v[134:135], v[124:125], 1.0
; %bb.138:
	s_or_b64 exec, exec, s[0:1]
	v_cmp_ne_u32_e32 vcc, v129, v126
	s_and_saveexec_b64 s[0:1], vcc
	s_xor_b64 s[0:1], exec, s[0:1]
	s_cbranch_execz .LBB118_144
; %bb.139:
	v_cmp_eq_u32_e32 vcc, 8, v129
	s_and_saveexec_b64 s[2:3], vcc
	s_cbranch_execz .LBB118_143
; %bb.140:
	v_cmp_ne_u32_e32 vcc, 8, v126
	s_xor_b64 s[14:15], s[6:7], -1
	s_and_b64 s[16:17], s[14:15], vcc
	s_and_saveexec_b64 s[14:15], s[16:17]
	s_cbranch_execz .LBB118_142
; %bb.141:
	v_ashrrev_i32_e32 v127, 31, v126
	v_lshlrev_b64 v[134:135], 2, v[126:127]
	v_add_co_u32_e32 v134, vcc, v4, v134
	v_addc_co_u32_e32 v135, vcc, v5, v135, vcc
	flat_load_dword v127, v[134:135]
	flat_load_dword v129, v[4:5] offset:32
	s_waitcnt vmcnt(0) lgkmcnt(0)
	flat_store_dword v[4:5], v127 offset:32
	flat_store_dword v[134:135], v129
.LBB118_142:
	s_or_b64 exec, exec, s[14:15]
	v_mov_b32_e32 v127, v126
	v_mov_b32_e32 v129, v126
.LBB118_143:
	s_or_b64 exec, exec, s[2:3]
.LBB118_144:
	s_andn2_saveexec_b64 s[0:1], s[0:1]
	s_cbranch_execz .LBB118_146
; %bb.145:
	v_mov_b32_e32 v129, 8
	ds_write2_b64 v128, v[102:103], v[100:101] offset0:9 offset1:10
	ds_write2_b64 v128, v[98:99], v[96:97] offset0:11 offset1:12
	;; [unrolled: 1-line block ×25, first 2 shown]
	ds_write_b64 v128, v[122:123] offset:472
.LBB118_146:
	s_or_b64 exec, exec, s[0:1]
	v_cmp_lt_i32_e32 vcc, 8, v129
	s_waitcnt lgkmcnt(0)
	s_barrier
	s_and_saveexec_b64 s[0:1], vcc
	s_cbranch_execz .LBB118_148
; %bb.147:
	ds_read2_b64 v[134:137], v128 offset0:9 offset1:10
	ds_read2_b64 v[138:141], v128 offset0:11 offset1:12
	v_mul_f64 v[104:105], v[124:125], v[104:105]
	ds_read2_b64 v[142:145], v128 offset0:13 offset1:14
	ds_read_b64 v[124:125], v128 offset:472
	s_waitcnt lgkmcnt(0)
	v_fma_f64 v[102:103], -v[104:105], v[134:135], v[102:103]
	v_fma_f64 v[100:101], -v[104:105], v[136:137], v[100:101]
	ds_read2_b64 v[134:137], v128 offset0:15 offset1:16
	v_fma_f64 v[98:99], -v[104:105], v[138:139], v[98:99]
	v_fma_f64 v[96:97], -v[104:105], v[140:141], v[96:97]
	;; [unrolled: 1-line block ×3, first 2 shown]
	ds_read2_b64 v[138:141], v128 offset0:17 offset1:18
	v_fma_f64 v[92:93], -v[104:105], v[144:145], v[92:93]
	ds_read2_b64 v[142:145], v128 offset0:19 offset1:20
	s_waitcnt lgkmcnt(0)
	v_fma_f64 v[90:91], -v[104:105], v[134:135], v[90:91]
	v_fma_f64 v[88:89], -v[104:105], v[136:137], v[88:89]
	ds_read2_b64 v[134:137], v128 offset0:21 offset1:22
	v_fma_f64 v[86:87], -v[104:105], v[138:139], v[86:87]
	v_fma_f64 v[84:85], -v[104:105], v[140:141], v[84:85]
	ds_read2_b64 v[138:141], v128 offset0:23 offset1:24
	v_fma_f64 v[82:83], -v[104:105], v[142:143], v[82:83]
	v_fma_f64 v[80:81], -v[104:105], v[144:145], v[80:81]
	s_waitcnt lgkmcnt(0)
	v_fma_f64 v[78:79], -v[104:105], v[134:135], v[78:79]
	ds_read2_b64 v[142:145], v128 offset0:25 offset1:26
	v_fma_f64 v[76:77], -v[104:105], v[136:137], v[76:77]
	ds_read2_b64 v[134:137], v128 offset0:27 offset1:28
	v_fma_f64 v[74:75], -v[104:105], v[138:139], v[74:75]
	v_fma_f64 v[72:73], -v[104:105], v[140:141], v[72:73]
	s_waitcnt lgkmcnt(0)
	v_fma_f64 v[70:71], -v[104:105], v[142:143], v[70:71]
	ds_read2_b64 v[138:141], v128 offset0:29 offset1:30
	v_fma_f64 v[68:69], -v[104:105], v[144:145], v[68:69]
	ds_read2_b64 v[142:145], v128 offset0:31 offset1:32
	v_fma_f64 v[66:67], -v[104:105], v[134:135], v[66:67]
	v_fma_f64 v[64:65], -v[104:105], v[136:137], v[64:65]
	ds_read2_b64 v[134:137], v128 offset0:33 offset1:34
	s_waitcnt lgkmcnt(0)
	v_fma_f64 v[62:63], -v[104:105], v[138:139], v[62:63]
	v_fma_f64 v[60:61], -v[104:105], v[140:141], v[60:61]
	ds_read2_b64 v[138:141], v128 offset0:35 offset1:36
	v_fma_f64 v[58:59], -v[104:105], v[142:143], v[58:59]
	v_fma_f64 v[56:57], -v[104:105], v[144:145], v[56:57]
	;; [unrolled: 1-line block ×3, first 2 shown]
	ds_read2_b64 v[142:145], v128 offset0:37 offset1:38
	v_fma_f64 v[52:53], -v[104:105], v[136:137], v[52:53]
	ds_read2_b64 v[134:137], v128 offset0:39 offset1:40
	s_waitcnt lgkmcnt(0)
	v_fma_f64 v[50:51], -v[104:105], v[138:139], v[50:51]
	v_fma_f64 v[48:49], -v[104:105], v[140:141], v[48:49]
	;; [unrolled: 1-line block ×3, first 2 shown]
	ds_read2_b64 v[138:141], v128 offset0:41 offset1:42
	v_fma_f64 v[44:45], -v[104:105], v[144:145], v[44:45]
	ds_read2_b64 v[142:145], v128 offset0:43 offset1:44
	v_fma_f64 v[42:43], -v[104:105], v[134:135], v[42:43]
	v_fma_f64 v[40:41], -v[104:105], v[136:137], v[40:41]
	ds_read2_b64 v[134:137], v128 offset0:45 offset1:46
	s_waitcnt lgkmcnt(0)
	v_fma_f64 v[38:39], -v[104:105], v[138:139], v[38:39]
	v_fma_f64 v[36:37], -v[104:105], v[140:141], v[36:37]
	ds_read2_b64 v[138:141], v128 offset0:47 offset1:48
	v_fma_f64 v[34:35], -v[104:105], v[142:143], v[34:35]
	v_fma_f64 v[32:33], -v[104:105], v[144:145], v[32:33]
	;; [unrolled: 1-line block ×3, first 2 shown]
	ds_read2_b64 v[142:145], v128 offset0:49 offset1:50
	v_fma_f64 v[28:29], -v[104:105], v[136:137], v[28:29]
	ds_read2_b64 v[134:137], v128 offset0:51 offset1:52
	s_waitcnt lgkmcnt(0)
	v_fma_f64 v[26:27], -v[104:105], v[138:139], v[26:27]
	v_fma_f64 v[24:25], -v[104:105], v[140:141], v[24:25]
	;; [unrolled: 1-line block ×3, first 2 shown]
	ds_read2_b64 v[138:141], v128 offset0:53 offset1:54
	v_fma_f64 v[20:21], -v[104:105], v[144:145], v[20:21]
	v_fma_f64 v[18:19], -v[104:105], v[134:135], v[18:19]
	;; [unrolled: 1-line block ×3, first 2 shown]
	ds_read2_b64 v[134:137], v128 offset0:55 offset1:56
	ds_read2_b64 v[142:145], v128 offset0:57 offset1:58
	s_waitcnt lgkmcnt(0)
	v_fma_f64 v[14:15], -v[104:105], v[138:139], v[14:15]
	v_fma_f64 v[12:13], -v[104:105], v[140:141], v[12:13]
	;; [unrolled: 1-line block ×7, first 2 shown]
.LBB118_148:
	s_or_b64 exec, exec, s[0:1]
	v_lshl_add_u32 v124, v129, 3, v128
	s_barrier
	ds_write_b64 v124, v[102:103]
	s_waitcnt lgkmcnt(0)
	s_barrier
	ds_read_b64 v[124:125], v128 offset:72
	s_cmp_lt_i32 s18, 11
	v_mov_b32_e32 v126, 9
	s_cbranch_scc1 .LBB118_151
; %bb.149:
	v_add_u32_e32 v133, 0x50, v128
	s_mov_b32 s0, 10
	v_mov_b32_e32 v126, 9
.LBB118_150:                            ; =>This Inner Loop Header: Depth=1
	ds_read_b64 v[134:135], v133
	v_mov_b32_e32 v136, s0
	s_add_i32 s0, s0, 1
	v_add_u32_e32 v133, 8, v133
	s_cmp_lg_u32 s18, s0
	s_waitcnt lgkmcnt(0)
	v_cmp_lt_f64_e64 vcc, |v[124:125]|, |v[134:135]|
	v_cndmask_b32_e32 v125, v125, v135, vcc
	v_cndmask_b32_e32 v124, v124, v134, vcc
	;; [unrolled: 1-line block ×3, first 2 shown]
	s_cbranch_scc1 .LBB118_150
.LBB118_151:
	s_waitcnt lgkmcnt(0)
	v_cmp_eq_f64_e32 vcc, 0, v[124:125]
	s_and_saveexec_b64 s[0:1], vcc
	s_xor_b64 s[0:1], exec, s[0:1]
; %bb.152:
	v_cmp_ne_u32_e32 vcc, 0, v132
	v_cndmask_b32_e32 v132, 10, v132, vcc
; %bb.153:
	s_andn2_saveexec_b64 s[0:1], s[0:1]
; %bb.154:
	v_div_scale_f64 v[134:135], s[2:3], v[124:125], v[124:125], 1.0
	v_rcp_f64_e32 v[136:137], v[134:135]
	v_div_scale_f64 v[138:139], vcc, 1.0, v[124:125], 1.0
	v_fma_f64 v[140:141], -v[134:135], v[136:137], 1.0
	v_fmac_f64_e32 v[136:137], v[136:137], v[140:141]
	v_fma_f64 v[140:141], -v[134:135], v[136:137], 1.0
	v_fmac_f64_e32 v[136:137], v[136:137], v[140:141]
	v_mul_f64 v[140:141], v[138:139], v[136:137]
	v_fma_f64 v[134:135], -v[134:135], v[140:141], v[138:139]
	v_div_fmas_f64 v[134:135], v[134:135], v[136:137], v[140:141]
	v_div_fixup_f64 v[124:125], v[134:135], v[124:125], 1.0
; %bb.155:
	s_or_b64 exec, exec, s[0:1]
	v_cmp_ne_u32_e32 vcc, v129, v126
	s_and_saveexec_b64 s[0:1], vcc
	s_xor_b64 s[0:1], exec, s[0:1]
	s_cbranch_execz .LBB118_161
; %bb.156:
	v_cmp_eq_u32_e32 vcc, 9, v129
	s_and_saveexec_b64 s[2:3], vcc
	s_cbranch_execz .LBB118_160
; %bb.157:
	v_cmp_ne_u32_e32 vcc, 9, v126
	s_xor_b64 s[14:15], s[6:7], -1
	s_and_b64 s[16:17], s[14:15], vcc
	s_and_saveexec_b64 s[14:15], s[16:17]
	s_cbranch_execz .LBB118_159
; %bb.158:
	v_ashrrev_i32_e32 v127, 31, v126
	v_lshlrev_b64 v[134:135], 2, v[126:127]
	v_add_co_u32_e32 v134, vcc, v4, v134
	v_addc_co_u32_e32 v135, vcc, v5, v135, vcc
	flat_load_dword v127, v[134:135]
	flat_load_dword v129, v[4:5] offset:36
	s_waitcnt vmcnt(0) lgkmcnt(0)
	flat_store_dword v[4:5], v127 offset:36
	flat_store_dword v[134:135], v129
.LBB118_159:
	s_or_b64 exec, exec, s[14:15]
	v_mov_b32_e32 v127, v126
	v_mov_b32_e32 v129, v126
.LBB118_160:
	s_or_b64 exec, exec, s[2:3]
.LBB118_161:
	s_andn2_saveexec_b64 s[0:1], s[0:1]
	s_cbranch_execz .LBB118_163
; %bb.162:
	v_mov_b32_e32 v134, v100
	v_mov_b32_e32 v135, v101
	v_mov_b32_e32 v136, v98
	v_mov_b32_e32 v137, v99
	ds_write2_b64 v128, v[134:135], v[136:137] offset0:10 offset1:11
	v_mov_b32_e32 v134, v96
	v_mov_b32_e32 v135, v97
	v_mov_b32_e32 v136, v94
	v_mov_b32_e32 v137, v95
	ds_write2_b64 v128, v[134:135], v[136:137] offset0:12 offset1:13
	;; [unrolled: 5-line block ×24, first 2 shown]
	v_mov_b32_e32 v134, v0
	v_mov_b32_e32 v135, v1
	;; [unrolled: 1-line block ×3, first 2 shown]
	ds_write2_b64 v128, v[134:135], v[122:123] offset0:58 offset1:59
.LBB118_163:
	s_or_b64 exec, exec, s[0:1]
	v_cmp_lt_i32_e32 vcc, 9, v129
	s_waitcnt lgkmcnt(0)
	s_barrier
	s_and_saveexec_b64 s[0:1], vcc
	s_cbranch_execz .LBB118_165
; %bb.164:
	ds_read2_b64 v[134:137], v128 offset0:10 offset1:11
	ds_read2_b64 v[138:141], v128 offset0:12 offset1:13
	v_mul_f64 v[102:103], v[124:125], v[102:103]
	ds_read2_b64 v[142:145], v128 offset0:14 offset1:15
	s_waitcnt lgkmcnt(0)
	v_fma_f64 v[100:101], -v[102:103], v[134:135], v[100:101]
	v_fma_f64 v[98:99], -v[102:103], v[136:137], v[98:99]
	ds_read2_b64 v[134:137], v128 offset0:16 offset1:17
	v_fma_f64 v[96:97], -v[102:103], v[138:139], v[96:97]
	v_fma_f64 v[94:95], -v[102:103], v[140:141], v[94:95]
	;; [unrolled: 1-line block ×3, first 2 shown]
	ds_read2_b64 v[138:141], v128 offset0:18 offset1:19
	v_fma_f64 v[90:91], -v[102:103], v[144:145], v[90:91]
	ds_read2_b64 v[142:145], v128 offset0:20 offset1:21
	s_waitcnt lgkmcnt(0)
	v_fma_f64 v[88:89], -v[102:103], v[134:135], v[88:89]
	v_fma_f64 v[86:87], -v[102:103], v[136:137], v[86:87]
	ds_read2_b64 v[134:137], v128 offset0:22 offset1:23
	v_fma_f64 v[84:85], -v[102:103], v[138:139], v[84:85]
	v_fma_f64 v[82:83], -v[102:103], v[140:141], v[82:83]
	ds_read2_b64 v[138:141], v128 offset0:24 offset1:25
	v_fma_f64 v[80:81], -v[102:103], v[142:143], v[80:81]
	v_fma_f64 v[78:79], -v[102:103], v[144:145], v[78:79]
	s_waitcnt lgkmcnt(0)
	v_fma_f64 v[76:77], -v[102:103], v[134:135], v[76:77]
	ds_read2_b64 v[142:145], v128 offset0:26 offset1:27
	v_fma_f64 v[74:75], -v[102:103], v[136:137], v[74:75]
	ds_read2_b64 v[134:137], v128 offset0:28 offset1:29
	v_fma_f64 v[72:73], -v[102:103], v[138:139], v[72:73]
	v_fma_f64 v[70:71], -v[102:103], v[140:141], v[70:71]
	s_waitcnt lgkmcnt(0)
	v_fma_f64 v[68:69], -v[102:103], v[142:143], v[68:69]
	ds_read2_b64 v[138:141], v128 offset0:30 offset1:31
	v_fma_f64 v[66:67], -v[102:103], v[144:145], v[66:67]
	ds_read2_b64 v[142:145], v128 offset0:32 offset1:33
	v_fma_f64 v[64:65], -v[102:103], v[134:135], v[64:65]
	v_fma_f64 v[62:63], -v[102:103], v[136:137], v[62:63]
	ds_read2_b64 v[134:137], v128 offset0:34 offset1:35
	s_waitcnt lgkmcnt(0)
	v_fma_f64 v[60:61], -v[102:103], v[138:139], v[60:61]
	v_fma_f64 v[58:59], -v[102:103], v[140:141], v[58:59]
	ds_read2_b64 v[138:141], v128 offset0:36 offset1:37
	v_fma_f64 v[56:57], -v[102:103], v[142:143], v[56:57]
	v_fma_f64 v[54:55], -v[102:103], v[144:145], v[54:55]
	;; [unrolled: 1-line block ×3, first 2 shown]
	ds_read2_b64 v[142:145], v128 offset0:38 offset1:39
	v_fma_f64 v[50:51], -v[102:103], v[136:137], v[50:51]
	ds_read2_b64 v[134:137], v128 offset0:40 offset1:41
	s_waitcnt lgkmcnt(0)
	v_fma_f64 v[48:49], -v[102:103], v[138:139], v[48:49]
	v_fma_f64 v[46:47], -v[102:103], v[140:141], v[46:47]
	v_fma_f64 v[44:45], -v[102:103], v[142:143], v[44:45]
	ds_read2_b64 v[138:141], v128 offset0:42 offset1:43
	v_fma_f64 v[42:43], -v[102:103], v[144:145], v[42:43]
	ds_read2_b64 v[142:145], v128 offset0:44 offset1:45
	v_fma_f64 v[40:41], -v[102:103], v[134:135], v[40:41]
	v_fma_f64 v[38:39], -v[102:103], v[136:137], v[38:39]
	ds_read2_b64 v[134:137], v128 offset0:46 offset1:47
	s_waitcnt lgkmcnt(0)
	v_fma_f64 v[36:37], -v[102:103], v[138:139], v[36:37]
	v_fma_f64 v[34:35], -v[102:103], v[140:141], v[34:35]
	ds_read2_b64 v[138:141], v128 offset0:48 offset1:49
	v_fma_f64 v[32:33], -v[102:103], v[142:143], v[32:33]
	v_fma_f64 v[30:31], -v[102:103], v[144:145], v[30:31]
	;; [unrolled: 1-line block ×3, first 2 shown]
	ds_read2_b64 v[142:145], v128 offset0:50 offset1:51
	v_fma_f64 v[26:27], -v[102:103], v[136:137], v[26:27]
	ds_read2_b64 v[134:137], v128 offset0:52 offset1:53
	s_waitcnt lgkmcnt(0)
	v_fma_f64 v[24:25], -v[102:103], v[138:139], v[24:25]
	v_fma_f64 v[22:23], -v[102:103], v[140:141], v[22:23]
	;; [unrolled: 1-line block ×4, first 2 shown]
	ds_read2_b64 v[138:141], v128 offset0:54 offset1:55
	ds_read2_b64 v[142:145], v128 offset0:56 offset1:57
	v_fma_f64 v[16:17], -v[102:103], v[134:135], v[16:17]
	v_fma_f64 v[14:15], -v[102:103], v[136:137], v[14:15]
	ds_read2_b64 v[134:137], v128 offset0:58 offset1:59
	s_waitcnt lgkmcnt(0)
	v_fma_f64 v[12:13], -v[102:103], v[138:139], v[12:13]
	v_fma_f64 v[10:11], -v[102:103], v[140:141], v[10:11]
	;; [unrolled: 1-line block ×6, first 2 shown]
.LBB118_165:
	s_or_b64 exec, exec, s[0:1]
	v_lshl_add_u32 v124, v129, 3, v128
	s_barrier
	ds_write_b64 v124, v[100:101]
	s_waitcnt lgkmcnt(0)
	s_barrier
	ds_read_b64 v[124:125], v128 offset:80
	s_cmp_lt_i32 s18, 12
	v_mov_b32_e32 v126, 10
	s_cbranch_scc1 .LBB118_168
; %bb.166:
	v_add_u32_e32 v133, 0x58, v128
	s_mov_b32 s0, 11
	v_mov_b32_e32 v126, 10
.LBB118_167:                            ; =>This Inner Loop Header: Depth=1
	ds_read_b64 v[134:135], v133
	v_mov_b32_e32 v136, s0
	s_add_i32 s0, s0, 1
	v_add_u32_e32 v133, 8, v133
	s_cmp_lg_u32 s18, s0
	s_waitcnt lgkmcnt(0)
	v_cmp_lt_f64_e64 vcc, |v[124:125]|, |v[134:135]|
	v_cndmask_b32_e32 v125, v125, v135, vcc
	v_cndmask_b32_e32 v124, v124, v134, vcc
	;; [unrolled: 1-line block ×3, first 2 shown]
	s_cbranch_scc1 .LBB118_167
.LBB118_168:
	s_waitcnt lgkmcnt(0)
	v_cmp_eq_f64_e32 vcc, 0, v[124:125]
	s_and_saveexec_b64 s[0:1], vcc
	s_xor_b64 s[0:1], exec, s[0:1]
; %bb.169:
	v_cmp_ne_u32_e32 vcc, 0, v132
	v_cndmask_b32_e32 v132, 11, v132, vcc
; %bb.170:
	s_andn2_saveexec_b64 s[0:1], s[0:1]
; %bb.171:
	v_div_scale_f64 v[134:135], s[2:3], v[124:125], v[124:125], 1.0
	v_rcp_f64_e32 v[136:137], v[134:135]
	v_div_scale_f64 v[138:139], vcc, 1.0, v[124:125], 1.0
	v_fma_f64 v[140:141], -v[134:135], v[136:137], 1.0
	v_fmac_f64_e32 v[136:137], v[136:137], v[140:141]
	v_fma_f64 v[140:141], -v[134:135], v[136:137], 1.0
	v_fmac_f64_e32 v[136:137], v[136:137], v[140:141]
	v_mul_f64 v[140:141], v[138:139], v[136:137]
	v_fma_f64 v[134:135], -v[134:135], v[140:141], v[138:139]
	v_div_fmas_f64 v[134:135], v[134:135], v[136:137], v[140:141]
	v_div_fixup_f64 v[124:125], v[134:135], v[124:125], 1.0
; %bb.172:
	s_or_b64 exec, exec, s[0:1]
	v_cmp_ne_u32_e32 vcc, v129, v126
	s_and_saveexec_b64 s[0:1], vcc
	s_xor_b64 s[0:1], exec, s[0:1]
	s_cbranch_execz .LBB118_178
; %bb.173:
	v_cmp_eq_u32_e32 vcc, 10, v129
	s_and_saveexec_b64 s[2:3], vcc
	s_cbranch_execz .LBB118_177
; %bb.174:
	v_cmp_ne_u32_e32 vcc, 10, v126
	s_xor_b64 s[14:15], s[6:7], -1
	s_and_b64 s[16:17], s[14:15], vcc
	s_and_saveexec_b64 s[14:15], s[16:17]
	s_cbranch_execz .LBB118_176
; %bb.175:
	v_ashrrev_i32_e32 v127, 31, v126
	v_lshlrev_b64 v[134:135], 2, v[126:127]
	v_add_co_u32_e32 v134, vcc, v4, v134
	v_addc_co_u32_e32 v135, vcc, v5, v135, vcc
	flat_load_dword v127, v[134:135]
	flat_load_dword v129, v[4:5] offset:40
	s_waitcnt vmcnt(0) lgkmcnt(0)
	flat_store_dword v[4:5], v127 offset:40
	flat_store_dword v[134:135], v129
.LBB118_176:
	s_or_b64 exec, exec, s[14:15]
	v_mov_b32_e32 v127, v126
	v_mov_b32_e32 v129, v126
.LBB118_177:
	s_or_b64 exec, exec, s[2:3]
.LBB118_178:
	s_andn2_saveexec_b64 s[0:1], s[0:1]
	s_cbranch_execz .LBB118_180
; %bb.179:
	v_mov_b32_e32 v129, 10
	ds_write2_b64 v128, v[98:99], v[96:97] offset0:11 offset1:12
	ds_write2_b64 v128, v[94:95], v[92:93] offset0:13 offset1:14
	;; [unrolled: 1-line block ×24, first 2 shown]
	ds_write_b64 v128, v[122:123] offset:472
.LBB118_180:
	s_or_b64 exec, exec, s[0:1]
	v_cmp_lt_i32_e32 vcc, 10, v129
	s_waitcnt lgkmcnt(0)
	s_barrier
	s_and_saveexec_b64 s[0:1], vcc
	s_cbranch_execz .LBB118_182
; %bb.181:
	ds_read2_b64 v[134:137], v128 offset0:11 offset1:12
	ds_read2_b64 v[138:141], v128 offset0:13 offset1:14
	;; [unrolled: 1-line block ×3, first 2 shown]
	v_mul_f64 v[100:101], v[124:125], v[100:101]
	ds_read_b64 v[124:125], v128 offset:472
	s_waitcnt lgkmcnt(0)
	v_fma_f64 v[98:99], -v[100:101], v[134:135], v[98:99]
	v_fma_f64 v[96:97], -v[100:101], v[136:137], v[96:97]
	ds_read2_b64 v[134:137], v128 offset0:17 offset1:18
	v_fma_f64 v[94:95], -v[100:101], v[138:139], v[94:95]
	v_fma_f64 v[92:93], -v[100:101], v[140:141], v[92:93]
	v_fma_f64 v[90:91], -v[100:101], v[142:143], v[90:91]
	ds_read2_b64 v[138:141], v128 offset0:19 offset1:20
	v_fma_f64 v[88:89], -v[100:101], v[144:145], v[88:89]
	ds_read2_b64 v[142:145], v128 offset0:21 offset1:22
	s_waitcnt lgkmcnt(0)
	v_fma_f64 v[86:87], -v[100:101], v[134:135], v[86:87]
	v_fma_f64 v[84:85], -v[100:101], v[136:137], v[84:85]
	v_fma_f64 v[82:83], -v[100:101], v[138:139], v[82:83]
	ds_read2_b64 v[134:137], v128 offset0:23 offset1:24
	v_fma_f64 v[80:81], -v[100:101], v[140:141], v[80:81]
	ds_read2_b64 v[138:141], v128 offset0:25 offset1:26
	v_fma_f64 v[78:79], -v[100:101], v[142:143], v[78:79]
	v_fma_f64 v[76:77], -v[100:101], v[144:145], v[76:77]
	ds_read2_b64 v[142:145], v128 offset0:27 offset1:28
	s_waitcnt lgkmcnt(0)
	v_fma_f64 v[74:75], -v[100:101], v[134:135], v[74:75]
	v_fma_f64 v[72:73], -v[100:101], v[136:137], v[72:73]
	ds_read2_b64 v[134:137], v128 offset0:29 offset1:30
	v_fma_f64 v[70:71], -v[100:101], v[138:139], v[70:71]
	v_fma_f64 v[68:69], -v[100:101], v[140:141], v[68:69]
	v_fma_f64 v[66:67], -v[100:101], v[142:143], v[66:67]
	ds_read2_b64 v[138:141], v128 offset0:31 offset1:32
	v_fma_f64 v[64:65], -v[100:101], v[144:145], v[64:65]
	ds_read2_b64 v[142:145], v128 offset0:33 offset1:34
	s_waitcnt lgkmcnt(0)
	v_fma_f64 v[62:63], -v[100:101], v[134:135], v[62:63]
	v_fma_f64 v[60:61], -v[100:101], v[136:137], v[60:61]
	v_fma_f64 v[58:59], -v[100:101], v[138:139], v[58:59]
	ds_read2_b64 v[134:137], v128 offset0:35 offset1:36
	v_fma_f64 v[56:57], -v[100:101], v[140:141], v[56:57]
	ds_read2_b64 v[138:141], v128 offset0:37 offset1:38
	v_fma_f64 v[54:55], -v[100:101], v[142:143], v[54:55]
	v_fma_f64 v[52:53], -v[100:101], v[144:145], v[52:53]
	ds_read2_b64 v[142:145], v128 offset0:39 offset1:40
	;; [unrolled: 20-line block ×3, first 2 shown]
	s_waitcnt lgkmcnt(0)
	v_fma_f64 v[26:27], -v[100:101], v[134:135], v[26:27]
	v_fma_f64 v[24:25], -v[100:101], v[136:137], v[24:25]
	ds_read2_b64 v[134:137], v128 offset0:53 offset1:54
	v_fma_f64 v[22:23], -v[100:101], v[138:139], v[22:23]
	v_fma_f64 v[20:21], -v[100:101], v[140:141], v[20:21]
	;; [unrolled: 1-line block ×4, first 2 shown]
	ds_read2_b64 v[138:141], v128 offset0:55 offset1:56
	ds_read2_b64 v[142:145], v128 offset0:57 offset1:58
	s_waitcnt lgkmcnt(0)
	v_fma_f64 v[14:15], -v[100:101], v[134:135], v[14:15]
	v_fma_f64 v[12:13], -v[100:101], v[136:137], v[12:13]
	;; [unrolled: 1-line block ×7, first 2 shown]
.LBB118_182:
	s_or_b64 exec, exec, s[0:1]
	v_lshl_add_u32 v124, v129, 3, v128
	s_barrier
	ds_write_b64 v124, v[98:99]
	s_waitcnt lgkmcnt(0)
	s_barrier
	ds_read_b64 v[124:125], v128 offset:88
	s_cmp_lt_i32 s18, 13
	v_mov_b32_e32 v126, 11
	s_cbranch_scc1 .LBB118_185
; %bb.183:
	v_add_u32_e32 v133, 0x60, v128
	s_mov_b32 s0, 12
	v_mov_b32_e32 v126, 11
.LBB118_184:                            ; =>This Inner Loop Header: Depth=1
	ds_read_b64 v[134:135], v133
	v_mov_b32_e32 v136, s0
	s_add_i32 s0, s0, 1
	v_add_u32_e32 v133, 8, v133
	s_cmp_lg_u32 s18, s0
	s_waitcnt lgkmcnt(0)
	v_cmp_lt_f64_e64 vcc, |v[124:125]|, |v[134:135]|
	v_cndmask_b32_e32 v125, v125, v135, vcc
	v_cndmask_b32_e32 v124, v124, v134, vcc
	;; [unrolled: 1-line block ×3, first 2 shown]
	s_cbranch_scc1 .LBB118_184
.LBB118_185:
	s_waitcnt lgkmcnt(0)
	v_cmp_eq_f64_e32 vcc, 0, v[124:125]
	s_and_saveexec_b64 s[0:1], vcc
	s_xor_b64 s[0:1], exec, s[0:1]
; %bb.186:
	v_cmp_ne_u32_e32 vcc, 0, v132
	v_cndmask_b32_e32 v132, 12, v132, vcc
; %bb.187:
	s_andn2_saveexec_b64 s[0:1], s[0:1]
; %bb.188:
	v_div_scale_f64 v[134:135], s[2:3], v[124:125], v[124:125], 1.0
	v_rcp_f64_e32 v[136:137], v[134:135]
	v_div_scale_f64 v[138:139], vcc, 1.0, v[124:125], 1.0
	v_fma_f64 v[140:141], -v[134:135], v[136:137], 1.0
	v_fmac_f64_e32 v[136:137], v[136:137], v[140:141]
	v_fma_f64 v[140:141], -v[134:135], v[136:137], 1.0
	v_fmac_f64_e32 v[136:137], v[136:137], v[140:141]
	v_mul_f64 v[140:141], v[138:139], v[136:137]
	v_fma_f64 v[134:135], -v[134:135], v[140:141], v[138:139]
	v_div_fmas_f64 v[134:135], v[134:135], v[136:137], v[140:141]
	v_div_fixup_f64 v[124:125], v[134:135], v[124:125], 1.0
; %bb.189:
	s_or_b64 exec, exec, s[0:1]
	v_cmp_ne_u32_e32 vcc, v129, v126
	s_and_saveexec_b64 s[0:1], vcc
	s_xor_b64 s[0:1], exec, s[0:1]
	s_cbranch_execz .LBB118_195
; %bb.190:
	v_cmp_eq_u32_e32 vcc, 11, v129
	s_and_saveexec_b64 s[2:3], vcc
	s_cbranch_execz .LBB118_194
; %bb.191:
	v_cmp_ne_u32_e32 vcc, 11, v126
	s_xor_b64 s[14:15], s[6:7], -1
	s_and_b64 s[16:17], s[14:15], vcc
	s_and_saveexec_b64 s[14:15], s[16:17]
	s_cbranch_execz .LBB118_193
; %bb.192:
	v_ashrrev_i32_e32 v127, 31, v126
	v_lshlrev_b64 v[134:135], 2, v[126:127]
	v_add_co_u32_e32 v134, vcc, v4, v134
	v_addc_co_u32_e32 v135, vcc, v5, v135, vcc
	flat_load_dword v127, v[134:135]
	flat_load_dword v129, v[4:5] offset:44
	s_waitcnt vmcnt(0) lgkmcnt(0)
	flat_store_dword v[4:5], v127 offset:44
	flat_store_dword v[134:135], v129
.LBB118_193:
	s_or_b64 exec, exec, s[14:15]
	v_mov_b32_e32 v127, v126
	v_mov_b32_e32 v129, v126
.LBB118_194:
	s_or_b64 exec, exec, s[2:3]
.LBB118_195:
	s_andn2_saveexec_b64 s[0:1], s[0:1]
	s_cbranch_execz .LBB118_197
; %bb.196:
	v_mov_b32_e32 v134, v96
	v_mov_b32_e32 v135, v97
	v_mov_b32_e32 v136, v94
	v_mov_b32_e32 v137, v95
	ds_write2_b64 v128, v[134:135], v[136:137] offset0:12 offset1:13
	v_mov_b32_e32 v134, v92
	v_mov_b32_e32 v135, v93
	v_mov_b32_e32 v136, v90
	v_mov_b32_e32 v137, v91
	ds_write2_b64 v128, v[134:135], v[136:137] offset0:14 offset1:15
	;; [unrolled: 5-line block ×23, first 2 shown]
	v_mov_b32_e32 v134, v0
	v_mov_b32_e32 v135, v1
	;; [unrolled: 1-line block ×3, first 2 shown]
	ds_write2_b64 v128, v[134:135], v[122:123] offset0:58 offset1:59
.LBB118_197:
	s_or_b64 exec, exec, s[0:1]
	v_cmp_lt_i32_e32 vcc, 11, v129
	s_waitcnt lgkmcnt(0)
	s_barrier
	s_and_saveexec_b64 s[0:1], vcc
	s_cbranch_execz .LBB118_199
; %bb.198:
	ds_read2_b64 v[134:137], v128 offset0:12 offset1:13
	ds_read2_b64 v[138:141], v128 offset0:14 offset1:15
	;; [unrolled: 1-line block ×3, first 2 shown]
	v_mul_f64 v[98:99], v[124:125], v[98:99]
	s_waitcnt lgkmcnt(0)
	v_fma_f64 v[96:97], -v[98:99], v[134:135], v[96:97]
	v_fma_f64 v[94:95], -v[98:99], v[136:137], v[94:95]
	ds_read2_b64 v[134:137], v128 offset0:18 offset1:19
	v_fma_f64 v[92:93], -v[98:99], v[138:139], v[92:93]
	v_fma_f64 v[90:91], -v[98:99], v[140:141], v[90:91]
	v_fma_f64 v[88:89], -v[98:99], v[142:143], v[88:89]
	ds_read2_b64 v[138:141], v128 offset0:20 offset1:21
	v_fma_f64 v[86:87], -v[98:99], v[144:145], v[86:87]
	ds_read2_b64 v[142:145], v128 offset0:22 offset1:23
	s_waitcnt lgkmcnt(0)
	v_fma_f64 v[84:85], -v[98:99], v[134:135], v[84:85]
	v_fma_f64 v[82:83], -v[98:99], v[136:137], v[82:83]
	v_fma_f64 v[80:81], -v[98:99], v[138:139], v[80:81]
	ds_read2_b64 v[134:137], v128 offset0:24 offset1:25
	v_fma_f64 v[78:79], -v[98:99], v[140:141], v[78:79]
	ds_read2_b64 v[138:141], v128 offset0:26 offset1:27
	v_fma_f64 v[76:77], -v[98:99], v[142:143], v[76:77]
	v_fma_f64 v[74:75], -v[98:99], v[144:145], v[74:75]
	ds_read2_b64 v[142:145], v128 offset0:28 offset1:29
	s_waitcnt lgkmcnt(0)
	v_fma_f64 v[72:73], -v[98:99], v[134:135], v[72:73]
	v_fma_f64 v[70:71], -v[98:99], v[136:137], v[70:71]
	ds_read2_b64 v[134:137], v128 offset0:30 offset1:31
	v_fma_f64 v[68:69], -v[98:99], v[138:139], v[68:69]
	v_fma_f64 v[66:67], -v[98:99], v[140:141], v[66:67]
	v_fma_f64 v[64:65], -v[98:99], v[142:143], v[64:65]
	ds_read2_b64 v[138:141], v128 offset0:32 offset1:33
	v_fma_f64 v[62:63], -v[98:99], v[144:145], v[62:63]
	ds_read2_b64 v[142:145], v128 offset0:34 offset1:35
	s_waitcnt lgkmcnt(0)
	v_fma_f64 v[60:61], -v[98:99], v[134:135], v[60:61]
	v_fma_f64 v[58:59], -v[98:99], v[136:137], v[58:59]
	v_fma_f64 v[56:57], -v[98:99], v[138:139], v[56:57]
	ds_read2_b64 v[134:137], v128 offset0:36 offset1:37
	v_fma_f64 v[54:55], -v[98:99], v[140:141], v[54:55]
	ds_read2_b64 v[138:141], v128 offset0:38 offset1:39
	v_fma_f64 v[52:53], -v[98:99], v[142:143], v[52:53]
	v_fma_f64 v[50:51], -v[98:99], v[144:145], v[50:51]
	ds_read2_b64 v[142:145], v128 offset0:40 offset1:41
	;; [unrolled: 20-line block ×3, first 2 shown]
	s_waitcnt lgkmcnt(0)
	v_fma_f64 v[24:25], -v[98:99], v[134:135], v[24:25]
	v_fma_f64 v[22:23], -v[98:99], v[136:137], v[22:23]
	ds_read2_b64 v[134:137], v128 offset0:54 offset1:55
	v_fma_f64 v[20:21], -v[98:99], v[138:139], v[20:21]
	v_fma_f64 v[18:19], -v[98:99], v[140:141], v[18:19]
	;; [unrolled: 1-line block ×3, first 2 shown]
	ds_read2_b64 v[138:141], v128 offset0:56 offset1:57
	v_fma_f64 v[14:15], -v[98:99], v[144:145], v[14:15]
	ds_read2_b64 v[142:145], v128 offset0:58 offset1:59
	s_waitcnt lgkmcnt(0)
	v_fma_f64 v[12:13], -v[98:99], v[134:135], v[12:13]
	v_fma_f64 v[10:11], -v[98:99], v[136:137], v[10:11]
	;; [unrolled: 1-line block ×6, first 2 shown]
.LBB118_199:
	s_or_b64 exec, exec, s[0:1]
	v_lshl_add_u32 v124, v129, 3, v128
	s_barrier
	ds_write_b64 v124, v[96:97]
	s_waitcnt lgkmcnt(0)
	s_barrier
	ds_read_b64 v[124:125], v128 offset:96
	s_cmp_lt_i32 s18, 14
	v_mov_b32_e32 v126, 12
	s_cbranch_scc1 .LBB118_202
; %bb.200:
	v_add_u32_e32 v133, 0x68, v128
	s_mov_b32 s0, 13
	v_mov_b32_e32 v126, 12
.LBB118_201:                            ; =>This Inner Loop Header: Depth=1
	ds_read_b64 v[134:135], v133
	v_mov_b32_e32 v136, s0
	s_add_i32 s0, s0, 1
	v_add_u32_e32 v133, 8, v133
	s_cmp_lg_u32 s18, s0
	s_waitcnt lgkmcnt(0)
	v_cmp_lt_f64_e64 vcc, |v[124:125]|, |v[134:135]|
	v_cndmask_b32_e32 v125, v125, v135, vcc
	v_cndmask_b32_e32 v124, v124, v134, vcc
	;; [unrolled: 1-line block ×3, first 2 shown]
	s_cbranch_scc1 .LBB118_201
.LBB118_202:
	s_waitcnt lgkmcnt(0)
	v_cmp_eq_f64_e32 vcc, 0, v[124:125]
	s_and_saveexec_b64 s[0:1], vcc
	s_xor_b64 s[0:1], exec, s[0:1]
; %bb.203:
	v_cmp_ne_u32_e32 vcc, 0, v132
	v_cndmask_b32_e32 v132, 13, v132, vcc
; %bb.204:
	s_andn2_saveexec_b64 s[0:1], s[0:1]
; %bb.205:
	v_div_scale_f64 v[134:135], s[2:3], v[124:125], v[124:125], 1.0
	v_rcp_f64_e32 v[136:137], v[134:135]
	v_div_scale_f64 v[138:139], vcc, 1.0, v[124:125], 1.0
	v_fma_f64 v[140:141], -v[134:135], v[136:137], 1.0
	v_fmac_f64_e32 v[136:137], v[136:137], v[140:141]
	v_fma_f64 v[140:141], -v[134:135], v[136:137], 1.0
	v_fmac_f64_e32 v[136:137], v[136:137], v[140:141]
	v_mul_f64 v[140:141], v[138:139], v[136:137]
	v_fma_f64 v[134:135], -v[134:135], v[140:141], v[138:139]
	v_div_fmas_f64 v[134:135], v[134:135], v[136:137], v[140:141]
	v_div_fixup_f64 v[124:125], v[134:135], v[124:125], 1.0
; %bb.206:
	s_or_b64 exec, exec, s[0:1]
	v_cmp_ne_u32_e32 vcc, v129, v126
	s_and_saveexec_b64 s[0:1], vcc
	s_xor_b64 s[0:1], exec, s[0:1]
	s_cbranch_execz .LBB118_212
; %bb.207:
	v_cmp_eq_u32_e32 vcc, 12, v129
	s_and_saveexec_b64 s[2:3], vcc
	s_cbranch_execz .LBB118_211
; %bb.208:
	v_cmp_ne_u32_e32 vcc, 12, v126
	s_xor_b64 s[14:15], s[6:7], -1
	s_and_b64 s[16:17], s[14:15], vcc
	s_and_saveexec_b64 s[14:15], s[16:17]
	s_cbranch_execz .LBB118_210
; %bb.209:
	v_ashrrev_i32_e32 v127, 31, v126
	v_lshlrev_b64 v[134:135], 2, v[126:127]
	v_add_co_u32_e32 v134, vcc, v4, v134
	v_addc_co_u32_e32 v135, vcc, v5, v135, vcc
	flat_load_dword v127, v[134:135]
	flat_load_dword v129, v[4:5] offset:48
	s_waitcnt vmcnt(0) lgkmcnt(0)
	flat_store_dword v[4:5], v127 offset:48
	flat_store_dword v[134:135], v129
.LBB118_210:
	s_or_b64 exec, exec, s[14:15]
	v_mov_b32_e32 v127, v126
	v_mov_b32_e32 v129, v126
.LBB118_211:
	s_or_b64 exec, exec, s[2:3]
.LBB118_212:
	s_andn2_saveexec_b64 s[0:1], s[0:1]
	s_cbranch_execz .LBB118_214
; %bb.213:
	v_mov_b32_e32 v129, 12
	ds_write2_b64 v128, v[94:95], v[92:93] offset0:13 offset1:14
	ds_write2_b64 v128, v[90:91], v[88:89] offset0:15 offset1:16
	;; [unrolled: 1-line block ×23, first 2 shown]
	ds_write_b64 v128, v[122:123] offset:472
.LBB118_214:
	s_or_b64 exec, exec, s[0:1]
	v_cmp_lt_i32_e32 vcc, 12, v129
	s_waitcnt lgkmcnt(0)
	s_barrier
	s_and_saveexec_b64 s[0:1], vcc
	s_cbranch_execz .LBB118_216
; %bb.215:
	ds_read2_b64 v[134:137], v128 offset0:13 offset1:14
	ds_read2_b64 v[138:141], v128 offset0:15 offset1:16
	v_mul_f64 v[96:97], v[124:125], v[96:97]
	ds_read2_b64 v[142:145], v128 offset0:17 offset1:18
	ds_read_b64 v[124:125], v128 offset:472
	s_waitcnt lgkmcnt(0)
	v_fma_f64 v[94:95], -v[96:97], v[134:135], v[94:95]
	v_fma_f64 v[92:93], -v[96:97], v[136:137], v[92:93]
	ds_read2_b64 v[134:137], v128 offset0:19 offset1:20
	v_fma_f64 v[90:91], -v[96:97], v[138:139], v[90:91]
	v_fma_f64 v[88:89], -v[96:97], v[140:141], v[88:89]
	ds_read2_b64 v[138:141], v128 offset0:21 offset1:22
	;; [unrolled: 3-line block ×3, first 2 shown]
	s_waitcnt lgkmcnt(0)
	v_fma_f64 v[82:83], -v[96:97], v[134:135], v[82:83]
	v_fma_f64 v[80:81], -v[96:97], v[136:137], v[80:81]
	;; [unrolled: 1-line block ×3, first 2 shown]
	ds_read2_b64 v[134:137], v128 offset0:25 offset1:26
	v_fma_f64 v[76:77], -v[96:97], v[140:141], v[76:77]
	ds_read2_b64 v[138:141], v128 offset0:27 offset1:28
	v_fma_f64 v[74:75], -v[96:97], v[142:143], v[74:75]
	v_fma_f64 v[72:73], -v[96:97], v[144:145], v[72:73]
	s_waitcnt lgkmcnt(0)
	v_fma_f64 v[70:71], -v[96:97], v[134:135], v[70:71]
	ds_read2_b64 v[142:145], v128 offset0:29 offset1:30
	v_fma_f64 v[68:69], -v[96:97], v[136:137], v[68:69]
	ds_read2_b64 v[134:137], v128 offset0:31 offset1:32
	v_fma_f64 v[66:67], -v[96:97], v[138:139], v[66:67]
	v_fma_f64 v[64:65], -v[96:97], v[140:141], v[64:65]
	ds_read2_b64 v[138:141], v128 offset0:33 offset1:34
	s_waitcnt lgkmcnt(0)
	v_fma_f64 v[62:63], -v[96:97], v[142:143], v[62:63]
	v_fma_f64 v[60:61], -v[96:97], v[144:145], v[60:61]
	ds_read2_b64 v[142:145], v128 offset0:35 offset1:36
	v_fma_f64 v[58:59], -v[96:97], v[134:135], v[58:59]
	v_fma_f64 v[56:57], -v[96:97], v[136:137], v[56:57]
	;; [unrolled: 1-line block ×3, first 2 shown]
	ds_read2_b64 v[134:137], v128 offset0:37 offset1:38
	v_fma_f64 v[52:53], -v[96:97], v[140:141], v[52:53]
	ds_read2_b64 v[138:141], v128 offset0:39 offset1:40
	s_waitcnt lgkmcnt(0)
	v_fma_f64 v[50:51], -v[96:97], v[142:143], v[50:51]
	v_fma_f64 v[48:49], -v[96:97], v[144:145], v[48:49]
	;; [unrolled: 1-line block ×3, first 2 shown]
	ds_read2_b64 v[142:145], v128 offset0:41 offset1:42
	v_fma_f64 v[44:45], -v[96:97], v[136:137], v[44:45]
	ds_read2_b64 v[134:137], v128 offset0:43 offset1:44
	v_fma_f64 v[42:43], -v[96:97], v[138:139], v[42:43]
	v_fma_f64 v[40:41], -v[96:97], v[140:141], v[40:41]
	ds_read2_b64 v[138:141], v128 offset0:45 offset1:46
	s_waitcnt lgkmcnt(0)
	v_fma_f64 v[38:39], -v[96:97], v[142:143], v[38:39]
	v_fma_f64 v[36:37], -v[96:97], v[144:145], v[36:37]
	ds_read2_b64 v[142:145], v128 offset0:47 offset1:48
	v_fma_f64 v[34:35], -v[96:97], v[134:135], v[34:35]
	v_fma_f64 v[32:33], -v[96:97], v[136:137], v[32:33]
	;; [unrolled: 1-line block ×3, first 2 shown]
	ds_read2_b64 v[134:137], v128 offset0:49 offset1:50
	v_fma_f64 v[28:29], -v[96:97], v[140:141], v[28:29]
	ds_read2_b64 v[138:141], v128 offset0:51 offset1:52
	s_waitcnt lgkmcnt(0)
	v_fma_f64 v[26:27], -v[96:97], v[142:143], v[26:27]
	v_fma_f64 v[24:25], -v[96:97], v[144:145], v[24:25]
	;; [unrolled: 1-line block ×3, first 2 shown]
	ds_read2_b64 v[142:145], v128 offset0:53 offset1:54
	v_fma_f64 v[20:21], -v[96:97], v[136:137], v[20:21]
	ds_read2_b64 v[134:137], v128 offset0:55 offset1:56
	v_fma_f64 v[18:19], -v[96:97], v[138:139], v[18:19]
	v_fma_f64 v[16:17], -v[96:97], v[140:141], v[16:17]
	ds_read2_b64 v[138:141], v128 offset0:57 offset1:58
	s_waitcnt lgkmcnt(0)
	v_fma_f64 v[14:15], -v[96:97], v[142:143], v[14:15]
	v_fma_f64 v[12:13], -v[96:97], v[144:145], v[12:13]
	;; [unrolled: 1-line block ×7, first 2 shown]
.LBB118_216:
	s_or_b64 exec, exec, s[0:1]
	v_lshl_add_u32 v124, v129, 3, v128
	s_barrier
	ds_write_b64 v124, v[94:95]
	s_waitcnt lgkmcnt(0)
	s_barrier
	ds_read_b64 v[124:125], v128 offset:104
	s_cmp_lt_i32 s18, 15
	v_mov_b32_e32 v126, 13
	s_cbranch_scc1 .LBB118_219
; %bb.217:
	v_add_u32_e32 v133, 0x70, v128
	s_mov_b32 s0, 14
	v_mov_b32_e32 v126, 13
.LBB118_218:                            ; =>This Inner Loop Header: Depth=1
	ds_read_b64 v[134:135], v133
	v_mov_b32_e32 v136, s0
	s_add_i32 s0, s0, 1
	v_add_u32_e32 v133, 8, v133
	s_cmp_lg_u32 s18, s0
	s_waitcnt lgkmcnt(0)
	v_cmp_lt_f64_e64 vcc, |v[124:125]|, |v[134:135]|
	v_cndmask_b32_e32 v125, v125, v135, vcc
	v_cndmask_b32_e32 v124, v124, v134, vcc
	;; [unrolled: 1-line block ×3, first 2 shown]
	s_cbranch_scc1 .LBB118_218
.LBB118_219:
	s_waitcnt lgkmcnt(0)
	v_cmp_eq_f64_e32 vcc, 0, v[124:125]
	s_and_saveexec_b64 s[0:1], vcc
	s_xor_b64 s[0:1], exec, s[0:1]
; %bb.220:
	v_cmp_ne_u32_e32 vcc, 0, v132
	v_cndmask_b32_e32 v132, 14, v132, vcc
; %bb.221:
	s_andn2_saveexec_b64 s[0:1], s[0:1]
; %bb.222:
	v_div_scale_f64 v[134:135], s[2:3], v[124:125], v[124:125], 1.0
	v_rcp_f64_e32 v[136:137], v[134:135]
	v_div_scale_f64 v[138:139], vcc, 1.0, v[124:125], 1.0
	v_fma_f64 v[140:141], -v[134:135], v[136:137], 1.0
	v_fmac_f64_e32 v[136:137], v[136:137], v[140:141]
	v_fma_f64 v[140:141], -v[134:135], v[136:137], 1.0
	v_fmac_f64_e32 v[136:137], v[136:137], v[140:141]
	v_mul_f64 v[140:141], v[138:139], v[136:137]
	v_fma_f64 v[134:135], -v[134:135], v[140:141], v[138:139]
	v_div_fmas_f64 v[134:135], v[134:135], v[136:137], v[140:141]
	v_div_fixup_f64 v[124:125], v[134:135], v[124:125], 1.0
; %bb.223:
	s_or_b64 exec, exec, s[0:1]
	v_cmp_ne_u32_e32 vcc, v129, v126
	s_and_saveexec_b64 s[0:1], vcc
	s_xor_b64 s[0:1], exec, s[0:1]
	s_cbranch_execz .LBB118_229
; %bb.224:
	v_cmp_eq_u32_e32 vcc, 13, v129
	s_and_saveexec_b64 s[2:3], vcc
	s_cbranch_execz .LBB118_228
; %bb.225:
	v_cmp_ne_u32_e32 vcc, 13, v126
	s_xor_b64 s[14:15], s[6:7], -1
	s_and_b64 s[16:17], s[14:15], vcc
	s_and_saveexec_b64 s[14:15], s[16:17]
	s_cbranch_execz .LBB118_227
; %bb.226:
	v_ashrrev_i32_e32 v127, 31, v126
	v_lshlrev_b64 v[134:135], 2, v[126:127]
	v_add_co_u32_e32 v134, vcc, v4, v134
	v_addc_co_u32_e32 v135, vcc, v5, v135, vcc
	flat_load_dword v127, v[134:135]
	flat_load_dword v129, v[4:5] offset:52
	s_waitcnt vmcnt(0) lgkmcnt(0)
	flat_store_dword v[4:5], v127 offset:52
	flat_store_dword v[134:135], v129
.LBB118_227:
	s_or_b64 exec, exec, s[14:15]
	v_mov_b32_e32 v127, v126
	v_mov_b32_e32 v129, v126
.LBB118_228:
	s_or_b64 exec, exec, s[2:3]
.LBB118_229:
	s_andn2_saveexec_b64 s[0:1], s[0:1]
	s_cbranch_execz .LBB118_231
; %bb.230:
	v_mov_b32_e32 v134, v92
	v_mov_b32_e32 v135, v93
	v_mov_b32_e32 v136, v90
	v_mov_b32_e32 v137, v91
	ds_write2_b64 v128, v[134:135], v[136:137] offset0:14 offset1:15
	v_mov_b32_e32 v134, v88
	v_mov_b32_e32 v135, v89
	v_mov_b32_e32 v136, v86
	v_mov_b32_e32 v137, v87
	ds_write2_b64 v128, v[134:135], v[136:137] offset0:16 offset1:17
	;; [unrolled: 5-line block ×22, first 2 shown]
	v_mov_b32_e32 v134, v0
	v_mov_b32_e32 v135, v1
	;; [unrolled: 1-line block ×3, first 2 shown]
	ds_write2_b64 v128, v[134:135], v[122:123] offset0:58 offset1:59
.LBB118_231:
	s_or_b64 exec, exec, s[0:1]
	v_cmp_lt_i32_e32 vcc, 13, v129
	s_waitcnt lgkmcnt(0)
	s_barrier
	s_and_saveexec_b64 s[0:1], vcc
	s_cbranch_execz .LBB118_233
; %bb.232:
	ds_read2_b64 v[134:137], v128 offset0:14 offset1:15
	ds_read2_b64 v[138:141], v128 offset0:16 offset1:17
	v_mul_f64 v[94:95], v[124:125], v[94:95]
	ds_read2_b64 v[142:145], v128 offset0:18 offset1:19
	s_waitcnt lgkmcnt(0)
	v_fma_f64 v[92:93], -v[94:95], v[134:135], v[92:93]
	v_fma_f64 v[90:91], -v[94:95], v[136:137], v[90:91]
	ds_read2_b64 v[134:137], v128 offset0:20 offset1:21
	v_fma_f64 v[88:89], -v[94:95], v[138:139], v[88:89]
	v_fma_f64 v[86:87], -v[94:95], v[140:141], v[86:87]
	ds_read2_b64 v[138:141], v128 offset0:22 offset1:23
	v_fma_f64 v[84:85], -v[94:95], v[142:143], v[84:85]
	v_fma_f64 v[82:83], -v[94:95], v[144:145], v[82:83]
	ds_read2_b64 v[142:145], v128 offset0:24 offset1:25
	s_waitcnt lgkmcnt(0)
	v_fma_f64 v[80:81], -v[94:95], v[134:135], v[80:81]
	v_fma_f64 v[78:79], -v[94:95], v[136:137], v[78:79]
	;; [unrolled: 1-line block ×3, first 2 shown]
	ds_read2_b64 v[134:137], v128 offset0:26 offset1:27
	v_fma_f64 v[74:75], -v[94:95], v[140:141], v[74:75]
	ds_read2_b64 v[138:141], v128 offset0:28 offset1:29
	v_fma_f64 v[72:73], -v[94:95], v[142:143], v[72:73]
	v_fma_f64 v[70:71], -v[94:95], v[144:145], v[70:71]
	s_waitcnt lgkmcnt(0)
	v_fma_f64 v[68:69], -v[94:95], v[134:135], v[68:69]
	ds_read2_b64 v[142:145], v128 offset0:30 offset1:31
	v_fma_f64 v[66:67], -v[94:95], v[136:137], v[66:67]
	ds_read2_b64 v[134:137], v128 offset0:32 offset1:33
	v_fma_f64 v[64:65], -v[94:95], v[138:139], v[64:65]
	v_fma_f64 v[62:63], -v[94:95], v[140:141], v[62:63]
	ds_read2_b64 v[138:141], v128 offset0:34 offset1:35
	s_waitcnt lgkmcnt(0)
	v_fma_f64 v[60:61], -v[94:95], v[142:143], v[60:61]
	v_fma_f64 v[58:59], -v[94:95], v[144:145], v[58:59]
	ds_read2_b64 v[142:145], v128 offset0:36 offset1:37
	v_fma_f64 v[56:57], -v[94:95], v[134:135], v[56:57]
	v_fma_f64 v[54:55], -v[94:95], v[136:137], v[54:55]
	;; [unrolled: 1-line block ×3, first 2 shown]
	ds_read2_b64 v[134:137], v128 offset0:38 offset1:39
	v_fma_f64 v[50:51], -v[94:95], v[140:141], v[50:51]
	ds_read2_b64 v[138:141], v128 offset0:40 offset1:41
	s_waitcnt lgkmcnt(0)
	v_fma_f64 v[48:49], -v[94:95], v[142:143], v[48:49]
	v_fma_f64 v[46:47], -v[94:95], v[144:145], v[46:47]
	;; [unrolled: 1-line block ×3, first 2 shown]
	ds_read2_b64 v[142:145], v128 offset0:42 offset1:43
	v_fma_f64 v[42:43], -v[94:95], v[136:137], v[42:43]
	ds_read2_b64 v[134:137], v128 offset0:44 offset1:45
	v_fma_f64 v[40:41], -v[94:95], v[138:139], v[40:41]
	v_fma_f64 v[38:39], -v[94:95], v[140:141], v[38:39]
	ds_read2_b64 v[138:141], v128 offset0:46 offset1:47
	s_waitcnt lgkmcnt(0)
	v_fma_f64 v[36:37], -v[94:95], v[142:143], v[36:37]
	v_fma_f64 v[34:35], -v[94:95], v[144:145], v[34:35]
	ds_read2_b64 v[142:145], v128 offset0:48 offset1:49
	v_fma_f64 v[32:33], -v[94:95], v[134:135], v[32:33]
	v_fma_f64 v[30:31], -v[94:95], v[136:137], v[30:31]
	;; [unrolled: 1-line block ×3, first 2 shown]
	ds_read2_b64 v[134:137], v128 offset0:50 offset1:51
	v_fma_f64 v[26:27], -v[94:95], v[140:141], v[26:27]
	ds_read2_b64 v[138:141], v128 offset0:52 offset1:53
	s_waitcnt lgkmcnt(0)
	v_fma_f64 v[24:25], -v[94:95], v[142:143], v[24:25]
	v_fma_f64 v[22:23], -v[94:95], v[144:145], v[22:23]
	;; [unrolled: 1-line block ×4, first 2 shown]
	ds_read2_b64 v[134:137], v128 offset0:54 offset1:55
	ds_read2_b64 v[142:145], v128 offset0:56 offset1:57
	v_fma_f64 v[16:17], -v[94:95], v[138:139], v[16:17]
	v_fma_f64 v[14:15], -v[94:95], v[140:141], v[14:15]
	ds_read2_b64 v[138:141], v128 offset0:58 offset1:59
	s_waitcnt lgkmcnt(0)
	v_fma_f64 v[12:13], -v[94:95], v[134:135], v[12:13]
	v_fma_f64 v[10:11], -v[94:95], v[136:137], v[10:11]
	v_fma_f64 v[8:9], -v[94:95], v[142:143], v[8:9]
	v_fma_f64 v[6:7], -v[94:95], v[144:145], v[6:7]
	v_fma_f64 v[0:1], -v[94:95], v[138:139], v[0:1]
	v_fma_f64 v[122:123], -v[94:95], v[140:141], v[122:123]
.LBB118_233:
	s_or_b64 exec, exec, s[0:1]
	v_lshl_add_u32 v124, v129, 3, v128
	s_barrier
	ds_write_b64 v124, v[92:93]
	s_waitcnt lgkmcnt(0)
	s_barrier
	ds_read_b64 v[124:125], v128 offset:112
	s_cmp_lt_i32 s18, 16
	v_mov_b32_e32 v126, 14
	s_cbranch_scc1 .LBB118_236
; %bb.234:
	v_add_u32_e32 v133, 0x78, v128
	s_mov_b32 s0, 15
	v_mov_b32_e32 v126, 14
.LBB118_235:                            ; =>This Inner Loop Header: Depth=1
	ds_read_b64 v[134:135], v133
	v_mov_b32_e32 v136, s0
	s_add_i32 s0, s0, 1
	v_add_u32_e32 v133, 8, v133
	s_cmp_lg_u32 s18, s0
	s_waitcnt lgkmcnt(0)
	v_cmp_lt_f64_e64 vcc, |v[124:125]|, |v[134:135]|
	v_cndmask_b32_e32 v125, v125, v135, vcc
	v_cndmask_b32_e32 v124, v124, v134, vcc
	;; [unrolled: 1-line block ×3, first 2 shown]
	s_cbranch_scc1 .LBB118_235
.LBB118_236:
	s_waitcnt lgkmcnt(0)
	v_cmp_eq_f64_e32 vcc, 0, v[124:125]
	s_and_saveexec_b64 s[0:1], vcc
	s_xor_b64 s[0:1], exec, s[0:1]
; %bb.237:
	v_cmp_ne_u32_e32 vcc, 0, v132
	v_cndmask_b32_e32 v132, 15, v132, vcc
; %bb.238:
	s_andn2_saveexec_b64 s[0:1], s[0:1]
; %bb.239:
	v_div_scale_f64 v[134:135], s[2:3], v[124:125], v[124:125], 1.0
	v_rcp_f64_e32 v[136:137], v[134:135]
	v_div_scale_f64 v[138:139], vcc, 1.0, v[124:125], 1.0
	v_fma_f64 v[140:141], -v[134:135], v[136:137], 1.0
	v_fmac_f64_e32 v[136:137], v[136:137], v[140:141]
	v_fma_f64 v[140:141], -v[134:135], v[136:137], 1.0
	v_fmac_f64_e32 v[136:137], v[136:137], v[140:141]
	v_mul_f64 v[140:141], v[138:139], v[136:137]
	v_fma_f64 v[134:135], -v[134:135], v[140:141], v[138:139]
	v_div_fmas_f64 v[134:135], v[134:135], v[136:137], v[140:141]
	v_div_fixup_f64 v[124:125], v[134:135], v[124:125], 1.0
; %bb.240:
	s_or_b64 exec, exec, s[0:1]
	v_cmp_ne_u32_e32 vcc, v129, v126
	s_and_saveexec_b64 s[0:1], vcc
	s_xor_b64 s[0:1], exec, s[0:1]
	s_cbranch_execz .LBB118_246
; %bb.241:
	v_cmp_eq_u32_e32 vcc, 14, v129
	s_and_saveexec_b64 s[2:3], vcc
	s_cbranch_execz .LBB118_245
; %bb.242:
	v_cmp_ne_u32_e32 vcc, 14, v126
	s_xor_b64 s[14:15], s[6:7], -1
	s_and_b64 s[16:17], s[14:15], vcc
	s_and_saveexec_b64 s[14:15], s[16:17]
	s_cbranch_execz .LBB118_244
; %bb.243:
	v_ashrrev_i32_e32 v127, 31, v126
	v_lshlrev_b64 v[134:135], 2, v[126:127]
	v_add_co_u32_e32 v134, vcc, v4, v134
	v_addc_co_u32_e32 v135, vcc, v5, v135, vcc
	flat_load_dword v127, v[134:135]
	flat_load_dword v129, v[4:5] offset:56
	s_waitcnt vmcnt(0) lgkmcnt(0)
	flat_store_dword v[4:5], v127 offset:56
	flat_store_dword v[134:135], v129
.LBB118_244:
	s_or_b64 exec, exec, s[14:15]
	v_mov_b32_e32 v127, v126
	v_mov_b32_e32 v129, v126
.LBB118_245:
	s_or_b64 exec, exec, s[2:3]
.LBB118_246:
	s_andn2_saveexec_b64 s[0:1], s[0:1]
	s_cbranch_execz .LBB118_248
; %bb.247:
	v_mov_b32_e32 v129, 14
	ds_write2_b64 v128, v[90:91], v[88:89] offset0:15 offset1:16
	ds_write2_b64 v128, v[86:87], v[84:85] offset0:17 offset1:18
	;; [unrolled: 1-line block ×22, first 2 shown]
	ds_write_b64 v128, v[122:123] offset:472
.LBB118_248:
	s_or_b64 exec, exec, s[0:1]
	v_cmp_lt_i32_e32 vcc, 14, v129
	s_waitcnt lgkmcnt(0)
	s_barrier
	s_and_saveexec_b64 s[0:1], vcc
	s_cbranch_execz .LBB118_250
; %bb.249:
	ds_read2_b64 v[134:137], v128 offset0:15 offset1:16
	ds_read2_b64 v[138:141], v128 offset0:17 offset1:18
	v_mul_f64 v[92:93], v[124:125], v[92:93]
	ds_read2_b64 v[142:145], v128 offset0:19 offset1:20
	ds_read_b64 v[124:125], v128 offset:472
	s_waitcnt lgkmcnt(0)
	v_fma_f64 v[90:91], -v[92:93], v[134:135], v[90:91]
	v_fma_f64 v[88:89], -v[92:93], v[136:137], v[88:89]
	ds_read2_b64 v[134:137], v128 offset0:21 offset1:22
	v_fma_f64 v[86:87], -v[92:93], v[138:139], v[86:87]
	v_fma_f64 v[84:85], -v[92:93], v[140:141], v[84:85]
	;; [unrolled: 1-line block ×3, first 2 shown]
	ds_read2_b64 v[138:141], v128 offset0:23 offset1:24
	v_fma_f64 v[80:81], -v[92:93], v[144:145], v[80:81]
	ds_read2_b64 v[142:145], v128 offset0:25 offset1:26
	s_waitcnt lgkmcnt(0)
	v_fma_f64 v[78:79], -v[92:93], v[134:135], v[78:79]
	v_fma_f64 v[76:77], -v[92:93], v[136:137], v[76:77]
	ds_read2_b64 v[134:137], v128 offset0:27 offset1:28
	v_fma_f64 v[74:75], -v[92:93], v[138:139], v[74:75]
	v_fma_f64 v[72:73], -v[92:93], v[140:141], v[72:73]
	ds_read2_b64 v[138:141], v128 offset0:29 offset1:30
	v_fma_f64 v[70:71], -v[92:93], v[142:143], v[70:71]
	v_fma_f64 v[68:69], -v[92:93], v[144:145], v[68:69]
	s_waitcnt lgkmcnt(0)
	v_fma_f64 v[66:67], -v[92:93], v[134:135], v[66:67]
	ds_read2_b64 v[142:145], v128 offset0:31 offset1:32
	v_fma_f64 v[64:65], -v[92:93], v[136:137], v[64:65]
	ds_read2_b64 v[134:137], v128 offset0:33 offset1:34
	v_fma_f64 v[62:63], -v[92:93], v[138:139], v[62:63]
	v_fma_f64 v[60:61], -v[92:93], v[140:141], v[60:61]
	s_waitcnt lgkmcnt(0)
	v_fma_f64 v[58:59], -v[92:93], v[142:143], v[58:59]
	ds_read2_b64 v[138:141], v128 offset0:35 offset1:36
	v_fma_f64 v[56:57], -v[92:93], v[144:145], v[56:57]
	ds_read2_b64 v[142:145], v128 offset0:37 offset1:38
	v_fma_f64 v[54:55], -v[92:93], v[134:135], v[54:55]
	v_fma_f64 v[52:53], -v[92:93], v[136:137], v[52:53]
	ds_read2_b64 v[134:137], v128 offset0:39 offset1:40
	s_waitcnt lgkmcnt(0)
	v_fma_f64 v[50:51], -v[92:93], v[138:139], v[50:51]
	v_fma_f64 v[48:49], -v[92:93], v[140:141], v[48:49]
	ds_read2_b64 v[138:141], v128 offset0:41 offset1:42
	v_fma_f64 v[46:47], -v[92:93], v[142:143], v[46:47]
	v_fma_f64 v[44:45], -v[92:93], v[144:145], v[44:45]
	;; [unrolled: 1-line block ×3, first 2 shown]
	ds_read2_b64 v[142:145], v128 offset0:43 offset1:44
	v_fma_f64 v[40:41], -v[92:93], v[136:137], v[40:41]
	ds_read2_b64 v[134:137], v128 offset0:45 offset1:46
	s_waitcnt lgkmcnt(0)
	v_fma_f64 v[38:39], -v[92:93], v[138:139], v[38:39]
	v_fma_f64 v[36:37], -v[92:93], v[140:141], v[36:37]
	;; [unrolled: 1-line block ×3, first 2 shown]
	ds_read2_b64 v[138:141], v128 offset0:47 offset1:48
	v_fma_f64 v[32:33], -v[92:93], v[144:145], v[32:33]
	ds_read2_b64 v[142:145], v128 offset0:49 offset1:50
	v_fma_f64 v[30:31], -v[92:93], v[134:135], v[30:31]
	v_fma_f64 v[28:29], -v[92:93], v[136:137], v[28:29]
	ds_read2_b64 v[134:137], v128 offset0:51 offset1:52
	s_waitcnt lgkmcnt(0)
	v_fma_f64 v[26:27], -v[92:93], v[138:139], v[26:27]
	v_fma_f64 v[24:25], -v[92:93], v[140:141], v[24:25]
	ds_read2_b64 v[138:141], v128 offset0:53 offset1:54
	v_fma_f64 v[22:23], -v[92:93], v[142:143], v[22:23]
	v_fma_f64 v[20:21], -v[92:93], v[144:145], v[20:21]
	;; [unrolled: 1-line block ×4, first 2 shown]
	ds_read2_b64 v[134:137], v128 offset0:55 offset1:56
	ds_read2_b64 v[142:145], v128 offset0:57 offset1:58
	s_waitcnt lgkmcnt(0)
	v_fma_f64 v[14:15], -v[92:93], v[138:139], v[14:15]
	v_fma_f64 v[12:13], -v[92:93], v[140:141], v[12:13]
	;; [unrolled: 1-line block ×7, first 2 shown]
.LBB118_250:
	s_or_b64 exec, exec, s[0:1]
	v_lshl_add_u32 v124, v129, 3, v128
	s_barrier
	ds_write_b64 v124, v[90:91]
	s_waitcnt lgkmcnt(0)
	s_barrier
	ds_read_b64 v[124:125], v128 offset:120
	s_cmp_lt_i32 s18, 17
	v_mov_b32_e32 v126, 15
	s_cbranch_scc1 .LBB118_253
; %bb.251:
	v_add_u32_e32 v133, 0x80, v128
	s_mov_b32 s0, 16
	v_mov_b32_e32 v126, 15
.LBB118_252:                            ; =>This Inner Loop Header: Depth=1
	ds_read_b64 v[134:135], v133
	v_mov_b32_e32 v136, s0
	s_add_i32 s0, s0, 1
	v_add_u32_e32 v133, 8, v133
	s_cmp_lg_u32 s18, s0
	s_waitcnt lgkmcnt(0)
	v_cmp_lt_f64_e64 vcc, |v[124:125]|, |v[134:135]|
	v_cndmask_b32_e32 v125, v125, v135, vcc
	v_cndmask_b32_e32 v124, v124, v134, vcc
	;; [unrolled: 1-line block ×3, first 2 shown]
	s_cbranch_scc1 .LBB118_252
.LBB118_253:
	s_waitcnt lgkmcnt(0)
	v_cmp_eq_f64_e32 vcc, 0, v[124:125]
	s_and_saveexec_b64 s[0:1], vcc
	s_xor_b64 s[0:1], exec, s[0:1]
; %bb.254:
	v_cmp_ne_u32_e32 vcc, 0, v132
	v_cndmask_b32_e32 v132, 16, v132, vcc
; %bb.255:
	s_andn2_saveexec_b64 s[0:1], s[0:1]
; %bb.256:
	v_div_scale_f64 v[134:135], s[2:3], v[124:125], v[124:125], 1.0
	v_rcp_f64_e32 v[136:137], v[134:135]
	v_div_scale_f64 v[138:139], vcc, 1.0, v[124:125], 1.0
	v_fma_f64 v[140:141], -v[134:135], v[136:137], 1.0
	v_fmac_f64_e32 v[136:137], v[136:137], v[140:141]
	v_fma_f64 v[140:141], -v[134:135], v[136:137], 1.0
	v_fmac_f64_e32 v[136:137], v[136:137], v[140:141]
	v_mul_f64 v[140:141], v[138:139], v[136:137]
	v_fma_f64 v[134:135], -v[134:135], v[140:141], v[138:139]
	v_div_fmas_f64 v[134:135], v[134:135], v[136:137], v[140:141]
	v_div_fixup_f64 v[124:125], v[134:135], v[124:125], 1.0
; %bb.257:
	s_or_b64 exec, exec, s[0:1]
	v_cmp_ne_u32_e32 vcc, v129, v126
	s_and_saveexec_b64 s[0:1], vcc
	s_xor_b64 s[0:1], exec, s[0:1]
	s_cbranch_execz .LBB118_263
; %bb.258:
	v_cmp_eq_u32_e32 vcc, 15, v129
	s_and_saveexec_b64 s[2:3], vcc
	s_cbranch_execz .LBB118_262
; %bb.259:
	v_cmp_ne_u32_e32 vcc, 15, v126
	s_xor_b64 s[14:15], s[6:7], -1
	s_and_b64 s[16:17], s[14:15], vcc
	s_and_saveexec_b64 s[14:15], s[16:17]
	s_cbranch_execz .LBB118_261
; %bb.260:
	v_ashrrev_i32_e32 v127, 31, v126
	v_lshlrev_b64 v[134:135], 2, v[126:127]
	v_add_co_u32_e32 v134, vcc, v4, v134
	v_addc_co_u32_e32 v135, vcc, v5, v135, vcc
	flat_load_dword v127, v[134:135]
	flat_load_dword v129, v[4:5] offset:60
	s_waitcnt vmcnt(0) lgkmcnt(0)
	flat_store_dword v[4:5], v127 offset:60
	flat_store_dword v[134:135], v129
.LBB118_261:
	s_or_b64 exec, exec, s[14:15]
	v_mov_b32_e32 v127, v126
	v_mov_b32_e32 v129, v126
.LBB118_262:
	s_or_b64 exec, exec, s[2:3]
.LBB118_263:
	s_andn2_saveexec_b64 s[0:1], s[0:1]
	s_cbranch_execz .LBB118_265
; %bb.264:
	v_mov_b32_e32 v134, v88
	v_mov_b32_e32 v135, v89
	v_mov_b32_e32 v136, v86
	v_mov_b32_e32 v137, v87
	ds_write2_b64 v128, v[134:135], v[136:137] offset0:16 offset1:17
	v_mov_b32_e32 v134, v84
	v_mov_b32_e32 v135, v85
	v_mov_b32_e32 v136, v82
	v_mov_b32_e32 v137, v83
	ds_write2_b64 v128, v[134:135], v[136:137] offset0:18 offset1:19
	;; [unrolled: 5-line block ×21, first 2 shown]
	v_mov_b32_e32 v134, v0
	v_mov_b32_e32 v135, v1
	;; [unrolled: 1-line block ×3, first 2 shown]
	ds_write2_b64 v128, v[134:135], v[122:123] offset0:58 offset1:59
.LBB118_265:
	s_or_b64 exec, exec, s[0:1]
	v_cmp_lt_i32_e32 vcc, 15, v129
	s_waitcnt lgkmcnt(0)
	s_barrier
	s_and_saveexec_b64 s[0:1], vcc
	s_cbranch_execz .LBB118_267
; %bb.266:
	ds_read2_b64 v[134:137], v128 offset0:16 offset1:17
	ds_read2_b64 v[138:141], v128 offset0:18 offset1:19
	v_mul_f64 v[90:91], v[124:125], v[90:91]
	ds_read2_b64 v[142:145], v128 offset0:20 offset1:21
	s_waitcnt lgkmcnt(0)
	v_fma_f64 v[88:89], -v[90:91], v[134:135], v[88:89]
	v_fma_f64 v[86:87], -v[90:91], v[136:137], v[86:87]
	ds_read2_b64 v[134:137], v128 offset0:22 offset1:23
	v_fma_f64 v[84:85], -v[90:91], v[138:139], v[84:85]
	v_fma_f64 v[82:83], -v[90:91], v[140:141], v[82:83]
	;; [unrolled: 1-line block ×3, first 2 shown]
	ds_read2_b64 v[138:141], v128 offset0:24 offset1:25
	v_fma_f64 v[78:79], -v[90:91], v[144:145], v[78:79]
	ds_read2_b64 v[142:145], v128 offset0:26 offset1:27
	s_waitcnt lgkmcnt(0)
	v_fma_f64 v[76:77], -v[90:91], v[134:135], v[76:77]
	v_fma_f64 v[74:75], -v[90:91], v[136:137], v[74:75]
	ds_read2_b64 v[134:137], v128 offset0:28 offset1:29
	v_fma_f64 v[72:73], -v[90:91], v[138:139], v[72:73]
	v_fma_f64 v[70:71], -v[90:91], v[140:141], v[70:71]
	ds_read2_b64 v[138:141], v128 offset0:30 offset1:31
	v_fma_f64 v[68:69], -v[90:91], v[142:143], v[68:69]
	v_fma_f64 v[66:67], -v[90:91], v[144:145], v[66:67]
	s_waitcnt lgkmcnt(0)
	v_fma_f64 v[64:65], -v[90:91], v[134:135], v[64:65]
	ds_read2_b64 v[142:145], v128 offset0:32 offset1:33
	v_fma_f64 v[62:63], -v[90:91], v[136:137], v[62:63]
	ds_read2_b64 v[134:137], v128 offset0:34 offset1:35
	v_fma_f64 v[60:61], -v[90:91], v[138:139], v[60:61]
	v_fma_f64 v[58:59], -v[90:91], v[140:141], v[58:59]
	s_waitcnt lgkmcnt(0)
	v_fma_f64 v[56:57], -v[90:91], v[142:143], v[56:57]
	ds_read2_b64 v[138:141], v128 offset0:36 offset1:37
	v_fma_f64 v[54:55], -v[90:91], v[144:145], v[54:55]
	ds_read2_b64 v[142:145], v128 offset0:38 offset1:39
	v_fma_f64 v[52:53], -v[90:91], v[134:135], v[52:53]
	v_fma_f64 v[50:51], -v[90:91], v[136:137], v[50:51]
	ds_read2_b64 v[134:137], v128 offset0:40 offset1:41
	s_waitcnt lgkmcnt(0)
	v_fma_f64 v[48:49], -v[90:91], v[138:139], v[48:49]
	v_fma_f64 v[46:47], -v[90:91], v[140:141], v[46:47]
	ds_read2_b64 v[138:141], v128 offset0:42 offset1:43
	v_fma_f64 v[44:45], -v[90:91], v[142:143], v[44:45]
	v_fma_f64 v[42:43], -v[90:91], v[144:145], v[42:43]
	;; [unrolled: 1-line block ×3, first 2 shown]
	ds_read2_b64 v[142:145], v128 offset0:44 offset1:45
	v_fma_f64 v[38:39], -v[90:91], v[136:137], v[38:39]
	ds_read2_b64 v[134:137], v128 offset0:46 offset1:47
	s_waitcnt lgkmcnt(0)
	v_fma_f64 v[36:37], -v[90:91], v[138:139], v[36:37]
	v_fma_f64 v[34:35], -v[90:91], v[140:141], v[34:35]
	;; [unrolled: 1-line block ×3, first 2 shown]
	ds_read2_b64 v[138:141], v128 offset0:48 offset1:49
	v_fma_f64 v[30:31], -v[90:91], v[144:145], v[30:31]
	ds_read2_b64 v[142:145], v128 offset0:50 offset1:51
	v_fma_f64 v[28:29], -v[90:91], v[134:135], v[28:29]
	v_fma_f64 v[26:27], -v[90:91], v[136:137], v[26:27]
	ds_read2_b64 v[134:137], v128 offset0:52 offset1:53
	s_waitcnt lgkmcnt(0)
	v_fma_f64 v[24:25], -v[90:91], v[138:139], v[24:25]
	v_fma_f64 v[22:23], -v[90:91], v[140:141], v[22:23]
	ds_read2_b64 v[138:141], v128 offset0:54 offset1:55
	v_fma_f64 v[20:21], -v[90:91], v[142:143], v[20:21]
	v_fma_f64 v[18:19], -v[90:91], v[144:145], v[18:19]
	;; [unrolled: 1-line block ×3, first 2 shown]
	ds_read2_b64 v[142:145], v128 offset0:56 offset1:57
	v_fma_f64 v[14:15], -v[90:91], v[136:137], v[14:15]
	ds_read2_b64 v[134:137], v128 offset0:58 offset1:59
	s_waitcnt lgkmcnt(0)
	v_fma_f64 v[12:13], -v[90:91], v[138:139], v[12:13]
	v_fma_f64 v[10:11], -v[90:91], v[140:141], v[10:11]
	v_fma_f64 v[8:9], -v[90:91], v[142:143], v[8:9]
	v_fma_f64 v[6:7], -v[90:91], v[144:145], v[6:7]
	v_fma_f64 v[0:1], -v[90:91], v[134:135], v[0:1]
	v_fma_f64 v[122:123], -v[90:91], v[136:137], v[122:123]
.LBB118_267:
	s_or_b64 exec, exec, s[0:1]
	v_lshl_add_u32 v124, v129, 3, v128
	s_barrier
	ds_write_b64 v124, v[88:89]
	s_waitcnt lgkmcnt(0)
	s_barrier
	ds_read_b64 v[124:125], v128 offset:128
	s_cmp_lt_i32 s18, 18
	v_mov_b32_e32 v126, 16
	s_cbranch_scc1 .LBB118_270
; %bb.268:
	v_add_u32_e32 v133, 0x88, v128
	s_mov_b32 s0, 17
	v_mov_b32_e32 v126, 16
.LBB118_269:                            ; =>This Inner Loop Header: Depth=1
	ds_read_b64 v[134:135], v133
	v_mov_b32_e32 v136, s0
	s_add_i32 s0, s0, 1
	v_add_u32_e32 v133, 8, v133
	s_cmp_lg_u32 s18, s0
	s_waitcnt lgkmcnt(0)
	v_cmp_lt_f64_e64 vcc, |v[124:125]|, |v[134:135]|
	v_cndmask_b32_e32 v125, v125, v135, vcc
	v_cndmask_b32_e32 v124, v124, v134, vcc
	;; [unrolled: 1-line block ×3, first 2 shown]
	s_cbranch_scc1 .LBB118_269
.LBB118_270:
	s_waitcnt lgkmcnt(0)
	v_cmp_eq_f64_e32 vcc, 0, v[124:125]
	s_and_saveexec_b64 s[0:1], vcc
	s_xor_b64 s[0:1], exec, s[0:1]
; %bb.271:
	v_cmp_ne_u32_e32 vcc, 0, v132
	v_cndmask_b32_e32 v132, 17, v132, vcc
; %bb.272:
	s_andn2_saveexec_b64 s[0:1], s[0:1]
; %bb.273:
	v_div_scale_f64 v[134:135], s[2:3], v[124:125], v[124:125], 1.0
	v_rcp_f64_e32 v[136:137], v[134:135]
	v_div_scale_f64 v[138:139], vcc, 1.0, v[124:125], 1.0
	v_fma_f64 v[140:141], -v[134:135], v[136:137], 1.0
	v_fmac_f64_e32 v[136:137], v[136:137], v[140:141]
	v_fma_f64 v[140:141], -v[134:135], v[136:137], 1.0
	v_fmac_f64_e32 v[136:137], v[136:137], v[140:141]
	v_mul_f64 v[140:141], v[138:139], v[136:137]
	v_fma_f64 v[134:135], -v[134:135], v[140:141], v[138:139]
	v_div_fmas_f64 v[134:135], v[134:135], v[136:137], v[140:141]
	v_div_fixup_f64 v[124:125], v[134:135], v[124:125], 1.0
; %bb.274:
	s_or_b64 exec, exec, s[0:1]
	v_cmp_ne_u32_e32 vcc, v129, v126
	s_and_saveexec_b64 s[0:1], vcc
	s_xor_b64 s[0:1], exec, s[0:1]
	s_cbranch_execz .LBB118_280
; %bb.275:
	v_cmp_eq_u32_e32 vcc, 16, v129
	s_and_saveexec_b64 s[2:3], vcc
	s_cbranch_execz .LBB118_279
; %bb.276:
	v_cmp_ne_u32_e32 vcc, 16, v126
	s_xor_b64 s[14:15], s[6:7], -1
	s_and_b64 s[16:17], s[14:15], vcc
	s_and_saveexec_b64 s[14:15], s[16:17]
	s_cbranch_execz .LBB118_278
; %bb.277:
	v_ashrrev_i32_e32 v127, 31, v126
	v_lshlrev_b64 v[134:135], 2, v[126:127]
	v_add_co_u32_e32 v134, vcc, v4, v134
	v_addc_co_u32_e32 v135, vcc, v5, v135, vcc
	flat_load_dword v127, v[134:135]
	flat_load_dword v129, v[4:5] offset:64
	s_waitcnt vmcnt(0) lgkmcnt(0)
	flat_store_dword v[4:5], v127 offset:64
	flat_store_dword v[134:135], v129
.LBB118_278:
	s_or_b64 exec, exec, s[14:15]
	v_mov_b32_e32 v127, v126
	v_mov_b32_e32 v129, v126
.LBB118_279:
	s_or_b64 exec, exec, s[2:3]
.LBB118_280:
	s_andn2_saveexec_b64 s[0:1], s[0:1]
	s_cbranch_execz .LBB118_282
; %bb.281:
	v_mov_b32_e32 v129, 16
	ds_write2_b64 v128, v[86:87], v[84:85] offset0:17 offset1:18
	ds_write2_b64 v128, v[82:83], v[80:81] offset0:19 offset1:20
	;; [unrolled: 1-line block ×21, first 2 shown]
	ds_write_b64 v128, v[122:123] offset:472
.LBB118_282:
	s_or_b64 exec, exec, s[0:1]
	v_cmp_lt_i32_e32 vcc, 16, v129
	s_waitcnt lgkmcnt(0)
	s_barrier
	s_and_saveexec_b64 s[0:1], vcc
	s_cbranch_execz .LBB118_284
; %bb.283:
	ds_read2_b64 v[134:137], v128 offset0:17 offset1:18
	ds_read2_b64 v[138:141], v128 offset0:19 offset1:20
	;; [unrolled: 1-line block ×3, first 2 shown]
	v_mul_f64 v[88:89], v[124:125], v[88:89]
	ds_read_b64 v[124:125], v128 offset:472
	s_waitcnt lgkmcnt(0)
	v_fma_f64 v[86:87], -v[88:89], v[134:135], v[86:87]
	v_fma_f64 v[84:85], -v[88:89], v[136:137], v[84:85]
	ds_read2_b64 v[134:137], v128 offset0:23 offset1:24
	v_fma_f64 v[82:83], -v[88:89], v[138:139], v[82:83]
	v_fma_f64 v[80:81], -v[88:89], v[140:141], v[80:81]
	v_fma_f64 v[78:79], -v[88:89], v[142:143], v[78:79]
	ds_read2_b64 v[138:141], v128 offset0:25 offset1:26
	v_fma_f64 v[76:77], -v[88:89], v[144:145], v[76:77]
	ds_read2_b64 v[142:145], v128 offset0:27 offset1:28
	s_waitcnt lgkmcnt(0)
	v_fma_f64 v[74:75], -v[88:89], v[134:135], v[74:75]
	v_fma_f64 v[72:73], -v[88:89], v[136:137], v[72:73]
	v_fma_f64 v[70:71], -v[88:89], v[138:139], v[70:71]
	ds_read2_b64 v[134:137], v128 offset0:29 offset1:30
	v_fma_f64 v[68:69], -v[88:89], v[140:141], v[68:69]
	ds_read2_b64 v[138:141], v128 offset0:31 offset1:32
	v_fma_f64 v[66:67], -v[88:89], v[142:143], v[66:67]
	v_fma_f64 v[64:65], -v[88:89], v[144:145], v[64:65]
	ds_read2_b64 v[142:145], v128 offset0:33 offset1:34
	s_waitcnt lgkmcnt(0)
	v_fma_f64 v[62:63], -v[88:89], v[134:135], v[62:63]
	v_fma_f64 v[60:61], -v[88:89], v[136:137], v[60:61]
	ds_read2_b64 v[134:137], v128 offset0:35 offset1:36
	v_fma_f64 v[58:59], -v[88:89], v[138:139], v[58:59]
	v_fma_f64 v[56:57], -v[88:89], v[140:141], v[56:57]
	v_fma_f64 v[54:55], -v[88:89], v[142:143], v[54:55]
	ds_read2_b64 v[138:141], v128 offset0:37 offset1:38
	v_fma_f64 v[52:53], -v[88:89], v[144:145], v[52:53]
	ds_read2_b64 v[142:145], v128 offset0:39 offset1:40
	s_waitcnt lgkmcnt(0)
	v_fma_f64 v[50:51], -v[88:89], v[134:135], v[50:51]
	v_fma_f64 v[48:49], -v[88:89], v[136:137], v[48:49]
	v_fma_f64 v[46:47], -v[88:89], v[138:139], v[46:47]
	ds_read2_b64 v[134:137], v128 offset0:41 offset1:42
	v_fma_f64 v[44:45], -v[88:89], v[140:141], v[44:45]
	ds_read2_b64 v[138:141], v128 offset0:43 offset1:44
	v_fma_f64 v[42:43], -v[88:89], v[142:143], v[42:43]
	v_fma_f64 v[40:41], -v[88:89], v[144:145], v[40:41]
	ds_read2_b64 v[142:145], v128 offset0:45 offset1:46
	;; [unrolled: 20-line block ×3, first 2 shown]
	s_waitcnt lgkmcnt(0)
	v_fma_f64 v[14:15], -v[88:89], v[134:135], v[14:15]
	v_fma_f64 v[12:13], -v[88:89], v[136:137], v[12:13]
	;; [unrolled: 1-line block ×7, first 2 shown]
.LBB118_284:
	s_or_b64 exec, exec, s[0:1]
	v_lshl_add_u32 v124, v129, 3, v128
	s_barrier
	ds_write_b64 v124, v[86:87]
	s_waitcnt lgkmcnt(0)
	s_barrier
	ds_read_b64 v[124:125], v128 offset:136
	s_cmp_lt_i32 s18, 19
	v_mov_b32_e32 v126, 17
	s_cbranch_scc1 .LBB118_287
; %bb.285:
	v_add_u32_e32 v133, 0x90, v128
	s_mov_b32 s0, 18
	v_mov_b32_e32 v126, 17
.LBB118_286:                            ; =>This Inner Loop Header: Depth=1
	ds_read_b64 v[134:135], v133
	v_mov_b32_e32 v136, s0
	s_add_i32 s0, s0, 1
	v_add_u32_e32 v133, 8, v133
	s_cmp_lg_u32 s18, s0
	s_waitcnt lgkmcnt(0)
	v_cmp_lt_f64_e64 vcc, |v[124:125]|, |v[134:135]|
	v_cndmask_b32_e32 v125, v125, v135, vcc
	v_cndmask_b32_e32 v124, v124, v134, vcc
	;; [unrolled: 1-line block ×3, first 2 shown]
	s_cbranch_scc1 .LBB118_286
.LBB118_287:
	s_waitcnt lgkmcnt(0)
	v_cmp_eq_f64_e32 vcc, 0, v[124:125]
	s_and_saveexec_b64 s[0:1], vcc
	s_xor_b64 s[0:1], exec, s[0:1]
; %bb.288:
	v_cmp_ne_u32_e32 vcc, 0, v132
	v_cndmask_b32_e32 v132, 18, v132, vcc
; %bb.289:
	s_andn2_saveexec_b64 s[0:1], s[0:1]
; %bb.290:
	v_div_scale_f64 v[134:135], s[2:3], v[124:125], v[124:125], 1.0
	v_rcp_f64_e32 v[136:137], v[134:135]
	v_div_scale_f64 v[138:139], vcc, 1.0, v[124:125], 1.0
	v_fma_f64 v[140:141], -v[134:135], v[136:137], 1.0
	v_fmac_f64_e32 v[136:137], v[136:137], v[140:141]
	v_fma_f64 v[140:141], -v[134:135], v[136:137], 1.0
	v_fmac_f64_e32 v[136:137], v[136:137], v[140:141]
	v_mul_f64 v[140:141], v[138:139], v[136:137]
	v_fma_f64 v[134:135], -v[134:135], v[140:141], v[138:139]
	v_div_fmas_f64 v[134:135], v[134:135], v[136:137], v[140:141]
	v_div_fixup_f64 v[124:125], v[134:135], v[124:125], 1.0
; %bb.291:
	s_or_b64 exec, exec, s[0:1]
	v_cmp_ne_u32_e32 vcc, v129, v126
	s_and_saveexec_b64 s[0:1], vcc
	s_xor_b64 s[0:1], exec, s[0:1]
	s_cbranch_execz .LBB118_297
; %bb.292:
	v_cmp_eq_u32_e32 vcc, 17, v129
	s_and_saveexec_b64 s[2:3], vcc
	s_cbranch_execz .LBB118_296
; %bb.293:
	v_cmp_ne_u32_e32 vcc, 17, v126
	s_xor_b64 s[14:15], s[6:7], -1
	s_and_b64 s[16:17], s[14:15], vcc
	s_and_saveexec_b64 s[14:15], s[16:17]
	s_cbranch_execz .LBB118_295
; %bb.294:
	v_ashrrev_i32_e32 v127, 31, v126
	v_lshlrev_b64 v[134:135], 2, v[126:127]
	v_add_co_u32_e32 v134, vcc, v4, v134
	v_addc_co_u32_e32 v135, vcc, v5, v135, vcc
	flat_load_dword v127, v[134:135]
	flat_load_dword v129, v[4:5] offset:68
	s_waitcnt vmcnt(0) lgkmcnt(0)
	flat_store_dword v[4:5], v127 offset:68
	flat_store_dword v[134:135], v129
.LBB118_295:
	s_or_b64 exec, exec, s[14:15]
	v_mov_b32_e32 v127, v126
	v_mov_b32_e32 v129, v126
.LBB118_296:
	s_or_b64 exec, exec, s[2:3]
.LBB118_297:
	s_andn2_saveexec_b64 s[0:1], s[0:1]
	s_cbranch_execz .LBB118_299
; %bb.298:
	v_mov_b32_e32 v134, v84
	v_mov_b32_e32 v135, v85
	v_mov_b32_e32 v136, v82
	v_mov_b32_e32 v137, v83
	ds_write2_b64 v128, v[134:135], v[136:137] offset0:18 offset1:19
	v_mov_b32_e32 v134, v80
	v_mov_b32_e32 v135, v81
	v_mov_b32_e32 v136, v78
	v_mov_b32_e32 v137, v79
	ds_write2_b64 v128, v[134:135], v[136:137] offset0:20 offset1:21
	;; [unrolled: 5-line block ×20, first 2 shown]
	v_mov_b32_e32 v134, v0
	v_mov_b32_e32 v135, v1
	;; [unrolled: 1-line block ×3, first 2 shown]
	ds_write2_b64 v128, v[134:135], v[122:123] offset0:58 offset1:59
.LBB118_299:
	s_or_b64 exec, exec, s[0:1]
	v_cmp_lt_i32_e32 vcc, 17, v129
	s_waitcnt lgkmcnt(0)
	s_barrier
	s_and_saveexec_b64 s[0:1], vcc
	s_cbranch_execz .LBB118_301
; %bb.300:
	ds_read2_b64 v[134:137], v128 offset0:18 offset1:19
	ds_read2_b64 v[138:141], v128 offset0:20 offset1:21
	;; [unrolled: 1-line block ×3, first 2 shown]
	v_mul_f64 v[86:87], v[124:125], v[86:87]
	s_waitcnt lgkmcnt(0)
	v_fma_f64 v[84:85], -v[86:87], v[134:135], v[84:85]
	v_fma_f64 v[82:83], -v[86:87], v[136:137], v[82:83]
	ds_read2_b64 v[134:137], v128 offset0:24 offset1:25
	v_fma_f64 v[80:81], -v[86:87], v[138:139], v[80:81]
	v_fma_f64 v[78:79], -v[86:87], v[140:141], v[78:79]
	;; [unrolled: 1-line block ×3, first 2 shown]
	ds_read2_b64 v[138:141], v128 offset0:26 offset1:27
	v_fma_f64 v[74:75], -v[86:87], v[144:145], v[74:75]
	ds_read2_b64 v[142:145], v128 offset0:28 offset1:29
	s_waitcnt lgkmcnt(0)
	v_fma_f64 v[72:73], -v[86:87], v[134:135], v[72:73]
	v_fma_f64 v[70:71], -v[86:87], v[136:137], v[70:71]
	;; [unrolled: 1-line block ×3, first 2 shown]
	ds_read2_b64 v[134:137], v128 offset0:30 offset1:31
	v_fma_f64 v[66:67], -v[86:87], v[140:141], v[66:67]
	ds_read2_b64 v[138:141], v128 offset0:32 offset1:33
	v_fma_f64 v[64:65], -v[86:87], v[142:143], v[64:65]
	v_fma_f64 v[62:63], -v[86:87], v[144:145], v[62:63]
	ds_read2_b64 v[142:145], v128 offset0:34 offset1:35
	s_waitcnt lgkmcnt(0)
	v_fma_f64 v[60:61], -v[86:87], v[134:135], v[60:61]
	v_fma_f64 v[58:59], -v[86:87], v[136:137], v[58:59]
	ds_read2_b64 v[134:137], v128 offset0:36 offset1:37
	v_fma_f64 v[56:57], -v[86:87], v[138:139], v[56:57]
	v_fma_f64 v[54:55], -v[86:87], v[140:141], v[54:55]
	;; [unrolled: 1-line block ×3, first 2 shown]
	ds_read2_b64 v[138:141], v128 offset0:38 offset1:39
	v_fma_f64 v[50:51], -v[86:87], v[144:145], v[50:51]
	ds_read2_b64 v[142:145], v128 offset0:40 offset1:41
	s_waitcnt lgkmcnt(0)
	v_fma_f64 v[48:49], -v[86:87], v[134:135], v[48:49]
	v_fma_f64 v[46:47], -v[86:87], v[136:137], v[46:47]
	;; [unrolled: 1-line block ×3, first 2 shown]
	ds_read2_b64 v[134:137], v128 offset0:42 offset1:43
	v_fma_f64 v[42:43], -v[86:87], v[140:141], v[42:43]
	ds_read2_b64 v[138:141], v128 offset0:44 offset1:45
	v_fma_f64 v[40:41], -v[86:87], v[142:143], v[40:41]
	v_fma_f64 v[38:39], -v[86:87], v[144:145], v[38:39]
	ds_read2_b64 v[142:145], v128 offset0:46 offset1:47
	s_waitcnt lgkmcnt(0)
	v_fma_f64 v[36:37], -v[86:87], v[134:135], v[36:37]
	v_fma_f64 v[34:35], -v[86:87], v[136:137], v[34:35]
	ds_read2_b64 v[134:137], v128 offset0:48 offset1:49
	v_fma_f64 v[32:33], -v[86:87], v[138:139], v[32:33]
	v_fma_f64 v[30:31], -v[86:87], v[140:141], v[30:31]
	;; [unrolled: 1-line block ×3, first 2 shown]
	ds_read2_b64 v[138:141], v128 offset0:50 offset1:51
	v_fma_f64 v[26:27], -v[86:87], v[144:145], v[26:27]
	ds_read2_b64 v[142:145], v128 offset0:52 offset1:53
	s_waitcnt lgkmcnt(0)
	v_fma_f64 v[24:25], -v[86:87], v[134:135], v[24:25]
	v_fma_f64 v[22:23], -v[86:87], v[136:137], v[22:23]
	;; [unrolled: 1-line block ×4, first 2 shown]
	ds_read2_b64 v[134:137], v128 offset0:54 offset1:55
	ds_read2_b64 v[138:141], v128 offset0:56 offset1:57
	v_fma_f64 v[16:17], -v[86:87], v[142:143], v[16:17]
	v_fma_f64 v[14:15], -v[86:87], v[144:145], v[14:15]
	ds_read2_b64 v[142:145], v128 offset0:58 offset1:59
	s_waitcnt lgkmcnt(0)
	v_fma_f64 v[12:13], -v[86:87], v[134:135], v[12:13]
	v_fma_f64 v[10:11], -v[86:87], v[136:137], v[10:11]
	v_fma_f64 v[8:9], -v[86:87], v[138:139], v[8:9]
	v_fma_f64 v[6:7], -v[86:87], v[140:141], v[6:7]
	v_fma_f64 v[0:1], -v[86:87], v[142:143], v[0:1]
	v_fma_f64 v[122:123], -v[86:87], v[144:145], v[122:123]
.LBB118_301:
	s_or_b64 exec, exec, s[0:1]
	v_lshl_add_u32 v124, v129, 3, v128
	s_barrier
	ds_write_b64 v124, v[84:85]
	s_waitcnt lgkmcnt(0)
	s_barrier
	ds_read_b64 v[124:125], v128 offset:144
	s_cmp_lt_i32 s18, 20
	v_mov_b32_e32 v126, 18
	s_cbranch_scc1 .LBB118_304
; %bb.302:
	v_add_u32_e32 v133, 0x98, v128
	s_mov_b32 s0, 19
	v_mov_b32_e32 v126, 18
.LBB118_303:                            ; =>This Inner Loop Header: Depth=1
	ds_read_b64 v[134:135], v133
	v_mov_b32_e32 v136, s0
	s_add_i32 s0, s0, 1
	v_add_u32_e32 v133, 8, v133
	s_cmp_lg_u32 s18, s0
	s_waitcnt lgkmcnt(0)
	v_cmp_lt_f64_e64 vcc, |v[124:125]|, |v[134:135]|
	v_cndmask_b32_e32 v125, v125, v135, vcc
	v_cndmask_b32_e32 v124, v124, v134, vcc
	;; [unrolled: 1-line block ×3, first 2 shown]
	s_cbranch_scc1 .LBB118_303
.LBB118_304:
	s_waitcnt lgkmcnt(0)
	v_cmp_eq_f64_e32 vcc, 0, v[124:125]
	s_and_saveexec_b64 s[0:1], vcc
	s_xor_b64 s[0:1], exec, s[0:1]
; %bb.305:
	v_cmp_ne_u32_e32 vcc, 0, v132
	v_cndmask_b32_e32 v132, 19, v132, vcc
; %bb.306:
	s_andn2_saveexec_b64 s[0:1], s[0:1]
; %bb.307:
	v_div_scale_f64 v[134:135], s[2:3], v[124:125], v[124:125], 1.0
	v_rcp_f64_e32 v[136:137], v[134:135]
	v_div_scale_f64 v[138:139], vcc, 1.0, v[124:125], 1.0
	v_fma_f64 v[140:141], -v[134:135], v[136:137], 1.0
	v_fmac_f64_e32 v[136:137], v[136:137], v[140:141]
	v_fma_f64 v[140:141], -v[134:135], v[136:137], 1.0
	v_fmac_f64_e32 v[136:137], v[136:137], v[140:141]
	v_mul_f64 v[140:141], v[138:139], v[136:137]
	v_fma_f64 v[134:135], -v[134:135], v[140:141], v[138:139]
	v_div_fmas_f64 v[134:135], v[134:135], v[136:137], v[140:141]
	v_div_fixup_f64 v[124:125], v[134:135], v[124:125], 1.0
; %bb.308:
	s_or_b64 exec, exec, s[0:1]
	v_cmp_ne_u32_e32 vcc, v129, v126
	s_and_saveexec_b64 s[0:1], vcc
	s_xor_b64 s[0:1], exec, s[0:1]
	s_cbranch_execz .LBB118_314
; %bb.309:
	v_cmp_eq_u32_e32 vcc, 18, v129
	s_and_saveexec_b64 s[2:3], vcc
	s_cbranch_execz .LBB118_313
; %bb.310:
	v_cmp_ne_u32_e32 vcc, 18, v126
	s_xor_b64 s[14:15], s[6:7], -1
	s_and_b64 s[16:17], s[14:15], vcc
	s_and_saveexec_b64 s[14:15], s[16:17]
	s_cbranch_execz .LBB118_312
; %bb.311:
	v_ashrrev_i32_e32 v127, 31, v126
	v_lshlrev_b64 v[134:135], 2, v[126:127]
	v_add_co_u32_e32 v134, vcc, v4, v134
	v_addc_co_u32_e32 v135, vcc, v5, v135, vcc
	flat_load_dword v127, v[134:135]
	flat_load_dword v129, v[4:5] offset:72
	s_waitcnt vmcnt(0) lgkmcnt(0)
	flat_store_dword v[4:5], v127 offset:72
	flat_store_dword v[134:135], v129
.LBB118_312:
	s_or_b64 exec, exec, s[14:15]
	v_mov_b32_e32 v127, v126
	v_mov_b32_e32 v129, v126
.LBB118_313:
	s_or_b64 exec, exec, s[2:3]
.LBB118_314:
	s_andn2_saveexec_b64 s[0:1], s[0:1]
	s_cbranch_execz .LBB118_316
; %bb.315:
	v_mov_b32_e32 v129, 18
	ds_write2_b64 v128, v[82:83], v[80:81] offset0:19 offset1:20
	ds_write2_b64 v128, v[78:79], v[76:77] offset0:21 offset1:22
	;; [unrolled: 1-line block ×20, first 2 shown]
	ds_write_b64 v128, v[122:123] offset:472
.LBB118_316:
	s_or_b64 exec, exec, s[0:1]
	v_cmp_lt_i32_e32 vcc, 18, v129
	s_waitcnt lgkmcnt(0)
	s_barrier
	s_and_saveexec_b64 s[0:1], vcc
	s_cbranch_execz .LBB118_318
; %bb.317:
	ds_read2_b64 v[134:137], v128 offset0:19 offset1:20
	ds_read2_b64 v[138:141], v128 offset0:21 offset1:22
	v_mul_f64 v[84:85], v[124:125], v[84:85]
	ds_read2_b64 v[142:145], v128 offset0:23 offset1:24
	ds_read_b64 v[124:125], v128 offset:472
	s_waitcnt lgkmcnt(0)
	v_fma_f64 v[82:83], -v[84:85], v[134:135], v[82:83]
	v_fma_f64 v[80:81], -v[84:85], v[136:137], v[80:81]
	ds_read2_b64 v[134:137], v128 offset0:25 offset1:26
	v_fma_f64 v[78:79], -v[84:85], v[138:139], v[78:79]
	v_fma_f64 v[76:77], -v[84:85], v[140:141], v[76:77]
	ds_read2_b64 v[138:141], v128 offset0:27 offset1:28
	;; [unrolled: 3-line block ×3, first 2 shown]
	s_waitcnt lgkmcnt(0)
	v_fma_f64 v[70:71], -v[84:85], v[134:135], v[70:71]
	v_fma_f64 v[68:69], -v[84:85], v[136:137], v[68:69]
	;; [unrolled: 1-line block ×3, first 2 shown]
	ds_read2_b64 v[134:137], v128 offset0:31 offset1:32
	v_fma_f64 v[64:65], -v[84:85], v[140:141], v[64:65]
	ds_read2_b64 v[138:141], v128 offset0:33 offset1:34
	v_fma_f64 v[62:63], -v[84:85], v[142:143], v[62:63]
	v_fma_f64 v[60:61], -v[84:85], v[144:145], v[60:61]
	s_waitcnt lgkmcnt(0)
	v_fma_f64 v[58:59], -v[84:85], v[134:135], v[58:59]
	ds_read2_b64 v[142:145], v128 offset0:35 offset1:36
	v_fma_f64 v[56:57], -v[84:85], v[136:137], v[56:57]
	ds_read2_b64 v[134:137], v128 offset0:37 offset1:38
	v_fma_f64 v[54:55], -v[84:85], v[138:139], v[54:55]
	v_fma_f64 v[52:53], -v[84:85], v[140:141], v[52:53]
	ds_read2_b64 v[138:141], v128 offset0:39 offset1:40
	s_waitcnt lgkmcnt(0)
	v_fma_f64 v[50:51], -v[84:85], v[142:143], v[50:51]
	v_fma_f64 v[48:49], -v[84:85], v[144:145], v[48:49]
	ds_read2_b64 v[142:145], v128 offset0:41 offset1:42
	v_fma_f64 v[46:47], -v[84:85], v[134:135], v[46:47]
	v_fma_f64 v[44:45], -v[84:85], v[136:137], v[44:45]
	;; [unrolled: 1-line block ×3, first 2 shown]
	ds_read2_b64 v[134:137], v128 offset0:43 offset1:44
	v_fma_f64 v[40:41], -v[84:85], v[140:141], v[40:41]
	ds_read2_b64 v[138:141], v128 offset0:45 offset1:46
	s_waitcnt lgkmcnt(0)
	v_fma_f64 v[38:39], -v[84:85], v[142:143], v[38:39]
	v_fma_f64 v[36:37], -v[84:85], v[144:145], v[36:37]
	;; [unrolled: 1-line block ×3, first 2 shown]
	ds_read2_b64 v[142:145], v128 offset0:47 offset1:48
	v_fma_f64 v[32:33], -v[84:85], v[136:137], v[32:33]
	ds_read2_b64 v[134:137], v128 offset0:49 offset1:50
	v_fma_f64 v[30:31], -v[84:85], v[138:139], v[30:31]
	v_fma_f64 v[28:29], -v[84:85], v[140:141], v[28:29]
	ds_read2_b64 v[138:141], v128 offset0:51 offset1:52
	s_waitcnt lgkmcnt(0)
	v_fma_f64 v[26:27], -v[84:85], v[142:143], v[26:27]
	v_fma_f64 v[24:25], -v[84:85], v[144:145], v[24:25]
	ds_read2_b64 v[142:145], v128 offset0:53 offset1:54
	v_fma_f64 v[22:23], -v[84:85], v[134:135], v[22:23]
	v_fma_f64 v[20:21], -v[84:85], v[136:137], v[20:21]
	;; [unrolled: 1-line block ×4, first 2 shown]
	ds_read2_b64 v[134:137], v128 offset0:55 offset1:56
	ds_read2_b64 v[138:141], v128 offset0:57 offset1:58
	s_waitcnt lgkmcnt(0)
	v_fma_f64 v[14:15], -v[84:85], v[142:143], v[14:15]
	v_fma_f64 v[12:13], -v[84:85], v[144:145], v[12:13]
	;; [unrolled: 1-line block ×7, first 2 shown]
.LBB118_318:
	s_or_b64 exec, exec, s[0:1]
	v_lshl_add_u32 v124, v129, 3, v128
	s_barrier
	ds_write_b64 v124, v[82:83]
	s_waitcnt lgkmcnt(0)
	s_barrier
	ds_read_b64 v[124:125], v128 offset:152
	s_cmp_lt_i32 s18, 21
	v_mov_b32_e32 v126, 19
	s_cbranch_scc1 .LBB118_321
; %bb.319:
	v_add_u32_e32 v133, 0xa0, v128
	s_mov_b32 s0, 20
	v_mov_b32_e32 v126, 19
.LBB118_320:                            ; =>This Inner Loop Header: Depth=1
	ds_read_b64 v[134:135], v133
	v_mov_b32_e32 v136, s0
	s_add_i32 s0, s0, 1
	v_add_u32_e32 v133, 8, v133
	s_cmp_lg_u32 s18, s0
	s_waitcnt lgkmcnt(0)
	v_cmp_lt_f64_e64 vcc, |v[124:125]|, |v[134:135]|
	v_cndmask_b32_e32 v125, v125, v135, vcc
	v_cndmask_b32_e32 v124, v124, v134, vcc
	v_cndmask_b32_e32 v126, v126, v136, vcc
	s_cbranch_scc1 .LBB118_320
.LBB118_321:
	s_waitcnt lgkmcnt(0)
	v_cmp_eq_f64_e32 vcc, 0, v[124:125]
	s_and_saveexec_b64 s[0:1], vcc
	s_xor_b64 s[0:1], exec, s[0:1]
; %bb.322:
	v_cmp_ne_u32_e32 vcc, 0, v132
	v_cndmask_b32_e32 v132, 20, v132, vcc
; %bb.323:
	s_andn2_saveexec_b64 s[0:1], s[0:1]
; %bb.324:
	v_div_scale_f64 v[134:135], s[2:3], v[124:125], v[124:125], 1.0
	v_rcp_f64_e32 v[136:137], v[134:135]
	v_div_scale_f64 v[138:139], vcc, 1.0, v[124:125], 1.0
	v_fma_f64 v[140:141], -v[134:135], v[136:137], 1.0
	v_fmac_f64_e32 v[136:137], v[136:137], v[140:141]
	v_fma_f64 v[140:141], -v[134:135], v[136:137], 1.0
	v_fmac_f64_e32 v[136:137], v[136:137], v[140:141]
	v_mul_f64 v[140:141], v[138:139], v[136:137]
	v_fma_f64 v[134:135], -v[134:135], v[140:141], v[138:139]
	v_div_fmas_f64 v[134:135], v[134:135], v[136:137], v[140:141]
	v_div_fixup_f64 v[124:125], v[134:135], v[124:125], 1.0
; %bb.325:
	s_or_b64 exec, exec, s[0:1]
	v_cmp_ne_u32_e32 vcc, v129, v126
	s_and_saveexec_b64 s[0:1], vcc
	s_xor_b64 s[0:1], exec, s[0:1]
	s_cbranch_execz .LBB118_331
; %bb.326:
	v_cmp_eq_u32_e32 vcc, 19, v129
	s_and_saveexec_b64 s[2:3], vcc
	s_cbranch_execz .LBB118_330
; %bb.327:
	v_cmp_ne_u32_e32 vcc, 19, v126
	s_xor_b64 s[14:15], s[6:7], -1
	s_and_b64 s[16:17], s[14:15], vcc
	s_and_saveexec_b64 s[14:15], s[16:17]
	s_cbranch_execz .LBB118_329
; %bb.328:
	v_ashrrev_i32_e32 v127, 31, v126
	v_lshlrev_b64 v[134:135], 2, v[126:127]
	v_add_co_u32_e32 v134, vcc, v4, v134
	v_addc_co_u32_e32 v135, vcc, v5, v135, vcc
	flat_load_dword v127, v[134:135]
	flat_load_dword v129, v[4:5] offset:76
	s_waitcnt vmcnt(0) lgkmcnt(0)
	flat_store_dword v[4:5], v127 offset:76
	flat_store_dword v[134:135], v129
.LBB118_329:
	s_or_b64 exec, exec, s[14:15]
	v_mov_b32_e32 v127, v126
	v_mov_b32_e32 v129, v126
.LBB118_330:
	s_or_b64 exec, exec, s[2:3]
.LBB118_331:
	s_andn2_saveexec_b64 s[0:1], s[0:1]
	s_cbranch_execz .LBB118_333
; %bb.332:
	v_mov_b32_e32 v134, v80
	v_mov_b32_e32 v135, v81
	v_mov_b32_e32 v136, v78
	v_mov_b32_e32 v137, v79
	ds_write2_b64 v128, v[134:135], v[136:137] offset0:20 offset1:21
	v_mov_b32_e32 v134, v76
	v_mov_b32_e32 v135, v77
	v_mov_b32_e32 v136, v74
	v_mov_b32_e32 v137, v75
	ds_write2_b64 v128, v[134:135], v[136:137] offset0:22 offset1:23
	;; [unrolled: 5-line block ×19, first 2 shown]
	v_mov_b32_e32 v134, v0
	v_mov_b32_e32 v135, v1
	v_mov_b32_e32 v129, 19
	ds_write2_b64 v128, v[134:135], v[122:123] offset0:58 offset1:59
.LBB118_333:
	s_or_b64 exec, exec, s[0:1]
	v_cmp_lt_i32_e32 vcc, 19, v129
	s_waitcnt lgkmcnt(0)
	s_barrier
	s_and_saveexec_b64 s[0:1], vcc
	s_cbranch_execz .LBB118_335
; %bb.334:
	ds_read2_b64 v[134:137], v128 offset0:20 offset1:21
	ds_read2_b64 v[138:141], v128 offset0:22 offset1:23
	v_mul_f64 v[82:83], v[124:125], v[82:83]
	ds_read2_b64 v[142:145], v128 offset0:24 offset1:25
	s_waitcnt lgkmcnt(0)
	v_fma_f64 v[80:81], -v[82:83], v[134:135], v[80:81]
	v_fma_f64 v[78:79], -v[82:83], v[136:137], v[78:79]
	ds_read2_b64 v[134:137], v128 offset0:26 offset1:27
	v_fma_f64 v[76:77], -v[82:83], v[138:139], v[76:77]
	v_fma_f64 v[74:75], -v[82:83], v[140:141], v[74:75]
	ds_read2_b64 v[138:141], v128 offset0:28 offset1:29
	;; [unrolled: 3-line block ×3, first 2 shown]
	s_waitcnt lgkmcnt(0)
	v_fma_f64 v[68:69], -v[82:83], v[134:135], v[68:69]
	v_fma_f64 v[66:67], -v[82:83], v[136:137], v[66:67]
	;; [unrolled: 1-line block ×3, first 2 shown]
	ds_read2_b64 v[134:137], v128 offset0:32 offset1:33
	v_fma_f64 v[62:63], -v[82:83], v[140:141], v[62:63]
	ds_read2_b64 v[138:141], v128 offset0:34 offset1:35
	v_fma_f64 v[60:61], -v[82:83], v[142:143], v[60:61]
	v_fma_f64 v[58:59], -v[82:83], v[144:145], v[58:59]
	s_waitcnt lgkmcnt(0)
	v_fma_f64 v[56:57], -v[82:83], v[134:135], v[56:57]
	ds_read2_b64 v[142:145], v128 offset0:36 offset1:37
	v_fma_f64 v[54:55], -v[82:83], v[136:137], v[54:55]
	ds_read2_b64 v[134:137], v128 offset0:38 offset1:39
	v_fma_f64 v[52:53], -v[82:83], v[138:139], v[52:53]
	v_fma_f64 v[50:51], -v[82:83], v[140:141], v[50:51]
	ds_read2_b64 v[138:141], v128 offset0:40 offset1:41
	s_waitcnt lgkmcnt(0)
	v_fma_f64 v[48:49], -v[82:83], v[142:143], v[48:49]
	v_fma_f64 v[46:47], -v[82:83], v[144:145], v[46:47]
	ds_read2_b64 v[142:145], v128 offset0:42 offset1:43
	v_fma_f64 v[44:45], -v[82:83], v[134:135], v[44:45]
	v_fma_f64 v[42:43], -v[82:83], v[136:137], v[42:43]
	;; [unrolled: 1-line block ×3, first 2 shown]
	ds_read2_b64 v[134:137], v128 offset0:44 offset1:45
	v_fma_f64 v[38:39], -v[82:83], v[140:141], v[38:39]
	ds_read2_b64 v[138:141], v128 offset0:46 offset1:47
	s_waitcnt lgkmcnt(0)
	v_fma_f64 v[36:37], -v[82:83], v[142:143], v[36:37]
	v_fma_f64 v[34:35], -v[82:83], v[144:145], v[34:35]
	;; [unrolled: 1-line block ×3, first 2 shown]
	ds_read2_b64 v[142:145], v128 offset0:48 offset1:49
	v_fma_f64 v[30:31], -v[82:83], v[136:137], v[30:31]
	ds_read2_b64 v[134:137], v128 offset0:50 offset1:51
	v_fma_f64 v[28:29], -v[82:83], v[138:139], v[28:29]
	v_fma_f64 v[26:27], -v[82:83], v[140:141], v[26:27]
	ds_read2_b64 v[138:141], v128 offset0:52 offset1:53
	s_waitcnt lgkmcnt(0)
	v_fma_f64 v[24:25], -v[82:83], v[142:143], v[24:25]
	v_fma_f64 v[22:23], -v[82:83], v[144:145], v[22:23]
	;; [unrolled: 1-line block ×4, first 2 shown]
	ds_read2_b64 v[134:137], v128 offset0:54 offset1:55
	v_fma_f64 v[16:17], -v[82:83], v[138:139], v[16:17]
	ds_read2_b64 v[142:145], v128 offset0:56 offset1:57
	v_fma_f64 v[14:15], -v[82:83], v[140:141], v[14:15]
	ds_read2_b64 v[138:141], v128 offset0:58 offset1:59
	s_waitcnt lgkmcnt(0)
	v_fma_f64 v[12:13], -v[82:83], v[134:135], v[12:13]
	v_fma_f64 v[10:11], -v[82:83], v[136:137], v[10:11]
	;; [unrolled: 1-line block ×6, first 2 shown]
.LBB118_335:
	s_or_b64 exec, exec, s[0:1]
	v_lshl_add_u32 v124, v129, 3, v128
	s_barrier
	ds_write_b64 v124, v[80:81]
	s_waitcnt lgkmcnt(0)
	s_barrier
	ds_read_b64 v[124:125], v128 offset:160
	s_cmp_lt_i32 s18, 22
	v_mov_b32_e32 v126, 20
	s_cbranch_scc1 .LBB118_338
; %bb.336:
	v_add_u32_e32 v133, 0xa8, v128
	s_mov_b32 s0, 21
	v_mov_b32_e32 v126, 20
.LBB118_337:                            ; =>This Inner Loop Header: Depth=1
	ds_read_b64 v[134:135], v133
	v_mov_b32_e32 v136, s0
	s_add_i32 s0, s0, 1
	v_add_u32_e32 v133, 8, v133
	s_cmp_lg_u32 s18, s0
	s_waitcnt lgkmcnt(0)
	v_cmp_lt_f64_e64 vcc, |v[124:125]|, |v[134:135]|
	v_cndmask_b32_e32 v125, v125, v135, vcc
	v_cndmask_b32_e32 v124, v124, v134, vcc
	;; [unrolled: 1-line block ×3, first 2 shown]
	s_cbranch_scc1 .LBB118_337
.LBB118_338:
	s_waitcnt lgkmcnt(0)
	v_cmp_eq_f64_e32 vcc, 0, v[124:125]
	s_and_saveexec_b64 s[0:1], vcc
	s_xor_b64 s[0:1], exec, s[0:1]
; %bb.339:
	v_cmp_ne_u32_e32 vcc, 0, v132
	v_cndmask_b32_e32 v132, 21, v132, vcc
; %bb.340:
	s_andn2_saveexec_b64 s[0:1], s[0:1]
; %bb.341:
	v_div_scale_f64 v[134:135], s[2:3], v[124:125], v[124:125], 1.0
	v_rcp_f64_e32 v[136:137], v[134:135]
	v_div_scale_f64 v[138:139], vcc, 1.0, v[124:125], 1.0
	v_fma_f64 v[140:141], -v[134:135], v[136:137], 1.0
	v_fmac_f64_e32 v[136:137], v[136:137], v[140:141]
	v_fma_f64 v[140:141], -v[134:135], v[136:137], 1.0
	v_fmac_f64_e32 v[136:137], v[136:137], v[140:141]
	v_mul_f64 v[140:141], v[138:139], v[136:137]
	v_fma_f64 v[134:135], -v[134:135], v[140:141], v[138:139]
	v_div_fmas_f64 v[134:135], v[134:135], v[136:137], v[140:141]
	v_div_fixup_f64 v[124:125], v[134:135], v[124:125], 1.0
; %bb.342:
	s_or_b64 exec, exec, s[0:1]
	v_cmp_ne_u32_e32 vcc, v129, v126
	s_and_saveexec_b64 s[0:1], vcc
	s_xor_b64 s[0:1], exec, s[0:1]
	s_cbranch_execz .LBB118_348
; %bb.343:
	v_cmp_eq_u32_e32 vcc, 20, v129
	s_and_saveexec_b64 s[2:3], vcc
	s_cbranch_execz .LBB118_347
; %bb.344:
	v_cmp_ne_u32_e32 vcc, 20, v126
	s_xor_b64 s[14:15], s[6:7], -1
	s_and_b64 s[16:17], s[14:15], vcc
	s_and_saveexec_b64 s[14:15], s[16:17]
	s_cbranch_execz .LBB118_346
; %bb.345:
	v_ashrrev_i32_e32 v127, 31, v126
	v_lshlrev_b64 v[134:135], 2, v[126:127]
	v_add_co_u32_e32 v134, vcc, v4, v134
	v_addc_co_u32_e32 v135, vcc, v5, v135, vcc
	flat_load_dword v127, v[134:135]
	flat_load_dword v129, v[4:5] offset:80
	s_waitcnt vmcnt(0) lgkmcnt(0)
	flat_store_dword v[4:5], v127 offset:80
	flat_store_dword v[134:135], v129
.LBB118_346:
	s_or_b64 exec, exec, s[14:15]
	v_mov_b32_e32 v127, v126
	v_mov_b32_e32 v129, v126
.LBB118_347:
	s_or_b64 exec, exec, s[2:3]
.LBB118_348:
	s_andn2_saveexec_b64 s[0:1], s[0:1]
	s_cbranch_execz .LBB118_350
; %bb.349:
	v_mov_b32_e32 v129, 20
	ds_write2_b64 v128, v[78:79], v[76:77] offset0:21 offset1:22
	ds_write2_b64 v128, v[74:75], v[72:73] offset0:23 offset1:24
	;; [unrolled: 1-line block ×19, first 2 shown]
	ds_write_b64 v128, v[122:123] offset:472
.LBB118_350:
	s_or_b64 exec, exec, s[0:1]
	v_cmp_lt_i32_e32 vcc, 20, v129
	s_waitcnt lgkmcnt(0)
	s_barrier
	s_and_saveexec_b64 s[0:1], vcc
	s_cbranch_execz .LBB118_352
; %bb.351:
	ds_read2_b64 v[134:137], v128 offset0:21 offset1:22
	ds_read2_b64 v[138:141], v128 offset0:23 offset1:24
	v_mul_f64 v[80:81], v[124:125], v[80:81]
	ds_read2_b64 v[142:145], v128 offset0:25 offset1:26
	ds_read_b64 v[124:125], v128 offset:472
	s_waitcnt lgkmcnt(0)
	v_fma_f64 v[78:79], -v[80:81], v[134:135], v[78:79]
	v_fma_f64 v[76:77], -v[80:81], v[136:137], v[76:77]
	ds_read2_b64 v[134:137], v128 offset0:27 offset1:28
	v_fma_f64 v[74:75], -v[80:81], v[138:139], v[74:75]
	v_fma_f64 v[72:73], -v[80:81], v[140:141], v[72:73]
	;; [unrolled: 1-line block ×3, first 2 shown]
	ds_read2_b64 v[138:141], v128 offset0:29 offset1:30
	v_fma_f64 v[68:69], -v[80:81], v[144:145], v[68:69]
	ds_read2_b64 v[142:145], v128 offset0:31 offset1:32
	s_waitcnt lgkmcnt(0)
	v_fma_f64 v[66:67], -v[80:81], v[134:135], v[66:67]
	v_fma_f64 v[64:65], -v[80:81], v[136:137], v[64:65]
	ds_read2_b64 v[134:137], v128 offset0:33 offset1:34
	v_fma_f64 v[62:63], -v[80:81], v[138:139], v[62:63]
	v_fma_f64 v[60:61], -v[80:81], v[140:141], v[60:61]
	ds_read2_b64 v[138:141], v128 offset0:35 offset1:36
	v_fma_f64 v[58:59], -v[80:81], v[142:143], v[58:59]
	v_fma_f64 v[56:57], -v[80:81], v[144:145], v[56:57]
	s_waitcnt lgkmcnt(0)
	v_fma_f64 v[54:55], -v[80:81], v[134:135], v[54:55]
	ds_read2_b64 v[142:145], v128 offset0:37 offset1:38
	v_fma_f64 v[52:53], -v[80:81], v[136:137], v[52:53]
	ds_read2_b64 v[134:137], v128 offset0:39 offset1:40
	v_fma_f64 v[50:51], -v[80:81], v[138:139], v[50:51]
	v_fma_f64 v[48:49], -v[80:81], v[140:141], v[48:49]
	s_waitcnt lgkmcnt(0)
	v_fma_f64 v[46:47], -v[80:81], v[142:143], v[46:47]
	ds_read2_b64 v[138:141], v128 offset0:41 offset1:42
	v_fma_f64 v[44:45], -v[80:81], v[144:145], v[44:45]
	ds_read2_b64 v[142:145], v128 offset0:43 offset1:44
	v_fma_f64 v[42:43], -v[80:81], v[134:135], v[42:43]
	v_fma_f64 v[40:41], -v[80:81], v[136:137], v[40:41]
	ds_read2_b64 v[134:137], v128 offset0:45 offset1:46
	s_waitcnt lgkmcnt(0)
	v_fma_f64 v[38:39], -v[80:81], v[138:139], v[38:39]
	v_fma_f64 v[36:37], -v[80:81], v[140:141], v[36:37]
	ds_read2_b64 v[138:141], v128 offset0:47 offset1:48
	v_fma_f64 v[34:35], -v[80:81], v[142:143], v[34:35]
	v_fma_f64 v[32:33], -v[80:81], v[144:145], v[32:33]
	;; [unrolled: 1-line block ×3, first 2 shown]
	ds_read2_b64 v[142:145], v128 offset0:49 offset1:50
	v_fma_f64 v[28:29], -v[80:81], v[136:137], v[28:29]
	ds_read2_b64 v[134:137], v128 offset0:51 offset1:52
	s_waitcnt lgkmcnt(0)
	v_fma_f64 v[26:27], -v[80:81], v[138:139], v[26:27]
	v_fma_f64 v[24:25], -v[80:81], v[140:141], v[24:25]
	;; [unrolled: 1-line block ×3, first 2 shown]
	ds_read2_b64 v[138:141], v128 offset0:53 offset1:54
	v_fma_f64 v[20:21], -v[80:81], v[144:145], v[20:21]
	v_fma_f64 v[18:19], -v[80:81], v[134:135], v[18:19]
	;; [unrolled: 1-line block ×3, first 2 shown]
	ds_read2_b64 v[134:137], v128 offset0:55 offset1:56
	ds_read2_b64 v[142:145], v128 offset0:57 offset1:58
	s_waitcnt lgkmcnt(0)
	v_fma_f64 v[14:15], -v[80:81], v[138:139], v[14:15]
	v_fma_f64 v[12:13], -v[80:81], v[140:141], v[12:13]
	;; [unrolled: 1-line block ×7, first 2 shown]
.LBB118_352:
	s_or_b64 exec, exec, s[0:1]
	v_lshl_add_u32 v124, v129, 3, v128
	s_barrier
	ds_write_b64 v124, v[78:79]
	s_waitcnt lgkmcnt(0)
	s_barrier
	ds_read_b64 v[124:125], v128 offset:168
	s_cmp_lt_i32 s18, 23
	v_mov_b32_e32 v126, 21
	s_cbranch_scc1 .LBB118_355
; %bb.353:
	v_add_u32_e32 v133, 0xb0, v128
	s_mov_b32 s0, 22
	v_mov_b32_e32 v126, 21
.LBB118_354:                            ; =>This Inner Loop Header: Depth=1
	ds_read_b64 v[134:135], v133
	v_mov_b32_e32 v136, s0
	s_add_i32 s0, s0, 1
	v_add_u32_e32 v133, 8, v133
	s_cmp_lg_u32 s18, s0
	s_waitcnt lgkmcnt(0)
	v_cmp_lt_f64_e64 vcc, |v[124:125]|, |v[134:135]|
	v_cndmask_b32_e32 v125, v125, v135, vcc
	v_cndmask_b32_e32 v124, v124, v134, vcc
	;; [unrolled: 1-line block ×3, first 2 shown]
	s_cbranch_scc1 .LBB118_354
.LBB118_355:
	s_waitcnt lgkmcnt(0)
	v_cmp_eq_f64_e32 vcc, 0, v[124:125]
	s_and_saveexec_b64 s[0:1], vcc
	s_xor_b64 s[0:1], exec, s[0:1]
; %bb.356:
	v_cmp_ne_u32_e32 vcc, 0, v132
	v_cndmask_b32_e32 v132, 22, v132, vcc
; %bb.357:
	s_andn2_saveexec_b64 s[0:1], s[0:1]
; %bb.358:
	v_div_scale_f64 v[134:135], s[2:3], v[124:125], v[124:125], 1.0
	v_rcp_f64_e32 v[136:137], v[134:135]
	v_div_scale_f64 v[138:139], vcc, 1.0, v[124:125], 1.0
	v_fma_f64 v[140:141], -v[134:135], v[136:137], 1.0
	v_fmac_f64_e32 v[136:137], v[136:137], v[140:141]
	v_fma_f64 v[140:141], -v[134:135], v[136:137], 1.0
	v_fmac_f64_e32 v[136:137], v[136:137], v[140:141]
	v_mul_f64 v[140:141], v[138:139], v[136:137]
	v_fma_f64 v[134:135], -v[134:135], v[140:141], v[138:139]
	v_div_fmas_f64 v[134:135], v[134:135], v[136:137], v[140:141]
	v_div_fixup_f64 v[124:125], v[134:135], v[124:125], 1.0
; %bb.359:
	s_or_b64 exec, exec, s[0:1]
	v_cmp_ne_u32_e32 vcc, v129, v126
	s_and_saveexec_b64 s[0:1], vcc
	s_xor_b64 s[0:1], exec, s[0:1]
	s_cbranch_execz .LBB118_365
; %bb.360:
	v_cmp_eq_u32_e32 vcc, 21, v129
	s_and_saveexec_b64 s[2:3], vcc
	s_cbranch_execz .LBB118_364
; %bb.361:
	v_cmp_ne_u32_e32 vcc, 21, v126
	s_xor_b64 s[14:15], s[6:7], -1
	s_and_b64 s[16:17], s[14:15], vcc
	s_and_saveexec_b64 s[14:15], s[16:17]
	s_cbranch_execz .LBB118_363
; %bb.362:
	v_ashrrev_i32_e32 v127, 31, v126
	v_lshlrev_b64 v[134:135], 2, v[126:127]
	v_add_co_u32_e32 v134, vcc, v4, v134
	v_addc_co_u32_e32 v135, vcc, v5, v135, vcc
	flat_load_dword v127, v[134:135]
	flat_load_dword v129, v[4:5] offset:84
	s_waitcnt vmcnt(0) lgkmcnt(0)
	flat_store_dword v[4:5], v127 offset:84
	flat_store_dword v[134:135], v129
.LBB118_363:
	s_or_b64 exec, exec, s[14:15]
	v_mov_b32_e32 v127, v126
	v_mov_b32_e32 v129, v126
.LBB118_364:
	s_or_b64 exec, exec, s[2:3]
.LBB118_365:
	s_andn2_saveexec_b64 s[0:1], s[0:1]
	s_cbranch_execz .LBB118_367
; %bb.366:
	v_mov_b32_e32 v134, v76
	v_mov_b32_e32 v135, v77
	v_mov_b32_e32 v136, v74
	v_mov_b32_e32 v137, v75
	ds_write2_b64 v128, v[134:135], v[136:137] offset0:22 offset1:23
	v_mov_b32_e32 v134, v72
	v_mov_b32_e32 v135, v73
	v_mov_b32_e32 v136, v70
	v_mov_b32_e32 v137, v71
	ds_write2_b64 v128, v[134:135], v[136:137] offset0:24 offset1:25
	;; [unrolled: 5-line block ×18, first 2 shown]
	v_mov_b32_e32 v134, v0
	v_mov_b32_e32 v135, v1
	;; [unrolled: 1-line block ×3, first 2 shown]
	ds_write2_b64 v128, v[134:135], v[122:123] offset0:58 offset1:59
.LBB118_367:
	s_or_b64 exec, exec, s[0:1]
	v_cmp_lt_i32_e32 vcc, 21, v129
	s_waitcnt lgkmcnt(0)
	s_barrier
	s_and_saveexec_b64 s[0:1], vcc
	s_cbranch_execz .LBB118_369
; %bb.368:
	ds_read2_b64 v[134:137], v128 offset0:22 offset1:23
	ds_read2_b64 v[138:141], v128 offset0:24 offset1:25
	v_mul_f64 v[78:79], v[124:125], v[78:79]
	ds_read2_b64 v[142:145], v128 offset0:26 offset1:27
	s_waitcnt lgkmcnt(0)
	v_fma_f64 v[76:77], -v[78:79], v[134:135], v[76:77]
	v_fma_f64 v[74:75], -v[78:79], v[136:137], v[74:75]
	ds_read2_b64 v[134:137], v128 offset0:28 offset1:29
	v_fma_f64 v[72:73], -v[78:79], v[138:139], v[72:73]
	v_fma_f64 v[70:71], -v[78:79], v[140:141], v[70:71]
	;; [unrolled: 1-line block ×3, first 2 shown]
	ds_read2_b64 v[138:141], v128 offset0:30 offset1:31
	v_fma_f64 v[66:67], -v[78:79], v[144:145], v[66:67]
	ds_read2_b64 v[142:145], v128 offset0:32 offset1:33
	s_waitcnt lgkmcnt(0)
	v_fma_f64 v[64:65], -v[78:79], v[134:135], v[64:65]
	v_fma_f64 v[62:63], -v[78:79], v[136:137], v[62:63]
	ds_read2_b64 v[134:137], v128 offset0:34 offset1:35
	v_fma_f64 v[60:61], -v[78:79], v[138:139], v[60:61]
	v_fma_f64 v[58:59], -v[78:79], v[140:141], v[58:59]
	ds_read2_b64 v[138:141], v128 offset0:36 offset1:37
	v_fma_f64 v[56:57], -v[78:79], v[142:143], v[56:57]
	v_fma_f64 v[54:55], -v[78:79], v[144:145], v[54:55]
	s_waitcnt lgkmcnt(0)
	v_fma_f64 v[52:53], -v[78:79], v[134:135], v[52:53]
	ds_read2_b64 v[142:145], v128 offset0:38 offset1:39
	v_fma_f64 v[50:51], -v[78:79], v[136:137], v[50:51]
	ds_read2_b64 v[134:137], v128 offset0:40 offset1:41
	v_fma_f64 v[48:49], -v[78:79], v[138:139], v[48:49]
	v_fma_f64 v[46:47], -v[78:79], v[140:141], v[46:47]
	s_waitcnt lgkmcnt(0)
	v_fma_f64 v[44:45], -v[78:79], v[142:143], v[44:45]
	ds_read2_b64 v[138:141], v128 offset0:42 offset1:43
	v_fma_f64 v[42:43], -v[78:79], v[144:145], v[42:43]
	ds_read2_b64 v[142:145], v128 offset0:44 offset1:45
	v_fma_f64 v[40:41], -v[78:79], v[134:135], v[40:41]
	v_fma_f64 v[38:39], -v[78:79], v[136:137], v[38:39]
	ds_read2_b64 v[134:137], v128 offset0:46 offset1:47
	s_waitcnt lgkmcnt(0)
	v_fma_f64 v[36:37], -v[78:79], v[138:139], v[36:37]
	v_fma_f64 v[34:35], -v[78:79], v[140:141], v[34:35]
	ds_read2_b64 v[138:141], v128 offset0:48 offset1:49
	v_fma_f64 v[32:33], -v[78:79], v[142:143], v[32:33]
	v_fma_f64 v[30:31], -v[78:79], v[144:145], v[30:31]
	;; [unrolled: 1-line block ×3, first 2 shown]
	ds_read2_b64 v[142:145], v128 offset0:50 offset1:51
	v_fma_f64 v[26:27], -v[78:79], v[136:137], v[26:27]
	ds_read2_b64 v[134:137], v128 offset0:52 offset1:53
	s_waitcnt lgkmcnt(0)
	v_fma_f64 v[24:25], -v[78:79], v[138:139], v[24:25]
	v_fma_f64 v[22:23], -v[78:79], v[140:141], v[22:23]
	;; [unrolled: 1-line block ×4, first 2 shown]
	ds_read2_b64 v[138:141], v128 offset0:54 offset1:55
	ds_read2_b64 v[142:145], v128 offset0:56 offset1:57
	v_fma_f64 v[16:17], -v[78:79], v[134:135], v[16:17]
	v_fma_f64 v[14:15], -v[78:79], v[136:137], v[14:15]
	ds_read2_b64 v[134:137], v128 offset0:58 offset1:59
	s_waitcnt lgkmcnt(0)
	v_fma_f64 v[12:13], -v[78:79], v[138:139], v[12:13]
	v_fma_f64 v[10:11], -v[78:79], v[140:141], v[10:11]
	;; [unrolled: 1-line block ×6, first 2 shown]
.LBB118_369:
	s_or_b64 exec, exec, s[0:1]
	v_lshl_add_u32 v124, v129, 3, v128
	s_barrier
	ds_write_b64 v124, v[76:77]
	s_waitcnt lgkmcnt(0)
	s_barrier
	ds_read_b64 v[124:125], v128 offset:176
	s_cmp_lt_i32 s18, 24
	v_mov_b32_e32 v126, 22
	s_cbranch_scc1 .LBB118_372
; %bb.370:
	v_add_u32_e32 v133, 0xb8, v128
	s_mov_b32 s0, 23
	v_mov_b32_e32 v126, 22
.LBB118_371:                            ; =>This Inner Loop Header: Depth=1
	ds_read_b64 v[134:135], v133
	v_mov_b32_e32 v136, s0
	s_add_i32 s0, s0, 1
	v_add_u32_e32 v133, 8, v133
	s_cmp_lg_u32 s18, s0
	s_waitcnt lgkmcnt(0)
	v_cmp_lt_f64_e64 vcc, |v[124:125]|, |v[134:135]|
	v_cndmask_b32_e32 v125, v125, v135, vcc
	v_cndmask_b32_e32 v124, v124, v134, vcc
	;; [unrolled: 1-line block ×3, first 2 shown]
	s_cbranch_scc1 .LBB118_371
.LBB118_372:
	s_waitcnt lgkmcnt(0)
	v_cmp_eq_f64_e32 vcc, 0, v[124:125]
	s_and_saveexec_b64 s[0:1], vcc
	s_xor_b64 s[0:1], exec, s[0:1]
; %bb.373:
	v_cmp_ne_u32_e32 vcc, 0, v132
	v_cndmask_b32_e32 v132, 23, v132, vcc
; %bb.374:
	s_andn2_saveexec_b64 s[0:1], s[0:1]
; %bb.375:
	v_div_scale_f64 v[134:135], s[2:3], v[124:125], v[124:125], 1.0
	v_rcp_f64_e32 v[136:137], v[134:135]
	v_div_scale_f64 v[138:139], vcc, 1.0, v[124:125], 1.0
	v_fma_f64 v[140:141], -v[134:135], v[136:137], 1.0
	v_fmac_f64_e32 v[136:137], v[136:137], v[140:141]
	v_fma_f64 v[140:141], -v[134:135], v[136:137], 1.0
	v_fmac_f64_e32 v[136:137], v[136:137], v[140:141]
	v_mul_f64 v[140:141], v[138:139], v[136:137]
	v_fma_f64 v[134:135], -v[134:135], v[140:141], v[138:139]
	v_div_fmas_f64 v[134:135], v[134:135], v[136:137], v[140:141]
	v_div_fixup_f64 v[124:125], v[134:135], v[124:125], 1.0
; %bb.376:
	s_or_b64 exec, exec, s[0:1]
	v_cmp_ne_u32_e32 vcc, v129, v126
	s_and_saveexec_b64 s[0:1], vcc
	s_xor_b64 s[0:1], exec, s[0:1]
	s_cbranch_execz .LBB118_382
; %bb.377:
	v_cmp_eq_u32_e32 vcc, 22, v129
	s_and_saveexec_b64 s[2:3], vcc
	s_cbranch_execz .LBB118_381
; %bb.378:
	v_cmp_ne_u32_e32 vcc, 22, v126
	s_xor_b64 s[14:15], s[6:7], -1
	s_and_b64 s[16:17], s[14:15], vcc
	s_and_saveexec_b64 s[14:15], s[16:17]
	s_cbranch_execz .LBB118_380
; %bb.379:
	v_ashrrev_i32_e32 v127, 31, v126
	v_lshlrev_b64 v[134:135], 2, v[126:127]
	v_add_co_u32_e32 v134, vcc, v4, v134
	v_addc_co_u32_e32 v135, vcc, v5, v135, vcc
	flat_load_dword v127, v[134:135]
	flat_load_dword v129, v[4:5] offset:88
	s_waitcnt vmcnt(0) lgkmcnt(0)
	flat_store_dword v[4:5], v127 offset:88
	flat_store_dword v[134:135], v129
.LBB118_380:
	s_or_b64 exec, exec, s[14:15]
	v_mov_b32_e32 v127, v126
	v_mov_b32_e32 v129, v126
.LBB118_381:
	s_or_b64 exec, exec, s[2:3]
.LBB118_382:
	s_andn2_saveexec_b64 s[0:1], s[0:1]
	s_cbranch_execz .LBB118_384
; %bb.383:
	v_mov_b32_e32 v129, 22
	ds_write2_b64 v128, v[74:75], v[72:73] offset0:23 offset1:24
	ds_write2_b64 v128, v[70:71], v[68:69] offset0:25 offset1:26
	;; [unrolled: 1-line block ×18, first 2 shown]
	ds_write_b64 v128, v[122:123] offset:472
.LBB118_384:
	s_or_b64 exec, exec, s[0:1]
	v_cmp_lt_i32_e32 vcc, 22, v129
	s_waitcnt lgkmcnt(0)
	s_barrier
	s_and_saveexec_b64 s[0:1], vcc
	s_cbranch_execz .LBB118_386
; %bb.385:
	ds_read2_b64 v[134:137], v128 offset0:23 offset1:24
	ds_read2_b64 v[138:141], v128 offset0:25 offset1:26
	;; [unrolled: 1-line block ×3, first 2 shown]
	v_mul_f64 v[76:77], v[124:125], v[76:77]
	ds_read_b64 v[124:125], v128 offset:472
	s_waitcnt lgkmcnt(0)
	v_fma_f64 v[74:75], -v[76:77], v[134:135], v[74:75]
	v_fma_f64 v[72:73], -v[76:77], v[136:137], v[72:73]
	ds_read2_b64 v[134:137], v128 offset0:29 offset1:30
	v_fma_f64 v[70:71], -v[76:77], v[138:139], v[70:71]
	v_fma_f64 v[68:69], -v[76:77], v[140:141], v[68:69]
	;; [unrolled: 1-line block ×3, first 2 shown]
	ds_read2_b64 v[138:141], v128 offset0:31 offset1:32
	v_fma_f64 v[64:65], -v[76:77], v[144:145], v[64:65]
	ds_read2_b64 v[142:145], v128 offset0:33 offset1:34
	s_waitcnt lgkmcnt(0)
	v_fma_f64 v[62:63], -v[76:77], v[134:135], v[62:63]
	v_fma_f64 v[60:61], -v[76:77], v[136:137], v[60:61]
	;; [unrolled: 1-line block ×3, first 2 shown]
	ds_read2_b64 v[134:137], v128 offset0:35 offset1:36
	v_fma_f64 v[56:57], -v[76:77], v[140:141], v[56:57]
	ds_read2_b64 v[138:141], v128 offset0:37 offset1:38
	v_fma_f64 v[54:55], -v[76:77], v[142:143], v[54:55]
	v_fma_f64 v[52:53], -v[76:77], v[144:145], v[52:53]
	ds_read2_b64 v[142:145], v128 offset0:39 offset1:40
	s_waitcnt lgkmcnt(0)
	v_fma_f64 v[50:51], -v[76:77], v[134:135], v[50:51]
	v_fma_f64 v[48:49], -v[76:77], v[136:137], v[48:49]
	ds_read2_b64 v[134:137], v128 offset0:41 offset1:42
	v_fma_f64 v[46:47], -v[76:77], v[138:139], v[46:47]
	v_fma_f64 v[44:45], -v[76:77], v[140:141], v[44:45]
	;; [unrolled: 1-line block ×3, first 2 shown]
	ds_read2_b64 v[138:141], v128 offset0:43 offset1:44
	v_fma_f64 v[40:41], -v[76:77], v[144:145], v[40:41]
	ds_read2_b64 v[142:145], v128 offset0:45 offset1:46
	s_waitcnt lgkmcnt(0)
	v_fma_f64 v[38:39], -v[76:77], v[134:135], v[38:39]
	v_fma_f64 v[36:37], -v[76:77], v[136:137], v[36:37]
	v_fma_f64 v[34:35], -v[76:77], v[138:139], v[34:35]
	ds_read2_b64 v[134:137], v128 offset0:47 offset1:48
	v_fma_f64 v[32:33], -v[76:77], v[140:141], v[32:33]
	ds_read2_b64 v[138:141], v128 offset0:49 offset1:50
	v_fma_f64 v[30:31], -v[76:77], v[142:143], v[30:31]
	v_fma_f64 v[28:29], -v[76:77], v[144:145], v[28:29]
	ds_read2_b64 v[142:145], v128 offset0:51 offset1:52
	s_waitcnt lgkmcnt(0)
	v_fma_f64 v[26:27], -v[76:77], v[134:135], v[26:27]
	v_fma_f64 v[24:25], -v[76:77], v[136:137], v[24:25]
	ds_read2_b64 v[134:137], v128 offset0:53 offset1:54
	v_fma_f64 v[22:23], -v[76:77], v[138:139], v[22:23]
	v_fma_f64 v[20:21], -v[76:77], v[140:141], v[20:21]
	;; [unrolled: 1-line block ×4, first 2 shown]
	ds_read2_b64 v[138:141], v128 offset0:55 offset1:56
	ds_read2_b64 v[142:145], v128 offset0:57 offset1:58
	s_waitcnt lgkmcnt(0)
	v_fma_f64 v[14:15], -v[76:77], v[134:135], v[14:15]
	v_fma_f64 v[12:13], -v[76:77], v[136:137], v[12:13]
	;; [unrolled: 1-line block ×7, first 2 shown]
.LBB118_386:
	s_or_b64 exec, exec, s[0:1]
	v_lshl_add_u32 v124, v129, 3, v128
	s_barrier
	ds_write_b64 v124, v[74:75]
	s_waitcnt lgkmcnt(0)
	s_barrier
	ds_read_b64 v[124:125], v128 offset:184
	s_cmp_lt_i32 s18, 25
	v_mov_b32_e32 v126, 23
	s_cbranch_scc1 .LBB118_389
; %bb.387:
	v_add_u32_e32 v133, 0xc0, v128
	s_mov_b32 s0, 24
	v_mov_b32_e32 v126, 23
.LBB118_388:                            ; =>This Inner Loop Header: Depth=1
	ds_read_b64 v[134:135], v133
	v_mov_b32_e32 v136, s0
	s_add_i32 s0, s0, 1
	v_add_u32_e32 v133, 8, v133
	s_cmp_lg_u32 s18, s0
	s_waitcnt lgkmcnt(0)
	v_cmp_lt_f64_e64 vcc, |v[124:125]|, |v[134:135]|
	v_cndmask_b32_e32 v125, v125, v135, vcc
	v_cndmask_b32_e32 v124, v124, v134, vcc
	;; [unrolled: 1-line block ×3, first 2 shown]
	s_cbranch_scc1 .LBB118_388
.LBB118_389:
	s_waitcnt lgkmcnt(0)
	v_cmp_eq_f64_e32 vcc, 0, v[124:125]
	s_and_saveexec_b64 s[0:1], vcc
	s_xor_b64 s[0:1], exec, s[0:1]
; %bb.390:
	v_cmp_ne_u32_e32 vcc, 0, v132
	v_cndmask_b32_e32 v132, 24, v132, vcc
; %bb.391:
	s_andn2_saveexec_b64 s[0:1], s[0:1]
; %bb.392:
	v_div_scale_f64 v[134:135], s[2:3], v[124:125], v[124:125], 1.0
	v_rcp_f64_e32 v[136:137], v[134:135]
	v_div_scale_f64 v[138:139], vcc, 1.0, v[124:125], 1.0
	v_fma_f64 v[140:141], -v[134:135], v[136:137], 1.0
	v_fmac_f64_e32 v[136:137], v[136:137], v[140:141]
	v_fma_f64 v[140:141], -v[134:135], v[136:137], 1.0
	v_fmac_f64_e32 v[136:137], v[136:137], v[140:141]
	v_mul_f64 v[140:141], v[138:139], v[136:137]
	v_fma_f64 v[134:135], -v[134:135], v[140:141], v[138:139]
	v_div_fmas_f64 v[134:135], v[134:135], v[136:137], v[140:141]
	v_div_fixup_f64 v[124:125], v[134:135], v[124:125], 1.0
; %bb.393:
	s_or_b64 exec, exec, s[0:1]
	v_cmp_ne_u32_e32 vcc, v129, v126
	s_and_saveexec_b64 s[0:1], vcc
	s_xor_b64 s[0:1], exec, s[0:1]
	s_cbranch_execz .LBB118_399
; %bb.394:
	v_cmp_eq_u32_e32 vcc, 23, v129
	s_and_saveexec_b64 s[2:3], vcc
	s_cbranch_execz .LBB118_398
; %bb.395:
	v_cmp_ne_u32_e32 vcc, 23, v126
	s_xor_b64 s[14:15], s[6:7], -1
	s_and_b64 s[16:17], s[14:15], vcc
	s_and_saveexec_b64 s[14:15], s[16:17]
	s_cbranch_execz .LBB118_397
; %bb.396:
	v_ashrrev_i32_e32 v127, 31, v126
	v_lshlrev_b64 v[134:135], 2, v[126:127]
	v_add_co_u32_e32 v134, vcc, v4, v134
	v_addc_co_u32_e32 v135, vcc, v5, v135, vcc
	flat_load_dword v127, v[134:135]
	flat_load_dword v129, v[4:5] offset:92
	s_waitcnt vmcnt(0) lgkmcnt(0)
	flat_store_dword v[4:5], v127 offset:92
	flat_store_dword v[134:135], v129
.LBB118_397:
	s_or_b64 exec, exec, s[14:15]
	v_mov_b32_e32 v127, v126
	v_mov_b32_e32 v129, v126
.LBB118_398:
	s_or_b64 exec, exec, s[2:3]
.LBB118_399:
	s_andn2_saveexec_b64 s[0:1], s[0:1]
	s_cbranch_execz .LBB118_401
; %bb.400:
	v_mov_b32_e32 v134, v72
	v_mov_b32_e32 v135, v73
	v_mov_b32_e32 v136, v70
	v_mov_b32_e32 v137, v71
	ds_write2_b64 v128, v[134:135], v[136:137] offset0:24 offset1:25
	v_mov_b32_e32 v134, v68
	v_mov_b32_e32 v135, v69
	v_mov_b32_e32 v136, v66
	v_mov_b32_e32 v137, v67
	ds_write2_b64 v128, v[134:135], v[136:137] offset0:26 offset1:27
	;; [unrolled: 5-line block ×17, first 2 shown]
	v_mov_b32_e32 v134, v0
	v_mov_b32_e32 v135, v1
	;; [unrolled: 1-line block ×3, first 2 shown]
	ds_write2_b64 v128, v[134:135], v[122:123] offset0:58 offset1:59
.LBB118_401:
	s_or_b64 exec, exec, s[0:1]
	v_cmp_lt_i32_e32 vcc, 23, v129
	s_waitcnt lgkmcnt(0)
	s_barrier
	s_and_saveexec_b64 s[0:1], vcc
	s_cbranch_execz .LBB118_403
; %bb.402:
	ds_read2_b64 v[134:137], v128 offset0:24 offset1:25
	ds_read2_b64 v[138:141], v128 offset0:26 offset1:27
	;; [unrolled: 1-line block ×3, first 2 shown]
	v_mul_f64 v[74:75], v[124:125], v[74:75]
	s_waitcnt lgkmcnt(0)
	v_fma_f64 v[72:73], -v[74:75], v[134:135], v[72:73]
	v_fma_f64 v[70:71], -v[74:75], v[136:137], v[70:71]
	ds_read2_b64 v[134:137], v128 offset0:30 offset1:31
	v_fma_f64 v[68:69], -v[74:75], v[138:139], v[68:69]
	v_fma_f64 v[66:67], -v[74:75], v[140:141], v[66:67]
	;; [unrolled: 1-line block ×3, first 2 shown]
	ds_read2_b64 v[138:141], v128 offset0:32 offset1:33
	v_fma_f64 v[62:63], -v[74:75], v[144:145], v[62:63]
	ds_read2_b64 v[142:145], v128 offset0:34 offset1:35
	s_waitcnt lgkmcnt(0)
	v_fma_f64 v[60:61], -v[74:75], v[134:135], v[60:61]
	v_fma_f64 v[58:59], -v[74:75], v[136:137], v[58:59]
	;; [unrolled: 1-line block ×3, first 2 shown]
	ds_read2_b64 v[134:137], v128 offset0:36 offset1:37
	v_fma_f64 v[54:55], -v[74:75], v[140:141], v[54:55]
	ds_read2_b64 v[138:141], v128 offset0:38 offset1:39
	v_fma_f64 v[52:53], -v[74:75], v[142:143], v[52:53]
	v_fma_f64 v[50:51], -v[74:75], v[144:145], v[50:51]
	ds_read2_b64 v[142:145], v128 offset0:40 offset1:41
	s_waitcnt lgkmcnt(0)
	v_fma_f64 v[48:49], -v[74:75], v[134:135], v[48:49]
	v_fma_f64 v[46:47], -v[74:75], v[136:137], v[46:47]
	ds_read2_b64 v[134:137], v128 offset0:42 offset1:43
	v_fma_f64 v[44:45], -v[74:75], v[138:139], v[44:45]
	v_fma_f64 v[42:43], -v[74:75], v[140:141], v[42:43]
	;; [unrolled: 1-line block ×3, first 2 shown]
	ds_read2_b64 v[138:141], v128 offset0:44 offset1:45
	v_fma_f64 v[38:39], -v[74:75], v[144:145], v[38:39]
	ds_read2_b64 v[142:145], v128 offset0:46 offset1:47
	s_waitcnt lgkmcnt(0)
	v_fma_f64 v[36:37], -v[74:75], v[134:135], v[36:37]
	v_fma_f64 v[34:35], -v[74:75], v[136:137], v[34:35]
	;; [unrolled: 1-line block ×3, first 2 shown]
	ds_read2_b64 v[134:137], v128 offset0:48 offset1:49
	v_fma_f64 v[30:31], -v[74:75], v[140:141], v[30:31]
	ds_read2_b64 v[138:141], v128 offset0:50 offset1:51
	v_fma_f64 v[28:29], -v[74:75], v[142:143], v[28:29]
	v_fma_f64 v[26:27], -v[74:75], v[144:145], v[26:27]
	ds_read2_b64 v[142:145], v128 offset0:52 offset1:53
	s_waitcnt lgkmcnt(0)
	v_fma_f64 v[24:25], -v[74:75], v[134:135], v[24:25]
	v_fma_f64 v[22:23], -v[74:75], v[136:137], v[22:23]
	ds_read2_b64 v[134:137], v128 offset0:54 offset1:55
	v_fma_f64 v[20:21], -v[74:75], v[138:139], v[20:21]
	v_fma_f64 v[18:19], -v[74:75], v[140:141], v[18:19]
	v_fma_f64 v[16:17], -v[74:75], v[142:143], v[16:17]
	ds_read2_b64 v[138:141], v128 offset0:56 offset1:57
	v_fma_f64 v[14:15], -v[74:75], v[144:145], v[14:15]
	ds_read2_b64 v[142:145], v128 offset0:58 offset1:59
	s_waitcnt lgkmcnt(0)
	v_fma_f64 v[12:13], -v[74:75], v[134:135], v[12:13]
	v_fma_f64 v[10:11], -v[74:75], v[136:137], v[10:11]
	;; [unrolled: 1-line block ×6, first 2 shown]
.LBB118_403:
	s_or_b64 exec, exec, s[0:1]
	v_lshl_add_u32 v124, v129, 3, v128
	s_barrier
	ds_write_b64 v124, v[72:73]
	s_waitcnt lgkmcnt(0)
	s_barrier
	ds_read_b64 v[124:125], v128 offset:192
	s_cmp_lt_i32 s18, 26
	v_mov_b32_e32 v126, 24
	s_cbranch_scc1 .LBB118_406
; %bb.404:
	v_add_u32_e32 v133, 0xc8, v128
	s_mov_b32 s0, 25
	v_mov_b32_e32 v126, 24
.LBB118_405:                            ; =>This Inner Loop Header: Depth=1
	ds_read_b64 v[134:135], v133
	v_mov_b32_e32 v136, s0
	s_add_i32 s0, s0, 1
	v_add_u32_e32 v133, 8, v133
	s_cmp_lg_u32 s18, s0
	s_waitcnt lgkmcnt(0)
	v_cmp_lt_f64_e64 vcc, |v[124:125]|, |v[134:135]|
	v_cndmask_b32_e32 v125, v125, v135, vcc
	v_cndmask_b32_e32 v124, v124, v134, vcc
	;; [unrolled: 1-line block ×3, first 2 shown]
	s_cbranch_scc1 .LBB118_405
.LBB118_406:
	s_waitcnt lgkmcnt(0)
	v_cmp_eq_f64_e32 vcc, 0, v[124:125]
	s_and_saveexec_b64 s[0:1], vcc
	s_xor_b64 s[0:1], exec, s[0:1]
; %bb.407:
	v_cmp_ne_u32_e32 vcc, 0, v132
	v_cndmask_b32_e32 v132, 25, v132, vcc
; %bb.408:
	s_andn2_saveexec_b64 s[0:1], s[0:1]
; %bb.409:
	v_div_scale_f64 v[134:135], s[2:3], v[124:125], v[124:125], 1.0
	v_rcp_f64_e32 v[136:137], v[134:135]
	v_div_scale_f64 v[138:139], vcc, 1.0, v[124:125], 1.0
	v_fma_f64 v[140:141], -v[134:135], v[136:137], 1.0
	v_fmac_f64_e32 v[136:137], v[136:137], v[140:141]
	v_fma_f64 v[140:141], -v[134:135], v[136:137], 1.0
	v_fmac_f64_e32 v[136:137], v[136:137], v[140:141]
	v_mul_f64 v[140:141], v[138:139], v[136:137]
	v_fma_f64 v[134:135], -v[134:135], v[140:141], v[138:139]
	v_div_fmas_f64 v[134:135], v[134:135], v[136:137], v[140:141]
	v_div_fixup_f64 v[124:125], v[134:135], v[124:125], 1.0
; %bb.410:
	s_or_b64 exec, exec, s[0:1]
	v_cmp_ne_u32_e32 vcc, v129, v126
	s_and_saveexec_b64 s[0:1], vcc
	s_xor_b64 s[0:1], exec, s[0:1]
	s_cbranch_execz .LBB118_416
; %bb.411:
	v_cmp_eq_u32_e32 vcc, 24, v129
	s_and_saveexec_b64 s[2:3], vcc
	s_cbranch_execz .LBB118_415
; %bb.412:
	v_cmp_ne_u32_e32 vcc, 24, v126
	s_xor_b64 s[14:15], s[6:7], -1
	s_and_b64 s[16:17], s[14:15], vcc
	s_and_saveexec_b64 s[14:15], s[16:17]
	s_cbranch_execz .LBB118_414
; %bb.413:
	v_ashrrev_i32_e32 v127, 31, v126
	v_lshlrev_b64 v[134:135], 2, v[126:127]
	v_add_co_u32_e32 v134, vcc, v4, v134
	v_addc_co_u32_e32 v135, vcc, v5, v135, vcc
	flat_load_dword v127, v[134:135]
	flat_load_dword v129, v[4:5] offset:96
	s_waitcnt vmcnt(0) lgkmcnt(0)
	flat_store_dword v[4:5], v127 offset:96
	flat_store_dword v[134:135], v129
.LBB118_414:
	s_or_b64 exec, exec, s[14:15]
	v_mov_b32_e32 v127, v126
	v_mov_b32_e32 v129, v126
.LBB118_415:
	s_or_b64 exec, exec, s[2:3]
.LBB118_416:
	s_andn2_saveexec_b64 s[0:1], s[0:1]
	s_cbranch_execz .LBB118_418
; %bb.417:
	v_mov_b32_e32 v129, 24
	ds_write2_b64 v128, v[70:71], v[68:69] offset0:25 offset1:26
	ds_write2_b64 v128, v[66:67], v[64:65] offset0:27 offset1:28
	;; [unrolled: 1-line block ×17, first 2 shown]
	ds_write_b64 v128, v[122:123] offset:472
.LBB118_418:
	s_or_b64 exec, exec, s[0:1]
	v_cmp_lt_i32_e32 vcc, 24, v129
	s_waitcnt lgkmcnt(0)
	s_barrier
	s_and_saveexec_b64 s[0:1], vcc
	s_cbranch_execz .LBB118_420
; %bb.419:
	ds_read2_b64 v[134:137], v128 offset0:25 offset1:26
	ds_read2_b64 v[138:141], v128 offset0:27 offset1:28
	v_mul_f64 v[72:73], v[124:125], v[72:73]
	ds_read2_b64 v[142:145], v128 offset0:29 offset1:30
	ds_read_b64 v[124:125], v128 offset:472
	s_waitcnt lgkmcnt(0)
	v_fma_f64 v[70:71], -v[72:73], v[134:135], v[70:71]
	v_fma_f64 v[68:69], -v[72:73], v[136:137], v[68:69]
	ds_read2_b64 v[134:137], v128 offset0:31 offset1:32
	v_fma_f64 v[66:67], -v[72:73], v[138:139], v[66:67]
	v_fma_f64 v[64:65], -v[72:73], v[140:141], v[64:65]
	ds_read2_b64 v[138:141], v128 offset0:33 offset1:34
	;; [unrolled: 3-line block ×3, first 2 shown]
	s_waitcnt lgkmcnt(0)
	v_fma_f64 v[58:59], -v[72:73], v[134:135], v[58:59]
	v_fma_f64 v[56:57], -v[72:73], v[136:137], v[56:57]
	;; [unrolled: 1-line block ×3, first 2 shown]
	ds_read2_b64 v[134:137], v128 offset0:37 offset1:38
	v_fma_f64 v[52:53], -v[72:73], v[140:141], v[52:53]
	ds_read2_b64 v[138:141], v128 offset0:39 offset1:40
	v_fma_f64 v[50:51], -v[72:73], v[142:143], v[50:51]
	v_fma_f64 v[48:49], -v[72:73], v[144:145], v[48:49]
	s_waitcnt lgkmcnt(0)
	v_fma_f64 v[46:47], -v[72:73], v[134:135], v[46:47]
	ds_read2_b64 v[142:145], v128 offset0:41 offset1:42
	v_fma_f64 v[44:45], -v[72:73], v[136:137], v[44:45]
	ds_read2_b64 v[134:137], v128 offset0:43 offset1:44
	v_fma_f64 v[42:43], -v[72:73], v[138:139], v[42:43]
	v_fma_f64 v[40:41], -v[72:73], v[140:141], v[40:41]
	ds_read2_b64 v[138:141], v128 offset0:45 offset1:46
	s_waitcnt lgkmcnt(0)
	v_fma_f64 v[38:39], -v[72:73], v[142:143], v[38:39]
	v_fma_f64 v[36:37], -v[72:73], v[144:145], v[36:37]
	ds_read2_b64 v[142:145], v128 offset0:47 offset1:48
	v_fma_f64 v[34:35], -v[72:73], v[134:135], v[34:35]
	v_fma_f64 v[32:33], -v[72:73], v[136:137], v[32:33]
	;; [unrolled: 1-line block ×3, first 2 shown]
	ds_read2_b64 v[134:137], v128 offset0:49 offset1:50
	v_fma_f64 v[28:29], -v[72:73], v[140:141], v[28:29]
	ds_read2_b64 v[138:141], v128 offset0:51 offset1:52
	s_waitcnt lgkmcnt(0)
	v_fma_f64 v[26:27], -v[72:73], v[142:143], v[26:27]
	v_fma_f64 v[24:25], -v[72:73], v[144:145], v[24:25]
	;; [unrolled: 1-line block ×3, first 2 shown]
	ds_read2_b64 v[142:145], v128 offset0:53 offset1:54
	v_fma_f64 v[20:21], -v[72:73], v[136:137], v[20:21]
	ds_read2_b64 v[134:137], v128 offset0:55 offset1:56
	v_fma_f64 v[18:19], -v[72:73], v[138:139], v[18:19]
	v_fma_f64 v[16:17], -v[72:73], v[140:141], v[16:17]
	ds_read2_b64 v[138:141], v128 offset0:57 offset1:58
	s_waitcnt lgkmcnt(0)
	v_fma_f64 v[14:15], -v[72:73], v[142:143], v[14:15]
	v_fma_f64 v[12:13], -v[72:73], v[144:145], v[12:13]
	;; [unrolled: 1-line block ×7, first 2 shown]
.LBB118_420:
	s_or_b64 exec, exec, s[0:1]
	v_lshl_add_u32 v124, v129, 3, v128
	s_barrier
	ds_write_b64 v124, v[70:71]
	s_waitcnt lgkmcnt(0)
	s_barrier
	ds_read_b64 v[124:125], v128 offset:200
	s_cmp_lt_i32 s18, 27
	v_mov_b32_e32 v126, 25
	s_cbranch_scc1 .LBB118_423
; %bb.421:
	v_add_u32_e32 v133, 0xd0, v128
	s_mov_b32 s0, 26
	v_mov_b32_e32 v126, 25
.LBB118_422:                            ; =>This Inner Loop Header: Depth=1
	ds_read_b64 v[134:135], v133
	v_mov_b32_e32 v136, s0
	s_add_i32 s0, s0, 1
	v_add_u32_e32 v133, 8, v133
	s_cmp_lg_u32 s18, s0
	s_waitcnt lgkmcnt(0)
	v_cmp_lt_f64_e64 vcc, |v[124:125]|, |v[134:135]|
	v_cndmask_b32_e32 v125, v125, v135, vcc
	v_cndmask_b32_e32 v124, v124, v134, vcc
	;; [unrolled: 1-line block ×3, first 2 shown]
	s_cbranch_scc1 .LBB118_422
.LBB118_423:
	s_waitcnt lgkmcnt(0)
	v_cmp_eq_f64_e32 vcc, 0, v[124:125]
	s_and_saveexec_b64 s[0:1], vcc
	s_xor_b64 s[0:1], exec, s[0:1]
; %bb.424:
	v_cmp_ne_u32_e32 vcc, 0, v132
	v_cndmask_b32_e32 v132, 26, v132, vcc
; %bb.425:
	s_andn2_saveexec_b64 s[0:1], s[0:1]
; %bb.426:
	v_div_scale_f64 v[134:135], s[2:3], v[124:125], v[124:125], 1.0
	v_rcp_f64_e32 v[136:137], v[134:135]
	v_div_scale_f64 v[138:139], vcc, 1.0, v[124:125], 1.0
	v_fma_f64 v[140:141], -v[134:135], v[136:137], 1.0
	v_fmac_f64_e32 v[136:137], v[136:137], v[140:141]
	v_fma_f64 v[140:141], -v[134:135], v[136:137], 1.0
	v_fmac_f64_e32 v[136:137], v[136:137], v[140:141]
	v_mul_f64 v[140:141], v[138:139], v[136:137]
	v_fma_f64 v[134:135], -v[134:135], v[140:141], v[138:139]
	v_div_fmas_f64 v[134:135], v[134:135], v[136:137], v[140:141]
	v_div_fixup_f64 v[124:125], v[134:135], v[124:125], 1.0
; %bb.427:
	s_or_b64 exec, exec, s[0:1]
	v_cmp_ne_u32_e32 vcc, v129, v126
	s_and_saveexec_b64 s[0:1], vcc
	s_xor_b64 s[0:1], exec, s[0:1]
	s_cbranch_execz .LBB118_433
; %bb.428:
	v_cmp_eq_u32_e32 vcc, 25, v129
	s_and_saveexec_b64 s[2:3], vcc
	s_cbranch_execz .LBB118_432
; %bb.429:
	v_cmp_ne_u32_e32 vcc, 25, v126
	s_xor_b64 s[14:15], s[6:7], -1
	s_and_b64 s[16:17], s[14:15], vcc
	s_and_saveexec_b64 s[14:15], s[16:17]
	s_cbranch_execz .LBB118_431
; %bb.430:
	v_ashrrev_i32_e32 v127, 31, v126
	v_lshlrev_b64 v[134:135], 2, v[126:127]
	v_add_co_u32_e32 v134, vcc, v4, v134
	v_addc_co_u32_e32 v135, vcc, v5, v135, vcc
	flat_load_dword v127, v[134:135]
	flat_load_dword v129, v[4:5] offset:100
	s_waitcnt vmcnt(0) lgkmcnt(0)
	flat_store_dword v[4:5], v127 offset:100
	flat_store_dword v[134:135], v129
.LBB118_431:
	s_or_b64 exec, exec, s[14:15]
	v_mov_b32_e32 v127, v126
	v_mov_b32_e32 v129, v126
.LBB118_432:
	s_or_b64 exec, exec, s[2:3]
.LBB118_433:
	s_andn2_saveexec_b64 s[0:1], s[0:1]
	s_cbranch_execz .LBB118_435
; %bb.434:
	v_mov_b32_e32 v134, v68
	v_mov_b32_e32 v135, v69
	v_mov_b32_e32 v136, v66
	v_mov_b32_e32 v137, v67
	ds_write2_b64 v128, v[134:135], v[136:137] offset0:26 offset1:27
	v_mov_b32_e32 v134, v64
	v_mov_b32_e32 v135, v65
	v_mov_b32_e32 v136, v62
	v_mov_b32_e32 v137, v63
	ds_write2_b64 v128, v[134:135], v[136:137] offset0:28 offset1:29
	;; [unrolled: 5-line block ×16, first 2 shown]
	v_mov_b32_e32 v134, v0
	v_mov_b32_e32 v135, v1
	;; [unrolled: 1-line block ×3, first 2 shown]
	ds_write2_b64 v128, v[134:135], v[122:123] offset0:58 offset1:59
.LBB118_435:
	s_or_b64 exec, exec, s[0:1]
	v_cmp_lt_i32_e32 vcc, 25, v129
	s_waitcnt lgkmcnt(0)
	s_barrier
	s_and_saveexec_b64 s[0:1], vcc
	s_cbranch_execz .LBB118_437
; %bb.436:
	ds_read2_b64 v[134:137], v128 offset0:26 offset1:27
	ds_read2_b64 v[138:141], v128 offset0:28 offset1:29
	v_mul_f64 v[70:71], v[124:125], v[70:71]
	ds_read2_b64 v[142:145], v128 offset0:30 offset1:31
	s_waitcnt lgkmcnt(0)
	v_fma_f64 v[68:69], -v[70:71], v[134:135], v[68:69]
	v_fma_f64 v[66:67], -v[70:71], v[136:137], v[66:67]
	ds_read2_b64 v[134:137], v128 offset0:32 offset1:33
	v_fma_f64 v[64:65], -v[70:71], v[138:139], v[64:65]
	v_fma_f64 v[62:63], -v[70:71], v[140:141], v[62:63]
	ds_read2_b64 v[138:141], v128 offset0:34 offset1:35
	;; [unrolled: 3-line block ×3, first 2 shown]
	s_waitcnt lgkmcnt(0)
	v_fma_f64 v[56:57], -v[70:71], v[134:135], v[56:57]
	v_fma_f64 v[54:55], -v[70:71], v[136:137], v[54:55]
	;; [unrolled: 1-line block ×3, first 2 shown]
	ds_read2_b64 v[134:137], v128 offset0:38 offset1:39
	v_fma_f64 v[50:51], -v[70:71], v[140:141], v[50:51]
	ds_read2_b64 v[138:141], v128 offset0:40 offset1:41
	v_fma_f64 v[48:49], -v[70:71], v[142:143], v[48:49]
	v_fma_f64 v[46:47], -v[70:71], v[144:145], v[46:47]
	s_waitcnt lgkmcnt(0)
	v_fma_f64 v[44:45], -v[70:71], v[134:135], v[44:45]
	ds_read2_b64 v[142:145], v128 offset0:42 offset1:43
	v_fma_f64 v[42:43], -v[70:71], v[136:137], v[42:43]
	ds_read2_b64 v[134:137], v128 offset0:44 offset1:45
	v_fma_f64 v[40:41], -v[70:71], v[138:139], v[40:41]
	v_fma_f64 v[38:39], -v[70:71], v[140:141], v[38:39]
	ds_read2_b64 v[138:141], v128 offset0:46 offset1:47
	s_waitcnt lgkmcnt(0)
	v_fma_f64 v[36:37], -v[70:71], v[142:143], v[36:37]
	v_fma_f64 v[34:35], -v[70:71], v[144:145], v[34:35]
	ds_read2_b64 v[142:145], v128 offset0:48 offset1:49
	v_fma_f64 v[32:33], -v[70:71], v[134:135], v[32:33]
	v_fma_f64 v[30:31], -v[70:71], v[136:137], v[30:31]
	;; [unrolled: 1-line block ×3, first 2 shown]
	ds_read2_b64 v[134:137], v128 offset0:50 offset1:51
	v_fma_f64 v[26:27], -v[70:71], v[140:141], v[26:27]
	ds_read2_b64 v[138:141], v128 offset0:52 offset1:53
	s_waitcnt lgkmcnt(0)
	v_fma_f64 v[24:25], -v[70:71], v[142:143], v[24:25]
	v_fma_f64 v[22:23], -v[70:71], v[144:145], v[22:23]
	;; [unrolled: 1-line block ×4, first 2 shown]
	ds_read2_b64 v[134:137], v128 offset0:54 offset1:55
	ds_read2_b64 v[142:145], v128 offset0:56 offset1:57
	v_fma_f64 v[16:17], -v[70:71], v[138:139], v[16:17]
	v_fma_f64 v[14:15], -v[70:71], v[140:141], v[14:15]
	ds_read2_b64 v[138:141], v128 offset0:58 offset1:59
	s_waitcnt lgkmcnt(0)
	v_fma_f64 v[12:13], -v[70:71], v[134:135], v[12:13]
	v_fma_f64 v[10:11], -v[70:71], v[136:137], v[10:11]
	;; [unrolled: 1-line block ×6, first 2 shown]
.LBB118_437:
	s_or_b64 exec, exec, s[0:1]
	v_lshl_add_u32 v124, v129, 3, v128
	s_barrier
	ds_write_b64 v124, v[68:69]
	s_waitcnt lgkmcnt(0)
	s_barrier
	ds_read_b64 v[124:125], v128 offset:208
	s_cmp_lt_i32 s18, 28
	v_mov_b32_e32 v126, 26
	s_cbranch_scc1 .LBB118_440
; %bb.438:
	v_add_u32_e32 v133, 0xd8, v128
	s_mov_b32 s0, 27
	v_mov_b32_e32 v126, 26
.LBB118_439:                            ; =>This Inner Loop Header: Depth=1
	ds_read_b64 v[134:135], v133
	v_mov_b32_e32 v136, s0
	s_add_i32 s0, s0, 1
	v_add_u32_e32 v133, 8, v133
	s_cmp_lg_u32 s18, s0
	s_waitcnt lgkmcnt(0)
	v_cmp_lt_f64_e64 vcc, |v[124:125]|, |v[134:135]|
	v_cndmask_b32_e32 v125, v125, v135, vcc
	v_cndmask_b32_e32 v124, v124, v134, vcc
	;; [unrolled: 1-line block ×3, first 2 shown]
	s_cbranch_scc1 .LBB118_439
.LBB118_440:
	s_waitcnt lgkmcnt(0)
	v_cmp_eq_f64_e32 vcc, 0, v[124:125]
	s_and_saveexec_b64 s[0:1], vcc
	s_xor_b64 s[0:1], exec, s[0:1]
; %bb.441:
	v_cmp_ne_u32_e32 vcc, 0, v132
	v_cndmask_b32_e32 v132, 27, v132, vcc
; %bb.442:
	s_andn2_saveexec_b64 s[0:1], s[0:1]
; %bb.443:
	v_div_scale_f64 v[134:135], s[2:3], v[124:125], v[124:125], 1.0
	v_rcp_f64_e32 v[136:137], v[134:135]
	v_div_scale_f64 v[138:139], vcc, 1.0, v[124:125], 1.0
	v_fma_f64 v[140:141], -v[134:135], v[136:137], 1.0
	v_fmac_f64_e32 v[136:137], v[136:137], v[140:141]
	v_fma_f64 v[140:141], -v[134:135], v[136:137], 1.0
	v_fmac_f64_e32 v[136:137], v[136:137], v[140:141]
	v_mul_f64 v[140:141], v[138:139], v[136:137]
	v_fma_f64 v[134:135], -v[134:135], v[140:141], v[138:139]
	v_div_fmas_f64 v[134:135], v[134:135], v[136:137], v[140:141]
	v_div_fixup_f64 v[124:125], v[134:135], v[124:125], 1.0
; %bb.444:
	s_or_b64 exec, exec, s[0:1]
	v_cmp_ne_u32_e32 vcc, v129, v126
	s_and_saveexec_b64 s[0:1], vcc
	s_xor_b64 s[0:1], exec, s[0:1]
	s_cbranch_execz .LBB118_450
; %bb.445:
	v_cmp_eq_u32_e32 vcc, 26, v129
	s_and_saveexec_b64 s[2:3], vcc
	s_cbranch_execz .LBB118_449
; %bb.446:
	v_cmp_ne_u32_e32 vcc, 26, v126
	s_xor_b64 s[14:15], s[6:7], -1
	s_and_b64 s[16:17], s[14:15], vcc
	s_and_saveexec_b64 s[14:15], s[16:17]
	s_cbranch_execz .LBB118_448
; %bb.447:
	v_ashrrev_i32_e32 v127, 31, v126
	v_lshlrev_b64 v[134:135], 2, v[126:127]
	v_add_co_u32_e32 v134, vcc, v4, v134
	v_addc_co_u32_e32 v135, vcc, v5, v135, vcc
	flat_load_dword v127, v[134:135]
	flat_load_dword v129, v[4:5] offset:104
	s_waitcnt vmcnt(0) lgkmcnt(0)
	flat_store_dword v[4:5], v127 offset:104
	flat_store_dword v[134:135], v129
.LBB118_448:
	s_or_b64 exec, exec, s[14:15]
	v_mov_b32_e32 v127, v126
	v_mov_b32_e32 v129, v126
.LBB118_449:
	s_or_b64 exec, exec, s[2:3]
.LBB118_450:
	s_andn2_saveexec_b64 s[0:1], s[0:1]
	s_cbranch_execz .LBB118_452
; %bb.451:
	v_mov_b32_e32 v129, 26
	ds_write2_b64 v128, v[66:67], v[64:65] offset0:27 offset1:28
	ds_write2_b64 v128, v[62:63], v[60:61] offset0:29 offset1:30
	;; [unrolled: 1-line block ×16, first 2 shown]
	ds_write_b64 v128, v[122:123] offset:472
.LBB118_452:
	s_or_b64 exec, exec, s[0:1]
	v_cmp_lt_i32_e32 vcc, 26, v129
	s_waitcnt lgkmcnt(0)
	s_barrier
	s_and_saveexec_b64 s[0:1], vcc
	s_cbranch_execz .LBB118_454
; %bb.453:
	ds_read2_b64 v[134:137], v128 offset0:27 offset1:28
	ds_read2_b64 v[138:141], v128 offset0:29 offset1:30
	v_mul_f64 v[68:69], v[124:125], v[68:69]
	ds_read2_b64 v[142:145], v128 offset0:31 offset1:32
	ds_read_b64 v[124:125], v128 offset:472
	s_waitcnt lgkmcnt(0)
	v_fma_f64 v[66:67], -v[68:69], v[134:135], v[66:67]
	v_fma_f64 v[64:65], -v[68:69], v[136:137], v[64:65]
	ds_read2_b64 v[134:137], v128 offset0:33 offset1:34
	v_fma_f64 v[62:63], -v[68:69], v[138:139], v[62:63]
	v_fma_f64 v[60:61], -v[68:69], v[140:141], v[60:61]
	v_fma_f64 v[58:59], -v[68:69], v[142:143], v[58:59]
	ds_read2_b64 v[138:141], v128 offset0:35 offset1:36
	v_fma_f64 v[56:57], -v[68:69], v[144:145], v[56:57]
	ds_read2_b64 v[142:145], v128 offset0:37 offset1:38
	s_waitcnt lgkmcnt(0)
	v_fma_f64 v[54:55], -v[68:69], v[134:135], v[54:55]
	v_fma_f64 v[52:53], -v[68:69], v[136:137], v[52:53]
	ds_read2_b64 v[134:137], v128 offset0:39 offset1:40
	v_fma_f64 v[50:51], -v[68:69], v[138:139], v[50:51]
	v_fma_f64 v[48:49], -v[68:69], v[140:141], v[48:49]
	ds_read2_b64 v[138:141], v128 offset0:41 offset1:42
	v_fma_f64 v[46:47], -v[68:69], v[142:143], v[46:47]
	v_fma_f64 v[44:45], -v[68:69], v[144:145], v[44:45]
	s_waitcnt lgkmcnt(0)
	v_fma_f64 v[42:43], -v[68:69], v[134:135], v[42:43]
	ds_read2_b64 v[142:145], v128 offset0:43 offset1:44
	v_fma_f64 v[40:41], -v[68:69], v[136:137], v[40:41]
	ds_read2_b64 v[134:137], v128 offset0:45 offset1:46
	v_fma_f64 v[38:39], -v[68:69], v[138:139], v[38:39]
	v_fma_f64 v[36:37], -v[68:69], v[140:141], v[36:37]
	s_waitcnt lgkmcnt(0)
	v_fma_f64 v[34:35], -v[68:69], v[142:143], v[34:35]
	ds_read2_b64 v[138:141], v128 offset0:47 offset1:48
	v_fma_f64 v[32:33], -v[68:69], v[144:145], v[32:33]
	ds_read2_b64 v[142:145], v128 offset0:49 offset1:50
	v_fma_f64 v[30:31], -v[68:69], v[134:135], v[30:31]
	v_fma_f64 v[28:29], -v[68:69], v[136:137], v[28:29]
	ds_read2_b64 v[134:137], v128 offset0:51 offset1:52
	s_waitcnt lgkmcnt(0)
	v_fma_f64 v[26:27], -v[68:69], v[138:139], v[26:27]
	v_fma_f64 v[24:25], -v[68:69], v[140:141], v[24:25]
	ds_read2_b64 v[138:141], v128 offset0:53 offset1:54
	v_fma_f64 v[22:23], -v[68:69], v[142:143], v[22:23]
	v_fma_f64 v[20:21], -v[68:69], v[144:145], v[20:21]
	;; [unrolled: 1-line block ×4, first 2 shown]
	ds_read2_b64 v[134:137], v128 offset0:55 offset1:56
	ds_read2_b64 v[142:145], v128 offset0:57 offset1:58
	s_waitcnt lgkmcnt(0)
	v_fma_f64 v[14:15], -v[68:69], v[138:139], v[14:15]
	v_fma_f64 v[12:13], -v[68:69], v[140:141], v[12:13]
	;; [unrolled: 1-line block ×7, first 2 shown]
.LBB118_454:
	s_or_b64 exec, exec, s[0:1]
	v_lshl_add_u32 v124, v129, 3, v128
	s_barrier
	ds_write_b64 v124, v[66:67]
	s_waitcnt lgkmcnt(0)
	s_barrier
	ds_read_b64 v[124:125], v128 offset:216
	s_cmp_lt_i32 s18, 29
	v_mov_b32_e32 v126, 27
	s_cbranch_scc1 .LBB118_457
; %bb.455:
	v_add_u32_e32 v133, 0xe0, v128
	s_mov_b32 s0, 28
	v_mov_b32_e32 v126, 27
.LBB118_456:                            ; =>This Inner Loop Header: Depth=1
	ds_read_b64 v[134:135], v133
	v_mov_b32_e32 v136, s0
	s_add_i32 s0, s0, 1
	v_add_u32_e32 v133, 8, v133
	s_cmp_lg_u32 s18, s0
	s_waitcnt lgkmcnt(0)
	v_cmp_lt_f64_e64 vcc, |v[124:125]|, |v[134:135]|
	v_cndmask_b32_e32 v125, v125, v135, vcc
	v_cndmask_b32_e32 v124, v124, v134, vcc
	;; [unrolled: 1-line block ×3, first 2 shown]
	s_cbranch_scc1 .LBB118_456
.LBB118_457:
	s_waitcnt lgkmcnt(0)
	v_cmp_eq_f64_e32 vcc, 0, v[124:125]
	s_and_saveexec_b64 s[0:1], vcc
	s_xor_b64 s[0:1], exec, s[0:1]
; %bb.458:
	v_cmp_ne_u32_e32 vcc, 0, v132
	v_cndmask_b32_e32 v132, 28, v132, vcc
; %bb.459:
	s_andn2_saveexec_b64 s[0:1], s[0:1]
; %bb.460:
	v_div_scale_f64 v[134:135], s[2:3], v[124:125], v[124:125], 1.0
	v_rcp_f64_e32 v[136:137], v[134:135]
	v_div_scale_f64 v[138:139], vcc, 1.0, v[124:125], 1.0
	v_fma_f64 v[140:141], -v[134:135], v[136:137], 1.0
	v_fmac_f64_e32 v[136:137], v[136:137], v[140:141]
	v_fma_f64 v[140:141], -v[134:135], v[136:137], 1.0
	v_fmac_f64_e32 v[136:137], v[136:137], v[140:141]
	v_mul_f64 v[140:141], v[138:139], v[136:137]
	v_fma_f64 v[134:135], -v[134:135], v[140:141], v[138:139]
	v_div_fmas_f64 v[134:135], v[134:135], v[136:137], v[140:141]
	v_div_fixup_f64 v[124:125], v[134:135], v[124:125], 1.0
; %bb.461:
	s_or_b64 exec, exec, s[0:1]
	v_cmp_ne_u32_e32 vcc, v129, v126
	s_and_saveexec_b64 s[0:1], vcc
	s_xor_b64 s[0:1], exec, s[0:1]
	s_cbranch_execz .LBB118_467
; %bb.462:
	v_cmp_eq_u32_e32 vcc, 27, v129
	s_and_saveexec_b64 s[2:3], vcc
	s_cbranch_execz .LBB118_466
; %bb.463:
	v_cmp_ne_u32_e32 vcc, 27, v126
	s_xor_b64 s[14:15], s[6:7], -1
	s_and_b64 s[16:17], s[14:15], vcc
	s_and_saveexec_b64 s[14:15], s[16:17]
	s_cbranch_execz .LBB118_465
; %bb.464:
	v_ashrrev_i32_e32 v127, 31, v126
	v_lshlrev_b64 v[134:135], 2, v[126:127]
	v_add_co_u32_e32 v134, vcc, v4, v134
	v_addc_co_u32_e32 v135, vcc, v5, v135, vcc
	flat_load_dword v127, v[134:135]
	flat_load_dword v129, v[4:5] offset:108
	s_waitcnt vmcnt(0) lgkmcnt(0)
	flat_store_dword v[4:5], v127 offset:108
	flat_store_dword v[134:135], v129
.LBB118_465:
	s_or_b64 exec, exec, s[14:15]
	v_mov_b32_e32 v127, v126
	v_mov_b32_e32 v129, v126
.LBB118_466:
	s_or_b64 exec, exec, s[2:3]
.LBB118_467:
	s_andn2_saveexec_b64 s[0:1], s[0:1]
	s_cbranch_execz .LBB118_469
; %bb.468:
	v_mov_b32_e32 v134, v64
	v_mov_b32_e32 v135, v65
	v_mov_b32_e32 v136, v62
	v_mov_b32_e32 v137, v63
	ds_write2_b64 v128, v[134:135], v[136:137] offset0:28 offset1:29
	v_mov_b32_e32 v134, v60
	v_mov_b32_e32 v135, v61
	v_mov_b32_e32 v136, v58
	v_mov_b32_e32 v137, v59
	ds_write2_b64 v128, v[134:135], v[136:137] offset0:30 offset1:31
	;; [unrolled: 5-line block ×15, first 2 shown]
	v_mov_b32_e32 v134, v0
	v_mov_b32_e32 v135, v1
	v_mov_b32_e32 v129, 27
	ds_write2_b64 v128, v[134:135], v[122:123] offset0:58 offset1:59
.LBB118_469:
	s_or_b64 exec, exec, s[0:1]
	v_cmp_lt_i32_e32 vcc, 27, v129
	s_waitcnt lgkmcnt(0)
	s_barrier
	s_and_saveexec_b64 s[0:1], vcc
	s_cbranch_execz .LBB118_471
; %bb.470:
	ds_read2_b64 v[134:137], v128 offset0:28 offset1:29
	ds_read2_b64 v[138:141], v128 offset0:30 offset1:31
	v_mul_f64 v[66:67], v[124:125], v[66:67]
	ds_read2_b64 v[142:145], v128 offset0:32 offset1:33
	s_waitcnt lgkmcnt(0)
	v_fma_f64 v[64:65], -v[66:67], v[134:135], v[64:65]
	v_fma_f64 v[62:63], -v[66:67], v[136:137], v[62:63]
	ds_read2_b64 v[134:137], v128 offset0:34 offset1:35
	v_fma_f64 v[60:61], -v[66:67], v[138:139], v[60:61]
	v_fma_f64 v[58:59], -v[66:67], v[140:141], v[58:59]
	;; [unrolled: 1-line block ×3, first 2 shown]
	ds_read2_b64 v[138:141], v128 offset0:36 offset1:37
	v_fma_f64 v[54:55], -v[66:67], v[144:145], v[54:55]
	ds_read2_b64 v[142:145], v128 offset0:38 offset1:39
	s_waitcnt lgkmcnt(0)
	v_fma_f64 v[52:53], -v[66:67], v[134:135], v[52:53]
	v_fma_f64 v[50:51], -v[66:67], v[136:137], v[50:51]
	ds_read2_b64 v[134:137], v128 offset0:40 offset1:41
	v_fma_f64 v[48:49], -v[66:67], v[138:139], v[48:49]
	v_fma_f64 v[46:47], -v[66:67], v[140:141], v[46:47]
	ds_read2_b64 v[138:141], v128 offset0:42 offset1:43
	v_fma_f64 v[44:45], -v[66:67], v[142:143], v[44:45]
	v_fma_f64 v[42:43], -v[66:67], v[144:145], v[42:43]
	s_waitcnt lgkmcnt(0)
	v_fma_f64 v[40:41], -v[66:67], v[134:135], v[40:41]
	ds_read2_b64 v[142:145], v128 offset0:44 offset1:45
	v_fma_f64 v[38:39], -v[66:67], v[136:137], v[38:39]
	ds_read2_b64 v[134:137], v128 offset0:46 offset1:47
	v_fma_f64 v[36:37], -v[66:67], v[138:139], v[36:37]
	v_fma_f64 v[34:35], -v[66:67], v[140:141], v[34:35]
	s_waitcnt lgkmcnt(0)
	v_fma_f64 v[32:33], -v[66:67], v[142:143], v[32:33]
	ds_read2_b64 v[138:141], v128 offset0:48 offset1:49
	v_fma_f64 v[30:31], -v[66:67], v[144:145], v[30:31]
	ds_read2_b64 v[142:145], v128 offset0:50 offset1:51
	v_fma_f64 v[28:29], -v[66:67], v[134:135], v[28:29]
	v_fma_f64 v[26:27], -v[66:67], v[136:137], v[26:27]
	ds_read2_b64 v[134:137], v128 offset0:52 offset1:53
	s_waitcnt lgkmcnt(0)
	v_fma_f64 v[24:25], -v[66:67], v[138:139], v[24:25]
	v_fma_f64 v[22:23], -v[66:67], v[140:141], v[22:23]
	ds_read2_b64 v[138:141], v128 offset0:54 offset1:55
	v_fma_f64 v[20:21], -v[66:67], v[142:143], v[20:21]
	v_fma_f64 v[18:19], -v[66:67], v[144:145], v[18:19]
	;; [unrolled: 1-line block ×3, first 2 shown]
	ds_read2_b64 v[142:145], v128 offset0:56 offset1:57
	v_fma_f64 v[14:15], -v[66:67], v[136:137], v[14:15]
	ds_read2_b64 v[134:137], v128 offset0:58 offset1:59
	s_waitcnt lgkmcnt(0)
	v_fma_f64 v[12:13], -v[66:67], v[138:139], v[12:13]
	v_fma_f64 v[10:11], -v[66:67], v[140:141], v[10:11]
	;; [unrolled: 1-line block ×6, first 2 shown]
.LBB118_471:
	s_or_b64 exec, exec, s[0:1]
	v_lshl_add_u32 v124, v129, 3, v128
	s_barrier
	ds_write_b64 v124, v[64:65]
	s_waitcnt lgkmcnt(0)
	s_barrier
	ds_read_b64 v[124:125], v128 offset:224
	s_cmp_lt_i32 s18, 30
	v_mov_b32_e32 v126, 28
	s_cbranch_scc1 .LBB118_474
; %bb.472:
	v_add_u32_e32 v133, 0xe8, v128
	s_mov_b32 s0, 29
	v_mov_b32_e32 v126, 28
.LBB118_473:                            ; =>This Inner Loop Header: Depth=1
	ds_read_b64 v[134:135], v133
	v_mov_b32_e32 v136, s0
	s_add_i32 s0, s0, 1
	v_add_u32_e32 v133, 8, v133
	s_cmp_lg_u32 s18, s0
	s_waitcnt lgkmcnt(0)
	v_cmp_lt_f64_e64 vcc, |v[124:125]|, |v[134:135]|
	v_cndmask_b32_e32 v125, v125, v135, vcc
	v_cndmask_b32_e32 v124, v124, v134, vcc
	;; [unrolled: 1-line block ×3, first 2 shown]
	s_cbranch_scc1 .LBB118_473
.LBB118_474:
	s_waitcnt lgkmcnt(0)
	v_cmp_eq_f64_e32 vcc, 0, v[124:125]
	s_and_saveexec_b64 s[0:1], vcc
	s_xor_b64 s[0:1], exec, s[0:1]
; %bb.475:
	v_cmp_ne_u32_e32 vcc, 0, v132
	v_cndmask_b32_e32 v132, 29, v132, vcc
; %bb.476:
	s_andn2_saveexec_b64 s[0:1], s[0:1]
; %bb.477:
	v_div_scale_f64 v[134:135], s[2:3], v[124:125], v[124:125], 1.0
	v_rcp_f64_e32 v[136:137], v[134:135]
	v_div_scale_f64 v[138:139], vcc, 1.0, v[124:125], 1.0
	v_fma_f64 v[140:141], -v[134:135], v[136:137], 1.0
	v_fmac_f64_e32 v[136:137], v[136:137], v[140:141]
	v_fma_f64 v[140:141], -v[134:135], v[136:137], 1.0
	v_fmac_f64_e32 v[136:137], v[136:137], v[140:141]
	v_mul_f64 v[140:141], v[138:139], v[136:137]
	v_fma_f64 v[134:135], -v[134:135], v[140:141], v[138:139]
	v_div_fmas_f64 v[134:135], v[134:135], v[136:137], v[140:141]
	v_div_fixup_f64 v[124:125], v[134:135], v[124:125], 1.0
; %bb.478:
	s_or_b64 exec, exec, s[0:1]
	v_cmp_ne_u32_e32 vcc, v129, v126
	s_and_saveexec_b64 s[0:1], vcc
	s_xor_b64 s[0:1], exec, s[0:1]
	s_cbranch_execz .LBB118_484
; %bb.479:
	v_cmp_eq_u32_e32 vcc, 28, v129
	s_and_saveexec_b64 s[2:3], vcc
	s_cbranch_execz .LBB118_483
; %bb.480:
	v_cmp_ne_u32_e32 vcc, 28, v126
	s_xor_b64 s[14:15], s[6:7], -1
	s_and_b64 s[16:17], s[14:15], vcc
	s_and_saveexec_b64 s[14:15], s[16:17]
	s_cbranch_execz .LBB118_482
; %bb.481:
	v_ashrrev_i32_e32 v127, 31, v126
	v_lshlrev_b64 v[134:135], 2, v[126:127]
	v_add_co_u32_e32 v134, vcc, v4, v134
	v_addc_co_u32_e32 v135, vcc, v5, v135, vcc
	flat_load_dword v127, v[134:135]
	flat_load_dword v129, v[4:5] offset:112
	s_waitcnt vmcnt(0) lgkmcnt(0)
	flat_store_dword v[4:5], v127 offset:112
	flat_store_dword v[134:135], v129
.LBB118_482:
	s_or_b64 exec, exec, s[14:15]
	v_mov_b32_e32 v127, v126
	v_mov_b32_e32 v129, v126
.LBB118_483:
	s_or_b64 exec, exec, s[2:3]
.LBB118_484:
	s_andn2_saveexec_b64 s[0:1], s[0:1]
	s_cbranch_execz .LBB118_486
; %bb.485:
	v_mov_b32_e32 v129, 28
	ds_write2_b64 v128, v[62:63], v[60:61] offset0:29 offset1:30
	ds_write2_b64 v128, v[58:59], v[56:57] offset0:31 offset1:32
	;; [unrolled: 1-line block ×15, first 2 shown]
	ds_write_b64 v128, v[122:123] offset:472
.LBB118_486:
	s_or_b64 exec, exec, s[0:1]
	v_cmp_lt_i32_e32 vcc, 28, v129
	s_waitcnt lgkmcnt(0)
	s_barrier
	s_and_saveexec_b64 s[0:1], vcc
	s_cbranch_execz .LBB118_488
; %bb.487:
	ds_read2_b64 v[134:137], v128 offset0:29 offset1:30
	ds_read2_b64 v[138:141], v128 offset0:31 offset1:32
	;; [unrolled: 1-line block ×3, first 2 shown]
	v_mul_f64 v[64:65], v[124:125], v[64:65]
	ds_read_b64 v[124:125], v128 offset:472
	s_waitcnt lgkmcnt(0)
	v_fma_f64 v[62:63], -v[64:65], v[134:135], v[62:63]
	v_fma_f64 v[60:61], -v[64:65], v[136:137], v[60:61]
	ds_read2_b64 v[134:137], v128 offset0:35 offset1:36
	v_fma_f64 v[58:59], -v[64:65], v[138:139], v[58:59]
	v_fma_f64 v[56:57], -v[64:65], v[140:141], v[56:57]
	;; [unrolled: 1-line block ×3, first 2 shown]
	ds_read2_b64 v[138:141], v128 offset0:37 offset1:38
	v_fma_f64 v[52:53], -v[64:65], v[144:145], v[52:53]
	ds_read2_b64 v[142:145], v128 offset0:39 offset1:40
	s_waitcnt lgkmcnt(0)
	v_fma_f64 v[50:51], -v[64:65], v[134:135], v[50:51]
	v_fma_f64 v[48:49], -v[64:65], v[136:137], v[48:49]
	;; [unrolled: 1-line block ×3, first 2 shown]
	ds_read2_b64 v[134:137], v128 offset0:41 offset1:42
	v_fma_f64 v[44:45], -v[64:65], v[140:141], v[44:45]
	ds_read2_b64 v[138:141], v128 offset0:43 offset1:44
	v_fma_f64 v[42:43], -v[64:65], v[142:143], v[42:43]
	v_fma_f64 v[40:41], -v[64:65], v[144:145], v[40:41]
	ds_read2_b64 v[142:145], v128 offset0:45 offset1:46
	s_waitcnt lgkmcnt(0)
	v_fma_f64 v[38:39], -v[64:65], v[134:135], v[38:39]
	v_fma_f64 v[36:37], -v[64:65], v[136:137], v[36:37]
	ds_read2_b64 v[134:137], v128 offset0:47 offset1:48
	v_fma_f64 v[34:35], -v[64:65], v[138:139], v[34:35]
	v_fma_f64 v[32:33], -v[64:65], v[140:141], v[32:33]
	;; [unrolled: 1-line block ×3, first 2 shown]
	ds_read2_b64 v[138:141], v128 offset0:49 offset1:50
	v_fma_f64 v[28:29], -v[64:65], v[144:145], v[28:29]
	ds_read2_b64 v[142:145], v128 offset0:51 offset1:52
	s_waitcnt lgkmcnt(0)
	v_fma_f64 v[26:27], -v[64:65], v[134:135], v[26:27]
	v_fma_f64 v[24:25], -v[64:65], v[136:137], v[24:25]
	;; [unrolled: 1-line block ×3, first 2 shown]
	ds_read2_b64 v[134:137], v128 offset0:53 offset1:54
	v_fma_f64 v[20:21], -v[64:65], v[140:141], v[20:21]
	ds_read2_b64 v[138:141], v128 offset0:55 offset1:56
	v_fma_f64 v[18:19], -v[64:65], v[142:143], v[18:19]
	v_fma_f64 v[16:17], -v[64:65], v[144:145], v[16:17]
	ds_read2_b64 v[142:145], v128 offset0:57 offset1:58
	s_waitcnt lgkmcnt(0)
	v_fma_f64 v[14:15], -v[64:65], v[134:135], v[14:15]
	v_fma_f64 v[12:13], -v[64:65], v[136:137], v[12:13]
	;; [unrolled: 1-line block ×7, first 2 shown]
.LBB118_488:
	s_or_b64 exec, exec, s[0:1]
	v_lshl_add_u32 v124, v129, 3, v128
	s_barrier
	ds_write_b64 v124, v[62:63]
	s_waitcnt lgkmcnt(0)
	s_barrier
	ds_read_b64 v[124:125], v128 offset:232
	s_cmp_lt_i32 s18, 31
	v_mov_b32_e32 v126, 29
	s_cbranch_scc1 .LBB118_491
; %bb.489:
	v_add_u32_e32 v133, 0xf0, v128
	s_mov_b32 s0, 30
	v_mov_b32_e32 v126, 29
.LBB118_490:                            ; =>This Inner Loop Header: Depth=1
	ds_read_b64 v[134:135], v133
	v_mov_b32_e32 v136, s0
	s_add_i32 s0, s0, 1
	v_add_u32_e32 v133, 8, v133
	s_cmp_lg_u32 s18, s0
	s_waitcnt lgkmcnt(0)
	v_cmp_lt_f64_e64 vcc, |v[124:125]|, |v[134:135]|
	v_cndmask_b32_e32 v125, v125, v135, vcc
	v_cndmask_b32_e32 v124, v124, v134, vcc
	;; [unrolled: 1-line block ×3, first 2 shown]
	s_cbranch_scc1 .LBB118_490
.LBB118_491:
	s_waitcnt lgkmcnt(0)
	v_cmp_eq_f64_e32 vcc, 0, v[124:125]
	s_and_saveexec_b64 s[0:1], vcc
	s_xor_b64 s[0:1], exec, s[0:1]
; %bb.492:
	v_cmp_ne_u32_e32 vcc, 0, v132
	v_cndmask_b32_e32 v132, 30, v132, vcc
; %bb.493:
	s_andn2_saveexec_b64 s[0:1], s[0:1]
; %bb.494:
	v_div_scale_f64 v[134:135], s[2:3], v[124:125], v[124:125], 1.0
	v_rcp_f64_e32 v[136:137], v[134:135]
	v_div_scale_f64 v[138:139], vcc, 1.0, v[124:125], 1.0
	v_fma_f64 v[140:141], -v[134:135], v[136:137], 1.0
	v_fmac_f64_e32 v[136:137], v[136:137], v[140:141]
	v_fma_f64 v[140:141], -v[134:135], v[136:137], 1.0
	v_fmac_f64_e32 v[136:137], v[136:137], v[140:141]
	v_mul_f64 v[140:141], v[138:139], v[136:137]
	v_fma_f64 v[134:135], -v[134:135], v[140:141], v[138:139]
	v_div_fmas_f64 v[134:135], v[134:135], v[136:137], v[140:141]
	v_div_fixup_f64 v[124:125], v[134:135], v[124:125], 1.0
; %bb.495:
	s_or_b64 exec, exec, s[0:1]
	v_cmp_ne_u32_e32 vcc, v129, v126
	s_and_saveexec_b64 s[0:1], vcc
	s_xor_b64 s[0:1], exec, s[0:1]
	s_cbranch_execz .LBB118_501
; %bb.496:
	v_cmp_eq_u32_e32 vcc, 29, v129
	s_and_saveexec_b64 s[2:3], vcc
	s_cbranch_execz .LBB118_500
; %bb.497:
	v_cmp_ne_u32_e32 vcc, 29, v126
	s_xor_b64 s[14:15], s[6:7], -1
	s_and_b64 s[16:17], s[14:15], vcc
	s_and_saveexec_b64 s[14:15], s[16:17]
	s_cbranch_execz .LBB118_499
; %bb.498:
	v_ashrrev_i32_e32 v127, 31, v126
	v_lshlrev_b64 v[134:135], 2, v[126:127]
	v_add_co_u32_e32 v134, vcc, v4, v134
	v_addc_co_u32_e32 v135, vcc, v5, v135, vcc
	flat_load_dword v127, v[134:135]
	flat_load_dword v129, v[4:5] offset:116
	s_waitcnt vmcnt(0) lgkmcnt(0)
	flat_store_dword v[4:5], v127 offset:116
	flat_store_dword v[134:135], v129
.LBB118_499:
	s_or_b64 exec, exec, s[14:15]
	v_mov_b32_e32 v127, v126
	v_mov_b32_e32 v129, v126
.LBB118_500:
	s_or_b64 exec, exec, s[2:3]
.LBB118_501:
	s_andn2_saveexec_b64 s[0:1], s[0:1]
	s_cbranch_execz .LBB118_503
; %bb.502:
	v_mov_b32_e32 v134, v60
	v_mov_b32_e32 v135, v61
	v_mov_b32_e32 v136, v58
	v_mov_b32_e32 v137, v59
	ds_write2_b64 v128, v[134:135], v[136:137] offset0:30 offset1:31
	v_mov_b32_e32 v134, v56
	v_mov_b32_e32 v135, v57
	v_mov_b32_e32 v136, v54
	v_mov_b32_e32 v137, v55
	ds_write2_b64 v128, v[134:135], v[136:137] offset0:32 offset1:33
	;; [unrolled: 5-line block ×14, first 2 shown]
	v_mov_b32_e32 v134, v0
	v_mov_b32_e32 v135, v1
	;; [unrolled: 1-line block ×3, first 2 shown]
	ds_write2_b64 v128, v[134:135], v[122:123] offset0:58 offset1:59
.LBB118_503:
	s_or_b64 exec, exec, s[0:1]
	v_cmp_lt_i32_e32 vcc, 29, v129
	s_waitcnt lgkmcnt(0)
	s_barrier
	s_and_saveexec_b64 s[0:1], vcc
	s_cbranch_execz .LBB118_505
; %bb.504:
	ds_read2_b64 v[134:137], v128 offset0:30 offset1:31
	ds_read2_b64 v[138:141], v128 offset0:32 offset1:33
	;; [unrolled: 1-line block ×3, first 2 shown]
	v_mul_f64 v[62:63], v[124:125], v[62:63]
	s_waitcnt lgkmcnt(0)
	v_fma_f64 v[60:61], -v[62:63], v[134:135], v[60:61]
	v_fma_f64 v[58:59], -v[62:63], v[136:137], v[58:59]
	ds_read2_b64 v[134:137], v128 offset0:36 offset1:37
	v_fma_f64 v[56:57], -v[62:63], v[138:139], v[56:57]
	v_fma_f64 v[54:55], -v[62:63], v[140:141], v[54:55]
	;; [unrolled: 1-line block ×3, first 2 shown]
	ds_read2_b64 v[138:141], v128 offset0:38 offset1:39
	v_fma_f64 v[50:51], -v[62:63], v[144:145], v[50:51]
	ds_read2_b64 v[142:145], v128 offset0:40 offset1:41
	s_waitcnt lgkmcnt(0)
	v_fma_f64 v[48:49], -v[62:63], v[134:135], v[48:49]
	v_fma_f64 v[46:47], -v[62:63], v[136:137], v[46:47]
	;; [unrolled: 1-line block ×3, first 2 shown]
	ds_read2_b64 v[134:137], v128 offset0:42 offset1:43
	v_fma_f64 v[42:43], -v[62:63], v[140:141], v[42:43]
	ds_read2_b64 v[138:141], v128 offset0:44 offset1:45
	v_fma_f64 v[40:41], -v[62:63], v[142:143], v[40:41]
	v_fma_f64 v[38:39], -v[62:63], v[144:145], v[38:39]
	ds_read2_b64 v[142:145], v128 offset0:46 offset1:47
	s_waitcnt lgkmcnt(0)
	v_fma_f64 v[36:37], -v[62:63], v[134:135], v[36:37]
	v_fma_f64 v[34:35], -v[62:63], v[136:137], v[34:35]
	ds_read2_b64 v[134:137], v128 offset0:48 offset1:49
	v_fma_f64 v[32:33], -v[62:63], v[138:139], v[32:33]
	v_fma_f64 v[30:31], -v[62:63], v[140:141], v[30:31]
	;; [unrolled: 1-line block ×3, first 2 shown]
	ds_read2_b64 v[138:141], v128 offset0:50 offset1:51
	v_fma_f64 v[26:27], -v[62:63], v[144:145], v[26:27]
	ds_read2_b64 v[142:145], v128 offset0:52 offset1:53
	s_waitcnt lgkmcnt(0)
	v_fma_f64 v[24:25], -v[62:63], v[134:135], v[24:25]
	v_fma_f64 v[22:23], -v[62:63], v[136:137], v[22:23]
	;; [unrolled: 1-line block ×4, first 2 shown]
	ds_read2_b64 v[134:137], v128 offset0:54 offset1:55
	ds_read2_b64 v[138:141], v128 offset0:56 offset1:57
	v_fma_f64 v[16:17], -v[62:63], v[142:143], v[16:17]
	v_fma_f64 v[14:15], -v[62:63], v[144:145], v[14:15]
	ds_read2_b64 v[142:145], v128 offset0:58 offset1:59
	s_waitcnt lgkmcnt(0)
	v_fma_f64 v[12:13], -v[62:63], v[134:135], v[12:13]
	v_fma_f64 v[10:11], -v[62:63], v[136:137], v[10:11]
	;; [unrolled: 1-line block ×6, first 2 shown]
.LBB118_505:
	s_or_b64 exec, exec, s[0:1]
	v_lshl_add_u32 v124, v129, 3, v128
	s_barrier
	ds_write_b64 v124, v[60:61]
	s_waitcnt lgkmcnt(0)
	s_barrier
	ds_read_b64 v[124:125], v128 offset:240
	s_cmp_lt_i32 s18, 32
	v_mov_b32_e32 v126, 30
	s_cbranch_scc1 .LBB118_508
; %bb.506:
	v_add_u32_e32 v133, 0xf8, v128
	s_mov_b32 s0, 31
	v_mov_b32_e32 v126, 30
.LBB118_507:                            ; =>This Inner Loop Header: Depth=1
	ds_read_b64 v[134:135], v133
	v_mov_b32_e32 v136, s0
	s_add_i32 s0, s0, 1
	v_add_u32_e32 v133, 8, v133
	s_cmp_lg_u32 s18, s0
	s_waitcnt lgkmcnt(0)
	v_cmp_lt_f64_e64 vcc, |v[124:125]|, |v[134:135]|
	v_cndmask_b32_e32 v125, v125, v135, vcc
	v_cndmask_b32_e32 v124, v124, v134, vcc
	;; [unrolled: 1-line block ×3, first 2 shown]
	s_cbranch_scc1 .LBB118_507
.LBB118_508:
	s_waitcnt lgkmcnt(0)
	v_cmp_eq_f64_e32 vcc, 0, v[124:125]
	s_and_saveexec_b64 s[0:1], vcc
	s_xor_b64 s[0:1], exec, s[0:1]
; %bb.509:
	v_cmp_ne_u32_e32 vcc, 0, v132
	v_cndmask_b32_e32 v132, 31, v132, vcc
; %bb.510:
	s_andn2_saveexec_b64 s[0:1], s[0:1]
; %bb.511:
	v_div_scale_f64 v[134:135], s[2:3], v[124:125], v[124:125], 1.0
	v_rcp_f64_e32 v[136:137], v[134:135]
	v_div_scale_f64 v[138:139], vcc, 1.0, v[124:125], 1.0
	v_fma_f64 v[140:141], -v[134:135], v[136:137], 1.0
	v_fmac_f64_e32 v[136:137], v[136:137], v[140:141]
	v_fma_f64 v[140:141], -v[134:135], v[136:137], 1.0
	v_fmac_f64_e32 v[136:137], v[136:137], v[140:141]
	v_mul_f64 v[140:141], v[138:139], v[136:137]
	v_fma_f64 v[134:135], -v[134:135], v[140:141], v[138:139]
	v_div_fmas_f64 v[134:135], v[134:135], v[136:137], v[140:141]
	v_div_fixup_f64 v[124:125], v[134:135], v[124:125], 1.0
; %bb.512:
	s_or_b64 exec, exec, s[0:1]
	v_cmp_ne_u32_e32 vcc, v129, v126
	s_and_saveexec_b64 s[0:1], vcc
	s_xor_b64 s[0:1], exec, s[0:1]
	s_cbranch_execz .LBB118_518
; %bb.513:
	v_cmp_eq_u32_e32 vcc, 30, v129
	s_and_saveexec_b64 s[2:3], vcc
	s_cbranch_execz .LBB118_517
; %bb.514:
	v_cmp_ne_u32_e32 vcc, 30, v126
	s_xor_b64 s[14:15], s[6:7], -1
	s_and_b64 s[16:17], s[14:15], vcc
	s_and_saveexec_b64 s[14:15], s[16:17]
	s_cbranch_execz .LBB118_516
; %bb.515:
	v_ashrrev_i32_e32 v127, 31, v126
	v_lshlrev_b64 v[134:135], 2, v[126:127]
	v_add_co_u32_e32 v134, vcc, v4, v134
	v_addc_co_u32_e32 v135, vcc, v5, v135, vcc
	flat_load_dword v127, v[134:135]
	flat_load_dword v129, v[4:5] offset:120
	s_waitcnt vmcnt(0) lgkmcnt(0)
	flat_store_dword v[4:5], v127 offset:120
	flat_store_dword v[134:135], v129
.LBB118_516:
	s_or_b64 exec, exec, s[14:15]
	v_mov_b32_e32 v127, v126
	v_mov_b32_e32 v129, v126
.LBB118_517:
	s_or_b64 exec, exec, s[2:3]
.LBB118_518:
	s_andn2_saveexec_b64 s[0:1], s[0:1]
	s_cbranch_execz .LBB118_520
; %bb.519:
	v_mov_b32_e32 v129, 30
	ds_write2_b64 v128, v[58:59], v[56:57] offset0:31 offset1:32
	ds_write2_b64 v128, v[54:55], v[52:53] offset0:33 offset1:34
	;; [unrolled: 1-line block ×14, first 2 shown]
	ds_write_b64 v128, v[122:123] offset:472
.LBB118_520:
	s_or_b64 exec, exec, s[0:1]
	v_cmp_lt_i32_e32 vcc, 30, v129
	s_waitcnt lgkmcnt(0)
	s_barrier
	s_and_saveexec_b64 s[0:1], vcc
	s_cbranch_execz .LBB118_522
; %bb.521:
	ds_read2_b64 v[134:137], v128 offset0:31 offset1:32
	ds_read2_b64 v[138:141], v128 offset0:33 offset1:34
	v_mul_f64 v[60:61], v[124:125], v[60:61]
	ds_read2_b64 v[142:145], v128 offset0:35 offset1:36
	ds_read_b64 v[124:125], v128 offset:472
	s_waitcnt lgkmcnt(0)
	v_fma_f64 v[58:59], -v[60:61], v[134:135], v[58:59]
	v_fma_f64 v[56:57], -v[60:61], v[136:137], v[56:57]
	ds_read2_b64 v[134:137], v128 offset0:37 offset1:38
	v_fma_f64 v[54:55], -v[60:61], v[138:139], v[54:55]
	v_fma_f64 v[52:53], -v[60:61], v[140:141], v[52:53]
	ds_read2_b64 v[138:141], v128 offset0:39 offset1:40
	;; [unrolled: 3-line block ×3, first 2 shown]
	s_waitcnt lgkmcnt(0)
	v_fma_f64 v[46:47], -v[60:61], v[134:135], v[46:47]
	v_fma_f64 v[44:45], -v[60:61], v[136:137], v[44:45]
	;; [unrolled: 1-line block ×3, first 2 shown]
	ds_read2_b64 v[134:137], v128 offset0:43 offset1:44
	v_fma_f64 v[40:41], -v[60:61], v[140:141], v[40:41]
	ds_read2_b64 v[138:141], v128 offset0:45 offset1:46
	v_fma_f64 v[38:39], -v[60:61], v[142:143], v[38:39]
	v_fma_f64 v[36:37], -v[60:61], v[144:145], v[36:37]
	s_waitcnt lgkmcnt(0)
	v_fma_f64 v[34:35], -v[60:61], v[134:135], v[34:35]
	ds_read2_b64 v[142:145], v128 offset0:47 offset1:48
	v_fma_f64 v[32:33], -v[60:61], v[136:137], v[32:33]
	ds_read2_b64 v[134:137], v128 offset0:49 offset1:50
	v_fma_f64 v[30:31], -v[60:61], v[138:139], v[30:31]
	v_fma_f64 v[28:29], -v[60:61], v[140:141], v[28:29]
	ds_read2_b64 v[138:141], v128 offset0:51 offset1:52
	s_waitcnt lgkmcnt(0)
	v_fma_f64 v[26:27], -v[60:61], v[142:143], v[26:27]
	v_fma_f64 v[24:25], -v[60:61], v[144:145], v[24:25]
	ds_read2_b64 v[142:145], v128 offset0:53 offset1:54
	v_fma_f64 v[22:23], -v[60:61], v[134:135], v[22:23]
	v_fma_f64 v[20:21], -v[60:61], v[136:137], v[20:21]
	;; [unrolled: 1-line block ×4, first 2 shown]
	ds_read2_b64 v[134:137], v128 offset0:55 offset1:56
	ds_read2_b64 v[138:141], v128 offset0:57 offset1:58
	s_waitcnt lgkmcnt(0)
	v_fma_f64 v[14:15], -v[60:61], v[142:143], v[14:15]
	v_fma_f64 v[12:13], -v[60:61], v[144:145], v[12:13]
	;; [unrolled: 1-line block ×7, first 2 shown]
.LBB118_522:
	s_or_b64 exec, exec, s[0:1]
	v_lshl_add_u32 v124, v129, 3, v128
	s_barrier
	ds_write_b64 v124, v[58:59]
	s_waitcnt lgkmcnt(0)
	s_barrier
	ds_read_b64 v[124:125], v128 offset:248
	s_cmp_lt_i32 s18, 33
	v_mov_b32_e32 v126, 31
	s_cbranch_scc1 .LBB118_525
; %bb.523:
	v_add_u32_e32 v133, 0x100, v128
	s_mov_b32 s0, 32
	v_mov_b32_e32 v126, 31
.LBB118_524:                            ; =>This Inner Loop Header: Depth=1
	ds_read_b64 v[134:135], v133
	v_mov_b32_e32 v136, s0
	s_add_i32 s0, s0, 1
	v_add_u32_e32 v133, 8, v133
	s_cmp_lg_u32 s18, s0
	s_waitcnt lgkmcnt(0)
	v_cmp_lt_f64_e64 vcc, |v[124:125]|, |v[134:135]|
	v_cndmask_b32_e32 v125, v125, v135, vcc
	v_cndmask_b32_e32 v124, v124, v134, vcc
	;; [unrolled: 1-line block ×3, first 2 shown]
	s_cbranch_scc1 .LBB118_524
.LBB118_525:
	s_waitcnt lgkmcnt(0)
	v_cmp_eq_f64_e32 vcc, 0, v[124:125]
	s_and_saveexec_b64 s[0:1], vcc
	s_xor_b64 s[0:1], exec, s[0:1]
; %bb.526:
	v_cmp_ne_u32_e32 vcc, 0, v132
	v_cndmask_b32_e32 v132, 32, v132, vcc
; %bb.527:
	s_andn2_saveexec_b64 s[0:1], s[0:1]
; %bb.528:
	v_div_scale_f64 v[134:135], s[2:3], v[124:125], v[124:125], 1.0
	v_rcp_f64_e32 v[136:137], v[134:135]
	v_div_scale_f64 v[138:139], vcc, 1.0, v[124:125], 1.0
	v_fma_f64 v[140:141], -v[134:135], v[136:137], 1.0
	v_fmac_f64_e32 v[136:137], v[136:137], v[140:141]
	v_fma_f64 v[140:141], -v[134:135], v[136:137], 1.0
	v_fmac_f64_e32 v[136:137], v[136:137], v[140:141]
	v_mul_f64 v[140:141], v[138:139], v[136:137]
	v_fma_f64 v[134:135], -v[134:135], v[140:141], v[138:139]
	v_div_fmas_f64 v[134:135], v[134:135], v[136:137], v[140:141]
	v_div_fixup_f64 v[124:125], v[134:135], v[124:125], 1.0
; %bb.529:
	s_or_b64 exec, exec, s[0:1]
	v_cmp_ne_u32_e32 vcc, v129, v126
	s_and_saveexec_b64 s[0:1], vcc
	s_xor_b64 s[0:1], exec, s[0:1]
	s_cbranch_execz .LBB118_535
; %bb.530:
	v_cmp_eq_u32_e32 vcc, 31, v129
	s_and_saveexec_b64 s[2:3], vcc
	s_cbranch_execz .LBB118_534
; %bb.531:
	v_cmp_ne_u32_e32 vcc, 31, v126
	s_xor_b64 s[14:15], s[6:7], -1
	s_and_b64 s[16:17], s[14:15], vcc
	s_and_saveexec_b64 s[14:15], s[16:17]
	s_cbranch_execz .LBB118_533
; %bb.532:
	v_ashrrev_i32_e32 v127, 31, v126
	v_lshlrev_b64 v[134:135], 2, v[126:127]
	v_add_co_u32_e32 v134, vcc, v4, v134
	v_addc_co_u32_e32 v135, vcc, v5, v135, vcc
	flat_load_dword v127, v[134:135]
	flat_load_dword v129, v[4:5] offset:124
	s_waitcnt vmcnt(0) lgkmcnt(0)
	flat_store_dword v[4:5], v127 offset:124
	flat_store_dword v[134:135], v129
.LBB118_533:
	s_or_b64 exec, exec, s[14:15]
	v_mov_b32_e32 v127, v126
	v_mov_b32_e32 v129, v126
.LBB118_534:
	s_or_b64 exec, exec, s[2:3]
.LBB118_535:
	s_andn2_saveexec_b64 s[0:1], s[0:1]
	s_cbranch_execz .LBB118_537
; %bb.536:
	v_mov_b32_e32 v134, v56
	v_mov_b32_e32 v135, v57
	v_mov_b32_e32 v136, v54
	v_mov_b32_e32 v137, v55
	ds_write2_b64 v128, v[134:135], v[136:137] offset0:32 offset1:33
	v_mov_b32_e32 v134, v52
	v_mov_b32_e32 v135, v53
	v_mov_b32_e32 v136, v50
	v_mov_b32_e32 v137, v51
	ds_write2_b64 v128, v[134:135], v[136:137] offset0:34 offset1:35
	;; [unrolled: 5-line block ×13, first 2 shown]
	v_mov_b32_e32 v134, v0
	v_mov_b32_e32 v135, v1
	v_mov_b32_e32 v129, 31
	ds_write2_b64 v128, v[134:135], v[122:123] offset0:58 offset1:59
.LBB118_537:
	s_or_b64 exec, exec, s[0:1]
	v_cmp_lt_i32_e32 vcc, 31, v129
	s_waitcnt lgkmcnt(0)
	s_barrier
	s_and_saveexec_b64 s[0:1], vcc
	s_cbranch_execz .LBB118_539
; %bb.538:
	ds_read2_b64 v[134:137], v128 offset0:32 offset1:33
	ds_read2_b64 v[138:141], v128 offset0:34 offset1:35
	v_mul_f64 v[58:59], v[124:125], v[58:59]
	ds_read2_b64 v[142:145], v128 offset0:36 offset1:37
	s_waitcnt lgkmcnt(0)
	v_fma_f64 v[56:57], -v[58:59], v[134:135], v[56:57]
	v_fma_f64 v[54:55], -v[58:59], v[136:137], v[54:55]
	ds_read2_b64 v[134:137], v128 offset0:38 offset1:39
	v_fma_f64 v[52:53], -v[58:59], v[138:139], v[52:53]
	v_fma_f64 v[50:51], -v[58:59], v[140:141], v[50:51]
	ds_read2_b64 v[138:141], v128 offset0:40 offset1:41
	;; [unrolled: 3-line block ×3, first 2 shown]
	s_waitcnt lgkmcnt(0)
	v_fma_f64 v[44:45], -v[58:59], v[134:135], v[44:45]
	v_fma_f64 v[42:43], -v[58:59], v[136:137], v[42:43]
	;; [unrolled: 1-line block ×3, first 2 shown]
	ds_read2_b64 v[134:137], v128 offset0:44 offset1:45
	v_fma_f64 v[38:39], -v[58:59], v[140:141], v[38:39]
	ds_read2_b64 v[138:141], v128 offset0:46 offset1:47
	v_fma_f64 v[36:37], -v[58:59], v[142:143], v[36:37]
	v_fma_f64 v[34:35], -v[58:59], v[144:145], v[34:35]
	s_waitcnt lgkmcnt(0)
	v_fma_f64 v[32:33], -v[58:59], v[134:135], v[32:33]
	ds_read2_b64 v[142:145], v128 offset0:48 offset1:49
	v_fma_f64 v[30:31], -v[58:59], v[136:137], v[30:31]
	ds_read2_b64 v[134:137], v128 offset0:50 offset1:51
	v_fma_f64 v[28:29], -v[58:59], v[138:139], v[28:29]
	v_fma_f64 v[26:27], -v[58:59], v[140:141], v[26:27]
	ds_read2_b64 v[138:141], v128 offset0:52 offset1:53
	s_waitcnt lgkmcnt(0)
	v_fma_f64 v[24:25], -v[58:59], v[142:143], v[24:25]
	v_fma_f64 v[22:23], -v[58:59], v[144:145], v[22:23]
	;; [unrolled: 1-line block ×4, first 2 shown]
	ds_read2_b64 v[134:137], v128 offset0:54 offset1:55
	v_fma_f64 v[16:17], -v[58:59], v[138:139], v[16:17]
	ds_read2_b64 v[142:145], v128 offset0:56 offset1:57
	v_fma_f64 v[14:15], -v[58:59], v[140:141], v[14:15]
	ds_read2_b64 v[138:141], v128 offset0:58 offset1:59
	s_waitcnt lgkmcnt(0)
	v_fma_f64 v[12:13], -v[58:59], v[134:135], v[12:13]
	v_fma_f64 v[10:11], -v[58:59], v[136:137], v[10:11]
	;; [unrolled: 1-line block ×6, first 2 shown]
.LBB118_539:
	s_or_b64 exec, exec, s[0:1]
	v_lshl_add_u32 v124, v129, 3, v128
	s_barrier
	ds_write_b64 v124, v[56:57]
	s_waitcnt lgkmcnt(0)
	s_barrier
	ds_read_b64 v[124:125], v128 offset:256
	s_cmp_lt_i32 s18, 34
	v_mov_b32_e32 v126, 32
	s_cbranch_scc1 .LBB118_542
; %bb.540:
	v_add_u32_e32 v133, 0x108, v128
	s_mov_b32 s0, 33
	v_mov_b32_e32 v126, 32
.LBB118_541:                            ; =>This Inner Loop Header: Depth=1
	ds_read_b64 v[134:135], v133
	v_mov_b32_e32 v136, s0
	s_add_i32 s0, s0, 1
	v_add_u32_e32 v133, 8, v133
	s_cmp_lg_u32 s18, s0
	s_waitcnt lgkmcnt(0)
	v_cmp_lt_f64_e64 vcc, |v[124:125]|, |v[134:135]|
	v_cndmask_b32_e32 v125, v125, v135, vcc
	v_cndmask_b32_e32 v124, v124, v134, vcc
	;; [unrolled: 1-line block ×3, first 2 shown]
	s_cbranch_scc1 .LBB118_541
.LBB118_542:
	s_waitcnt lgkmcnt(0)
	v_cmp_eq_f64_e32 vcc, 0, v[124:125]
	s_and_saveexec_b64 s[0:1], vcc
	s_xor_b64 s[0:1], exec, s[0:1]
; %bb.543:
	v_cmp_ne_u32_e32 vcc, 0, v132
	v_cndmask_b32_e32 v132, 33, v132, vcc
; %bb.544:
	s_andn2_saveexec_b64 s[0:1], s[0:1]
; %bb.545:
	v_div_scale_f64 v[134:135], s[2:3], v[124:125], v[124:125], 1.0
	v_rcp_f64_e32 v[136:137], v[134:135]
	v_div_scale_f64 v[138:139], vcc, 1.0, v[124:125], 1.0
	v_fma_f64 v[140:141], -v[134:135], v[136:137], 1.0
	v_fmac_f64_e32 v[136:137], v[136:137], v[140:141]
	v_fma_f64 v[140:141], -v[134:135], v[136:137], 1.0
	v_fmac_f64_e32 v[136:137], v[136:137], v[140:141]
	v_mul_f64 v[140:141], v[138:139], v[136:137]
	v_fma_f64 v[134:135], -v[134:135], v[140:141], v[138:139]
	v_div_fmas_f64 v[134:135], v[134:135], v[136:137], v[140:141]
	v_div_fixup_f64 v[124:125], v[134:135], v[124:125], 1.0
; %bb.546:
	s_or_b64 exec, exec, s[0:1]
	v_cmp_ne_u32_e32 vcc, v129, v126
	s_and_saveexec_b64 s[0:1], vcc
	s_xor_b64 s[0:1], exec, s[0:1]
	s_cbranch_execz .LBB118_552
; %bb.547:
	v_cmp_eq_u32_e32 vcc, 32, v129
	s_and_saveexec_b64 s[2:3], vcc
	s_cbranch_execz .LBB118_551
; %bb.548:
	v_cmp_ne_u32_e32 vcc, 32, v126
	s_xor_b64 s[14:15], s[6:7], -1
	s_and_b64 s[16:17], s[14:15], vcc
	s_and_saveexec_b64 s[14:15], s[16:17]
	s_cbranch_execz .LBB118_550
; %bb.549:
	v_ashrrev_i32_e32 v127, 31, v126
	v_lshlrev_b64 v[134:135], 2, v[126:127]
	v_add_co_u32_e32 v134, vcc, v4, v134
	v_addc_co_u32_e32 v135, vcc, v5, v135, vcc
	flat_load_dword v127, v[134:135]
	flat_load_dword v129, v[4:5] offset:128
	s_waitcnt vmcnt(0) lgkmcnt(0)
	flat_store_dword v[4:5], v127 offset:128
	flat_store_dword v[134:135], v129
.LBB118_550:
	s_or_b64 exec, exec, s[14:15]
	v_mov_b32_e32 v127, v126
	v_mov_b32_e32 v129, v126
.LBB118_551:
	s_or_b64 exec, exec, s[2:3]
.LBB118_552:
	s_andn2_saveexec_b64 s[0:1], s[0:1]
	s_cbranch_execz .LBB118_554
; %bb.553:
	v_mov_b32_e32 v129, 32
	ds_write2_b64 v128, v[54:55], v[52:53] offset0:33 offset1:34
	ds_write2_b64 v128, v[50:51], v[48:49] offset0:35 offset1:36
	;; [unrolled: 1-line block ×13, first 2 shown]
	ds_write_b64 v128, v[122:123] offset:472
.LBB118_554:
	s_or_b64 exec, exec, s[0:1]
	v_cmp_lt_i32_e32 vcc, 32, v129
	s_waitcnt lgkmcnt(0)
	s_barrier
	s_and_saveexec_b64 s[0:1], vcc
	s_cbranch_execz .LBB118_556
; %bb.555:
	ds_read2_b64 v[134:137], v128 offset0:33 offset1:34
	ds_read2_b64 v[138:141], v128 offset0:35 offset1:36
	v_mul_f64 v[56:57], v[124:125], v[56:57]
	ds_read2_b64 v[142:145], v128 offset0:37 offset1:38
	ds_read_b64 v[124:125], v128 offset:472
	s_waitcnt lgkmcnt(0)
	v_fma_f64 v[54:55], -v[56:57], v[134:135], v[54:55]
	v_fma_f64 v[52:53], -v[56:57], v[136:137], v[52:53]
	ds_read2_b64 v[134:137], v128 offset0:39 offset1:40
	v_fma_f64 v[50:51], -v[56:57], v[138:139], v[50:51]
	v_fma_f64 v[48:49], -v[56:57], v[140:141], v[48:49]
	;; [unrolled: 1-line block ×3, first 2 shown]
	ds_read2_b64 v[138:141], v128 offset0:41 offset1:42
	v_fma_f64 v[44:45], -v[56:57], v[144:145], v[44:45]
	ds_read2_b64 v[142:145], v128 offset0:43 offset1:44
	s_waitcnt lgkmcnt(0)
	v_fma_f64 v[42:43], -v[56:57], v[134:135], v[42:43]
	v_fma_f64 v[40:41], -v[56:57], v[136:137], v[40:41]
	ds_read2_b64 v[134:137], v128 offset0:45 offset1:46
	v_fma_f64 v[38:39], -v[56:57], v[138:139], v[38:39]
	v_fma_f64 v[36:37], -v[56:57], v[140:141], v[36:37]
	ds_read2_b64 v[138:141], v128 offset0:47 offset1:48
	v_fma_f64 v[34:35], -v[56:57], v[142:143], v[34:35]
	v_fma_f64 v[32:33], -v[56:57], v[144:145], v[32:33]
	s_waitcnt lgkmcnt(0)
	v_fma_f64 v[30:31], -v[56:57], v[134:135], v[30:31]
	ds_read2_b64 v[142:145], v128 offset0:49 offset1:50
	v_fma_f64 v[28:29], -v[56:57], v[136:137], v[28:29]
	ds_read2_b64 v[134:137], v128 offset0:51 offset1:52
	v_fma_f64 v[26:27], -v[56:57], v[138:139], v[26:27]
	v_fma_f64 v[24:25], -v[56:57], v[140:141], v[24:25]
	s_waitcnt lgkmcnt(0)
	v_fma_f64 v[22:23], -v[56:57], v[142:143], v[22:23]
	ds_read2_b64 v[138:141], v128 offset0:53 offset1:54
	v_fma_f64 v[20:21], -v[56:57], v[144:145], v[20:21]
	v_fma_f64 v[18:19], -v[56:57], v[134:135], v[18:19]
	;; [unrolled: 1-line block ×3, first 2 shown]
	ds_read2_b64 v[134:137], v128 offset0:55 offset1:56
	ds_read2_b64 v[142:145], v128 offset0:57 offset1:58
	s_waitcnt lgkmcnt(0)
	v_fma_f64 v[14:15], -v[56:57], v[138:139], v[14:15]
	v_fma_f64 v[12:13], -v[56:57], v[140:141], v[12:13]
	;; [unrolled: 1-line block ×7, first 2 shown]
.LBB118_556:
	s_or_b64 exec, exec, s[0:1]
	v_lshl_add_u32 v124, v129, 3, v128
	s_barrier
	ds_write_b64 v124, v[54:55]
	s_waitcnt lgkmcnt(0)
	s_barrier
	ds_read_b64 v[124:125], v128 offset:264
	s_cmp_lt_i32 s18, 35
	v_mov_b32_e32 v126, 33
	s_cbranch_scc1 .LBB118_559
; %bb.557:
	v_add_u32_e32 v133, 0x110, v128
	s_mov_b32 s0, 34
	v_mov_b32_e32 v126, 33
.LBB118_558:                            ; =>This Inner Loop Header: Depth=1
	ds_read_b64 v[134:135], v133
	v_mov_b32_e32 v136, s0
	s_add_i32 s0, s0, 1
	v_add_u32_e32 v133, 8, v133
	s_cmp_lg_u32 s18, s0
	s_waitcnt lgkmcnt(0)
	v_cmp_lt_f64_e64 vcc, |v[124:125]|, |v[134:135]|
	v_cndmask_b32_e32 v125, v125, v135, vcc
	v_cndmask_b32_e32 v124, v124, v134, vcc
	;; [unrolled: 1-line block ×3, first 2 shown]
	s_cbranch_scc1 .LBB118_558
.LBB118_559:
	s_waitcnt lgkmcnt(0)
	v_cmp_eq_f64_e32 vcc, 0, v[124:125]
	s_and_saveexec_b64 s[0:1], vcc
	s_xor_b64 s[0:1], exec, s[0:1]
; %bb.560:
	v_cmp_ne_u32_e32 vcc, 0, v132
	v_cndmask_b32_e32 v132, 34, v132, vcc
; %bb.561:
	s_andn2_saveexec_b64 s[0:1], s[0:1]
; %bb.562:
	v_div_scale_f64 v[134:135], s[2:3], v[124:125], v[124:125], 1.0
	v_rcp_f64_e32 v[136:137], v[134:135]
	v_div_scale_f64 v[138:139], vcc, 1.0, v[124:125], 1.0
	v_fma_f64 v[140:141], -v[134:135], v[136:137], 1.0
	v_fmac_f64_e32 v[136:137], v[136:137], v[140:141]
	v_fma_f64 v[140:141], -v[134:135], v[136:137], 1.0
	v_fmac_f64_e32 v[136:137], v[136:137], v[140:141]
	v_mul_f64 v[140:141], v[138:139], v[136:137]
	v_fma_f64 v[134:135], -v[134:135], v[140:141], v[138:139]
	v_div_fmas_f64 v[134:135], v[134:135], v[136:137], v[140:141]
	v_div_fixup_f64 v[124:125], v[134:135], v[124:125], 1.0
; %bb.563:
	s_or_b64 exec, exec, s[0:1]
	v_cmp_ne_u32_e32 vcc, v129, v126
	s_and_saveexec_b64 s[0:1], vcc
	s_xor_b64 s[0:1], exec, s[0:1]
	s_cbranch_execz .LBB118_569
; %bb.564:
	v_cmp_eq_u32_e32 vcc, 33, v129
	s_and_saveexec_b64 s[2:3], vcc
	s_cbranch_execz .LBB118_568
; %bb.565:
	v_cmp_ne_u32_e32 vcc, 33, v126
	s_xor_b64 s[14:15], s[6:7], -1
	s_and_b64 s[16:17], s[14:15], vcc
	s_and_saveexec_b64 s[14:15], s[16:17]
	s_cbranch_execz .LBB118_567
; %bb.566:
	v_ashrrev_i32_e32 v127, 31, v126
	v_lshlrev_b64 v[134:135], 2, v[126:127]
	v_add_co_u32_e32 v134, vcc, v4, v134
	v_addc_co_u32_e32 v135, vcc, v5, v135, vcc
	flat_load_dword v127, v[134:135]
	flat_load_dword v129, v[4:5] offset:132
	s_waitcnt vmcnt(0) lgkmcnt(0)
	flat_store_dword v[4:5], v127 offset:132
	flat_store_dword v[134:135], v129
.LBB118_567:
	s_or_b64 exec, exec, s[14:15]
	v_mov_b32_e32 v127, v126
	v_mov_b32_e32 v129, v126
.LBB118_568:
	s_or_b64 exec, exec, s[2:3]
.LBB118_569:
	s_andn2_saveexec_b64 s[0:1], s[0:1]
	s_cbranch_execz .LBB118_571
; %bb.570:
	v_mov_b32_e32 v134, v52
	v_mov_b32_e32 v135, v53
	v_mov_b32_e32 v136, v50
	v_mov_b32_e32 v137, v51
	ds_write2_b64 v128, v[134:135], v[136:137] offset0:34 offset1:35
	v_mov_b32_e32 v134, v48
	v_mov_b32_e32 v135, v49
	v_mov_b32_e32 v136, v46
	v_mov_b32_e32 v137, v47
	ds_write2_b64 v128, v[134:135], v[136:137] offset0:36 offset1:37
	;; [unrolled: 5-line block ×12, first 2 shown]
	v_mov_b32_e32 v134, v0
	v_mov_b32_e32 v135, v1
	;; [unrolled: 1-line block ×3, first 2 shown]
	ds_write2_b64 v128, v[134:135], v[122:123] offset0:58 offset1:59
.LBB118_571:
	s_or_b64 exec, exec, s[0:1]
	v_cmp_lt_i32_e32 vcc, 33, v129
	s_waitcnt lgkmcnt(0)
	s_barrier
	s_and_saveexec_b64 s[0:1], vcc
	s_cbranch_execz .LBB118_573
; %bb.572:
	ds_read2_b64 v[134:137], v128 offset0:34 offset1:35
	ds_read2_b64 v[138:141], v128 offset0:36 offset1:37
	v_mul_f64 v[54:55], v[124:125], v[54:55]
	ds_read2_b64 v[142:145], v128 offset0:38 offset1:39
	s_waitcnt lgkmcnt(0)
	v_fma_f64 v[52:53], -v[54:55], v[134:135], v[52:53]
	v_fma_f64 v[50:51], -v[54:55], v[136:137], v[50:51]
	ds_read2_b64 v[134:137], v128 offset0:40 offset1:41
	v_fma_f64 v[48:49], -v[54:55], v[138:139], v[48:49]
	v_fma_f64 v[46:47], -v[54:55], v[140:141], v[46:47]
	;; [unrolled: 1-line block ×3, first 2 shown]
	ds_read2_b64 v[138:141], v128 offset0:42 offset1:43
	v_fma_f64 v[42:43], -v[54:55], v[144:145], v[42:43]
	ds_read2_b64 v[142:145], v128 offset0:44 offset1:45
	s_waitcnt lgkmcnt(0)
	v_fma_f64 v[40:41], -v[54:55], v[134:135], v[40:41]
	v_fma_f64 v[38:39], -v[54:55], v[136:137], v[38:39]
	ds_read2_b64 v[134:137], v128 offset0:46 offset1:47
	v_fma_f64 v[36:37], -v[54:55], v[138:139], v[36:37]
	v_fma_f64 v[34:35], -v[54:55], v[140:141], v[34:35]
	ds_read2_b64 v[138:141], v128 offset0:48 offset1:49
	v_fma_f64 v[32:33], -v[54:55], v[142:143], v[32:33]
	v_fma_f64 v[30:31], -v[54:55], v[144:145], v[30:31]
	s_waitcnt lgkmcnt(0)
	v_fma_f64 v[28:29], -v[54:55], v[134:135], v[28:29]
	ds_read2_b64 v[142:145], v128 offset0:50 offset1:51
	v_fma_f64 v[26:27], -v[54:55], v[136:137], v[26:27]
	ds_read2_b64 v[134:137], v128 offset0:52 offset1:53
	v_fma_f64 v[24:25], -v[54:55], v[138:139], v[24:25]
	v_fma_f64 v[22:23], -v[54:55], v[140:141], v[22:23]
	s_waitcnt lgkmcnt(0)
	v_fma_f64 v[20:21], -v[54:55], v[142:143], v[20:21]
	v_fma_f64 v[18:19], -v[54:55], v[144:145], v[18:19]
	ds_read2_b64 v[138:141], v128 offset0:54 offset1:55
	ds_read2_b64 v[142:145], v128 offset0:56 offset1:57
	v_fma_f64 v[16:17], -v[54:55], v[134:135], v[16:17]
	v_fma_f64 v[14:15], -v[54:55], v[136:137], v[14:15]
	ds_read2_b64 v[134:137], v128 offset0:58 offset1:59
	s_waitcnt lgkmcnt(0)
	v_fma_f64 v[12:13], -v[54:55], v[138:139], v[12:13]
	v_fma_f64 v[10:11], -v[54:55], v[140:141], v[10:11]
	;; [unrolled: 1-line block ×6, first 2 shown]
.LBB118_573:
	s_or_b64 exec, exec, s[0:1]
	v_lshl_add_u32 v124, v129, 3, v128
	s_barrier
	ds_write_b64 v124, v[52:53]
	s_waitcnt lgkmcnt(0)
	s_barrier
	ds_read_b64 v[124:125], v128 offset:272
	s_cmp_lt_i32 s18, 36
	v_mov_b32_e32 v126, 34
	s_cbranch_scc1 .LBB118_576
; %bb.574:
	v_add_u32_e32 v133, 0x118, v128
	s_mov_b32 s0, 35
	v_mov_b32_e32 v126, 34
.LBB118_575:                            ; =>This Inner Loop Header: Depth=1
	ds_read_b64 v[134:135], v133
	v_mov_b32_e32 v136, s0
	s_add_i32 s0, s0, 1
	v_add_u32_e32 v133, 8, v133
	s_cmp_lg_u32 s18, s0
	s_waitcnt lgkmcnt(0)
	v_cmp_lt_f64_e64 vcc, |v[124:125]|, |v[134:135]|
	v_cndmask_b32_e32 v125, v125, v135, vcc
	v_cndmask_b32_e32 v124, v124, v134, vcc
	;; [unrolled: 1-line block ×3, first 2 shown]
	s_cbranch_scc1 .LBB118_575
.LBB118_576:
	s_waitcnt lgkmcnt(0)
	v_cmp_eq_f64_e32 vcc, 0, v[124:125]
	s_and_saveexec_b64 s[0:1], vcc
	s_xor_b64 s[0:1], exec, s[0:1]
; %bb.577:
	v_cmp_ne_u32_e32 vcc, 0, v132
	v_cndmask_b32_e32 v132, 35, v132, vcc
; %bb.578:
	s_andn2_saveexec_b64 s[0:1], s[0:1]
; %bb.579:
	v_div_scale_f64 v[134:135], s[2:3], v[124:125], v[124:125], 1.0
	v_rcp_f64_e32 v[136:137], v[134:135]
	v_div_scale_f64 v[138:139], vcc, 1.0, v[124:125], 1.0
	v_fma_f64 v[140:141], -v[134:135], v[136:137], 1.0
	v_fmac_f64_e32 v[136:137], v[136:137], v[140:141]
	v_fma_f64 v[140:141], -v[134:135], v[136:137], 1.0
	v_fmac_f64_e32 v[136:137], v[136:137], v[140:141]
	v_mul_f64 v[140:141], v[138:139], v[136:137]
	v_fma_f64 v[134:135], -v[134:135], v[140:141], v[138:139]
	v_div_fmas_f64 v[134:135], v[134:135], v[136:137], v[140:141]
	v_div_fixup_f64 v[124:125], v[134:135], v[124:125], 1.0
; %bb.580:
	s_or_b64 exec, exec, s[0:1]
	v_cmp_ne_u32_e32 vcc, v129, v126
	s_and_saveexec_b64 s[0:1], vcc
	s_xor_b64 s[0:1], exec, s[0:1]
	s_cbranch_execz .LBB118_586
; %bb.581:
	v_cmp_eq_u32_e32 vcc, 34, v129
	s_and_saveexec_b64 s[2:3], vcc
	s_cbranch_execz .LBB118_585
; %bb.582:
	v_cmp_ne_u32_e32 vcc, 34, v126
	s_xor_b64 s[14:15], s[6:7], -1
	s_and_b64 s[16:17], s[14:15], vcc
	s_and_saveexec_b64 s[14:15], s[16:17]
	s_cbranch_execz .LBB118_584
; %bb.583:
	v_ashrrev_i32_e32 v127, 31, v126
	v_lshlrev_b64 v[134:135], 2, v[126:127]
	v_add_co_u32_e32 v134, vcc, v4, v134
	v_addc_co_u32_e32 v135, vcc, v5, v135, vcc
	flat_load_dword v127, v[134:135]
	flat_load_dword v129, v[4:5] offset:136
	s_waitcnt vmcnt(0) lgkmcnt(0)
	flat_store_dword v[4:5], v127 offset:136
	flat_store_dword v[134:135], v129
.LBB118_584:
	s_or_b64 exec, exec, s[14:15]
	v_mov_b32_e32 v127, v126
	v_mov_b32_e32 v129, v126
.LBB118_585:
	s_or_b64 exec, exec, s[2:3]
.LBB118_586:
	s_andn2_saveexec_b64 s[0:1], s[0:1]
	s_cbranch_execz .LBB118_588
; %bb.587:
	v_mov_b32_e32 v129, 34
	ds_write2_b64 v128, v[50:51], v[48:49] offset0:35 offset1:36
	ds_write2_b64 v128, v[46:47], v[44:45] offset0:37 offset1:38
	;; [unrolled: 1-line block ×12, first 2 shown]
	ds_write_b64 v128, v[122:123] offset:472
.LBB118_588:
	s_or_b64 exec, exec, s[0:1]
	v_cmp_lt_i32_e32 vcc, 34, v129
	s_waitcnt lgkmcnt(0)
	s_barrier
	s_and_saveexec_b64 s[0:1], vcc
	s_cbranch_execz .LBB118_590
; %bb.589:
	ds_read2_b64 v[134:137], v128 offset0:35 offset1:36
	ds_read2_b64 v[138:141], v128 offset0:37 offset1:38
	;; [unrolled: 1-line block ×3, first 2 shown]
	v_mul_f64 v[52:53], v[124:125], v[52:53]
	ds_read_b64 v[124:125], v128 offset:472
	s_waitcnt lgkmcnt(0)
	v_fma_f64 v[50:51], -v[52:53], v[134:135], v[50:51]
	v_fma_f64 v[48:49], -v[52:53], v[136:137], v[48:49]
	ds_read2_b64 v[134:137], v128 offset0:41 offset1:42
	v_fma_f64 v[46:47], -v[52:53], v[138:139], v[46:47]
	v_fma_f64 v[44:45], -v[52:53], v[140:141], v[44:45]
	;; [unrolled: 1-line block ×3, first 2 shown]
	ds_read2_b64 v[138:141], v128 offset0:43 offset1:44
	v_fma_f64 v[40:41], -v[52:53], v[144:145], v[40:41]
	ds_read2_b64 v[142:145], v128 offset0:45 offset1:46
	s_waitcnt lgkmcnt(0)
	v_fma_f64 v[38:39], -v[52:53], v[134:135], v[38:39]
	v_fma_f64 v[36:37], -v[52:53], v[136:137], v[36:37]
	;; [unrolled: 1-line block ×3, first 2 shown]
	ds_read2_b64 v[134:137], v128 offset0:47 offset1:48
	v_fma_f64 v[32:33], -v[52:53], v[140:141], v[32:33]
	ds_read2_b64 v[138:141], v128 offset0:49 offset1:50
	v_fma_f64 v[30:31], -v[52:53], v[142:143], v[30:31]
	v_fma_f64 v[28:29], -v[52:53], v[144:145], v[28:29]
	ds_read2_b64 v[142:145], v128 offset0:51 offset1:52
	s_waitcnt lgkmcnt(0)
	v_fma_f64 v[26:27], -v[52:53], v[134:135], v[26:27]
	v_fma_f64 v[24:25], -v[52:53], v[136:137], v[24:25]
	ds_read2_b64 v[134:137], v128 offset0:53 offset1:54
	v_fma_f64 v[22:23], -v[52:53], v[138:139], v[22:23]
	v_fma_f64 v[20:21], -v[52:53], v[140:141], v[20:21]
	;; [unrolled: 1-line block ×4, first 2 shown]
	ds_read2_b64 v[138:141], v128 offset0:55 offset1:56
	ds_read2_b64 v[142:145], v128 offset0:57 offset1:58
	s_waitcnt lgkmcnt(0)
	v_fma_f64 v[14:15], -v[52:53], v[134:135], v[14:15]
	v_fma_f64 v[12:13], -v[52:53], v[136:137], v[12:13]
	;; [unrolled: 1-line block ×7, first 2 shown]
.LBB118_590:
	s_or_b64 exec, exec, s[0:1]
	v_lshl_add_u32 v124, v129, 3, v128
	s_barrier
	ds_write_b64 v124, v[50:51]
	s_waitcnt lgkmcnt(0)
	s_barrier
	ds_read_b64 v[124:125], v128 offset:280
	s_cmp_lt_i32 s18, 37
	v_mov_b32_e32 v126, 35
	s_cbranch_scc1 .LBB118_593
; %bb.591:
	v_add_u32_e32 v133, 0x120, v128
	s_mov_b32 s0, 36
	v_mov_b32_e32 v126, 35
.LBB118_592:                            ; =>This Inner Loop Header: Depth=1
	ds_read_b64 v[134:135], v133
	v_mov_b32_e32 v136, s0
	s_add_i32 s0, s0, 1
	v_add_u32_e32 v133, 8, v133
	s_cmp_lg_u32 s18, s0
	s_waitcnt lgkmcnt(0)
	v_cmp_lt_f64_e64 vcc, |v[124:125]|, |v[134:135]|
	v_cndmask_b32_e32 v125, v125, v135, vcc
	v_cndmask_b32_e32 v124, v124, v134, vcc
	;; [unrolled: 1-line block ×3, first 2 shown]
	s_cbranch_scc1 .LBB118_592
.LBB118_593:
	s_waitcnt lgkmcnt(0)
	v_cmp_eq_f64_e32 vcc, 0, v[124:125]
	s_and_saveexec_b64 s[0:1], vcc
	s_xor_b64 s[0:1], exec, s[0:1]
; %bb.594:
	v_cmp_ne_u32_e32 vcc, 0, v132
	v_cndmask_b32_e32 v132, 36, v132, vcc
; %bb.595:
	s_andn2_saveexec_b64 s[0:1], s[0:1]
; %bb.596:
	v_div_scale_f64 v[134:135], s[2:3], v[124:125], v[124:125], 1.0
	v_rcp_f64_e32 v[136:137], v[134:135]
	v_div_scale_f64 v[138:139], vcc, 1.0, v[124:125], 1.0
	v_fma_f64 v[140:141], -v[134:135], v[136:137], 1.0
	v_fmac_f64_e32 v[136:137], v[136:137], v[140:141]
	v_fma_f64 v[140:141], -v[134:135], v[136:137], 1.0
	v_fmac_f64_e32 v[136:137], v[136:137], v[140:141]
	v_mul_f64 v[140:141], v[138:139], v[136:137]
	v_fma_f64 v[134:135], -v[134:135], v[140:141], v[138:139]
	v_div_fmas_f64 v[134:135], v[134:135], v[136:137], v[140:141]
	v_div_fixup_f64 v[124:125], v[134:135], v[124:125], 1.0
; %bb.597:
	s_or_b64 exec, exec, s[0:1]
	v_cmp_ne_u32_e32 vcc, v129, v126
	s_and_saveexec_b64 s[0:1], vcc
	s_xor_b64 s[0:1], exec, s[0:1]
	s_cbranch_execz .LBB118_603
; %bb.598:
	v_cmp_eq_u32_e32 vcc, 35, v129
	s_and_saveexec_b64 s[2:3], vcc
	s_cbranch_execz .LBB118_602
; %bb.599:
	v_cmp_ne_u32_e32 vcc, 35, v126
	s_xor_b64 s[14:15], s[6:7], -1
	s_and_b64 s[16:17], s[14:15], vcc
	s_and_saveexec_b64 s[14:15], s[16:17]
	s_cbranch_execz .LBB118_601
; %bb.600:
	v_ashrrev_i32_e32 v127, 31, v126
	v_lshlrev_b64 v[134:135], 2, v[126:127]
	v_add_co_u32_e32 v134, vcc, v4, v134
	v_addc_co_u32_e32 v135, vcc, v5, v135, vcc
	flat_load_dword v127, v[134:135]
	flat_load_dword v129, v[4:5] offset:140
	s_waitcnt vmcnt(0) lgkmcnt(0)
	flat_store_dword v[4:5], v127 offset:140
	flat_store_dword v[134:135], v129
.LBB118_601:
	s_or_b64 exec, exec, s[14:15]
	v_mov_b32_e32 v127, v126
	v_mov_b32_e32 v129, v126
.LBB118_602:
	s_or_b64 exec, exec, s[2:3]
.LBB118_603:
	s_andn2_saveexec_b64 s[0:1], s[0:1]
	s_cbranch_execz .LBB118_605
; %bb.604:
	v_mov_b32_e32 v134, v48
	v_mov_b32_e32 v135, v49
	v_mov_b32_e32 v136, v46
	v_mov_b32_e32 v137, v47
	ds_write2_b64 v128, v[134:135], v[136:137] offset0:36 offset1:37
	v_mov_b32_e32 v134, v44
	v_mov_b32_e32 v135, v45
	v_mov_b32_e32 v136, v42
	v_mov_b32_e32 v137, v43
	ds_write2_b64 v128, v[134:135], v[136:137] offset0:38 offset1:39
	;; [unrolled: 5-line block ×11, first 2 shown]
	v_mov_b32_e32 v134, v0
	v_mov_b32_e32 v135, v1
	;; [unrolled: 1-line block ×3, first 2 shown]
	ds_write2_b64 v128, v[134:135], v[122:123] offset0:58 offset1:59
.LBB118_605:
	s_or_b64 exec, exec, s[0:1]
	v_cmp_lt_i32_e32 vcc, 35, v129
	s_waitcnt lgkmcnt(0)
	s_barrier
	s_and_saveexec_b64 s[0:1], vcc
	s_cbranch_execz .LBB118_607
; %bb.606:
	ds_read2_b64 v[134:137], v128 offset0:36 offset1:37
	ds_read2_b64 v[138:141], v128 offset0:38 offset1:39
	;; [unrolled: 1-line block ×3, first 2 shown]
	v_mul_f64 v[50:51], v[124:125], v[50:51]
	s_waitcnt lgkmcnt(0)
	v_fma_f64 v[48:49], -v[50:51], v[134:135], v[48:49]
	v_fma_f64 v[46:47], -v[50:51], v[136:137], v[46:47]
	ds_read2_b64 v[134:137], v128 offset0:42 offset1:43
	v_fma_f64 v[44:45], -v[50:51], v[138:139], v[44:45]
	v_fma_f64 v[42:43], -v[50:51], v[140:141], v[42:43]
	;; [unrolled: 1-line block ×3, first 2 shown]
	ds_read2_b64 v[138:141], v128 offset0:44 offset1:45
	v_fma_f64 v[38:39], -v[50:51], v[144:145], v[38:39]
	ds_read2_b64 v[142:145], v128 offset0:46 offset1:47
	s_waitcnt lgkmcnt(0)
	v_fma_f64 v[36:37], -v[50:51], v[134:135], v[36:37]
	v_fma_f64 v[34:35], -v[50:51], v[136:137], v[34:35]
	v_fma_f64 v[32:33], -v[50:51], v[138:139], v[32:33]
	ds_read2_b64 v[134:137], v128 offset0:48 offset1:49
	v_fma_f64 v[30:31], -v[50:51], v[140:141], v[30:31]
	ds_read2_b64 v[138:141], v128 offset0:50 offset1:51
	v_fma_f64 v[28:29], -v[50:51], v[142:143], v[28:29]
	v_fma_f64 v[26:27], -v[50:51], v[144:145], v[26:27]
	ds_read2_b64 v[142:145], v128 offset0:52 offset1:53
	s_waitcnt lgkmcnt(0)
	v_fma_f64 v[24:25], -v[50:51], v[134:135], v[24:25]
	v_fma_f64 v[22:23], -v[50:51], v[136:137], v[22:23]
	ds_read2_b64 v[134:137], v128 offset0:54 offset1:55
	v_fma_f64 v[20:21], -v[50:51], v[138:139], v[20:21]
	v_fma_f64 v[18:19], -v[50:51], v[140:141], v[18:19]
	;; [unrolled: 1-line block ×3, first 2 shown]
	ds_read2_b64 v[138:141], v128 offset0:56 offset1:57
	v_fma_f64 v[14:15], -v[50:51], v[144:145], v[14:15]
	ds_read2_b64 v[142:145], v128 offset0:58 offset1:59
	s_waitcnt lgkmcnt(0)
	v_fma_f64 v[12:13], -v[50:51], v[134:135], v[12:13]
	v_fma_f64 v[10:11], -v[50:51], v[136:137], v[10:11]
	;; [unrolled: 1-line block ×6, first 2 shown]
.LBB118_607:
	s_or_b64 exec, exec, s[0:1]
	v_lshl_add_u32 v124, v129, 3, v128
	s_barrier
	ds_write_b64 v124, v[48:49]
	s_waitcnt lgkmcnt(0)
	s_barrier
	ds_read_b64 v[124:125], v128 offset:288
	s_cmp_lt_i32 s18, 38
	v_mov_b32_e32 v126, 36
	s_cbranch_scc1 .LBB118_610
; %bb.608:
	v_add_u32_e32 v133, 0x128, v128
	s_mov_b32 s0, 37
	v_mov_b32_e32 v126, 36
.LBB118_609:                            ; =>This Inner Loop Header: Depth=1
	ds_read_b64 v[134:135], v133
	v_mov_b32_e32 v136, s0
	s_add_i32 s0, s0, 1
	v_add_u32_e32 v133, 8, v133
	s_cmp_lg_u32 s18, s0
	s_waitcnt lgkmcnt(0)
	v_cmp_lt_f64_e64 vcc, |v[124:125]|, |v[134:135]|
	v_cndmask_b32_e32 v125, v125, v135, vcc
	v_cndmask_b32_e32 v124, v124, v134, vcc
	;; [unrolled: 1-line block ×3, first 2 shown]
	s_cbranch_scc1 .LBB118_609
.LBB118_610:
	s_waitcnt lgkmcnt(0)
	v_cmp_eq_f64_e32 vcc, 0, v[124:125]
	s_and_saveexec_b64 s[0:1], vcc
	s_xor_b64 s[0:1], exec, s[0:1]
; %bb.611:
	v_cmp_ne_u32_e32 vcc, 0, v132
	v_cndmask_b32_e32 v132, 37, v132, vcc
; %bb.612:
	s_andn2_saveexec_b64 s[0:1], s[0:1]
; %bb.613:
	v_div_scale_f64 v[134:135], s[2:3], v[124:125], v[124:125], 1.0
	v_rcp_f64_e32 v[136:137], v[134:135]
	v_div_scale_f64 v[138:139], vcc, 1.0, v[124:125], 1.0
	v_fma_f64 v[140:141], -v[134:135], v[136:137], 1.0
	v_fmac_f64_e32 v[136:137], v[136:137], v[140:141]
	v_fma_f64 v[140:141], -v[134:135], v[136:137], 1.0
	v_fmac_f64_e32 v[136:137], v[136:137], v[140:141]
	v_mul_f64 v[140:141], v[138:139], v[136:137]
	v_fma_f64 v[134:135], -v[134:135], v[140:141], v[138:139]
	v_div_fmas_f64 v[134:135], v[134:135], v[136:137], v[140:141]
	v_div_fixup_f64 v[124:125], v[134:135], v[124:125], 1.0
; %bb.614:
	s_or_b64 exec, exec, s[0:1]
	v_cmp_ne_u32_e32 vcc, v129, v126
	s_and_saveexec_b64 s[0:1], vcc
	s_xor_b64 s[0:1], exec, s[0:1]
	s_cbranch_execz .LBB118_620
; %bb.615:
	v_cmp_eq_u32_e32 vcc, 36, v129
	s_and_saveexec_b64 s[2:3], vcc
	s_cbranch_execz .LBB118_619
; %bb.616:
	v_cmp_ne_u32_e32 vcc, 36, v126
	s_xor_b64 s[14:15], s[6:7], -1
	s_and_b64 s[16:17], s[14:15], vcc
	s_and_saveexec_b64 s[14:15], s[16:17]
	s_cbranch_execz .LBB118_618
; %bb.617:
	v_ashrrev_i32_e32 v127, 31, v126
	v_lshlrev_b64 v[134:135], 2, v[126:127]
	v_add_co_u32_e32 v134, vcc, v4, v134
	v_addc_co_u32_e32 v135, vcc, v5, v135, vcc
	flat_load_dword v127, v[134:135]
	flat_load_dword v129, v[4:5] offset:144
	s_waitcnt vmcnt(0) lgkmcnt(0)
	flat_store_dword v[4:5], v127 offset:144
	flat_store_dword v[134:135], v129
.LBB118_618:
	s_or_b64 exec, exec, s[14:15]
	v_mov_b32_e32 v127, v126
	v_mov_b32_e32 v129, v126
.LBB118_619:
	s_or_b64 exec, exec, s[2:3]
.LBB118_620:
	s_andn2_saveexec_b64 s[0:1], s[0:1]
	s_cbranch_execz .LBB118_622
; %bb.621:
	v_mov_b32_e32 v129, 36
	ds_write2_b64 v128, v[46:47], v[44:45] offset0:37 offset1:38
	ds_write2_b64 v128, v[42:43], v[40:41] offset0:39 offset1:40
	;; [unrolled: 1-line block ×11, first 2 shown]
	ds_write_b64 v128, v[122:123] offset:472
.LBB118_622:
	s_or_b64 exec, exec, s[0:1]
	v_cmp_lt_i32_e32 vcc, 36, v129
	s_waitcnt lgkmcnt(0)
	s_barrier
	s_and_saveexec_b64 s[0:1], vcc
	s_cbranch_execz .LBB118_624
; %bb.623:
	ds_read2_b64 v[134:137], v128 offset0:37 offset1:38
	ds_read2_b64 v[138:141], v128 offset0:39 offset1:40
	v_mul_f64 v[48:49], v[124:125], v[48:49]
	ds_read2_b64 v[142:145], v128 offset0:41 offset1:42
	ds_read_b64 v[124:125], v128 offset:472
	s_waitcnt lgkmcnt(0)
	v_fma_f64 v[46:47], -v[48:49], v[134:135], v[46:47]
	v_fma_f64 v[44:45], -v[48:49], v[136:137], v[44:45]
	ds_read2_b64 v[134:137], v128 offset0:43 offset1:44
	v_fma_f64 v[42:43], -v[48:49], v[138:139], v[42:43]
	v_fma_f64 v[40:41], -v[48:49], v[140:141], v[40:41]
	ds_read2_b64 v[138:141], v128 offset0:45 offset1:46
	;; [unrolled: 3-line block ×3, first 2 shown]
	s_waitcnt lgkmcnt(0)
	v_fma_f64 v[34:35], -v[48:49], v[134:135], v[34:35]
	v_fma_f64 v[32:33], -v[48:49], v[136:137], v[32:33]
	;; [unrolled: 1-line block ×3, first 2 shown]
	ds_read2_b64 v[134:137], v128 offset0:49 offset1:50
	v_fma_f64 v[28:29], -v[48:49], v[140:141], v[28:29]
	ds_read2_b64 v[138:141], v128 offset0:51 offset1:52
	v_fma_f64 v[26:27], -v[48:49], v[142:143], v[26:27]
	v_fma_f64 v[24:25], -v[48:49], v[144:145], v[24:25]
	s_waitcnt lgkmcnt(0)
	v_fma_f64 v[22:23], -v[48:49], v[134:135], v[22:23]
	ds_read2_b64 v[142:145], v128 offset0:53 offset1:54
	v_fma_f64 v[20:21], -v[48:49], v[136:137], v[20:21]
	ds_read2_b64 v[134:137], v128 offset0:55 offset1:56
	v_fma_f64 v[18:19], -v[48:49], v[138:139], v[18:19]
	v_fma_f64 v[16:17], -v[48:49], v[140:141], v[16:17]
	ds_read2_b64 v[138:141], v128 offset0:57 offset1:58
	s_waitcnt lgkmcnt(0)
	v_fma_f64 v[14:15], -v[48:49], v[142:143], v[14:15]
	v_fma_f64 v[12:13], -v[48:49], v[144:145], v[12:13]
	;; [unrolled: 1-line block ×7, first 2 shown]
.LBB118_624:
	s_or_b64 exec, exec, s[0:1]
	v_lshl_add_u32 v124, v129, 3, v128
	s_barrier
	ds_write_b64 v124, v[46:47]
	s_waitcnt lgkmcnt(0)
	s_barrier
	ds_read_b64 v[124:125], v128 offset:296
	s_cmp_lt_i32 s18, 39
	v_mov_b32_e32 v126, 37
	s_cbranch_scc1 .LBB118_627
; %bb.625:
	v_add_u32_e32 v133, 0x130, v128
	s_mov_b32 s0, 38
	v_mov_b32_e32 v126, 37
.LBB118_626:                            ; =>This Inner Loop Header: Depth=1
	ds_read_b64 v[134:135], v133
	v_mov_b32_e32 v136, s0
	s_add_i32 s0, s0, 1
	v_add_u32_e32 v133, 8, v133
	s_cmp_lg_u32 s18, s0
	s_waitcnt lgkmcnt(0)
	v_cmp_lt_f64_e64 vcc, |v[124:125]|, |v[134:135]|
	v_cndmask_b32_e32 v125, v125, v135, vcc
	v_cndmask_b32_e32 v124, v124, v134, vcc
	;; [unrolled: 1-line block ×3, first 2 shown]
	s_cbranch_scc1 .LBB118_626
.LBB118_627:
	s_waitcnt lgkmcnt(0)
	v_cmp_eq_f64_e32 vcc, 0, v[124:125]
	s_and_saveexec_b64 s[0:1], vcc
	s_xor_b64 s[0:1], exec, s[0:1]
; %bb.628:
	v_cmp_ne_u32_e32 vcc, 0, v132
	v_cndmask_b32_e32 v132, 38, v132, vcc
; %bb.629:
	s_andn2_saveexec_b64 s[0:1], s[0:1]
; %bb.630:
	v_div_scale_f64 v[134:135], s[2:3], v[124:125], v[124:125], 1.0
	v_rcp_f64_e32 v[136:137], v[134:135]
	v_div_scale_f64 v[138:139], vcc, 1.0, v[124:125], 1.0
	v_fma_f64 v[140:141], -v[134:135], v[136:137], 1.0
	v_fmac_f64_e32 v[136:137], v[136:137], v[140:141]
	v_fma_f64 v[140:141], -v[134:135], v[136:137], 1.0
	v_fmac_f64_e32 v[136:137], v[136:137], v[140:141]
	v_mul_f64 v[140:141], v[138:139], v[136:137]
	v_fma_f64 v[134:135], -v[134:135], v[140:141], v[138:139]
	v_div_fmas_f64 v[134:135], v[134:135], v[136:137], v[140:141]
	v_div_fixup_f64 v[124:125], v[134:135], v[124:125], 1.0
; %bb.631:
	s_or_b64 exec, exec, s[0:1]
	v_cmp_ne_u32_e32 vcc, v129, v126
	s_and_saveexec_b64 s[0:1], vcc
	s_xor_b64 s[0:1], exec, s[0:1]
	s_cbranch_execz .LBB118_637
; %bb.632:
	v_cmp_eq_u32_e32 vcc, 37, v129
	s_and_saveexec_b64 s[2:3], vcc
	s_cbranch_execz .LBB118_636
; %bb.633:
	v_cmp_ne_u32_e32 vcc, 37, v126
	s_xor_b64 s[14:15], s[6:7], -1
	s_and_b64 s[16:17], s[14:15], vcc
	s_and_saveexec_b64 s[14:15], s[16:17]
	s_cbranch_execz .LBB118_635
; %bb.634:
	v_ashrrev_i32_e32 v127, 31, v126
	v_lshlrev_b64 v[134:135], 2, v[126:127]
	v_add_co_u32_e32 v134, vcc, v4, v134
	v_addc_co_u32_e32 v135, vcc, v5, v135, vcc
	flat_load_dword v127, v[134:135]
	flat_load_dword v129, v[4:5] offset:148
	s_waitcnt vmcnt(0) lgkmcnt(0)
	flat_store_dword v[4:5], v127 offset:148
	flat_store_dword v[134:135], v129
.LBB118_635:
	s_or_b64 exec, exec, s[14:15]
	v_mov_b32_e32 v127, v126
	v_mov_b32_e32 v129, v126
.LBB118_636:
	s_or_b64 exec, exec, s[2:3]
.LBB118_637:
	s_andn2_saveexec_b64 s[0:1], s[0:1]
	s_cbranch_execz .LBB118_639
; %bb.638:
	v_mov_b32_e32 v134, v44
	v_mov_b32_e32 v135, v45
	v_mov_b32_e32 v136, v42
	v_mov_b32_e32 v137, v43
	ds_write2_b64 v128, v[134:135], v[136:137] offset0:38 offset1:39
	v_mov_b32_e32 v134, v40
	v_mov_b32_e32 v135, v41
	v_mov_b32_e32 v136, v38
	v_mov_b32_e32 v137, v39
	ds_write2_b64 v128, v[134:135], v[136:137] offset0:40 offset1:41
	;; [unrolled: 5-line block ×10, first 2 shown]
	v_mov_b32_e32 v134, v0
	v_mov_b32_e32 v135, v1
	;; [unrolled: 1-line block ×3, first 2 shown]
	ds_write2_b64 v128, v[134:135], v[122:123] offset0:58 offset1:59
.LBB118_639:
	s_or_b64 exec, exec, s[0:1]
	v_cmp_lt_i32_e32 vcc, 37, v129
	s_waitcnt lgkmcnt(0)
	s_barrier
	s_and_saveexec_b64 s[0:1], vcc
	s_cbranch_execz .LBB118_641
; %bb.640:
	ds_read2_b64 v[134:137], v128 offset0:38 offset1:39
	ds_read2_b64 v[138:141], v128 offset0:40 offset1:41
	v_mul_f64 v[46:47], v[124:125], v[46:47]
	ds_read2_b64 v[142:145], v128 offset0:42 offset1:43
	s_waitcnt lgkmcnt(0)
	v_fma_f64 v[44:45], -v[46:47], v[134:135], v[44:45]
	v_fma_f64 v[42:43], -v[46:47], v[136:137], v[42:43]
	ds_read2_b64 v[134:137], v128 offset0:44 offset1:45
	v_fma_f64 v[40:41], -v[46:47], v[138:139], v[40:41]
	v_fma_f64 v[38:39], -v[46:47], v[140:141], v[38:39]
	ds_read2_b64 v[138:141], v128 offset0:46 offset1:47
	;; [unrolled: 3-line block ×3, first 2 shown]
	s_waitcnt lgkmcnt(0)
	v_fma_f64 v[32:33], -v[46:47], v[134:135], v[32:33]
	v_fma_f64 v[30:31], -v[46:47], v[136:137], v[30:31]
	v_fma_f64 v[28:29], -v[46:47], v[138:139], v[28:29]
	ds_read2_b64 v[134:137], v128 offset0:50 offset1:51
	v_fma_f64 v[26:27], -v[46:47], v[140:141], v[26:27]
	ds_read2_b64 v[138:141], v128 offset0:52 offset1:53
	v_fma_f64 v[24:25], -v[46:47], v[142:143], v[24:25]
	v_fma_f64 v[22:23], -v[46:47], v[144:145], v[22:23]
	s_waitcnt lgkmcnt(0)
	v_fma_f64 v[20:21], -v[46:47], v[134:135], v[20:21]
	v_fma_f64 v[18:19], -v[46:47], v[136:137], v[18:19]
	ds_read2_b64 v[134:137], v128 offset0:54 offset1:55
	ds_read2_b64 v[142:145], v128 offset0:56 offset1:57
	v_fma_f64 v[16:17], -v[46:47], v[138:139], v[16:17]
	v_fma_f64 v[14:15], -v[46:47], v[140:141], v[14:15]
	ds_read2_b64 v[138:141], v128 offset0:58 offset1:59
	s_waitcnt lgkmcnt(0)
	v_fma_f64 v[12:13], -v[46:47], v[134:135], v[12:13]
	v_fma_f64 v[10:11], -v[46:47], v[136:137], v[10:11]
	;; [unrolled: 1-line block ×6, first 2 shown]
.LBB118_641:
	s_or_b64 exec, exec, s[0:1]
	v_lshl_add_u32 v124, v129, 3, v128
	s_barrier
	ds_write_b64 v124, v[44:45]
	s_waitcnt lgkmcnt(0)
	s_barrier
	ds_read_b64 v[124:125], v128 offset:304
	s_cmp_lt_i32 s18, 40
	v_mov_b32_e32 v126, 38
	s_cbranch_scc1 .LBB118_644
; %bb.642:
	v_add_u32_e32 v133, 0x138, v128
	s_mov_b32 s0, 39
	v_mov_b32_e32 v126, 38
.LBB118_643:                            ; =>This Inner Loop Header: Depth=1
	ds_read_b64 v[134:135], v133
	v_mov_b32_e32 v136, s0
	s_add_i32 s0, s0, 1
	v_add_u32_e32 v133, 8, v133
	s_cmp_lg_u32 s18, s0
	s_waitcnt lgkmcnt(0)
	v_cmp_lt_f64_e64 vcc, |v[124:125]|, |v[134:135]|
	v_cndmask_b32_e32 v125, v125, v135, vcc
	v_cndmask_b32_e32 v124, v124, v134, vcc
	;; [unrolled: 1-line block ×3, first 2 shown]
	s_cbranch_scc1 .LBB118_643
.LBB118_644:
	s_waitcnt lgkmcnt(0)
	v_cmp_eq_f64_e32 vcc, 0, v[124:125]
	s_and_saveexec_b64 s[0:1], vcc
	s_xor_b64 s[0:1], exec, s[0:1]
; %bb.645:
	v_cmp_ne_u32_e32 vcc, 0, v132
	v_cndmask_b32_e32 v132, 39, v132, vcc
; %bb.646:
	s_andn2_saveexec_b64 s[0:1], s[0:1]
; %bb.647:
	v_div_scale_f64 v[134:135], s[2:3], v[124:125], v[124:125], 1.0
	v_rcp_f64_e32 v[136:137], v[134:135]
	v_div_scale_f64 v[138:139], vcc, 1.0, v[124:125], 1.0
	v_fma_f64 v[140:141], -v[134:135], v[136:137], 1.0
	v_fmac_f64_e32 v[136:137], v[136:137], v[140:141]
	v_fma_f64 v[140:141], -v[134:135], v[136:137], 1.0
	v_fmac_f64_e32 v[136:137], v[136:137], v[140:141]
	v_mul_f64 v[140:141], v[138:139], v[136:137]
	v_fma_f64 v[134:135], -v[134:135], v[140:141], v[138:139]
	v_div_fmas_f64 v[134:135], v[134:135], v[136:137], v[140:141]
	v_div_fixup_f64 v[124:125], v[134:135], v[124:125], 1.0
; %bb.648:
	s_or_b64 exec, exec, s[0:1]
	v_cmp_ne_u32_e32 vcc, v129, v126
	s_and_saveexec_b64 s[0:1], vcc
	s_xor_b64 s[0:1], exec, s[0:1]
	s_cbranch_execz .LBB118_654
; %bb.649:
	v_cmp_eq_u32_e32 vcc, 38, v129
	s_and_saveexec_b64 s[2:3], vcc
	s_cbranch_execz .LBB118_653
; %bb.650:
	v_cmp_ne_u32_e32 vcc, 38, v126
	s_xor_b64 s[14:15], s[6:7], -1
	s_and_b64 s[16:17], s[14:15], vcc
	s_and_saveexec_b64 s[14:15], s[16:17]
	s_cbranch_execz .LBB118_652
; %bb.651:
	v_ashrrev_i32_e32 v127, 31, v126
	v_lshlrev_b64 v[134:135], 2, v[126:127]
	v_add_co_u32_e32 v134, vcc, v4, v134
	v_addc_co_u32_e32 v135, vcc, v5, v135, vcc
	flat_load_dword v127, v[134:135]
	flat_load_dword v129, v[4:5] offset:152
	s_waitcnt vmcnt(0) lgkmcnt(0)
	flat_store_dword v[4:5], v127 offset:152
	flat_store_dword v[134:135], v129
.LBB118_652:
	s_or_b64 exec, exec, s[14:15]
	v_mov_b32_e32 v127, v126
	v_mov_b32_e32 v129, v126
.LBB118_653:
	s_or_b64 exec, exec, s[2:3]
.LBB118_654:
	s_andn2_saveexec_b64 s[0:1], s[0:1]
	s_cbranch_execz .LBB118_656
; %bb.655:
	v_mov_b32_e32 v129, 38
	ds_write2_b64 v128, v[42:43], v[40:41] offset0:39 offset1:40
	ds_write2_b64 v128, v[38:39], v[36:37] offset0:41 offset1:42
	;; [unrolled: 1-line block ×10, first 2 shown]
	ds_write_b64 v128, v[122:123] offset:472
.LBB118_656:
	s_or_b64 exec, exec, s[0:1]
	v_cmp_lt_i32_e32 vcc, 38, v129
	s_waitcnt lgkmcnt(0)
	s_barrier
	s_and_saveexec_b64 s[0:1], vcc
	s_cbranch_execz .LBB118_658
; %bb.657:
	ds_read2_b64 v[134:137], v128 offset0:39 offset1:40
	ds_read2_b64 v[138:141], v128 offset0:41 offset1:42
	v_mul_f64 v[44:45], v[124:125], v[44:45]
	ds_read2_b64 v[142:145], v128 offset0:43 offset1:44
	ds_read_b64 v[124:125], v128 offset:472
	s_waitcnt lgkmcnt(0)
	v_fma_f64 v[42:43], -v[44:45], v[134:135], v[42:43]
	v_fma_f64 v[40:41], -v[44:45], v[136:137], v[40:41]
	ds_read2_b64 v[134:137], v128 offset0:45 offset1:46
	v_fma_f64 v[38:39], -v[44:45], v[138:139], v[38:39]
	v_fma_f64 v[36:37], -v[44:45], v[140:141], v[36:37]
	;; [unrolled: 1-line block ×3, first 2 shown]
	ds_read2_b64 v[138:141], v128 offset0:47 offset1:48
	v_fma_f64 v[32:33], -v[44:45], v[144:145], v[32:33]
	ds_read2_b64 v[142:145], v128 offset0:49 offset1:50
	s_waitcnt lgkmcnt(0)
	v_fma_f64 v[30:31], -v[44:45], v[134:135], v[30:31]
	v_fma_f64 v[28:29], -v[44:45], v[136:137], v[28:29]
	ds_read2_b64 v[134:137], v128 offset0:51 offset1:52
	v_fma_f64 v[26:27], -v[44:45], v[138:139], v[26:27]
	v_fma_f64 v[24:25], -v[44:45], v[140:141], v[24:25]
	ds_read2_b64 v[138:141], v128 offset0:53 offset1:54
	v_fma_f64 v[22:23], -v[44:45], v[142:143], v[22:23]
	v_fma_f64 v[20:21], -v[44:45], v[144:145], v[20:21]
	s_waitcnt lgkmcnt(0)
	v_fma_f64 v[18:19], -v[44:45], v[134:135], v[18:19]
	v_fma_f64 v[16:17], -v[44:45], v[136:137], v[16:17]
	ds_read2_b64 v[134:137], v128 offset0:55 offset1:56
	ds_read2_b64 v[142:145], v128 offset0:57 offset1:58
	v_fma_f64 v[14:15], -v[44:45], v[138:139], v[14:15]
	v_fma_f64 v[12:13], -v[44:45], v[140:141], v[12:13]
	;; [unrolled: 1-line block ×3, first 2 shown]
	s_waitcnt lgkmcnt(0)
	v_fma_f64 v[10:11], -v[44:45], v[134:135], v[10:11]
	v_fma_f64 v[8:9], -v[44:45], v[136:137], v[8:9]
	;; [unrolled: 1-line block ×4, first 2 shown]
.LBB118_658:
	s_or_b64 exec, exec, s[0:1]
	v_lshl_add_u32 v124, v129, 3, v128
	s_barrier
	ds_write_b64 v124, v[42:43]
	s_waitcnt lgkmcnt(0)
	s_barrier
	ds_read_b64 v[124:125], v128 offset:312
	s_cmp_lt_i32 s18, 41
	v_mov_b32_e32 v126, 39
	s_cbranch_scc1 .LBB118_661
; %bb.659:
	v_add_u32_e32 v133, 0x140, v128
	s_mov_b32 s0, 40
	v_mov_b32_e32 v126, 39
.LBB118_660:                            ; =>This Inner Loop Header: Depth=1
	ds_read_b64 v[134:135], v133
	v_mov_b32_e32 v136, s0
	s_add_i32 s0, s0, 1
	v_add_u32_e32 v133, 8, v133
	s_cmp_lg_u32 s18, s0
	s_waitcnt lgkmcnt(0)
	v_cmp_lt_f64_e64 vcc, |v[124:125]|, |v[134:135]|
	v_cndmask_b32_e32 v125, v125, v135, vcc
	v_cndmask_b32_e32 v124, v124, v134, vcc
	;; [unrolled: 1-line block ×3, first 2 shown]
	s_cbranch_scc1 .LBB118_660
.LBB118_661:
	s_waitcnt lgkmcnt(0)
	v_cmp_eq_f64_e32 vcc, 0, v[124:125]
	s_and_saveexec_b64 s[0:1], vcc
	s_xor_b64 s[0:1], exec, s[0:1]
; %bb.662:
	v_cmp_ne_u32_e32 vcc, 0, v132
	v_cndmask_b32_e32 v132, 40, v132, vcc
; %bb.663:
	s_andn2_saveexec_b64 s[0:1], s[0:1]
; %bb.664:
	v_div_scale_f64 v[134:135], s[2:3], v[124:125], v[124:125], 1.0
	v_rcp_f64_e32 v[136:137], v[134:135]
	v_div_scale_f64 v[138:139], vcc, 1.0, v[124:125], 1.0
	v_fma_f64 v[140:141], -v[134:135], v[136:137], 1.0
	v_fmac_f64_e32 v[136:137], v[136:137], v[140:141]
	v_fma_f64 v[140:141], -v[134:135], v[136:137], 1.0
	v_fmac_f64_e32 v[136:137], v[136:137], v[140:141]
	v_mul_f64 v[140:141], v[138:139], v[136:137]
	v_fma_f64 v[134:135], -v[134:135], v[140:141], v[138:139]
	v_div_fmas_f64 v[134:135], v[134:135], v[136:137], v[140:141]
	v_div_fixup_f64 v[124:125], v[134:135], v[124:125], 1.0
; %bb.665:
	s_or_b64 exec, exec, s[0:1]
	v_cmp_ne_u32_e32 vcc, v129, v126
	s_and_saveexec_b64 s[0:1], vcc
	s_xor_b64 s[0:1], exec, s[0:1]
	s_cbranch_execz .LBB118_671
; %bb.666:
	v_cmp_eq_u32_e32 vcc, 39, v129
	s_and_saveexec_b64 s[2:3], vcc
	s_cbranch_execz .LBB118_670
; %bb.667:
	v_cmp_ne_u32_e32 vcc, 39, v126
	s_xor_b64 s[14:15], s[6:7], -1
	s_and_b64 s[16:17], s[14:15], vcc
	s_and_saveexec_b64 s[14:15], s[16:17]
	s_cbranch_execz .LBB118_669
; %bb.668:
	v_ashrrev_i32_e32 v127, 31, v126
	v_lshlrev_b64 v[134:135], 2, v[126:127]
	v_add_co_u32_e32 v134, vcc, v4, v134
	v_addc_co_u32_e32 v135, vcc, v5, v135, vcc
	flat_load_dword v127, v[134:135]
	flat_load_dword v129, v[4:5] offset:156
	s_waitcnt vmcnt(0) lgkmcnt(0)
	flat_store_dword v[4:5], v127 offset:156
	flat_store_dword v[134:135], v129
.LBB118_669:
	s_or_b64 exec, exec, s[14:15]
	v_mov_b32_e32 v127, v126
	v_mov_b32_e32 v129, v126
.LBB118_670:
	s_or_b64 exec, exec, s[2:3]
.LBB118_671:
	s_andn2_saveexec_b64 s[0:1], s[0:1]
	s_cbranch_execz .LBB118_673
; %bb.672:
	v_mov_b32_e32 v134, v40
	v_mov_b32_e32 v135, v41
	v_mov_b32_e32 v136, v38
	v_mov_b32_e32 v137, v39
	ds_write2_b64 v128, v[134:135], v[136:137] offset0:40 offset1:41
	v_mov_b32_e32 v134, v36
	v_mov_b32_e32 v135, v37
	v_mov_b32_e32 v136, v34
	v_mov_b32_e32 v137, v35
	ds_write2_b64 v128, v[134:135], v[136:137] offset0:42 offset1:43
	;; [unrolled: 5-line block ×9, first 2 shown]
	v_mov_b32_e32 v134, v0
	v_mov_b32_e32 v135, v1
	;; [unrolled: 1-line block ×3, first 2 shown]
	ds_write2_b64 v128, v[134:135], v[122:123] offset0:58 offset1:59
.LBB118_673:
	s_or_b64 exec, exec, s[0:1]
	v_cmp_lt_i32_e32 vcc, 39, v129
	s_waitcnt lgkmcnt(0)
	s_barrier
	s_and_saveexec_b64 s[0:1], vcc
	s_cbranch_execz .LBB118_675
; %bb.674:
	ds_read2_b64 v[134:137], v128 offset0:40 offset1:41
	ds_read2_b64 v[138:141], v128 offset0:42 offset1:43
	v_mul_f64 v[42:43], v[124:125], v[42:43]
	ds_read2_b64 v[142:145], v128 offset0:44 offset1:45
	s_waitcnt lgkmcnt(0)
	v_fma_f64 v[40:41], -v[42:43], v[134:135], v[40:41]
	v_fma_f64 v[38:39], -v[42:43], v[136:137], v[38:39]
	ds_read2_b64 v[134:137], v128 offset0:46 offset1:47
	v_fma_f64 v[36:37], -v[42:43], v[138:139], v[36:37]
	v_fma_f64 v[34:35], -v[42:43], v[140:141], v[34:35]
	v_fma_f64 v[32:33], -v[42:43], v[142:143], v[32:33]
	ds_read2_b64 v[138:141], v128 offset0:48 offset1:49
	v_fma_f64 v[30:31], -v[42:43], v[144:145], v[30:31]
	ds_read2_b64 v[142:145], v128 offset0:50 offset1:51
	s_waitcnt lgkmcnt(0)
	v_fma_f64 v[28:29], -v[42:43], v[134:135], v[28:29]
	v_fma_f64 v[26:27], -v[42:43], v[136:137], v[26:27]
	ds_read2_b64 v[134:137], v128 offset0:52 offset1:53
	v_fma_f64 v[24:25], -v[42:43], v[138:139], v[24:25]
	v_fma_f64 v[22:23], -v[42:43], v[140:141], v[22:23]
	ds_read2_b64 v[138:141], v128 offset0:54 offset1:55
	v_fma_f64 v[20:21], -v[42:43], v[142:143], v[20:21]
	v_fma_f64 v[18:19], -v[42:43], v[144:145], v[18:19]
	s_waitcnt lgkmcnt(0)
	v_fma_f64 v[16:17], -v[42:43], v[134:135], v[16:17]
	ds_read2_b64 v[142:145], v128 offset0:56 offset1:57
	v_fma_f64 v[14:15], -v[42:43], v[136:137], v[14:15]
	ds_read2_b64 v[134:137], v128 offset0:58 offset1:59
	v_fma_f64 v[12:13], -v[42:43], v[138:139], v[12:13]
	v_fma_f64 v[10:11], -v[42:43], v[140:141], v[10:11]
	s_waitcnt lgkmcnt(0)
	v_fma_f64 v[8:9], -v[42:43], v[142:143], v[8:9]
	v_fma_f64 v[6:7], -v[42:43], v[144:145], v[6:7]
	;; [unrolled: 1-line block ×4, first 2 shown]
.LBB118_675:
	s_or_b64 exec, exec, s[0:1]
	v_lshl_add_u32 v124, v129, 3, v128
	s_barrier
	ds_write_b64 v124, v[40:41]
	s_waitcnt lgkmcnt(0)
	s_barrier
	ds_read_b64 v[124:125], v128 offset:320
	s_cmp_lt_i32 s18, 42
	v_mov_b32_e32 v126, 40
	s_cbranch_scc1 .LBB118_678
; %bb.676:
	v_add_u32_e32 v133, 0x148, v128
	s_mov_b32 s0, 41
	v_mov_b32_e32 v126, 40
.LBB118_677:                            ; =>This Inner Loop Header: Depth=1
	ds_read_b64 v[134:135], v133
	v_mov_b32_e32 v136, s0
	s_add_i32 s0, s0, 1
	v_add_u32_e32 v133, 8, v133
	s_cmp_lg_u32 s18, s0
	s_waitcnt lgkmcnt(0)
	v_cmp_lt_f64_e64 vcc, |v[124:125]|, |v[134:135]|
	v_cndmask_b32_e32 v125, v125, v135, vcc
	v_cndmask_b32_e32 v124, v124, v134, vcc
	;; [unrolled: 1-line block ×3, first 2 shown]
	s_cbranch_scc1 .LBB118_677
.LBB118_678:
	s_waitcnt lgkmcnt(0)
	v_cmp_eq_f64_e32 vcc, 0, v[124:125]
	s_and_saveexec_b64 s[0:1], vcc
	s_xor_b64 s[0:1], exec, s[0:1]
; %bb.679:
	v_cmp_ne_u32_e32 vcc, 0, v132
	v_cndmask_b32_e32 v132, 41, v132, vcc
; %bb.680:
	s_andn2_saveexec_b64 s[0:1], s[0:1]
; %bb.681:
	v_div_scale_f64 v[134:135], s[2:3], v[124:125], v[124:125], 1.0
	v_rcp_f64_e32 v[136:137], v[134:135]
	v_div_scale_f64 v[138:139], vcc, 1.0, v[124:125], 1.0
	v_fma_f64 v[140:141], -v[134:135], v[136:137], 1.0
	v_fmac_f64_e32 v[136:137], v[136:137], v[140:141]
	v_fma_f64 v[140:141], -v[134:135], v[136:137], 1.0
	v_fmac_f64_e32 v[136:137], v[136:137], v[140:141]
	v_mul_f64 v[140:141], v[138:139], v[136:137]
	v_fma_f64 v[134:135], -v[134:135], v[140:141], v[138:139]
	v_div_fmas_f64 v[134:135], v[134:135], v[136:137], v[140:141]
	v_div_fixup_f64 v[124:125], v[134:135], v[124:125], 1.0
; %bb.682:
	s_or_b64 exec, exec, s[0:1]
	v_cmp_ne_u32_e32 vcc, v129, v126
	s_and_saveexec_b64 s[0:1], vcc
	s_xor_b64 s[0:1], exec, s[0:1]
	s_cbranch_execz .LBB118_688
; %bb.683:
	v_cmp_eq_u32_e32 vcc, 40, v129
	s_and_saveexec_b64 s[2:3], vcc
	s_cbranch_execz .LBB118_687
; %bb.684:
	v_cmp_ne_u32_e32 vcc, 40, v126
	s_xor_b64 s[14:15], s[6:7], -1
	s_and_b64 s[16:17], s[14:15], vcc
	s_and_saveexec_b64 s[14:15], s[16:17]
	s_cbranch_execz .LBB118_686
; %bb.685:
	v_ashrrev_i32_e32 v127, 31, v126
	v_lshlrev_b64 v[134:135], 2, v[126:127]
	v_add_co_u32_e32 v134, vcc, v4, v134
	v_addc_co_u32_e32 v135, vcc, v5, v135, vcc
	flat_load_dword v127, v[134:135]
	flat_load_dword v129, v[4:5] offset:160
	s_waitcnt vmcnt(0) lgkmcnt(0)
	flat_store_dword v[4:5], v127 offset:160
	flat_store_dword v[134:135], v129
.LBB118_686:
	s_or_b64 exec, exec, s[14:15]
	v_mov_b32_e32 v127, v126
	v_mov_b32_e32 v129, v126
.LBB118_687:
	s_or_b64 exec, exec, s[2:3]
.LBB118_688:
	s_andn2_saveexec_b64 s[0:1], s[0:1]
	s_cbranch_execz .LBB118_690
; %bb.689:
	v_mov_b32_e32 v129, 40
	ds_write2_b64 v128, v[38:39], v[36:37] offset0:41 offset1:42
	ds_write2_b64 v128, v[34:35], v[32:33] offset0:43 offset1:44
	ds_write2_b64 v128, v[30:31], v[28:29] offset0:45 offset1:46
	ds_write2_b64 v128, v[26:27], v[24:25] offset0:47 offset1:48
	ds_write2_b64 v128, v[22:23], v[20:21] offset0:49 offset1:50
	ds_write2_b64 v128, v[18:19], v[16:17] offset0:51 offset1:52
	ds_write2_b64 v128, v[14:15], v[12:13] offset0:53 offset1:54
	ds_write2_b64 v128, v[10:11], v[8:9] offset0:55 offset1:56
	ds_write2_b64 v128, v[6:7], v[0:1] offset0:57 offset1:58
	ds_write_b64 v128, v[122:123] offset:472
.LBB118_690:
	s_or_b64 exec, exec, s[0:1]
	v_cmp_lt_i32_e32 vcc, 40, v129
	s_waitcnt lgkmcnt(0)
	s_barrier
	s_and_saveexec_b64 s[0:1], vcc
	s_cbranch_execz .LBB118_692
; %bb.691:
	ds_read2_b64 v[134:137], v128 offset0:41 offset1:42
	ds_read2_b64 v[138:141], v128 offset0:43 offset1:44
	;; [unrolled: 1-line block ×3, first 2 shown]
	v_mul_f64 v[40:41], v[124:125], v[40:41]
	ds_read_b64 v[124:125], v128 offset:472
	s_waitcnt lgkmcnt(0)
	v_fma_f64 v[38:39], -v[40:41], v[134:135], v[38:39]
	v_fma_f64 v[36:37], -v[40:41], v[136:137], v[36:37]
	ds_read2_b64 v[134:137], v128 offset0:47 offset1:48
	v_fma_f64 v[34:35], -v[40:41], v[138:139], v[34:35]
	v_fma_f64 v[32:33], -v[40:41], v[140:141], v[32:33]
	;; [unrolled: 1-line block ×3, first 2 shown]
	ds_read2_b64 v[138:141], v128 offset0:49 offset1:50
	v_fma_f64 v[28:29], -v[40:41], v[144:145], v[28:29]
	ds_read2_b64 v[142:145], v128 offset0:51 offset1:52
	s_waitcnt lgkmcnt(0)
	v_fma_f64 v[26:27], -v[40:41], v[134:135], v[26:27]
	v_fma_f64 v[24:25], -v[40:41], v[136:137], v[24:25]
	;; [unrolled: 1-line block ×3, first 2 shown]
	ds_read2_b64 v[134:137], v128 offset0:53 offset1:54
	v_fma_f64 v[20:21], -v[40:41], v[140:141], v[20:21]
	ds_read2_b64 v[138:141], v128 offset0:55 offset1:56
	v_fma_f64 v[18:19], -v[40:41], v[142:143], v[18:19]
	v_fma_f64 v[16:17], -v[40:41], v[144:145], v[16:17]
	ds_read2_b64 v[142:145], v128 offset0:57 offset1:58
	s_waitcnt lgkmcnt(0)
	v_fma_f64 v[14:15], -v[40:41], v[134:135], v[14:15]
	v_fma_f64 v[12:13], -v[40:41], v[136:137], v[12:13]
	;; [unrolled: 1-line block ×7, first 2 shown]
.LBB118_692:
	s_or_b64 exec, exec, s[0:1]
	v_lshl_add_u32 v124, v129, 3, v128
	s_barrier
	ds_write_b64 v124, v[38:39]
	s_waitcnt lgkmcnt(0)
	s_barrier
	ds_read_b64 v[124:125], v128 offset:328
	s_cmp_lt_i32 s18, 43
	v_mov_b32_e32 v126, 41
	s_cbranch_scc1 .LBB118_695
; %bb.693:
	v_add_u32_e32 v133, 0x150, v128
	s_mov_b32 s0, 42
	v_mov_b32_e32 v126, 41
.LBB118_694:                            ; =>This Inner Loop Header: Depth=1
	ds_read_b64 v[134:135], v133
	v_mov_b32_e32 v136, s0
	s_add_i32 s0, s0, 1
	v_add_u32_e32 v133, 8, v133
	s_cmp_lg_u32 s18, s0
	s_waitcnt lgkmcnt(0)
	v_cmp_lt_f64_e64 vcc, |v[124:125]|, |v[134:135]|
	v_cndmask_b32_e32 v125, v125, v135, vcc
	v_cndmask_b32_e32 v124, v124, v134, vcc
	;; [unrolled: 1-line block ×3, first 2 shown]
	s_cbranch_scc1 .LBB118_694
.LBB118_695:
	s_waitcnt lgkmcnt(0)
	v_cmp_eq_f64_e32 vcc, 0, v[124:125]
	s_and_saveexec_b64 s[0:1], vcc
	s_xor_b64 s[0:1], exec, s[0:1]
; %bb.696:
	v_cmp_ne_u32_e32 vcc, 0, v132
	v_cndmask_b32_e32 v132, 42, v132, vcc
; %bb.697:
	s_andn2_saveexec_b64 s[0:1], s[0:1]
; %bb.698:
	v_div_scale_f64 v[134:135], s[2:3], v[124:125], v[124:125], 1.0
	v_rcp_f64_e32 v[136:137], v[134:135]
	v_div_scale_f64 v[138:139], vcc, 1.0, v[124:125], 1.0
	v_fma_f64 v[140:141], -v[134:135], v[136:137], 1.0
	v_fmac_f64_e32 v[136:137], v[136:137], v[140:141]
	v_fma_f64 v[140:141], -v[134:135], v[136:137], 1.0
	v_fmac_f64_e32 v[136:137], v[136:137], v[140:141]
	v_mul_f64 v[140:141], v[138:139], v[136:137]
	v_fma_f64 v[134:135], -v[134:135], v[140:141], v[138:139]
	v_div_fmas_f64 v[134:135], v[134:135], v[136:137], v[140:141]
	v_div_fixup_f64 v[124:125], v[134:135], v[124:125], 1.0
; %bb.699:
	s_or_b64 exec, exec, s[0:1]
	v_cmp_ne_u32_e32 vcc, v129, v126
	s_and_saveexec_b64 s[0:1], vcc
	s_xor_b64 s[0:1], exec, s[0:1]
	s_cbranch_execz .LBB118_705
; %bb.700:
	v_cmp_eq_u32_e32 vcc, 41, v129
	s_and_saveexec_b64 s[2:3], vcc
	s_cbranch_execz .LBB118_704
; %bb.701:
	v_cmp_ne_u32_e32 vcc, 41, v126
	s_xor_b64 s[14:15], s[6:7], -1
	s_and_b64 s[16:17], s[14:15], vcc
	s_and_saveexec_b64 s[14:15], s[16:17]
	s_cbranch_execz .LBB118_703
; %bb.702:
	v_ashrrev_i32_e32 v127, 31, v126
	v_lshlrev_b64 v[134:135], 2, v[126:127]
	v_add_co_u32_e32 v134, vcc, v4, v134
	v_addc_co_u32_e32 v135, vcc, v5, v135, vcc
	flat_load_dword v127, v[134:135]
	flat_load_dword v129, v[4:5] offset:164
	s_waitcnt vmcnt(0) lgkmcnt(0)
	flat_store_dword v[4:5], v127 offset:164
	flat_store_dword v[134:135], v129
.LBB118_703:
	s_or_b64 exec, exec, s[14:15]
	v_mov_b32_e32 v127, v126
	v_mov_b32_e32 v129, v126
.LBB118_704:
	s_or_b64 exec, exec, s[2:3]
.LBB118_705:
	s_andn2_saveexec_b64 s[0:1], s[0:1]
	s_cbranch_execz .LBB118_707
; %bb.706:
	v_mov_b32_e32 v134, v36
	v_mov_b32_e32 v135, v37
	v_mov_b32_e32 v136, v34
	v_mov_b32_e32 v137, v35
	ds_write2_b64 v128, v[134:135], v[136:137] offset0:42 offset1:43
	v_mov_b32_e32 v134, v32
	v_mov_b32_e32 v135, v33
	v_mov_b32_e32 v136, v30
	v_mov_b32_e32 v137, v31
	ds_write2_b64 v128, v[134:135], v[136:137] offset0:44 offset1:45
	;; [unrolled: 5-line block ×8, first 2 shown]
	v_mov_b32_e32 v134, v0
	v_mov_b32_e32 v135, v1
	;; [unrolled: 1-line block ×3, first 2 shown]
	ds_write2_b64 v128, v[134:135], v[122:123] offset0:58 offset1:59
.LBB118_707:
	s_or_b64 exec, exec, s[0:1]
	v_cmp_lt_i32_e32 vcc, 41, v129
	s_waitcnt lgkmcnt(0)
	s_barrier
	s_and_saveexec_b64 s[0:1], vcc
	s_cbranch_execz .LBB118_709
; %bb.708:
	ds_read2_b64 v[134:137], v128 offset0:42 offset1:43
	ds_read2_b64 v[138:141], v128 offset0:44 offset1:45
	;; [unrolled: 1-line block ×3, first 2 shown]
	v_mul_f64 v[38:39], v[124:125], v[38:39]
	s_waitcnt lgkmcnt(0)
	v_fma_f64 v[36:37], -v[38:39], v[134:135], v[36:37]
	v_fma_f64 v[34:35], -v[38:39], v[136:137], v[34:35]
	ds_read2_b64 v[134:137], v128 offset0:48 offset1:49
	v_fma_f64 v[32:33], -v[38:39], v[138:139], v[32:33]
	v_fma_f64 v[30:31], -v[38:39], v[140:141], v[30:31]
	;; [unrolled: 1-line block ×3, first 2 shown]
	ds_read2_b64 v[138:141], v128 offset0:50 offset1:51
	v_fma_f64 v[26:27], -v[38:39], v[144:145], v[26:27]
	ds_read2_b64 v[142:145], v128 offset0:52 offset1:53
	s_waitcnt lgkmcnt(0)
	v_fma_f64 v[24:25], -v[38:39], v[134:135], v[24:25]
	v_fma_f64 v[22:23], -v[38:39], v[136:137], v[22:23]
	;; [unrolled: 1-line block ×4, first 2 shown]
	ds_read2_b64 v[134:137], v128 offset0:54 offset1:55
	ds_read2_b64 v[138:141], v128 offset0:56 offset1:57
	v_fma_f64 v[16:17], -v[38:39], v[142:143], v[16:17]
	v_fma_f64 v[14:15], -v[38:39], v[144:145], v[14:15]
	ds_read2_b64 v[142:145], v128 offset0:58 offset1:59
	s_waitcnt lgkmcnt(0)
	v_fma_f64 v[12:13], -v[38:39], v[134:135], v[12:13]
	v_fma_f64 v[10:11], -v[38:39], v[136:137], v[10:11]
	;; [unrolled: 1-line block ×6, first 2 shown]
.LBB118_709:
	s_or_b64 exec, exec, s[0:1]
	v_lshl_add_u32 v124, v129, 3, v128
	s_barrier
	ds_write_b64 v124, v[36:37]
	s_waitcnt lgkmcnt(0)
	s_barrier
	ds_read_b64 v[124:125], v128 offset:336
	s_cmp_lt_i32 s18, 44
	v_mov_b32_e32 v126, 42
	s_cbranch_scc1 .LBB118_712
; %bb.710:
	v_add_u32_e32 v133, 0x158, v128
	s_mov_b32 s0, 43
	v_mov_b32_e32 v126, 42
.LBB118_711:                            ; =>This Inner Loop Header: Depth=1
	ds_read_b64 v[134:135], v133
	v_mov_b32_e32 v136, s0
	s_add_i32 s0, s0, 1
	v_add_u32_e32 v133, 8, v133
	s_cmp_lg_u32 s18, s0
	s_waitcnt lgkmcnt(0)
	v_cmp_lt_f64_e64 vcc, |v[124:125]|, |v[134:135]|
	v_cndmask_b32_e32 v125, v125, v135, vcc
	v_cndmask_b32_e32 v124, v124, v134, vcc
	;; [unrolled: 1-line block ×3, first 2 shown]
	s_cbranch_scc1 .LBB118_711
.LBB118_712:
	s_waitcnt lgkmcnt(0)
	v_cmp_eq_f64_e32 vcc, 0, v[124:125]
	s_and_saveexec_b64 s[0:1], vcc
	s_xor_b64 s[0:1], exec, s[0:1]
; %bb.713:
	v_cmp_ne_u32_e32 vcc, 0, v132
	v_cndmask_b32_e32 v132, 43, v132, vcc
; %bb.714:
	s_andn2_saveexec_b64 s[0:1], s[0:1]
; %bb.715:
	v_div_scale_f64 v[134:135], s[2:3], v[124:125], v[124:125], 1.0
	v_rcp_f64_e32 v[136:137], v[134:135]
	v_div_scale_f64 v[138:139], vcc, 1.0, v[124:125], 1.0
	v_fma_f64 v[140:141], -v[134:135], v[136:137], 1.0
	v_fmac_f64_e32 v[136:137], v[136:137], v[140:141]
	v_fma_f64 v[140:141], -v[134:135], v[136:137], 1.0
	v_fmac_f64_e32 v[136:137], v[136:137], v[140:141]
	v_mul_f64 v[140:141], v[138:139], v[136:137]
	v_fma_f64 v[134:135], -v[134:135], v[140:141], v[138:139]
	v_div_fmas_f64 v[134:135], v[134:135], v[136:137], v[140:141]
	v_div_fixup_f64 v[124:125], v[134:135], v[124:125], 1.0
; %bb.716:
	s_or_b64 exec, exec, s[0:1]
	v_cmp_ne_u32_e32 vcc, v129, v126
	s_and_saveexec_b64 s[0:1], vcc
	s_xor_b64 s[0:1], exec, s[0:1]
	s_cbranch_execz .LBB118_722
; %bb.717:
	v_cmp_eq_u32_e32 vcc, 42, v129
	s_and_saveexec_b64 s[2:3], vcc
	s_cbranch_execz .LBB118_721
; %bb.718:
	v_cmp_ne_u32_e32 vcc, 42, v126
	s_xor_b64 s[14:15], s[6:7], -1
	s_and_b64 s[16:17], s[14:15], vcc
	s_and_saveexec_b64 s[14:15], s[16:17]
	s_cbranch_execz .LBB118_720
; %bb.719:
	v_ashrrev_i32_e32 v127, 31, v126
	v_lshlrev_b64 v[134:135], 2, v[126:127]
	v_add_co_u32_e32 v134, vcc, v4, v134
	v_addc_co_u32_e32 v135, vcc, v5, v135, vcc
	flat_load_dword v127, v[134:135]
	flat_load_dword v129, v[4:5] offset:168
	s_waitcnt vmcnt(0) lgkmcnt(0)
	flat_store_dword v[4:5], v127 offset:168
	flat_store_dword v[134:135], v129
.LBB118_720:
	s_or_b64 exec, exec, s[14:15]
	v_mov_b32_e32 v127, v126
	v_mov_b32_e32 v129, v126
.LBB118_721:
	s_or_b64 exec, exec, s[2:3]
.LBB118_722:
	s_andn2_saveexec_b64 s[0:1], s[0:1]
	s_cbranch_execz .LBB118_724
; %bb.723:
	v_mov_b32_e32 v129, 42
	ds_write2_b64 v128, v[34:35], v[32:33] offset0:43 offset1:44
	ds_write2_b64 v128, v[30:31], v[28:29] offset0:45 offset1:46
	;; [unrolled: 1-line block ×8, first 2 shown]
	ds_write_b64 v128, v[122:123] offset:472
.LBB118_724:
	s_or_b64 exec, exec, s[0:1]
	v_cmp_lt_i32_e32 vcc, 42, v129
	s_waitcnt lgkmcnt(0)
	s_barrier
	s_and_saveexec_b64 s[0:1], vcc
	s_cbranch_execz .LBB118_726
; %bb.725:
	ds_read2_b64 v[134:137], v128 offset0:43 offset1:44
	ds_read2_b64 v[138:141], v128 offset0:45 offset1:46
	v_mul_f64 v[36:37], v[124:125], v[36:37]
	ds_read2_b64 v[142:145], v128 offset0:47 offset1:48
	ds_read_b64 v[124:125], v128 offset:472
	s_waitcnt lgkmcnt(0)
	v_fma_f64 v[34:35], -v[36:37], v[134:135], v[34:35]
	v_fma_f64 v[32:33], -v[36:37], v[136:137], v[32:33]
	ds_read2_b64 v[134:137], v128 offset0:49 offset1:50
	v_fma_f64 v[30:31], -v[36:37], v[138:139], v[30:31]
	v_fma_f64 v[28:29], -v[36:37], v[140:141], v[28:29]
	ds_read2_b64 v[138:141], v128 offset0:51 offset1:52
	;; [unrolled: 3-line block ×3, first 2 shown]
	s_waitcnt lgkmcnt(0)
	v_fma_f64 v[22:23], -v[36:37], v[134:135], v[22:23]
	v_fma_f64 v[20:21], -v[36:37], v[136:137], v[20:21]
	;; [unrolled: 1-line block ×4, first 2 shown]
	ds_read2_b64 v[134:137], v128 offset0:55 offset1:56
	ds_read2_b64 v[138:141], v128 offset0:57 offset1:58
	v_fma_f64 v[14:15], -v[36:37], v[142:143], v[14:15]
	v_fma_f64 v[12:13], -v[36:37], v[144:145], v[12:13]
	;; [unrolled: 1-line block ×3, first 2 shown]
	s_waitcnt lgkmcnt(0)
	v_fma_f64 v[10:11], -v[36:37], v[134:135], v[10:11]
	v_fma_f64 v[8:9], -v[36:37], v[136:137], v[8:9]
	;; [unrolled: 1-line block ×4, first 2 shown]
.LBB118_726:
	s_or_b64 exec, exec, s[0:1]
	v_lshl_add_u32 v124, v129, 3, v128
	s_barrier
	ds_write_b64 v124, v[34:35]
	s_waitcnt lgkmcnt(0)
	s_barrier
	ds_read_b64 v[124:125], v128 offset:344
	s_cmp_lt_i32 s18, 45
	v_mov_b32_e32 v126, 43
	s_cbranch_scc1 .LBB118_729
; %bb.727:
	v_add_u32_e32 v133, 0x160, v128
	s_mov_b32 s0, 44
	v_mov_b32_e32 v126, 43
.LBB118_728:                            ; =>This Inner Loop Header: Depth=1
	ds_read_b64 v[134:135], v133
	v_mov_b32_e32 v136, s0
	s_add_i32 s0, s0, 1
	v_add_u32_e32 v133, 8, v133
	s_cmp_lg_u32 s18, s0
	s_waitcnt lgkmcnt(0)
	v_cmp_lt_f64_e64 vcc, |v[124:125]|, |v[134:135]|
	v_cndmask_b32_e32 v125, v125, v135, vcc
	v_cndmask_b32_e32 v124, v124, v134, vcc
	;; [unrolled: 1-line block ×3, first 2 shown]
	s_cbranch_scc1 .LBB118_728
.LBB118_729:
	s_waitcnt lgkmcnt(0)
	v_cmp_eq_f64_e32 vcc, 0, v[124:125]
	s_and_saveexec_b64 s[0:1], vcc
	s_xor_b64 s[0:1], exec, s[0:1]
; %bb.730:
	v_cmp_ne_u32_e32 vcc, 0, v132
	v_cndmask_b32_e32 v132, 44, v132, vcc
; %bb.731:
	s_andn2_saveexec_b64 s[0:1], s[0:1]
; %bb.732:
	v_div_scale_f64 v[134:135], s[2:3], v[124:125], v[124:125], 1.0
	v_rcp_f64_e32 v[136:137], v[134:135]
	v_div_scale_f64 v[138:139], vcc, 1.0, v[124:125], 1.0
	v_fma_f64 v[140:141], -v[134:135], v[136:137], 1.0
	v_fmac_f64_e32 v[136:137], v[136:137], v[140:141]
	v_fma_f64 v[140:141], -v[134:135], v[136:137], 1.0
	v_fmac_f64_e32 v[136:137], v[136:137], v[140:141]
	v_mul_f64 v[140:141], v[138:139], v[136:137]
	v_fma_f64 v[134:135], -v[134:135], v[140:141], v[138:139]
	v_div_fmas_f64 v[134:135], v[134:135], v[136:137], v[140:141]
	v_div_fixup_f64 v[124:125], v[134:135], v[124:125], 1.0
; %bb.733:
	s_or_b64 exec, exec, s[0:1]
	v_cmp_ne_u32_e32 vcc, v129, v126
	s_and_saveexec_b64 s[0:1], vcc
	s_xor_b64 s[0:1], exec, s[0:1]
	s_cbranch_execz .LBB118_739
; %bb.734:
	v_cmp_eq_u32_e32 vcc, 43, v129
	s_and_saveexec_b64 s[2:3], vcc
	s_cbranch_execz .LBB118_738
; %bb.735:
	v_cmp_ne_u32_e32 vcc, 43, v126
	s_xor_b64 s[14:15], s[6:7], -1
	s_and_b64 s[16:17], s[14:15], vcc
	s_and_saveexec_b64 s[14:15], s[16:17]
	s_cbranch_execz .LBB118_737
; %bb.736:
	v_ashrrev_i32_e32 v127, 31, v126
	v_lshlrev_b64 v[134:135], 2, v[126:127]
	v_add_co_u32_e32 v134, vcc, v4, v134
	v_addc_co_u32_e32 v135, vcc, v5, v135, vcc
	flat_load_dword v127, v[134:135]
	flat_load_dword v129, v[4:5] offset:172
	s_waitcnt vmcnt(0) lgkmcnt(0)
	flat_store_dword v[4:5], v127 offset:172
	flat_store_dword v[134:135], v129
.LBB118_737:
	s_or_b64 exec, exec, s[14:15]
	v_mov_b32_e32 v127, v126
	v_mov_b32_e32 v129, v126
.LBB118_738:
	s_or_b64 exec, exec, s[2:3]
.LBB118_739:
	s_andn2_saveexec_b64 s[0:1], s[0:1]
	s_cbranch_execz .LBB118_741
; %bb.740:
	v_mov_b32_e32 v134, v32
	v_mov_b32_e32 v135, v33
	v_mov_b32_e32 v136, v30
	v_mov_b32_e32 v137, v31
	ds_write2_b64 v128, v[134:135], v[136:137] offset0:44 offset1:45
	v_mov_b32_e32 v134, v28
	v_mov_b32_e32 v135, v29
	v_mov_b32_e32 v136, v26
	v_mov_b32_e32 v137, v27
	ds_write2_b64 v128, v[134:135], v[136:137] offset0:46 offset1:47
	v_mov_b32_e32 v134, v24
	v_mov_b32_e32 v135, v25
	v_mov_b32_e32 v136, v22
	v_mov_b32_e32 v137, v23
	ds_write2_b64 v128, v[134:135], v[136:137] offset0:48 offset1:49
	v_mov_b32_e32 v134, v20
	v_mov_b32_e32 v135, v21
	v_mov_b32_e32 v136, v18
	v_mov_b32_e32 v137, v19
	ds_write2_b64 v128, v[134:135], v[136:137] offset0:50 offset1:51
	v_mov_b32_e32 v134, v16
	v_mov_b32_e32 v135, v17
	v_mov_b32_e32 v136, v14
	v_mov_b32_e32 v137, v15
	ds_write2_b64 v128, v[134:135], v[136:137] offset0:52 offset1:53
	v_mov_b32_e32 v134, v12
	v_mov_b32_e32 v135, v13
	v_mov_b32_e32 v136, v10
	v_mov_b32_e32 v137, v11
	ds_write2_b64 v128, v[134:135], v[136:137] offset0:54 offset1:55
	v_mov_b32_e32 v134, v8
	v_mov_b32_e32 v135, v9
	v_mov_b32_e32 v136, v6
	v_mov_b32_e32 v137, v7
	ds_write2_b64 v128, v[134:135], v[136:137] offset0:56 offset1:57
	v_mov_b32_e32 v134, v0
	v_mov_b32_e32 v135, v1
	;; [unrolled: 1-line block ×3, first 2 shown]
	ds_write2_b64 v128, v[134:135], v[122:123] offset0:58 offset1:59
.LBB118_741:
	s_or_b64 exec, exec, s[0:1]
	v_cmp_lt_i32_e32 vcc, 43, v129
	s_waitcnt lgkmcnt(0)
	s_barrier
	s_and_saveexec_b64 s[0:1], vcc
	s_cbranch_execz .LBB118_743
; %bb.742:
	ds_read2_b64 v[134:137], v128 offset0:44 offset1:45
	ds_read2_b64 v[138:141], v128 offset0:46 offset1:47
	v_mul_f64 v[34:35], v[124:125], v[34:35]
	ds_read2_b64 v[142:145], v128 offset0:48 offset1:49
	s_waitcnt lgkmcnt(0)
	v_fma_f64 v[32:33], -v[34:35], v[134:135], v[32:33]
	v_fma_f64 v[30:31], -v[34:35], v[136:137], v[30:31]
	ds_read2_b64 v[134:137], v128 offset0:50 offset1:51
	v_fma_f64 v[28:29], -v[34:35], v[138:139], v[28:29]
	v_fma_f64 v[26:27], -v[34:35], v[140:141], v[26:27]
	ds_read2_b64 v[138:141], v128 offset0:52 offset1:53
	v_fma_f64 v[24:25], -v[34:35], v[142:143], v[24:25]
	v_fma_f64 v[22:23], -v[34:35], v[144:145], v[22:23]
	s_waitcnt lgkmcnt(0)
	v_fma_f64 v[20:21], -v[34:35], v[134:135], v[20:21]
	v_fma_f64 v[18:19], -v[34:35], v[136:137], v[18:19]
	ds_read2_b64 v[134:137], v128 offset0:54 offset1:55
	v_fma_f64 v[16:17], -v[34:35], v[138:139], v[16:17]
	ds_read2_b64 v[142:145], v128 offset0:56 offset1:57
	;; [unrolled: 2-line block ×3, first 2 shown]
	s_waitcnt lgkmcnt(0)
	v_fma_f64 v[12:13], -v[34:35], v[134:135], v[12:13]
	v_fma_f64 v[10:11], -v[34:35], v[136:137], v[10:11]
	;; [unrolled: 1-line block ×6, first 2 shown]
.LBB118_743:
	s_or_b64 exec, exec, s[0:1]
	v_lshl_add_u32 v124, v129, 3, v128
	s_barrier
	ds_write_b64 v124, v[32:33]
	s_waitcnt lgkmcnt(0)
	s_barrier
	ds_read_b64 v[124:125], v128 offset:352
	s_cmp_lt_i32 s18, 46
	v_mov_b32_e32 v126, 44
	s_cbranch_scc1 .LBB118_746
; %bb.744:
	v_add_u32_e32 v133, 0x168, v128
	s_mov_b32 s0, 45
	v_mov_b32_e32 v126, 44
.LBB118_745:                            ; =>This Inner Loop Header: Depth=1
	ds_read_b64 v[134:135], v133
	v_mov_b32_e32 v136, s0
	s_add_i32 s0, s0, 1
	v_add_u32_e32 v133, 8, v133
	s_cmp_lg_u32 s18, s0
	s_waitcnt lgkmcnt(0)
	v_cmp_lt_f64_e64 vcc, |v[124:125]|, |v[134:135]|
	v_cndmask_b32_e32 v125, v125, v135, vcc
	v_cndmask_b32_e32 v124, v124, v134, vcc
	;; [unrolled: 1-line block ×3, first 2 shown]
	s_cbranch_scc1 .LBB118_745
.LBB118_746:
	s_waitcnt lgkmcnt(0)
	v_cmp_eq_f64_e32 vcc, 0, v[124:125]
	s_and_saveexec_b64 s[0:1], vcc
	s_xor_b64 s[0:1], exec, s[0:1]
; %bb.747:
	v_cmp_ne_u32_e32 vcc, 0, v132
	v_cndmask_b32_e32 v132, 45, v132, vcc
; %bb.748:
	s_andn2_saveexec_b64 s[0:1], s[0:1]
; %bb.749:
	v_div_scale_f64 v[134:135], s[2:3], v[124:125], v[124:125], 1.0
	v_rcp_f64_e32 v[136:137], v[134:135]
	v_div_scale_f64 v[138:139], vcc, 1.0, v[124:125], 1.0
	v_fma_f64 v[140:141], -v[134:135], v[136:137], 1.0
	v_fmac_f64_e32 v[136:137], v[136:137], v[140:141]
	v_fma_f64 v[140:141], -v[134:135], v[136:137], 1.0
	v_fmac_f64_e32 v[136:137], v[136:137], v[140:141]
	v_mul_f64 v[140:141], v[138:139], v[136:137]
	v_fma_f64 v[134:135], -v[134:135], v[140:141], v[138:139]
	v_div_fmas_f64 v[134:135], v[134:135], v[136:137], v[140:141]
	v_div_fixup_f64 v[124:125], v[134:135], v[124:125], 1.0
; %bb.750:
	s_or_b64 exec, exec, s[0:1]
	v_cmp_ne_u32_e32 vcc, v129, v126
	s_and_saveexec_b64 s[0:1], vcc
	s_xor_b64 s[0:1], exec, s[0:1]
	s_cbranch_execz .LBB118_756
; %bb.751:
	v_cmp_eq_u32_e32 vcc, 44, v129
	s_and_saveexec_b64 s[2:3], vcc
	s_cbranch_execz .LBB118_755
; %bb.752:
	v_cmp_ne_u32_e32 vcc, 44, v126
	s_xor_b64 s[14:15], s[6:7], -1
	s_and_b64 s[16:17], s[14:15], vcc
	s_and_saveexec_b64 s[14:15], s[16:17]
	s_cbranch_execz .LBB118_754
; %bb.753:
	v_ashrrev_i32_e32 v127, 31, v126
	v_lshlrev_b64 v[134:135], 2, v[126:127]
	v_add_co_u32_e32 v134, vcc, v4, v134
	v_addc_co_u32_e32 v135, vcc, v5, v135, vcc
	flat_load_dword v127, v[134:135]
	flat_load_dword v129, v[4:5] offset:176
	s_waitcnt vmcnt(0) lgkmcnt(0)
	flat_store_dword v[4:5], v127 offset:176
	flat_store_dword v[134:135], v129
.LBB118_754:
	s_or_b64 exec, exec, s[14:15]
	v_mov_b32_e32 v127, v126
	v_mov_b32_e32 v129, v126
.LBB118_755:
	s_or_b64 exec, exec, s[2:3]
.LBB118_756:
	s_andn2_saveexec_b64 s[0:1], s[0:1]
	s_cbranch_execz .LBB118_758
; %bb.757:
	v_mov_b32_e32 v129, 44
	ds_write2_b64 v128, v[30:31], v[28:29] offset0:45 offset1:46
	ds_write2_b64 v128, v[26:27], v[24:25] offset0:47 offset1:48
	;; [unrolled: 1-line block ×7, first 2 shown]
	ds_write_b64 v128, v[122:123] offset:472
.LBB118_758:
	s_or_b64 exec, exec, s[0:1]
	v_cmp_lt_i32_e32 vcc, 44, v129
	s_waitcnt lgkmcnt(0)
	s_barrier
	s_and_saveexec_b64 s[0:1], vcc
	s_cbranch_execz .LBB118_760
; %bb.759:
	ds_read2_b64 v[134:137], v128 offset0:45 offset1:46
	ds_read2_b64 v[138:141], v128 offset0:47 offset1:48
	v_mul_f64 v[32:33], v[124:125], v[32:33]
	ds_read2_b64 v[142:145], v128 offset0:49 offset1:50
	ds_read_b64 v[124:125], v128 offset:472
	s_waitcnt lgkmcnt(0)
	v_fma_f64 v[30:31], -v[32:33], v[134:135], v[30:31]
	v_fma_f64 v[28:29], -v[32:33], v[136:137], v[28:29]
	ds_read2_b64 v[134:137], v128 offset0:51 offset1:52
	v_fma_f64 v[26:27], -v[32:33], v[138:139], v[26:27]
	v_fma_f64 v[24:25], -v[32:33], v[140:141], v[24:25]
	v_fma_f64 v[22:23], -v[32:33], v[142:143], v[22:23]
	ds_read2_b64 v[138:141], v128 offset0:53 offset1:54
	v_fma_f64 v[20:21], -v[32:33], v[144:145], v[20:21]
	s_waitcnt lgkmcnt(0)
	v_fma_f64 v[18:19], -v[32:33], v[134:135], v[18:19]
	v_fma_f64 v[16:17], -v[32:33], v[136:137], v[16:17]
	ds_read2_b64 v[134:137], v128 offset0:55 offset1:56
	ds_read2_b64 v[142:145], v128 offset0:57 offset1:58
	v_fma_f64 v[14:15], -v[32:33], v[138:139], v[14:15]
	v_fma_f64 v[12:13], -v[32:33], v[140:141], v[12:13]
	;; [unrolled: 1-line block ×3, first 2 shown]
	s_waitcnt lgkmcnt(0)
	v_fma_f64 v[10:11], -v[32:33], v[134:135], v[10:11]
	v_fma_f64 v[8:9], -v[32:33], v[136:137], v[8:9]
	;; [unrolled: 1-line block ×4, first 2 shown]
.LBB118_760:
	s_or_b64 exec, exec, s[0:1]
	v_lshl_add_u32 v124, v129, 3, v128
	s_barrier
	ds_write_b64 v124, v[30:31]
	s_waitcnt lgkmcnt(0)
	s_barrier
	ds_read_b64 v[124:125], v128 offset:360
	s_cmp_lt_i32 s18, 47
	v_mov_b32_e32 v126, 45
	s_cbranch_scc1 .LBB118_763
; %bb.761:
	v_add_u32_e32 v133, 0x170, v128
	s_mov_b32 s0, 46
	v_mov_b32_e32 v126, 45
.LBB118_762:                            ; =>This Inner Loop Header: Depth=1
	ds_read_b64 v[134:135], v133
	v_mov_b32_e32 v136, s0
	s_add_i32 s0, s0, 1
	v_add_u32_e32 v133, 8, v133
	s_cmp_lg_u32 s18, s0
	s_waitcnt lgkmcnt(0)
	v_cmp_lt_f64_e64 vcc, |v[124:125]|, |v[134:135]|
	v_cndmask_b32_e32 v125, v125, v135, vcc
	v_cndmask_b32_e32 v124, v124, v134, vcc
	;; [unrolled: 1-line block ×3, first 2 shown]
	s_cbranch_scc1 .LBB118_762
.LBB118_763:
	s_waitcnt lgkmcnt(0)
	v_cmp_eq_f64_e32 vcc, 0, v[124:125]
	s_and_saveexec_b64 s[0:1], vcc
	s_xor_b64 s[0:1], exec, s[0:1]
; %bb.764:
	v_cmp_ne_u32_e32 vcc, 0, v132
	v_cndmask_b32_e32 v132, 46, v132, vcc
; %bb.765:
	s_andn2_saveexec_b64 s[0:1], s[0:1]
; %bb.766:
	v_div_scale_f64 v[134:135], s[2:3], v[124:125], v[124:125], 1.0
	v_rcp_f64_e32 v[136:137], v[134:135]
	v_div_scale_f64 v[138:139], vcc, 1.0, v[124:125], 1.0
	v_fma_f64 v[140:141], -v[134:135], v[136:137], 1.0
	v_fmac_f64_e32 v[136:137], v[136:137], v[140:141]
	v_fma_f64 v[140:141], -v[134:135], v[136:137], 1.0
	v_fmac_f64_e32 v[136:137], v[136:137], v[140:141]
	v_mul_f64 v[140:141], v[138:139], v[136:137]
	v_fma_f64 v[134:135], -v[134:135], v[140:141], v[138:139]
	v_div_fmas_f64 v[134:135], v[134:135], v[136:137], v[140:141]
	v_div_fixup_f64 v[124:125], v[134:135], v[124:125], 1.0
; %bb.767:
	s_or_b64 exec, exec, s[0:1]
	v_cmp_ne_u32_e32 vcc, v129, v126
	s_and_saveexec_b64 s[0:1], vcc
	s_xor_b64 s[0:1], exec, s[0:1]
	s_cbranch_execz .LBB118_773
; %bb.768:
	v_cmp_eq_u32_e32 vcc, 45, v129
	s_and_saveexec_b64 s[2:3], vcc
	s_cbranch_execz .LBB118_772
; %bb.769:
	v_cmp_ne_u32_e32 vcc, 45, v126
	s_xor_b64 s[14:15], s[6:7], -1
	s_and_b64 s[16:17], s[14:15], vcc
	s_and_saveexec_b64 s[14:15], s[16:17]
	s_cbranch_execz .LBB118_771
; %bb.770:
	v_ashrrev_i32_e32 v127, 31, v126
	v_lshlrev_b64 v[134:135], 2, v[126:127]
	v_add_co_u32_e32 v134, vcc, v4, v134
	v_addc_co_u32_e32 v135, vcc, v5, v135, vcc
	flat_load_dword v127, v[134:135]
	flat_load_dword v129, v[4:5] offset:180
	s_waitcnt vmcnt(0) lgkmcnt(0)
	flat_store_dword v[4:5], v127 offset:180
	flat_store_dword v[134:135], v129
.LBB118_771:
	s_or_b64 exec, exec, s[14:15]
	v_mov_b32_e32 v127, v126
	v_mov_b32_e32 v129, v126
.LBB118_772:
	s_or_b64 exec, exec, s[2:3]
.LBB118_773:
	s_andn2_saveexec_b64 s[0:1], s[0:1]
	s_cbranch_execz .LBB118_775
; %bb.774:
	v_mov_b32_e32 v134, v28
	v_mov_b32_e32 v135, v29
	v_mov_b32_e32 v136, v26
	v_mov_b32_e32 v137, v27
	ds_write2_b64 v128, v[134:135], v[136:137] offset0:46 offset1:47
	v_mov_b32_e32 v134, v24
	v_mov_b32_e32 v135, v25
	v_mov_b32_e32 v136, v22
	v_mov_b32_e32 v137, v23
	ds_write2_b64 v128, v[134:135], v[136:137] offset0:48 offset1:49
	;; [unrolled: 5-line block ×6, first 2 shown]
	v_mov_b32_e32 v134, v0
	v_mov_b32_e32 v135, v1
	;; [unrolled: 1-line block ×3, first 2 shown]
	ds_write2_b64 v128, v[134:135], v[122:123] offset0:58 offset1:59
.LBB118_775:
	s_or_b64 exec, exec, s[0:1]
	v_cmp_lt_i32_e32 vcc, 45, v129
	s_waitcnt lgkmcnt(0)
	s_barrier
	s_and_saveexec_b64 s[0:1], vcc
	s_cbranch_execz .LBB118_777
; %bb.776:
	ds_read2_b64 v[134:137], v128 offset0:46 offset1:47
	ds_read2_b64 v[138:141], v128 offset0:48 offset1:49
	v_mul_f64 v[30:31], v[124:125], v[30:31]
	ds_read2_b64 v[142:145], v128 offset0:50 offset1:51
	s_waitcnt lgkmcnt(0)
	v_fma_f64 v[28:29], -v[30:31], v[134:135], v[28:29]
	v_fma_f64 v[26:27], -v[30:31], v[136:137], v[26:27]
	ds_read2_b64 v[134:137], v128 offset0:52 offset1:53
	v_fma_f64 v[24:25], -v[30:31], v[138:139], v[24:25]
	v_fma_f64 v[22:23], -v[30:31], v[140:141], v[22:23]
	;; [unrolled: 1-line block ×4, first 2 shown]
	ds_read2_b64 v[138:141], v128 offset0:54 offset1:55
	ds_read2_b64 v[142:145], v128 offset0:56 offset1:57
	s_waitcnt lgkmcnt(0)
	v_fma_f64 v[16:17], -v[30:31], v[134:135], v[16:17]
	v_fma_f64 v[14:15], -v[30:31], v[136:137], v[14:15]
	ds_read2_b64 v[134:137], v128 offset0:58 offset1:59
	v_fma_f64 v[12:13], -v[30:31], v[138:139], v[12:13]
	v_fma_f64 v[10:11], -v[30:31], v[140:141], v[10:11]
	;; [unrolled: 1-line block ×4, first 2 shown]
	s_waitcnt lgkmcnt(0)
	v_fma_f64 v[0:1], -v[30:31], v[134:135], v[0:1]
	v_fma_f64 v[122:123], -v[30:31], v[136:137], v[122:123]
.LBB118_777:
	s_or_b64 exec, exec, s[0:1]
	v_lshl_add_u32 v124, v129, 3, v128
	s_barrier
	ds_write_b64 v124, v[28:29]
	s_waitcnt lgkmcnt(0)
	s_barrier
	ds_read_b64 v[124:125], v128 offset:368
	s_cmp_lt_i32 s18, 48
	v_mov_b32_e32 v126, 46
	s_cbranch_scc1 .LBB118_780
; %bb.778:
	v_add_u32_e32 v133, 0x178, v128
	s_mov_b32 s0, 47
	v_mov_b32_e32 v126, 46
.LBB118_779:                            ; =>This Inner Loop Header: Depth=1
	ds_read_b64 v[134:135], v133
	v_mov_b32_e32 v136, s0
	s_add_i32 s0, s0, 1
	v_add_u32_e32 v133, 8, v133
	s_cmp_lg_u32 s18, s0
	s_waitcnt lgkmcnt(0)
	v_cmp_lt_f64_e64 vcc, |v[124:125]|, |v[134:135]|
	v_cndmask_b32_e32 v125, v125, v135, vcc
	v_cndmask_b32_e32 v124, v124, v134, vcc
	;; [unrolled: 1-line block ×3, first 2 shown]
	s_cbranch_scc1 .LBB118_779
.LBB118_780:
	s_waitcnt lgkmcnt(0)
	v_cmp_eq_f64_e32 vcc, 0, v[124:125]
	s_and_saveexec_b64 s[0:1], vcc
	s_xor_b64 s[0:1], exec, s[0:1]
; %bb.781:
	v_cmp_ne_u32_e32 vcc, 0, v132
	v_cndmask_b32_e32 v132, 47, v132, vcc
; %bb.782:
	s_andn2_saveexec_b64 s[0:1], s[0:1]
; %bb.783:
	v_div_scale_f64 v[134:135], s[2:3], v[124:125], v[124:125], 1.0
	v_rcp_f64_e32 v[136:137], v[134:135]
	v_div_scale_f64 v[138:139], vcc, 1.0, v[124:125], 1.0
	v_fma_f64 v[140:141], -v[134:135], v[136:137], 1.0
	v_fmac_f64_e32 v[136:137], v[136:137], v[140:141]
	v_fma_f64 v[140:141], -v[134:135], v[136:137], 1.0
	v_fmac_f64_e32 v[136:137], v[136:137], v[140:141]
	v_mul_f64 v[140:141], v[138:139], v[136:137]
	v_fma_f64 v[134:135], -v[134:135], v[140:141], v[138:139]
	v_div_fmas_f64 v[134:135], v[134:135], v[136:137], v[140:141]
	v_div_fixup_f64 v[124:125], v[134:135], v[124:125], 1.0
; %bb.784:
	s_or_b64 exec, exec, s[0:1]
	v_cmp_ne_u32_e32 vcc, v129, v126
	s_and_saveexec_b64 s[0:1], vcc
	s_xor_b64 s[0:1], exec, s[0:1]
	s_cbranch_execz .LBB118_790
; %bb.785:
	v_cmp_eq_u32_e32 vcc, 46, v129
	s_and_saveexec_b64 s[2:3], vcc
	s_cbranch_execz .LBB118_789
; %bb.786:
	v_cmp_ne_u32_e32 vcc, 46, v126
	s_xor_b64 s[14:15], s[6:7], -1
	s_and_b64 s[16:17], s[14:15], vcc
	s_and_saveexec_b64 s[14:15], s[16:17]
	s_cbranch_execz .LBB118_788
; %bb.787:
	v_ashrrev_i32_e32 v127, 31, v126
	v_lshlrev_b64 v[134:135], 2, v[126:127]
	v_add_co_u32_e32 v134, vcc, v4, v134
	v_addc_co_u32_e32 v135, vcc, v5, v135, vcc
	flat_load_dword v127, v[134:135]
	flat_load_dword v129, v[4:5] offset:184
	s_waitcnt vmcnt(0) lgkmcnt(0)
	flat_store_dword v[4:5], v127 offset:184
	flat_store_dword v[134:135], v129
.LBB118_788:
	s_or_b64 exec, exec, s[14:15]
	v_mov_b32_e32 v127, v126
	v_mov_b32_e32 v129, v126
.LBB118_789:
	s_or_b64 exec, exec, s[2:3]
.LBB118_790:
	s_andn2_saveexec_b64 s[0:1], s[0:1]
	s_cbranch_execz .LBB118_792
; %bb.791:
	v_mov_b32_e32 v129, 46
	ds_write2_b64 v128, v[26:27], v[24:25] offset0:47 offset1:48
	ds_write2_b64 v128, v[22:23], v[20:21] offset0:49 offset1:50
	;; [unrolled: 1-line block ×6, first 2 shown]
	ds_write_b64 v128, v[122:123] offset:472
.LBB118_792:
	s_or_b64 exec, exec, s[0:1]
	v_cmp_lt_i32_e32 vcc, 46, v129
	s_waitcnt lgkmcnt(0)
	s_barrier
	s_and_saveexec_b64 s[0:1], vcc
	s_cbranch_execz .LBB118_794
; %bb.793:
	ds_read2_b64 v[134:137], v128 offset0:47 offset1:48
	ds_read2_b64 v[138:141], v128 offset0:49 offset1:50
	;; [unrolled: 1-line block ×3, first 2 shown]
	v_mul_f64 v[28:29], v[124:125], v[28:29]
	ds_read_b64 v[124:125], v128 offset:472
	s_waitcnt lgkmcnt(0)
	v_fma_f64 v[26:27], -v[28:29], v[134:135], v[26:27]
	v_fma_f64 v[24:25], -v[28:29], v[136:137], v[24:25]
	ds_read2_b64 v[134:137], v128 offset0:53 offset1:54
	v_fma_f64 v[22:23], -v[28:29], v[138:139], v[22:23]
	v_fma_f64 v[20:21], -v[28:29], v[140:141], v[20:21]
	v_fma_f64 v[18:19], -v[28:29], v[142:143], v[18:19]
	v_fma_f64 v[16:17], -v[28:29], v[144:145], v[16:17]
	ds_read2_b64 v[138:141], v128 offset0:55 offset1:56
	ds_read2_b64 v[142:145], v128 offset0:57 offset1:58
	s_waitcnt lgkmcnt(0)
	v_fma_f64 v[14:15], -v[28:29], v[134:135], v[14:15]
	v_fma_f64 v[12:13], -v[28:29], v[136:137], v[12:13]
	;; [unrolled: 1-line block ×7, first 2 shown]
.LBB118_794:
	s_or_b64 exec, exec, s[0:1]
	v_lshl_add_u32 v124, v129, 3, v128
	s_barrier
	ds_write_b64 v124, v[26:27]
	s_waitcnt lgkmcnt(0)
	s_barrier
	ds_read_b64 v[124:125], v128 offset:376
	s_cmp_lt_i32 s18, 49
	v_mov_b32_e32 v126, 47
	s_cbranch_scc1 .LBB118_797
; %bb.795:
	v_add_u32_e32 v133, 0x180, v128
	s_mov_b32 s0, 48
	v_mov_b32_e32 v126, 47
.LBB118_796:                            ; =>This Inner Loop Header: Depth=1
	ds_read_b64 v[134:135], v133
	v_mov_b32_e32 v136, s0
	s_add_i32 s0, s0, 1
	v_add_u32_e32 v133, 8, v133
	s_cmp_lg_u32 s18, s0
	s_waitcnt lgkmcnt(0)
	v_cmp_lt_f64_e64 vcc, |v[124:125]|, |v[134:135]|
	v_cndmask_b32_e32 v125, v125, v135, vcc
	v_cndmask_b32_e32 v124, v124, v134, vcc
	;; [unrolled: 1-line block ×3, first 2 shown]
	s_cbranch_scc1 .LBB118_796
.LBB118_797:
	s_waitcnt lgkmcnt(0)
	v_cmp_eq_f64_e32 vcc, 0, v[124:125]
	s_and_saveexec_b64 s[0:1], vcc
	s_xor_b64 s[0:1], exec, s[0:1]
; %bb.798:
	v_cmp_ne_u32_e32 vcc, 0, v132
	v_cndmask_b32_e32 v132, 48, v132, vcc
; %bb.799:
	s_andn2_saveexec_b64 s[0:1], s[0:1]
; %bb.800:
	v_div_scale_f64 v[134:135], s[2:3], v[124:125], v[124:125], 1.0
	v_rcp_f64_e32 v[136:137], v[134:135]
	v_div_scale_f64 v[138:139], vcc, 1.0, v[124:125], 1.0
	v_fma_f64 v[140:141], -v[134:135], v[136:137], 1.0
	v_fmac_f64_e32 v[136:137], v[136:137], v[140:141]
	v_fma_f64 v[140:141], -v[134:135], v[136:137], 1.0
	v_fmac_f64_e32 v[136:137], v[136:137], v[140:141]
	v_mul_f64 v[140:141], v[138:139], v[136:137]
	v_fma_f64 v[134:135], -v[134:135], v[140:141], v[138:139]
	v_div_fmas_f64 v[134:135], v[134:135], v[136:137], v[140:141]
	v_div_fixup_f64 v[124:125], v[134:135], v[124:125], 1.0
; %bb.801:
	s_or_b64 exec, exec, s[0:1]
	v_cmp_ne_u32_e32 vcc, v129, v126
	s_and_saveexec_b64 s[0:1], vcc
	s_xor_b64 s[0:1], exec, s[0:1]
	s_cbranch_execz .LBB118_807
; %bb.802:
	v_cmp_eq_u32_e32 vcc, 47, v129
	s_and_saveexec_b64 s[2:3], vcc
	s_cbranch_execz .LBB118_806
; %bb.803:
	v_cmp_ne_u32_e32 vcc, 47, v126
	s_xor_b64 s[14:15], s[6:7], -1
	s_and_b64 s[16:17], s[14:15], vcc
	s_and_saveexec_b64 s[14:15], s[16:17]
	s_cbranch_execz .LBB118_805
; %bb.804:
	v_ashrrev_i32_e32 v127, 31, v126
	v_lshlrev_b64 v[134:135], 2, v[126:127]
	v_add_co_u32_e32 v134, vcc, v4, v134
	v_addc_co_u32_e32 v135, vcc, v5, v135, vcc
	flat_load_dword v127, v[134:135]
	flat_load_dword v129, v[4:5] offset:188
	s_waitcnt vmcnt(0) lgkmcnt(0)
	flat_store_dword v[4:5], v127 offset:188
	flat_store_dword v[134:135], v129
.LBB118_805:
	s_or_b64 exec, exec, s[14:15]
	v_mov_b32_e32 v127, v126
	v_mov_b32_e32 v129, v126
.LBB118_806:
	s_or_b64 exec, exec, s[2:3]
.LBB118_807:
	s_andn2_saveexec_b64 s[0:1], s[0:1]
	s_cbranch_execz .LBB118_809
; %bb.808:
	v_mov_b32_e32 v134, v24
	v_mov_b32_e32 v135, v25
	v_mov_b32_e32 v136, v22
	v_mov_b32_e32 v137, v23
	ds_write2_b64 v128, v[134:135], v[136:137] offset0:48 offset1:49
	v_mov_b32_e32 v134, v20
	v_mov_b32_e32 v135, v21
	v_mov_b32_e32 v136, v18
	v_mov_b32_e32 v137, v19
	ds_write2_b64 v128, v[134:135], v[136:137] offset0:50 offset1:51
	;; [unrolled: 5-line block ×5, first 2 shown]
	v_mov_b32_e32 v134, v0
	v_mov_b32_e32 v135, v1
	;; [unrolled: 1-line block ×3, first 2 shown]
	ds_write2_b64 v128, v[134:135], v[122:123] offset0:58 offset1:59
.LBB118_809:
	s_or_b64 exec, exec, s[0:1]
	v_cmp_lt_i32_e32 vcc, 47, v129
	s_waitcnt lgkmcnt(0)
	s_barrier
	s_and_saveexec_b64 s[0:1], vcc
	s_cbranch_execz .LBB118_811
; %bb.810:
	ds_read2_b64 v[134:137], v128 offset0:48 offset1:49
	ds_read2_b64 v[138:141], v128 offset0:50 offset1:51
	;; [unrolled: 1-line block ×3, first 2 shown]
	v_mul_f64 v[26:27], v[124:125], v[26:27]
	s_waitcnt lgkmcnt(0)
	v_fma_f64 v[24:25], -v[26:27], v[134:135], v[24:25]
	v_fma_f64 v[22:23], -v[26:27], v[136:137], v[22:23]
	ds_read2_b64 v[134:137], v128 offset0:54 offset1:55
	v_fma_f64 v[20:21], -v[26:27], v[138:139], v[20:21]
	v_fma_f64 v[18:19], -v[26:27], v[140:141], v[18:19]
	;; [unrolled: 1-line block ×3, first 2 shown]
	ds_read2_b64 v[138:141], v128 offset0:56 offset1:57
	v_fma_f64 v[14:15], -v[26:27], v[144:145], v[14:15]
	ds_read2_b64 v[142:145], v128 offset0:58 offset1:59
	s_waitcnt lgkmcnt(0)
	v_fma_f64 v[12:13], -v[26:27], v[134:135], v[12:13]
	v_fma_f64 v[10:11], -v[26:27], v[136:137], v[10:11]
	;; [unrolled: 1-line block ×6, first 2 shown]
.LBB118_811:
	s_or_b64 exec, exec, s[0:1]
	v_lshl_add_u32 v124, v129, 3, v128
	s_barrier
	ds_write_b64 v124, v[24:25]
	s_waitcnt lgkmcnt(0)
	s_barrier
	ds_read_b64 v[124:125], v128 offset:384
	s_cmp_lt_i32 s18, 50
	v_mov_b32_e32 v126, 48
	s_cbranch_scc1 .LBB118_814
; %bb.812:
	v_add_u32_e32 v133, 0x188, v128
	s_mov_b32 s0, 49
	v_mov_b32_e32 v126, 48
.LBB118_813:                            ; =>This Inner Loop Header: Depth=1
	ds_read_b64 v[134:135], v133
	v_mov_b32_e32 v136, s0
	s_add_i32 s0, s0, 1
	v_add_u32_e32 v133, 8, v133
	s_cmp_lg_u32 s18, s0
	s_waitcnt lgkmcnt(0)
	v_cmp_lt_f64_e64 vcc, |v[124:125]|, |v[134:135]|
	v_cndmask_b32_e32 v125, v125, v135, vcc
	v_cndmask_b32_e32 v124, v124, v134, vcc
	;; [unrolled: 1-line block ×3, first 2 shown]
	s_cbranch_scc1 .LBB118_813
.LBB118_814:
	s_waitcnt lgkmcnt(0)
	v_cmp_eq_f64_e32 vcc, 0, v[124:125]
	s_and_saveexec_b64 s[0:1], vcc
	s_xor_b64 s[0:1], exec, s[0:1]
; %bb.815:
	v_cmp_ne_u32_e32 vcc, 0, v132
	v_cndmask_b32_e32 v132, 49, v132, vcc
; %bb.816:
	s_andn2_saveexec_b64 s[0:1], s[0:1]
; %bb.817:
	v_div_scale_f64 v[134:135], s[2:3], v[124:125], v[124:125], 1.0
	v_rcp_f64_e32 v[136:137], v[134:135]
	v_div_scale_f64 v[138:139], vcc, 1.0, v[124:125], 1.0
	v_fma_f64 v[140:141], -v[134:135], v[136:137], 1.0
	v_fmac_f64_e32 v[136:137], v[136:137], v[140:141]
	v_fma_f64 v[140:141], -v[134:135], v[136:137], 1.0
	v_fmac_f64_e32 v[136:137], v[136:137], v[140:141]
	v_mul_f64 v[140:141], v[138:139], v[136:137]
	v_fma_f64 v[134:135], -v[134:135], v[140:141], v[138:139]
	v_div_fmas_f64 v[134:135], v[134:135], v[136:137], v[140:141]
	v_div_fixup_f64 v[124:125], v[134:135], v[124:125], 1.0
; %bb.818:
	s_or_b64 exec, exec, s[0:1]
	v_cmp_ne_u32_e32 vcc, v129, v126
	s_and_saveexec_b64 s[0:1], vcc
	s_xor_b64 s[0:1], exec, s[0:1]
	s_cbranch_execz .LBB118_824
; %bb.819:
	v_cmp_eq_u32_e32 vcc, 48, v129
	s_and_saveexec_b64 s[2:3], vcc
	s_cbranch_execz .LBB118_823
; %bb.820:
	v_cmp_ne_u32_e32 vcc, 48, v126
	s_xor_b64 s[14:15], s[6:7], -1
	s_and_b64 s[16:17], s[14:15], vcc
	s_and_saveexec_b64 s[14:15], s[16:17]
	s_cbranch_execz .LBB118_822
; %bb.821:
	v_ashrrev_i32_e32 v127, 31, v126
	v_lshlrev_b64 v[134:135], 2, v[126:127]
	v_add_co_u32_e32 v134, vcc, v4, v134
	v_addc_co_u32_e32 v135, vcc, v5, v135, vcc
	flat_load_dword v127, v[134:135]
	flat_load_dword v129, v[4:5] offset:192
	s_waitcnt vmcnt(0) lgkmcnt(0)
	flat_store_dword v[4:5], v127 offset:192
	flat_store_dword v[134:135], v129
.LBB118_822:
	s_or_b64 exec, exec, s[14:15]
	v_mov_b32_e32 v127, v126
	v_mov_b32_e32 v129, v126
.LBB118_823:
	s_or_b64 exec, exec, s[2:3]
.LBB118_824:
	s_andn2_saveexec_b64 s[0:1], s[0:1]
	s_cbranch_execz .LBB118_826
; %bb.825:
	v_mov_b32_e32 v129, 48
	ds_write2_b64 v128, v[22:23], v[20:21] offset0:49 offset1:50
	ds_write2_b64 v128, v[18:19], v[16:17] offset0:51 offset1:52
	;; [unrolled: 1-line block ×5, first 2 shown]
	ds_write_b64 v128, v[122:123] offset:472
.LBB118_826:
	s_or_b64 exec, exec, s[0:1]
	v_cmp_lt_i32_e32 vcc, 48, v129
	s_waitcnt lgkmcnt(0)
	s_barrier
	s_and_saveexec_b64 s[0:1], vcc
	s_cbranch_execz .LBB118_828
; %bb.827:
	ds_read2_b64 v[134:137], v128 offset0:49 offset1:50
	ds_read2_b64 v[138:141], v128 offset0:51 offset1:52
	v_mul_f64 v[24:25], v[124:125], v[24:25]
	ds_read2_b64 v[142:145], v128 offset0:53 offset1:54
	ds_read_b64 v[124:125], v128 offset:472
	s_waitcnt lgkmcnt(0)
	v_fma_f64 v[22:23], -v[24:25], v[134:135], v[22:23]
	v_fma_f64 v[20:21], -v[24:25], v[136:137], v[20:21]
	ds_read2_b64 v[134:137], v128 offset0:55 offset1:56
	v_fma_f64 v[18:19], -v[24:25], v[138:139], v[18:19]
	v_fma_f64 v[16:17], -v[24:25], v[140:141], v[16:17]
	ds_read2_b64 v[138:141], v128 offset0:57 offset1:58
	v_fma_f64 v[14:15], -v[24:25], v[142:143], v[14:15]
	v_fma_f64 v[12:13], -v[24:25], v[144:145], v[12:13]
	s_waitcnt lgkmcnt(0)
	v_fma_f64 v[10:11], -v[24:25], v[134:135], v[10:11]
	v_fma_f64 v[8:9], -v[24:25], v[136:137], v[8:9]
	;; [unrolled: 1-line block ×5, first 2 shown]
.LBB118_828:
	s_or_b64 exec, exec, s[0:1]
	v_lshl_add_u32 v124, v129, 3, v128
	s_barrier
	ds_write_b64 v124, v[22:23]
	s_waitcnt lgkmcnt(0)
	s_barrier
	ds_read_b64 v[124:125], v128 offset:392
	s_cmp_lt_i32 s18, 51
	v_mov_b32_e32 v126, 49
	s_cbranch_scc1 .LBB118_831
; %bb.829:
	v_add_u32_e32 v133, 0x190, v128
	s_mov_b32 s0, 50
	v_mov_b32_e32 v126, 49
.LBB118_830:                            ; =>This Inner Loop Header: Depth=1
	ds_read_b64 v[134:135], v133
	v_mov_b32_e32 v136, s0
	s_add_i32 s0, s0, 1
	v_add_u32_e32 v133, 8, v133
	s_cmp_lg_u32 s18, s0
	s_waitcnt lgkmcnt(0)
	v_cmp_lt_f64_e64 vcc, |v[124:125]|, |v[134:135]|
	v_cndmask_b32_e32 v125, v125, v135, vcc
	v_cndmask_b32_e32 v124, v124, v134, vcc
	;; [unrolled: 1-line block ×3, first 2 shown]
	s_cbranch_scc1 .LBB118_830
.LBB118_831:
	s_waitcnt lgkmcnt(0)
	v_cmp_eq_f64_e32 vcc, 0, v[124:125]
	s_and_saveexec_b64 s[0:1], vcc
	s_xor_b64 s[0:1], exec, s[0:1]
; %bb.832:
	v_cmp_ne_u32_e32 vcc, 0, v132
	v_cndmask_b32_e32 v132, 50, v132, vcc
; %bb.833:
	s_andn2_saveexec_b64 s[0:1], s[0:1]
; %bb.834:
	v_div_scale_f64 v[134:135], s[2:3], v[124:125], v[124:125], 1.0
	v_rcp_f64_e32 v[136:137], v[134:135]
	v_div_scale_f64 v[138:139], vcc, 1.0, v[124:125], 1.0
	v_fma_f64 v[140:141], -v[134:135], v[136:137], 1.0
	v_fmac_f64_e32 v[136:137], v[136:137], v[140:141]
	v_fma_f64 v[140:141], -v[134:135], v[136:137], 1.0
	v_fmac_f64_e32 v[136:137], v[136:137], v[140:141]
	v_mul_f64 v[140:141], v[138:139], v[136:137]
	v_fma_f64 v[134:135], -v[134:135], v[140:141], v[138:139]
	v_div_fmas_f64 v[134:135], v[134:135], v[136:137], v[140:141]
	v_div_fixup_f64 v[124:125], v[134:135], v[124:125], 1.0
; %bb.835:
	s_or_b64 exec, exec, s[0:1]
	v_cmp_ne_u32_e32 vcc, v129, v126
	s_and_saveexec_b64 s[0:1], vcc
	s_xor_b64 s[0:1], exec, s[0:1]
	s_cbranch_execz .LBB118_841
; %bb.836:
	v_cmp_eq_u32_e32 vcc, 49, v129
	s_and_saveexec_b64 s[2:3], vcc
	s_cbranch_execz .LBB118_840
; %bb.837:
	v_cmp_ne_u32_e32 vcc, 49, v126
	s_xor_b64 s[14:15], s[6:7], -1
	s_and_b64 s[16:17], s[14:15], vcc
	s_and_saveexec_b64 s[14:15], s[16:17]
	s_cbranch_execz .LBB118_839
; %bb.838:
	v_ashrrev_i32_e32 v127, 31, v126
	v_lshlrev_b64 v[134:135], 2, v[126:127]
	v_add_co_u32_e32 v134, vcc, v4, v134
	v_addc_co_u32_e32 v135, vcc, v5, v135, vcc
	flat_load_dword v127, v[134:135]
	flat_load_dword v129, v[4:5] offset:196
	s_waitcnt vmcnt(0) lgkmcnt(0)
	flat_store_dword v[4:5], v127 offset:196
	flat_store_dword v[134:135], v129
.LBB118_839:
	s_or_b64 exec, exec, s[14:15]
	v_mov_b32_e32 v127, v126
	v_mov_b32_e32 v129, v126
.LBB118_840:
	s_or_b64 exec, exec, s[2:3]
.LBB118_841:
	s_andn2_saveexec_b64 s[0:1], s[0:1]
	s_cbranch_execz .LBB118_843
; %bb.842:
	v_mov_b32_e32 v134, v20
	v_mov_b32_e32 v135, v21
	v_mov_b32_e32 v136, v18
	v_mov_b32_e32 v137, v19
	ds_write2_b64 v128, v[134:135], v[136:137] offset0:50 offset1:51
	v_mov_b32_e32 v134, v16
	v_mov_b32_e32 v135, v17
	v_mov_b32_e32 v136, v14
	v_mov_b32_e32 v137, v15
	ds_write2_b64 v128, v[134:135], v[136:137] offset0:52 offset1:53
	;; [unrolled: 5-line block ×4, first 2 shown]
	v_mov_b32_e32 v134, v0
	v_mov_b32_e32 v135, v1
	;; [unrolled: 1-line block ×3, first 2 shown]
	ds_write2_b64 v128, v[134:135], v[122:123] offset0:58 offset1:59
.LBB118_843:
	s_or_b64 exec, exec, s[0:1]
	v_cmp_lt_i32_e32 vcc, 49, v129
	s_waitcnt lgkmcnt(0)
	s_barrier
	s_and_saveexec_b64 s[0:1], vcc
	s_cbranch_execz .LBB118_845
; %bb.844:
	ds_read2_b64 v[134:137], v128 offset0:50 offset1:51
	ds_read2_b64 v[138:141], v128 offset0:52 offset1:53
	v_mul_f64 v[22:23], v[124:125], v[22:23]
	ds_read2_b64 v[142:145], v128 offset0:56 offset1:57
	s_waitcnt lgkmcnt(0)
	v_fma_f64 v[20:21], -v[22:23], v[134:135], v[20:21]
	v_fma_f64 v[18:19], -v[22:23], v[136:137], v[18:19]
	ds_read2_b64 v[134:137], v128 offset0:54 offset1:55
	v_fma_f64 v[16:17], -v[22:23], v[138:139], v[16:17]
	v_fma_f64 v[14:15], -v[22:23], v[140:141], v[14:15]
	ds_read2_b64 v[138:141], v128 offset0:58 offset1:59
	v_fma_f64 v[8:9], -v[22:23], v[142:143], v[8:9]
	s_waitcnt lgkmcnt(0)
	v_fma_f64 v[12:13], -v[22:23], v[134:135], v[12:13]
	v_fma_f64 v[10:11], -v[22:23], v[136:137], v[10:11]
	;; [unrolled: 1-line block ×5, first 2 shown]
.LBB118_845:
	s_or_b64 exec, exec, s[0:1]
	v_lshl_add_u32 v124, v129, 3, v128
	s_barrier
	ds_write_b64 v124, v[20:21]
	s_waitcnt lgkmcnt(0)
	s_barrier
	ds_read_b64 v[124:125], v128 offset:400
	s_cmp_lt_i32 s18, 52
	v_mov_b32_e32 v126, 50
	s_cbranch_scc1 .LBB118_848
; %bb.846:
	v_add_u32_e32 v133, 0x198, v128
	s_mov_b32 s0, 51
	v_mov_b32_e32 v126, 50
.LBB118_847:                            ; =>This Inner Loop Header: Depth=1
	ds_read_b64 v[134:135], v133
	v_mov_b32_e32 v136, s0
	s_add_i32 s0, s0, 1
	v_add_u32_e32 v133, 8, v133
	s_cmp_lg_u32 s18, s0
	s_waitcnt lgkmcnt(0)
	v_cmp_lt_f64_e64 vcc, |v[124:125]|, |v[134:135]|
	v_cndmask_b32_e32 v125, v125, v135, vcc
	v_cndmask_b32_e32 v124, v124, v134, vcc
	;; [unrolled: 1-line block ×3, first 2 shown]
	s_cbranch_scc1 .LBB118_847
.LBB118_848:
	s_waitcnt lgkmcnt(0)
	v_cmp_eq_f64_e32 vcc, 0, v[124:125]
	s_and_saveexec_b64 s[0:1], vcc
	s_xor_b64 s[0:1], exec, s[0:1]
; %bb.849:
	v_cmp_ne_u32_e32 vcc, 0, v132
	v_cndmask_b32_e32 v132, 51, v132, vcc
; %bb.850:
	s_andn2_saveexec_b64 s[0:1], s[0:1]
; %bb.851:
	v_div_scale_f64 v[134:135], s[2:3], v[124:125], v[124:125], 1.0
	v_rcp_f64_e32 v[136:137], v[134:135]
	v_div_scale_f64 v[138:139], vcc, 1.0, v[124:125], 1.0
	v_fma_f64 v[140:141], -v[134:135], v[136:137], 1.0
	v_fmac_f64_e32 v[136:137], v[136:137], v[140:141]
	v_fma_f64 v[140:141], -v[134:135], v[136:137], 1.0
	v_fmac_f64_e32 v[136:137], v[136:137], v[140:141]
	v_mul_f64 v[140:141], v[138:139], v[136:137]
	v_fma_f64 v[134:135], -v[134:135], v[140:141], v[138:139]
	v_div_fmas_f64 v[134:135], v[134:135], v[136:137], v[140:141]
	v_div_fixup_f64 v[124:125], v[134:135], v[124:125], 1.0
; %bb.852:
	s_or_b64 exec, exec, s[0:1]
	v_cmp_ne_u32_e32 vcc, v129, v126
	s_and_saveexec_b64 s[0:1], vcc
	s_xor_b64 s[0:1], exec, s[0:1]
	s_cbranch_execz .LBB118_858
; %bb.853:
	v_cmp_eq_u32_e32 vcc, 50, v129
	s_and_saveexec_b64 s[2:3], vcc
	s_cbranch_execz .LBB118_857
; %bb.854:
	v_cmp_ne_u32_e32 vcc, 50, v126
	s_xor_b64 s[14:15], s[6:7], -1
	s_and_b64 s[16:17], s[14:15], vcc
	s_and_saveexec_b64 s[14:15], s[16:17]
	s_cbranch_execz .LBB118_856
; %bb.855:
	v_ashrrev_i32_e32 v127, 31, v126
	v_lshlrev_b64 v[134:135], 2, v[126:127]
	v_add_co_u32_e32 v134, vcc, v4, v134
	v_addc_co_u32_e32 v135, vcc, v5, v135, vcc
	flat_load_dword v127, v[134:135]
	flat_load_dword v129, v[4:5] offset:200
	s_waitcnt vmcnt(0) lgkmcnt(0)
	flat_store_dword v[4:5], v127 offset:200
	flat_store_dword v[134:135], v129
.LBB118_856:
	s_or_b64 exec, exec, s[14:15]
	v_mov_b32_e32 v127, v126
	v_mov_b32_e32 v129, v126
.LBB118_857:
	s_or_b64 exec, exec, s[2:3]
.LBB118_858:
	s_andn2_saveexec_b64 s[0:1], s[0:1]
	s_cbranch_execz .LBB118_860
; %bb.859:
	v_mov_b32_e32 v129, 50
	ds_write2_b64 v128, v[18:19], v[16:17] offset0:51 offset1:52
	ds_write2_b64 v128, v[14:15], v[12:13] offset0:53 offset1:54
	ds_write2_b64 v128, v[10:11], v[8:9] offset0:55 offset1:56
	ds_write2_b64 v128, v[6:7], v[0:1] offset0:57 offset1:58
	ds_write_b64 v128, v[122:123] offset:472
.LBB118_860:
	s_or_b64 exec, exec, s[0:1]
	v_cmp_lt_i32_e32 vcc, 50, v129
	s_waitcnt lgkmcnt(0)
	s_barrier
	s_and_saveexec_b64 s[0:1], vcc
	s_cbranch_execz .LBB118_862
; %bb.861:
	ds_read2_b64 v[134:137], v128 offset0:51 offset1:52
	ds_read2_b64 v[138:141], v128 offset0:53 offset1:54
	v_mul_f64 v[20:21], v[124:125], v[20:21]
	ds_read_b64 v[124:125], v128 offset:472
	ds_read2_b64 v[142:145], v128 offset0:57 offset1:58
	s_waitcnt lgkmcnt(0)
	v_fma_f64 v[18:19], -v[20:21], v[134:135], v[18:19]
	v_fma_f64 v[16:17], -v[20:21], v[136:137], v[16:17]
	ds_read2_b64 v[134:137], v128 offset0:55 offset1:56
	v_fma_f64 v[14:15], -v[20:21], v[138:139], v[14:15]
	v_fma_f64 v[12:13], -v[20:21], v[140:141], v[12:13]
	;; [unrolled: 1-line block ×4, first 2 shown]
	s_waitcnt lgkmcnt(0)
	v_fma_f64 v[10:11], -v[20:21], v[134:135], v[10:11]
	v_fma_f64 v[8:9], -v[20:21], v[136:137], v[8:9]
	;; [unrolled: 1-line block ×3, first 2 shown]
.LBB118_862:
	s_or_b64 exec, exec, s[0:1]
	v_lshl_add_u32 v124, v129, 3, v128
	s_barrier
	ds_write_b64 v124, v[18:19]
	s_waitcnt lgkmcnt(0)
	s_barrier
	ds_read_b64 v[124:125], v128 offset:408
	s_cmp_lt_i32 s18, 53
	v_mov_b32_e32 v126, 51
	s_cbranch_scc1 .LBB118_865
; %bb.863:
	v_add_u32_e32 v133, 0x1a0, v128
	s_mov_b32 s0, 52
	v_mov_b32_e32 v126, 51
.LBB118_864:                            ; =>This Inner Loop Header: Depth=1
	ds_read_b64 v[134:135], v133
	v_mov_b32_e32 v136, s0
	s_add_i32 s0, s0, 1
	v_add_u32_e32 v133, 8, v133
	s_cmp_lg_u32 s18, s0
	s_waitcnt lgkmcnt(0)
	v_cmp_lt_f64_e64 vcc, |v[124:125]|, |v[134:135]|
	v_cndmask_b32_e32 v125, v125, v135, vcc
	v_cndmask_b32_e32 v124, v124, v134, vcc
	;; [unrolled: 1-line block ×3, first 2 shown]
	s_cbranch_scc1 .LBB118_864
.LBB118_865:
	s_waitcnt lgkmcnt(0)
	v_cmp_eq_f64_e32 vcc, 0, v[124:125]
	s_and_saveexec_b64 s[0:1], vcc
	s_xor_b64 s[0:1], exec, s[0:1]
; %bb.866:
	v_cmp_ne_u32_e32 vcc, 0, v132
	v_cndmask_b32_e32 v132, 52, v132, vcc
; %bb.867:
	s_andn2_saveexec_b64 s[0:1], s[0:1]
; %bb.868:
	v_div_scale_f64 v[134:135], s[2:3], v[124:125], v[124:125], 1.0
	v_rcp_f64_e32 v[136:137], v[134:135]
	v_div_scale_f64 v[138:139], vcc, 1.0, v[124:125], 1.0
	v_fma_f64 v[140:141], -v[134:135], v[136:137], 1.0
	v_fmac_f64_e32 v[136:137], v[136:137], v[140:141]
	v_fma_f64 v[140:141], -v[134:135], v[136:137], 1.0
	v_fmac_f64_e32 v[136:137], v[136:137], v[140:141]
	v_mul_f64 v[140:141], v[138:139], v[136:137]
	v_fma_f64 v[134:135], -v[134:135], v[140:141], v[138:139]
	v_div_fmas_f64 v[134:135], v[134:135], v[136:137], v[140:141]
	v_div_fixup_f64 v[124:125], v[134:135], v[124:125], 1.0
; %bb.869:
	s_or_b64 exec, exec, s[0:1]
	v_cmp_ne_u32_e32 vcc, v129, v126
	s_and_saveexec_b64 s[0:1], vcc
	s_xor_b64 s[0:1], exec, s[0:1]
	s_cbranch_execz .LBB118_875
; %bb.870:
	v_cmp_eq_u32_e32 vcc, 51, v129
	s_and_saveexec_b64 s[2:3], vcc
	s_cbranch_execz .LBB118_874
; %bb.871:
	v_cmp_ne_u32_e32 vcc, 51, v126
	s_xor_b64 s[14:15], s[6:7], -1
	s_and_b64 s[16:17], s[14:15], vcc
	s_and_saveexec_b64 s[14:15], s[16:17]
	s_cbranch_execz .LBB118_873
; %bb.872:
	v_ashrrev_i32_e32 v127, 31, v126
	v_lshlrev_b64 v[134:135], 2, v[126:127]
	v_add_co_u32_e32 v134, vcc, v4, v134
	v_addc_co_u32_e32 v135, vcc, v5, v135, vcc
	flat_load_dword v127, v[134:135]
	flat_load_dword v129, v[4:5] offset:204
	s_waitcnt vmcnt(0) lgkmcnt(0)
	flat_store_dword v[4:5], v127 offset:204
	flat_store_dword v[134:135], v129
.LBB118_873:
	s_or_b64 exec, exec, s[14:15]
	v_mov_b32_e32 v127, v126
	v_mov_b32_e32 v129, v126
.LBB118_874:
	s_or_b64 exec, exec, s[2:3]
.LBB118_875:
	s_andn2_saveexec_b64 s[0:1], s[0:1]
	s_cbranch_execz .LBB118_877
; %bb.876:
	v_mov_b32_e32 v134, v16
	v_mov_b32_e32 v135, v17
	v_mov_b32_e32 v136, v14
	v_mov_b32_e32 v137, v15
	ds_write2_b64 v128, v[134:135], v[136:137] offset0:52 offset1:53
	v_mov_b32_e32 v134, v12
	v_mov_b32_e32 v135, v13
	v_mov_b32_e32 v136, v10
	v_mov_b32_e32 v137, v11
	ds_write2_b64 v128, v[134:135], v[136:137] offset0:54 offset1:55
	;; [unrolled: 5-line block ×3, first 2 shown]
	v_mov_b32_e32 v134, v0
	v_mov_b32_e32 v135, v1
	;; [unrolled: 1-line block ×3, first 2 shown]
	ds_write2_b64 v128, v[134:135], v[122:123] offset0:58 offset1:59
.LBB118_877:
	s_or_b64 exec, exec, s[0:1]
	v_cmp_lt_i32_e32 vcc, 51, v129
	s_waitcnt lgkmcnt(0)
	s_barrier
	s_and_saveexec_b64 s[0:1], vcc
	s_cbranch_execz .LBB118_879
; %bb.878:
	ds_read2_b64 v[134:137], v128 offset0:52 offset1:53
	ds_read2_b64 v[138:141], v128 offset0:54 offset1:55
	v_mul_f64 v[18:19], v[124:125], v[18:19]
	ds_read2_b64 v[142:145], v128 offset0:56 offset1:57
	s_waitcnt lgkmcnt(0)
	v_fma_f64 v[16:17], -v[18:19], v[134:135], v[16:17]
	v_fma_f64 v[14:15], -v[18:19], v[136:137], v[14:15]
	ds_read2_b64 v[134:137], v128 offset0:58 offset1:59
	v_fma_f64 v[12:13], -v[18:19], v[138:139], v[12:13]
	v_fma_f64 v[10:11], -v[18:19], v[140:141], v[10:11]
	;; [unrolled: 1-line block ×4, first 2 shown]
	s_waitcnt lgkmcnt(0)
	v_fma_f64 v[0:1], -v[18:19], v[134:135], v[0:1]
	v_fma_f64 v[122:123], -v[18:19], v[136:137], v[122:123]
.LBB118_879:
	s_or_b64 exec, exec, s[0:1]
	v_lshl_add_u32 v124, v129, 3, v128
	s_barrier
	ds_write_b64 v124, v[16:17]
	s_waitcnt lgkmcnt(0)
	s_barrier
	ds_read_b64 v[124:125], v128 offset:416
	s_cmp_lt_i32 s18, 54
	v_mov_b32_e32 v126, 52
	s_cbranch_scc1 .LBB118_882
; %bb.880:
	v_add_u32_e32 v133, 0x1a8, v128
	s_mov_b32 s0, 53
	v_mov_b32_e32 v126, 52
.LBB118_881:                            ; =>This Inner Loop Header: Depth=1
	ds_read_b64 v[134:135], v133
	v_mov_b32_e32 v136, s0
	s_add_i32 s0, s0, 1
	v_add_u32_e32 v133, 8, v133
	s_cmp_lg_u32 s18, s0
	s_waitcnt lgkmcnt(0)
	v_cmp_lt_f64_e64 vcc, |v[124:125]|, |v[134:135]|
	v_cndmask_b32_e32 v125, v125, v135, vcc
	v_cndmask_b32_e32 v124, v124, v134, vcc
	;; [unrolled: 1-line block ×3, first 2 shown]
	s_cbranch_scc1 .LBB118_881
.LBB118_882:
	s_waitcnt lgkmcnt(0)
	v_cmp_eq_f64_e32 vcc, 0, v[124:125]
	s_and_saveexec_b64 s[0:1], vcc
	s_xor_b64 s[0:1], exec, s[0:1]
; %bb.883:
	v_cmp_ne_u32_e32 vcc, 0, v132
	v_cndmask_b32_e32 v132, 53, v132, vcc
; %bb.884:
	s_andn2_saveexec_b64 s[0:1], s[0:1]
; %bb.885:
	v_div_scale_f64 v[134:135], s[2:3], v[124:125], v[124:125], 1.0
	v_rcp_f64_e32 v[136:137], v[134:135]
	v_div_scale_f64 v[138:139], vcc, 1.0, v[124:125], 1.0
	v_fma_f64 v[140:141], -v[134:135], v[136:137], 1.0
	v_fmac_f64_e32 v[136:137], v[136:137], v[140:141]
	v_fma_f64 v[140:141], -v[134:135], v[136:137], 1.0
	v_fmac_f64_e32 v[136:137], v[136:137], v[140:141]
	v_mul_f64 v[140:141], v[138:139], v[136:137]
	v_fma_f64 v[134:135], -v[134:135], v[140:141], v[138:139]
	v_div_fmas_f64 v[134:135], v[134:135], v[136:137], v[140:141]
	v_div_fixup_f64 v[124:125], v[134:135], v[124:125], 1.0
; %bb.886:
	s_or_b64 exec, exec, s[0:1]
	v_cmp_ne_u32_e32 vcc, v129, v126
	s_and_saveexec_b64 s[0:1], vcc
	s_xor_b64 s[0:1], exec, s[0:1]
	s_cbranch_execz .LBB118_892
; %bb.887:
	v_cmp_eq_u32_e32 vcc, 52, v129
	s_and_saveexec_b64 s[2:3], vcc
	s_cbranch_execz .LBB118_891
; %bb.888:
	v_cmp_ne_u32_e32 vcc, 52, v126
	s_xor_b64 s[14:15], s[6:7], -1
	s_and_b64 s[16:17], s[14:15], vcc
	s_and_saveexec_b64 s[14:15], s[16:17]
	s_cbranch_execz .LBB118_890
; %bb.889:
	v_ashrrev_i32_e32 v127, 31, v126
	v_lshlrev_b64 v[134:135], 2, v[126:127]
	v_add_co_u32_e32 v134, vcc, v4, v134
	v_addc_co_u32_e32 v135, vcc, v5, v135, vcc
	flat_load_dword v127, v[134:135]
	flat_load_dword v129, v[4:5] offset:208
	s_waitcnt vmcnt(0) lgkmcnt(0)
	flat_store_dword v[4:5], v127 offset:208
	flat_store_dword v[134:135], v129
.LBB118_890:
	s_or_b64 exec, exec, s[14:15]
	v_mov_b32_e32 v127, v126
	v_mov_b32_e32 v129, v126
.LBB118_891:
	s_or_b64 exec, exec, s[2:3]
.LBB118_892:
	s_andn2_saveexec_b64 s[0:1], s[0:1]
	s_cbranch_execz .LBB118_894
; %bb.893:
	v_mov_b32_e32 v129, 52
	ds_write2_b64 v128, v[14:15], v[12:13] offset0:53 offset1:54
	ds_write2_b64 v128, v[10:11], v[8:9] offset0:55 offset1:56
	;; [unrolled: 1-line block ×3, first 2 shown]
	ds_write_b64 v128, v[122:123] offset:472
.LBB118_894:
	s_or_b64 exec, exec, s[0:1]
	v_cmp_lt_i32_e32 vcc, 52, v129
	s_waitcnt lgkmcnt(0)
	s_barrier
	s_and_saveexec_b64 s[0:1], vcc
	s_cbranch_execz .LBB118_896
; %bb.895:
	ds_read2_b64 v[134:137], v128 offset0:53 offset1:54
	ds_read2_b64 v[138:141], v128 offset0:55 offset1:56
	v_mul_f64 v[16:17], v[124:125], v[16:17]
	ds_read2_b64 v[142:145], v128 offset0:57 offset1:58
	ds_read_b64 v[124:125], v128 offset:472
	s_waitcnt lgkmcnt(0)
	v_fma_f64 v[14:15], -v[16:17], v[134:135], v[14:15]
	v_fma_f64 v[12:13], -v[16:17], v[136:137], v[12:13]
	;; [unrolled: 1-line block ×7, first 2 shown]
.LBB118_896:
	s_or_b64 exec, exec, s[0:1]
	v_lshl_add_u32 v124, v129, 3, v128
	s_barrier
	ds_write_b64 v124, v[14:15]
	s_waitcnt lgkmcnt(0)
	s_barrier
	ds_read_b64 v[124:125], v128 offset:424
	s_cmp_lt_i32 s18, 55
	v_mov_b32_e32 v126, 53
	s_cbranch_scc1 .LBB118_899
; %bb.897:
	v_add_u32_e32 v133, 0x1b0, v128
	s_mov_b32 s0, 54
	v_mov_b32_e32 v126, 53
.LBB118_898:                            ; =>This Inner Loop Header: Depth=1
	ds_read_b64 v[134:135], v133
	v_mov_b32_e32 v136, s0
	s_add_i32 s0, s0, 1
	v_add_u32_e32 v133, 8, v133
	s_cmp_lg_u32 s18, s0
	s_waitcnt lgkmcnt(0)
	v_cmp_lt_f64_e64 vcc, |v[124:125]|, |v[134:135]|
	v_cndmask_b32_e32 v125, v125, v135, vcc
	v_cndmask_b32_e32 v124, v124, v134, vcc
	;; [unrolled: 1-line block ×3, first 2 shown]
	s_cbranch_scc1 .LBB118_898
.LBB118_899:
	s_waitcnt lgkmcnt(0)
	v_cmp_eq_f64_e32 vcc, 0, v[124:125]
	s_and_saveexec_b64 s[0:1], vcc
	s_xor_b64 s[0:1], exec, s[0:1]
; %bb.900:
	v_cmp_ne_u32_e32 vcc, 0, v132
	v_cndmask_b32_e32 v132, 54, v132, vcc
; %bb.901:
	s_andn2_saveexec_b64 s[0:1], s[0:1]
; %bb.902:
	v_div_scale_f64 v[134:135], s[2:3], v[124:125], v[124:125], 1.0
	v_rcp_f64_e32 v[136:137], v[134:135]
	v_div_scale_f64 v[138:139], vcc, 1.0, v[124:125], 1.0
	v_fma_f64 v[140:141], -v[134:135], v[136:137], 1.0
	v_fmac_f64_e32 v[136:137], v[136:137], v[140:141]
	v_fma_f64 v[140:141], -v[134:135], v[136:137], 1.0
	v_fmac_f64_e32 v[136:137], v[136:137], v[140:141]
	v_mul_f64 v[140:141], v[138:139], v[136:137]
	v_fma_f64 v[134:135], -v[134:135], v[140:141], v[138:139]
	v_div_fmas_f64 v[134:135], v[134:135], v[136:137], v[140:141]
	v_div_fixup_f64 v[124:125], v[134:135], v[124:125], 1.0
; %bb.903:
	s_or_b64 exec, exec, s[0:1]
	v_cmp_ne_u32_e32 vcc, v129, v126
	s_and_saveexec_b64 s[0:1], vcc
	s_xor_b64 s[0:1], exec, s[0:1]
	s_cbranch_execz .LBB118_909
; %bb.904:
	v_cmp_eq_u32_e32 vcc, 53, v129
	s_and_saveexec_b64 s[2:3], vcc
	s_cbranch_execz .LBB118_908
; %bb.905:
	v_cmp_ne_u32_e32 vcc, 53, v126
	s_xor_b64 s[14:15], s[6:7], -1
	s_and_b64 s[16:17], s[14:15], vcc
	s_and_saveexec_b64 s[14:15], s[16:17]
	s_cbranch_execz .LBB118_907
; %bb.906:
	v_ashrrev_i32_e32 v127, 31, v126
	v_lshlrev_b64 v[134:135], 2, v[126:127]
	v_add_co_u32_e32 v134, vcc, v4, v134
	v_addc_co_u32_e32 v135, vcc, v5, v135, vcc
	flat_load_dword v127, v[134:135]
	flat_load_dword v129, v[4:5] offset:212
	s_waitcnt vmcnt(0) lgkmcnt(0)
	flat_store_dword v[4:5], v127 offset:212
	flat_store_dword v[134:135], v129
.LBB118_907:
	s_or_b64 exec, exec, s[14:15]
	v_mov_b32_e32 v127, v126
	v_mov_b32_e32 v129, v126
.LBB118_908:
	s_or_b64 exec, exec, s[2:3]
.LBB118_909:
	s_andn2_saveexec_b64 s[0:1], s[0:1]
	s_cbranch_execz .LBB118_911
; %bb.910:
	v_mov_b32_e32 v134, v12
	v_mov_b32_e32 v135, v13
	;; [unrolled: 1-line block ×4, first 2 shown]
	ds_write2_b64 v128, v[134:135], v[136:137] offset0:54 offset1:55
	v_mov_b32_e32 v134, v8
	v_mov_b32_e32 v135, v9
	;; [unrolled: 1-line block ×4, first 2 shown]
	ds_write2_b64 v128, v[134:135], v[136:137] offset0:56 offset1:57
	v_mov_b32_e32 v134, v0
	v_mov_b32_e32 v135, v1
	;; [unrolled: 1-line block ×3, first 2 shown]
	ds_write2_b64 v128, v[134:135], v[122:123] offset0:58 offset1:59
.LBB118_911:
	s_or_b64 exec, exec, s[0:1]
	v_cmp_lt_i32_e32 vcc, 53, v129
	s_waitcnt lgkmcnt(0)
	s_barrier
	s_and_saveexec_b64 s[0:1], vcc
	s_cbranch_execz .LBB118_913
; %bb.912:
	ds_read2_b64 v[134:137], v128 offset0:54 offset1:55
	ds_read2_b64 v[138:141], v128 offset0:56 offset1:57
	;; [unrolled: 1-line block ×3, first 2 shown]
	v_mul_f64 v[14:15], v[124:125], v[14:15]
	s_waitcnt lgkmcnt(0)
	v_fma_f64 v[12:13], -v[14:15], v[134:135], v[12:13]
	v_fma_f64 v[10:11], -v[14:15], v[136:137], v[10:11]
	;; [unrolled: 1-line block ×6, first 2 shown]
.LBB118_913:
	s_or_b64 exec, exec, s[0:1]
	v_lshl_add_u32 v124, v129, 3, v128
	s_barrier
	ds_write_b64 v124, v[12:13]
	s_waitcnt lgkmcnt(0)
	s_barrier
	ds_read_b64 v[124:125], v128 offset:432
	s_cmp_lt_i32 s18, 56
	v_mov_b32_e32 v126, 54
	s_cbranch_scc1 .LBB118_916
; %bb.914:
	v_add_u32_e32 v133, 0x1b8, v128
	s_mov_b32 s0, 55
	v_mov_b32_e32 v126, 54
.LBB118_915:                            ; =>This Inner Loop Header: Depth=1
	ds_read_b64 v[134:135], v133
	v_mov_b32_e32 v136, s0
	s_add_i32 s0, s0, 1
	v_add_u32_e32 v133, 8, v133
	s_cmp_lg_u32 s18, s0
	s_waitcnt lgkmcnt(0)
	v_cmp_lt_f64_e64 vcc, |v[124:125]|, |v[134:135]|
	v_cndmask_b32_e32 v125, v125, v135, vcc
	v_cndmask_b32_e32 v124, v124, v134, vcc
	;; [unrolled: 1-line block ×3, first 2 shown]
	s_cbranch_scc1 .LBB118_915
.LBB118_916:
	s_waitcnt lgkmcnt(0)
	v_cmp_eq_f64_e32 vcc, 0, v[124:125]
	s_and_saveexec_b64 s[0:1], vcc
	s_xor_b64 s[0:1], exec, s[0:1]
; %bb.917:
	v_cmp_ne_u32_e32 vcc, 0, v132
	v_cndmask_b32_e32 v132, 55, v132, vcc
; %bb.918:
	s_andn2_saveexec_b64 s[0:1], s[0:1]
; %bb.919:
	v_div_scale_f64 v[134:135], s[2:3], v[124:125], v[124:125], 1.0
	v_rcp_f64_e32 v[136:137], v[134:135]
	v_div_scale_f64 v[138:139], vcc, 1.0, v[124:125], 1.0
	v_fma_f64 v[140:141], -v[134:135], v[136:137], 1.0
	v_fmac_f64_e32 v[136:137], v[136:137], v[140:141]
	v_fma_f64 v[140:141], -v[134:135], v[136:137], 1.0
	v_fmac_f64_e32 v[136:137], v[136:137], v[140:141]
	v_mul_f64 v[140:141], v[138:139], v[136:137]
	v_fma_f64 v[134:135], -v[134:135], v[140:141], v[138:139]
	v_div_fmas_f64 v[134:135], v[134:135], v[136:137], v[140:141]
	v_div_fixup_f64 v[124:125], v[134:135], v[124:125], 1.0
; %bb.920:
	s_or_b64 exec, exec, s[0:1]
	v_cmp_ne_u32_e32 vcc, v129, v126
	s_and_saveexec_b64 s[0:1], vcc
	s_xor_b64 s[0:1], exec, s[0:1]
	s_cbranch_execz .LBB118_926
; %bb.921:
	v_cmp_eq_u32_e32 vcc, 54, v129
	s_and_saveexec_b64 s[2:3], vcc
	s_cbranch_execz .LBB118_925
; %bb.922:
	v_cmp_ne_u32_e32 vcc, 54, v126
	s_xor_b64 s[14:15], s[6:7], -1
	s_and_b64 s[16:17], s[14:15], vcc
	s_and_saveexec_b64 s[14:15], s[16:17]
	s_cbranch_execz .LBB118_924
; %bb.923:
	v_ashrrev_i32_e32 v127, 31, v126
	v_lshlrev_b64 v[134:135], 2, v[126:127]
	v_add_co_u32_e32 v134, vcc, v4, v134
	v_addc_co_u32_e32 v135, vcc, v5, v135, vcc
	flat_load_dword v127, v[134:135]
	flat_load_dword v129, v[4:5] offset:216
	s_waitcnt vmcnt(0) lgkmcnt(0)
	flat_store_dword v[4:5], v127 offset:216
	flat_store_dword v[134:135], v129
.LBB118_924:
	s_or_b64 exec, exec, s[14:15]
	v_mov_b32_e32 v127, v126
	v_mov_b32_e32 v129, v126
.LBB118_925:
	s_or_b64 exec, exec, s[2:3]
.LBB118_926:
	s_andn2_saveexec_b64 s[0:1], s[0:1]
	s_cbranch_execz .LBB118_928
; %bb.927:
	v_mov_b32_e32 v129, 54
	ds_write2_b64 v128, v[10:11], v[8:9] offset0:55 offset1:56
	ds_write2_b64 v128, v[6:7], v[0:1] offset0:57 offset1:58
	ds_write_b64 v128, v[122:123] offset:472
.LBB118_928:
	s_or_b64 exec, exec, s[0:1]
	v_cmp_lt_i32_e32 vcc, 54, v129
	s_waitcnt lgkmcnt(0)
	s_barrier
	s_and_saveexec_b64 s[0:1], vcc
	s_cbranch_execz .LBB118_930
; %bb.929:
	ds_read2_b64 v[134:137], v128 offset0:55 offset1:56
	ds_read2_b64 v[138:141], v128 offset0:57 offset1:58
	v_mul_f64 v[12:13], v[124:125], v[12:13]
	ds_read_b64 v[124:125], v128 offset:472
	s_waitcnt lgkmcnt(0)
	v_fma_f64 v[10:11], -v[12:13], v[134:135], v[10:11]
	v_fma_f64 v[8:9], -v[12:13], v[136:137], v[8:9]
	;; [unrolled: 1-line block ×5, first 2 shown]
.LBB118_930:
	s_or_b64 exec, exec, s[0:1]
	v_lshl_add_u32 v124, v129, 3, v128
	s_barrier
	ds_write_b64 v124, v[10:11]
	s_waitcnt lgkmcnt(0)
	s_barrier
	ds_read_b64 v[124:125], v128 offset:440
	s_cmp_lt_i32 s18, 57
	v_mov_b32_e32 v126, 55
	s_cbranch_scc1 .LBB118_933
; %bb.931:
	v_add_u32_e32 v133, 0x1c0, v128
	s_mov_b32 s0, 56
	v_mov_b32_e32 v126, 55
.LBB118_932:                            ; =>This Inner Loop Header: Depth=1
	ds_read_b64 v[134:135], v133
	v_mov_b32_e32 v136, s0
	s_add_i32 s0, s0, 1
	v_add_u32_e32 v133, 8, v133
	s_cmp_lg_u32 s18, s0
	s_waitcnt lgkmcnt(0)
	v_cmp_lt_f64_e64 vcc, |v[124:125]|, |v[134:135]|
	v_cndmask_b32_e32 v125, v125, v135, vcc
	v_cndmask_b32_e32 v124, v124, v134, vcc
	v_cndmask_b32_e32 v126, v126, v136, vcc
	s_cbranch_scc1 .LBB118_932
.LBB118_933:
	s_waitcnt lgkmcnt(0)
	v_cmp_eq_f64_e32 vcc, 0, v[124:125]
	s_and_saveexec_b64 s[0:1], vcc
	s_xor_b64 s[0:1], exec, s[0:1]
; %bb.934:
	v_cmp_ne_u32_e32 vcc, 0, v132
	v_cndmask_b32_e32 v132, 56, v132, vcc
; %bb.935:
	s_andn2_saveexec_b64 s[0:1], s[0:1]
; %bb.936:
	v_div_scale_f64 v[134:135], s[2:3], v[124:125], v[124:125], 1.0
	v_rcp_f64_e32 v[136:137], v[134:135]
	v_div_scale_f64 v[138:139], vcc, 1.0, v[124:125], 1.0
	v_fma_f64 v[140:141], -v[134:135], v[136:137], 1.0
	v_fmac_f64_e32 v[136:137], v[136:137], v[140:141]
	v_fma_f64 v[140:141], -v[134:135], v[136:137], 1.0
	v_fmac_f64_e32 v[136:137], v[136:137], v[140:141]
	v_mul_f64 v[140:141], v[138:139], v[136:137]
	v_fma_f64 v[134:135], -v[134:135], v[140:141], v[138:139]
	v_div_fmas_f64 v[134:135], v[134:135], v[136:137], v[140:141]
	v_div_fixup_f64 v[124:125], v[134:135], v[124:125], 1.0
; %bb.937:
	s_or_b64 exec, exec, s[0:1]
	v_cmp_ne_u32_e32 vcc, v129, v126
	s_and_saveexec_b64 s[0:1], vcc
	s_xor_b64 s[0:1], exec, s[0:1]
	s_cbranch_execz .LBB118_943
; %bb.938:
	v_cmp_eq_u32_e32 vcc, 55, v129
	s_and_saveexec_b64 s[2:3], vcc
	s_cbranch_execz .LBB118_942
; %bb.939:
	v_cmp_ne_u32_e32 vcc, 55, v126
	s_xor_b64 s[14:15], s[6:7], -1
	s_and_b64 s[16:17], s[14:15], vcc
	s_and_saveexec_b64 s[14:15], s[16:17]
	s_cbranch_execz .LBB118_941
; %bb.940:
	v_ashrrev_i32_e32 v127, 31, v126
	v_lshlrev_b64 v[134:135], 2, v[126:127]
	v_add_co_u32_e32 v134, vcc, v4, v134
	v_addc_co_u32_e32 v135, vcc, v5, v135, vcc
	flat_load_dword v127, v[134:135]
	flat_load_dword v129, v[4:5] offset:220
	s_waitcnt vmcnt(0) lgkmcnt(0)
	flat_store_dword v[4:5], v127 offset:220
	flat_store_dword v[134:135], v129
.LBB118_941:
	s_or_b64 exec, exec, s[14:15]
	v_mov_b32_e32 v127, v126
	v_mov_b32_e32 v129, v126
.LBB118_942:
	s_or_b64 exec, exec, s[2:3]
.LBB118_943:
	s_andn2_saveexec_b64 s[0:1], s[0:1]
	s_cbranch_execz .LBB118_945
; %bb.944:
	v_mov_b32_e32 v134, v8
	v_mov_b32_e32 v135, v9
	;; [unrolled: 1-line block ×4, first 2 shown]
	ds_write2_b64 v128, v[134:135], v[136:137] offset0:56 offset1:57
	v_mov_b32_e32 v134, v0
	v_mov_b32_e32 v135, v1
	;; [unrolled: 1-line block ×3, first 2 shown]
	ds_write2_b64 v128, v[134:135], v[122:123] offset0:58 offset1:59
.LBB118_945:
	s_or_b64 exec, exec, s[0:1]
	v_cmp_lt_i32_e32 vcc, 55, v129
	s_waitcnt lgkmcnt(0)
	s_barrier
	s_and_saveexec_b64 s[0:1], vcc
	s_cbranch_execz .LBB118_947
; %bb.946:
	ds_read2_b64 v[134:137], v128 offset0:56 offset1:57
	ds_read2_b64 v[138:141], v128 offset0:58 offset1:59
	v_mul_f64 v[10:11], v[124:125], v[10:11]
	s_waitcnt lgkmcnt(0)
	v_fma_f64 v[8:9], -v[10:11], v[134:135], v[8:9]
	v_fma_f64 v[6:7], -v[10:11], v[136:137], v[6:7]
	;; [unrolled: 1-line block ×4, first 2 shown]
.LBB118_947:
	s_or_b64 exec, exec, s[0:1]
	v_lshl_add_u32 v124, v129, 3, v128
	s_barrier
	ds_write_b64 v124, v[8:9]
	s_waitcnt lgkmcnt(0)
	s_barrier
	ds_read_b64 v[124:125], v128 offset:448
	s_cmp_lt_i32 s18, 58
	v_mov_b32_e32 v126, 56
	s_cbranch_scc1 .LBB118_950
; %bb.948:
	v_add_u32_e32 v133, 0x1c8, v128
	s_mov_b32 s0, 57
	v_mov_b32_e32 v126, 56
.LBB118_949:                            ; =>This Inner Loop Header: Depth=1
	ds_read_b64 v[134:135], v133
	v_mov_b32_e32 v136, s0
	s_add_i32 s0, s0, 1
	v_add_u32_e32 v133, 8, v133
	s_cmp_lg_u32 s18, s0
	s_waitcnt lgkmcnt(0)
	v_cmp_lt_f64_e64 vcc, |v[124:125]|, |v[134:135]|
	v_cndmask_b32_e32 v125, v125, v135, vcc
	v_cndmask_b32_e32 v124, v124, v134, vcc
	;; [unrolled: 1-line block ×3, first 2 shown]
	s_cbranch_scc1 .LBB118_949
.LBB118_950:
	s_waitcnt lgkmcnt(0)
	v_cmp_eq_f64_e32 vcc, 0, v[124:125]
	s_and_saveexec_b64 s[0:1], vcc
	s_xor_b64 s[0:1], exec, s[0:1]
; %bb.951:
	v_cmp_ne_u32_e32 vcc, 0, v132
	v_cndmask_b32_e32 v132, 57, v132, vcc
; %bb.952:
	s_andn2_saveexec_b64 s[0:1], s[0:1]
; %bb.953:
	v_div_scale_f64 v[134:135], s[2:3], v[124:125], v[124:125], 1.0
	v_rcp_f64_e32 v[136:137], v[134:135]
	v_div_scale_f64 v[138:139], vcc, 1.0, v[124:125], 1.0
	v_fma_f64 v[140:141], -v[134:135], v[136:137], 1.0
	v_fmac_f64_e32 v[136:137], v[136:137], v[140:141]
	v_fma_f64 v[140:141], -v[134:135], v[136:137], 1.0
	v_fmac_f64_e32 v[136:137], v[136:137], v[140:141]
	v_mul_f64 v[140:141], v[138:139], v[136:137]
	v_fma_f64 v[134:135], -v[134:135], v[140:141], v[138:139]
	v_div_fmas_f64 v[134:135], v[134:135], v[136:137], v[140:141]
	v_div_fixup_f64 v[124:125], v[134:135], v[124:125], 1.0
; %bb.954:
	s_or_b64 exec, exec, s[0:1]
	v_cmp_ne_u32_e32 vcc, v129, v126
	s_and_saveexec_b64 s[0:1], vcc
	s_xor_b64 s[0:1], exec, s[0:1]
	s_cbranch_execz .LBB118_960
; %bb.955:
	v_cmp_eq_u32_e32 vcc, 56, v129
	s_and_saveexec_b64 s[2:3], vcc
	s_cbranch_execz .LBB118_959
; %bb.956:
	v_cmp_ne_u32_e32 vcc, 56, v126
	s_xor_b64 s[14:15], s[6:7], -1
	s_and_b64 s[16:17], s[14:15], vcc
	s_and_saveexec_b64 s[14:15], s[16:17]
	s_cbranch_execz .LBB118_958
; %bb.957:
	v_ashrrev_i32_e32 v127, 31, v126
	v_lshlrev_b64 v[134:135], 2, v[126:127]
	v_add_co_u32_e32 v134, vcc, v4, v134
	v_addc_co_u32_e32 v135, vcc, v5, v135, vcc
	flat_load_dword v127, v[134:135]
	flat_load_dword v129, v[4:5] offset:224
	s_waitcnt vmcnt(0) lgkmcnt(0)
	flat_store_dword v[4:5], v127 offset:224
	flat_store_dword v[134:135], v129
.LBB118_958:
	s_or_b64 exec, exec, s[14:15]
	v_mov_b32_e32 v127, v126
	v_mov_b32_e32 v129, v126
.LBB118_959:
	s_or_b64 exec, exec, s[2:3]
.LBB118_960:
	s_andn2_saveexec_b64 s[0:1], s[0:1]
	s_cbranch_execz .LBB118_962
; %bb.961:
	v_mov_b32_e32 v129, 56
	ds_write2_b64 v128, v[6:7], v[0:1] offset0:57 offset1:58
	ds_write_b64 v128, v[122:123] offset:472
.LBB118_962:
	s_or_b64 exec, exec, s[0:1]
	v_cmp_lt_i32_e32 vcc, 56, v129
	s_waitcnt lgkmcnt(0)
	s_barrier
	s_and_saveexec_b64 s[0:1], vcc
	s_cbranch_execz .LBB118_964
; %bb.963:
	ds_read2_b64 v[134:137], v128 offset0:57 offset1:58
	ds_read_b64 v[138:139], v128 offset:472
	v_mul_f64 v[8:9], v[124:125], v[8:9]
	s_waitcnt lgkmcnt(0)
	v_fma_f64 v[6:7], -v[8:9], v[134:135], v[6:7]
	v_fma_f64 v[0:1], -v[8:9], v[136:137], v[0:1]
	;; [unrolled: 1-line block ×3, first 2 shown]
.LBB118_964:
	s_or_b64 exec, exec, s[0:1]
	v_lshl_add_u32 v124, v129, 3, v128
	s_barrier
	ds_write_b64 v124, v[6:7]
	s_waitcnt lgkmcnt(0)
	s_barrier
	ds_read_b64 v[124:125], v128 offset:456
	s_cmp_lt_i32 s18, 59
	v_mov_b32_e32 v126, 57
	s_cbranch_scc1 .LBB118_967
; %bb.965:
	v_add_u32_e32 v133, 0x1d0, v128
	s_mov_b32 s0, 58
	v_mov_b32_e32 v126, 57
.LBB118_966:                            ; =>This Inner Loop Header: Depth=1
	ds_read_b64 v[134:135], v133
	v_mov_b32_e32 v136, s0
	s_add_i32 s0, s0, 1
	v_add_u32_e32 v133, 8, v133
	s_cmp_lg_u32 s18, s0
	s_waitcnt lgkmcnt(0)
	v_cmp_lt_f64_e64 vcc, |v[124:125]|, |v[134:135]|
	v_cndmask_b32_e32 v125, v125, v135, vcc
	v_cndmask_b32_e32 v124, v124, v134, vcc
	;; [unrolled: 1-line block ×3, first 2 shown]
	s_cbranch_scc1 .LBB118_966
.LBB118_967:
	s_waitcnt lgkmcnt(0)
	v_cmp_eq_f64_e32 vcc, 0, v[124:125]
	s_and_saveexec_b64 s[0:1], vcc
	s_xor_b64 s[0:1], exec, s[0:1]
; %bb.968:
	v_cmp_ne_u32_e32 vcc, 0, v132
	v_cndmask_b32_e32 v132, 58, v132, vcc
; %bb.969:
	s_andn2_saveexec_b64 s[0:1], s[0:1]
; %bb.970:
	v_div_scale_f64 v[134:135], s[2:3], v[124:125], v[124:125], 1.0
	v_rcp_f64_e32 v[136:137], v[134:135]
	v_div_scale_f64 v[138:139], vcc, 1.0, v[124:125], 1.0
	v_fma_f64 v[140:141], -v[134:135], v[136:137], 1.0
	v_fmac_f64_e32 v[136:137], v[136:137], v[140:141]
	v_fma_f64 v[140:141], -v[134:135], v[136:137], 1.0
	v_fmac_f64_e32 v[136:137], v[136:137], v[140:141]
	v_mul_f64 v[140:141], v[138:139], v[136:137]
	v_fma_f64 v[134:135], -v[134:135], v[140:141], v[138:139]
	v_div_fmas_f64 v[134:135], v[134:135], v[136:137], v[140:141]
	v_div_fixup_f64 v[124:125], v[134:135], v[124:125], 1.0
; %bb.971:
	s_or_b64 exec, exec, s[0:1]
	v_cmp_ne_u32_e32 vcc, v129, v126
	s_and_saveexec_b64 s[0:1], vcc
	s_xor_b64 s[0:1], exec, s[0:1]
	s_cbranch_execz .LBB118_977
; %bb.972:
	v_cmp_eq_u32_e32 vcc, 57, v129
	s_and_saveexec_b64 s[2:3], vcc
	s_cbranch_execz .LBB118_976
; %bb.973:
	v_cmp_ne_u32_e32 vcc, 57, v126
	s_xor_b64 s[14:15], s[6:7], -1
	s_and_b64 s[16:17], s[14:15], vcc
	s_and_saveexec_b64 s[14:15], s[16:17]
	s_cbranch_execz .LBB118_975
; %bb.974:
	v_ashrrev_i32_e32 v127, 31, v126
	v_lshlrev_b64 v[134:135], 2, v[126:127]
	v_add_co_u32_e32 v134, vcc, v4, v134
	v_addc_co_u32_e32 v135, vcc, v5, v135, vcc
	flat_load_dword v127, v[134:135]
	flat_load_dword v129, v[4:5] offset:228
	s_waitcnt vmcnt(0) lgkmcnt(0)
	flat_store_dword v[4:5], v127 offset:228
	flat_store_dword v[134:135], v129
.LBB118_975:
	s_or_b64 exec, exec, s[14:15]
	v_mov_b32_e32 v127, v126
	v_mov_b32_e32 v129, v126
.LBB118_976:
	s_or_b64 exec, exec, s[2:3]
.LBB118_977:
	s_andn2_saveexec_b64 s[0:1], s[0:1]
	s_cbranch_execz .LBB118_979
; %bb.978:
	v_mov_b32_e32 v134, v0
	v_mov_b32_e32 v135, v1
	;; [unrolled: 1-line block ×3, first 2 shown]
	ds_write2_b64 v128, v[134:135], v[122:123] offset0:58 offset1:59
.LBB118_979:
	s_or_b64 exec, exec, s[0:1]
	v_cmp_lt_i32_e32 vcc, 57, v129
	s_waitcnt lgkmcnt(0)
	s_barrier
	s_and_saveexec_b64 s[0:1], vcc
	s_cbranch_execz .LBB118_981
; %bb.980:
	ds_read2_b64 v[134:137], v128 offset0:58 offset1:59
	v_mul_f64 v[6:7], v[124:125], v[6:7]
	s_waitcnt lgkmcnt(0)
	v_fma_f64 v[0:1], -v[6:7], v[134:135], v[0:1]
	v_fma_f64 v[122:123], -v[6:7], v[136:137], v[122:123]
.LBB118_981:
	s_or_b64 exec, exec, s[0:1]
	v_lshl_add_u32 v124, v129, 3, v128
	s_barrier
	ds_write_b64 v124, v[0:1]
	s_waitcnt lgkmcnt(0)
	s_barrier
	ds_read_b64 v[124:125], v128 offset:464
	s_cmp_lt_i32 s18, 60
	v_mov_b32_e32 v126, 58
	s_cbranch_scc1 .LBB118_984
; %bb.982:
	v_add_u32_e32 v133, 0x1d8, v128
	s_mov_b32 s0, 59
	v_mov_b32_e32 v126, 58
.LBB118_983:                            ; =>This Inner Loop Header: Depth=1
	ds_read_b64 v[134:135], v133
	v_mov_b32_e32 v136, s0
	s_add_i32 s0, s0, 1
	v_add_u32_e32 v133, 8, v133
	s_cmp_lg_u32 s18, s0
	s_waitcnt lgkmcnt(0)
	v_cmp_lt_f64_e64 vcc, |v[124:125]|, |v[134:135]|
	v_cndmask_b32_e32 v125, v125, v135, vcc
	v_cndmask_b32_e32 v124, v124, v134, vcc
	v_cndmask_b32_e32 v126, v126, v136, vcc
	s_cbranch_scc1 .LBB118_983
.LBB118_984:
	s_waitcnt lgkmcnt(0)
	v_cmp_eq_f64_e32 vcc, 0, v[124:125]
	s_and_saveexec_b64 s[0:1], vcc
	s_xor_b64 s[0:1], exec, s[0:1]
; %bb.985:
	v_cmp_ne_u32_e32 vcc, 0, v132
	v_cndmask_b32_e32 v132, 59, v132, vcc
; %bb.986:
	s_andn2_saveexec_b64 s[0:1], s[0:1]
; %bb.987:
	v_div_scale_f64 v[134:135], s[2:3], v[124:125], v[124:125], 1.0
	v_rcp_f64_e32 v[136:137], v[134:135]
	v_div_scale_f64 v[138:139], vcc, 1.0, v[124:125], 1.0
	v_fma_f64 v[140:141], -v[134:135], v[136:137], 1.0
	v_fmac_f64_e32 v[136:137], v[136:137], v[140:141]
	v_fma_f64 v[140:141], -v[134:135], v[136:137], 1.0
	v_fmac_f64_e32 v[136:137], v[136:137], v[140:141]
	v_mul_f64 v[140:141], v[138:139], v[136:137]
	v_fma_f64 v[134:135], -v[134:135], v[140:141], v[138:139]
	v_div_fmas_f64 v[134:135], v[134:135], v[136:137], v[140:141]
	v_div_fixup_f64 v[124:125], v[134:135], v[124:125], 1.0
; %bb.988:
	s_or_b64 exec, exec, s[0:1]
	v_cmp_ne_u32_e32 vcc, v129, v126
	s_and_saveexec_b64 s[0:1], vcc
	s_xor_b64 s[0:1], exec, s[0:1]
	s_cbranch_execz .LBB118_994
; %bb.989:
	v_cmp_eq_u32_e32 vcc, 58, v129
	s_and_saveexec_b64 s[2:3], vcc
	s_cbranch_execz .LBB118_993
; %bb.990:
	v_cmp_ne_u32_e32 vcc, 58, v126
	s_xor_b64 s[14:15], s[6:7], -1
	s_and_b64 s[16:17], s[14:15], vcc
	s_and_saveexec_b64 s[14:15], s[16:17]
	s_cbranch_execz .LBB118_992
; %bb.991:
	v_ashrrev_i32_e32 v127, 31, v126
	v_lshlrev_b64 v[134:135], 2, v[126:127]
	v_add_co_u32_e32 v134, vcc, v4, v134
	v_addc_co_u32_e32 v135, vcc, v5, v135, vcc
	flat_load_dword v127, v[134:135]
	flat_load_dword v129, v[4:5] offset:232
	s_waitcnt vmcnt(0) lgkmcnt(0)
	flat_store_dword v[4:5], v127 offset:232
	flat_store_dword v[134:135], v129
.LBB118_992:
	s_or_b64 exec, exec, s[14:15]
	v_mov_b32_e32 v127, v126
	v_mov_b32_e32 v129, v126
.LBB118_993:
	s_or_b64 exec, exec, s[2:3]
.LBB118_994:
	s_andn2_saveexec_b64 s[0:1], s[0:1]
	s_cbranch_execz .LBB118_996
; %bb.995:
	v_mov_b32_e32 v129, 58
	ds_write_b64 v128, v[122:123] offset:472
.LBB118_996:
	s_or_b64 exec, exec, s[0:1]
	v_cmp_lt_i32_e32 vcc, 58, v129
	s_waitcnt lgkmcnt(0)
	s_barrier
	s_and_saveexec_b64 s[0:1], vcc
	s_cbranch_execz .LBB118_998
; %bb.997:
	ds_read_b64 v[134:135], v128 offset:472
	v_mul_f64 v[0:1], v[124:125], v[0:1]
	s_waitcnt lgkmcnt(0)
	v_fma_f64 v[122:123], -v[0:1], v[134:135], v[122:123]
.LBB118_998:
	s_or_b64 exec, exec, s[0:1]
	v_lshl_add_u32 v124, v129, 3, v128
	s_barrier
	ds_write_b64 v124, v[122:123]
	s_waitcnt lgkmcnt(0)
	s_barrier
	ds_read_b64 v[124:125], v128 offset:472
	s_cmp_lt_i32 s18, 61
	v_mov_b32_e32 v126, 59
	s_cbranch_scc1 .LBB118_1001
; %bb.999:
	v_add_u32_e32 v128, 0x1e0, v128
	s_mov_b32 s0, 60
	v_mov_b32_e32 v126, 59
.LBB118_1000:                           ; =>This Inner Loop Header: Depth=1
	ds_read_b64 v[134:135], v128
	v_mov_b32_e32 v133, s0
	s_add_i32 s0, s0, 1
	v_add_u32_e32 v128, 8, v128
	s_cmp_lg_u32 s18, s0
	s_waitcnt lgkmcnt(0)
	v_cmp_lt_f64_e64 vcc, |v[124:125]|, |v[134:135]|
	v_cndmask_b32_e32 v125, v125, v135, vcc
	v_cndmask_b32_e32 v124, v124, v134, vcc
	;; [unrolled: 1-line block ×3, first 2 shown]
	s_cbranch_scc1 .LBB118_1000
.LBB118_1001:
	s_waitcnt lgkmcnt(0)
	v_cmp_eq_f64_e32 vcc, 0, v[124:125]
	s_and_saveexec_b64 s[0:1], vcc
	s_xor_b64 s[0:1], exec, s[0:1]
; %bb.1002:
	v_cmp_ne_u32_e32 vcc, 0, v132
	v_cndmask_b32_e32 v132, 60, v132, vcc
; %bb.1003:
	s_andn2_saveexec_b64 s[0:1], s[0:1]
; %bb.1004:
	v_div_scale_f64 v[134:135], s[2:3], v[124:125], v[124:125], 1.0
	v_rcp_f64_e32 v[136:137], v[134:135]
	v_div_scale_f64 v[138:139], vcc, 1.0, v[124:125], 1.0
	v_fma_f64 v[140:141], -v[134:135], v[136:137], 1.0
	v_fmac_f64_e32 v[136:137], v[136:137], v[140:141]
	v_fma_f64 v[140:141], -v[134:135], v[136:137], 1.0
	v_fmac_f64_e32 v[136:137], v[136:137], v[140:141]
	v_mul_f64 v[140:141], v[138:139], v[136:137]
	v_fma_f64 v[134:135], -v[134:135], v[140:141], v[138:139]
	v_div_fmas_f64 v[134:135], v[134:135], v[136:137], v[140:141]
	v_div_fixup_f64 v[124:125], v[134:135], v[124:125], 1.0
; %bb.1005:
	s_or_b64 exec, exec, s[0:1]
	v_cmp_ne_u32_e32 vcc, v129, v126
	v_mov_b32_e32 v128, 59
	s_and_saveexec_b64 s[0:1], vcc
	s_cbranch_execz .LBB118_1011
; %bb.1006:
	v_cmp_eq_u32_e32 vcc, 59, v129
	s_and_saveexec_b64 s[2:3], vcc
	s_cbranch_execz .LBB118_1010
; %bb.1007:
	v_cmp_ne_u32_e32 vcc, 59, v126
	s_xor_b64 s[6:7], s[6:7], -1
	s_and_b64 s[14:15], s[6:7], vcc
	s_and_saveexec_b64 s[6:7], s[14:15]
	s_cbranch_execz .LBB118_1009
; %bb.1008:
	v_ashrrev_i32_e32 v127, 31, v126
	v_lshlrev_b64 v[128:129], 2, v[126:127]
	v_add_co_u32_e32 v128, vcc, v4, v128
	v_addc_co_u32_e32 v129, vcc, v5, v129, vcc
	flat_load_dword v127, v[128:129]
	flat_load_dword v133, v[4:5] offset:236
	s_waitcnt vmcnt(0) lgkmcnt(0)
	flat_store_dword v[4:5], v127 offset:236
	flat_store_dword v[128:129], v133
.LBB118_1009:
	s_or_b64 exec, exec, s[6:7]
	v_mov_b32_e32 v127, v126
	v_mov_b32_e32 v129, v126
.LBB118_1010:
	s_or_b64 exec, exec, s[2:3]
	v_mov_b32_e32 v128, v129
.LBB118_1011:
	s_or_b64 exec, exec, s[0:1]
	s_load_dwordx8 s[0:7], s[4:5], 0x28
	v_cmp_gt_i32_e32 vcc, 60, v128
	v_ashrrev_i32_e32 v129, 31, v128
	s_waitcnt lgkmcnt(0)
	s_barrier
	s_barrier
	s_and_saveexec_b64 s[14:15], vcc
	s_cbranch_execz .LBB118_1013
; %bb.1012:
	v_mul_lo_u32 v126, v3, s4
	v_mul_lo_u32 v133, v2, s5
	v_mad_u64_u32 v[4:5], s[4:5], v2, s4, 0
	s_lshl_b64 s[2:3], s[2:3], 2
	v_add3_u32 v5, v5, v133, v126
	s_add_u32 s0, s2, s0
	v_lshlrev_b64 v[4:5], 2, v[4:5]
	s_addc_u32 s1, s3, s1
	v_mov_b32_e32 v126, s1
	v_add_co_u32_e32 v133, vcc, s0, v4
	v_addc_co_u32_e32 v126, vcc, v126, v5, vcc
	v_lshlrev_b64 v[4:5], 2, v[128:129]
	v_add_co_u32_e32 v4, vcc, v133, v4
	v_addc_co_u32_e32 v5, vcc, v126, v5, vcc
	v_add3_u32 v126, v127, s13, 1
	global_store_dword v[4:5], v126, off
.LBB118_1013:
	s_or_b64 exec, exec, s[14:15]
	v_cmp_eq_u32_e32 vcc, 0, v128
	s_and_saveexec_b64 s[2:3], vcc
	s_cbranch_execz .LBB118_1016
; %bb.1014:
	v_lshlrev_b64 v[2:3], 2, v[2:3]
	v_mov_b32_e32 v4, s7
	v_add_co_u32_e32 v2, vcc, s6, v2
	v_addc_co_u32_e32 v3, vcc, v4, v3, vcc
	global_load_dword v4, v[2:3], off
	v_cmp_lt_i32_e64 s[0:1], 0, v132
	s_waitcnt vmcnt(0)
	v_cmp_eq_u32_e32 vcc, 0, v4
	s_and_b64 s[0:1], vcc, s[0:1]
	s_and_b64 exec, exec, s[0:1]
	s_cbranch_execz .LBB118_1016
; %bb.1015:
	v_add_u32_e32 v4, s13, v132
	global_store_dword v[2:3], v4, off
.LBB118_1016:
	s_or_b64 exec, exec, s[2:3]
	v_mul_f64 v[2:3], v[124:125], v[122:123]
	v_cmp_lt_i32_e32 vcc, 59, v128
	v_lshlrev_b64 v[4:5], 3, v[128:129]
	v_cndmask_b32_e32 v3, v123, v3, vcc
	v_cndmask_b32_e32 v2, v122, v2, vcc
	v_add_co_u32_e32 v4, vcc, v130, v4
	v_addc_co_u32_e32 v5, vcc, v131, v5, vcc
	global_store_dwordx2 v[4:5], v[118:119], off
	v_mov_b32_e32 v118, s11
	v_add_co_u32_e32 v4, vcc, s10, v4
	v_addc_co_u32_e32 v5, vcc, v5, v118, vcc
	global_store_dwordx2 v[4:5], v[120:121], off
	v_add_u32_e32 v4, s12, v128
	v_ashrrev_i32_e32 v5, 31, v4
	v_lshlrev_b64 v[118:119], 3, v[4:5]
	v_add_co_u32_e32 v118, vcc, v130, v118
	v_add_u32_e32 v4, s8, v4
	v_addc_co_u32_e32 v119, vcc, v131, v119, vcc
	v_ashrrev_i32_e32 v5, 31, v4
	global_store_dwordx2 v[118:119], v[116:117], off
	v_lshlrev_b64 v[116:117], 3, v[4:5]
	v_add_co_u32_e32 v116, vcc, v130, v116
	v_add_u32_e32 v4, s8, v4
	v_addc_co_u32_e32 v117, vcc, v131, v117, vcc
	v_ashrrev_i32_e32 v5, 31, v4
	global_store_dwordx2 v[116:117], v[114:115], off
	;; [unrolled: 6-line block ×56, first 2 shown]
	v_lshlrev_b64 v[6:7], 3, v[4:5]
	v_add_co_u32_e32 v6, vcc, v130, v6
	v_addc_co_u32_e32 v7, vcc, v131, v7, vcc
	global_store_dwordx2 v[6:7], v[0:1], off
	v_add_u32_e32 v0, s8, v4
	v_ashrrev_i32_e32 v1, 31, v0
	v_lshlrev_b64 v[0:1], 3, v[0:1]
	v_add_co_u32_e32 v0, vcc, v130, v0
	v_addc_co_u32_e32 v1, vcc, v131, v1, vcc
	global_store_dwordx2 v[0:1], v[2:3], off
.LBB118_1017:
	s_endpgm
	.section	.rodata,"a",@progbits
	.p2align	6, 0x0
	.amdhsa_kernel _ZN9rocsolver6v33100L18getf2_small_kernelILi60EdiiPKPdEEvT1_T3_lS5_lPS5_llPT2_S5_S5_S7_l
		.amdhsa_group_segment_fixed_size 0
		.amdhsa_private_segment_fixed_size 0
		.amdhsa_kernarg_size 352
		.amdhsa_user_sgpr_count 6
		.amdhsa_user_sgpr_private_segment_buffer 1
		.amdhsa_user_sgpr_dispatch_ptr 0
		.amdhsa_user_sgpr_queue_ptr 0
		.amdhsa_user_sgpr_kernarg_segment_ptr 1
		.amdhsa_user_sgpr_dispatch_id 0
		.amdhsa_user_sgpr_flat_scratch_init 0
		.amdhsa_user_sgpr_kernarg_preload_length 0
		.amdhsa_user_sgpr_kernarg_preload_offset 0
		.amdhsa_user_sgpr_private_segment_size 0
		.amdhsa_uses_dynamic_stack 0
		.amdhsa_system_sgpr_private_segment_wavefront_offset 0
		.amdhsa_system_sgpr_workgroup_id_x 1
		.amdhsa_system_sgpr_workgroup_id_y 1
		.amdhsa_system_sgpr_workgroup_id_z 0
		.amdhsa_system_sgpr_workgroup_info 0
		.amdhsa_system_vgpr_workitem_id 1
		.amdhsa_next_free_vgpr 188
		.amdhsa_next_free_sgpr 22
		.amdhsa_accum_offset 188
		.amdhsa_reserve_vcc 1
		.amdhsa_reserve_flat_scratch 0
		.amdhsa_float_round_mode_32 0
		.amdhsa_float_round_mode_16_64 0
		.amdhsa_float_denorm_mode_32 3
		.amdhsa_float_denorm_mode_16_64 3
		.amdhsa_dx10_clamp 1
		.amdhsa_ieee_mode 1
		.amdhsa_fp16_overflow 0
		.amdhsa_tg_split 0
		.amdhsa_exception_fp_ieee_invalid_op 0
		.amdhsa_exception_fp_denorm_src 0
		.amdhsa_exception_fp_ieee_div_zero 0
		.amdhsa_exception_fp_ieee_overflow 0
		.amdhsa_exception_fp_ieee_underflow 0
		.amdhsa_exception_fp_ieee_inexact 0
		.amdhsa_exception_int_div_zero 0
	.end_amdhsa_kernel
	.section	.text._ZN9rocsolver6v33100L18getf2_small_kernelILi60EdiiPKPdEEvT1_T3_lS5_lPS5_llPT2_S5_S5_S7_l,"axG",@progbits,_ZN9rocsolver6v33100L18getf2_small_kernelILi60EdiiPKPdEEvT1_T3_lS5_lPS5_llPT2_S5_S5_S7_l,comdat
.Lfunc_end118:
	.size	_ZN9rocsolver6v33100L18getf2_small_kernelILi60EdiiPKPdEEvT1_T3_lS5_lPS5_llPT2_S5_S5_S7_l, .Lfunc_end118-_ZN9rocsolver6v33100L18getf2_small_kernelILi60EdiiPKPdEEvT1_T3_lS5_lPS5_llPT2_S5_S5_S7_l
                                        ; -- End function
	.section	.AMDGPU.csdata,"",@progbits
; Kernel info:
; codeLenInByte = 64416
; NumSgprs: 26
; NumVgprs: 188
; NumAgprs: 0
; TotalNumVgprs: 188
; ScratchSize: 0
; MemoryBound: 0
; FloatMode: 240
; IeeeMode: 1
; LDSByteSize: 0 bytes/workgroup (compile time only)
; SGPRBlocks: 3
; VGPRBlocks: 23
; NumSGPRsForWavesPerEU: 26
; NumVGPRsForWavesPerEU: 188
; AccumOffset: 188
; Occupancy: 2
; WaveLimiterHint : 1
; COMPUTE_PGM_RSRC2:SCRATCH_EN: 0
; COMPUTE_PGM_RSRC2:USER_SGPR: 6
; COMPUTE_PGM_RSRC2:TRAP_HANDLER: 0
; COMPUTE_PGM_RSRC2:TGID_X_EN: 1
; COMPUTE_PGM_RSRC2:TGID_Y_EN: 1
; COMPUTE_PGM_RSRC2:TGID_Z_EN: 0
; COMPUTE_PGM_RSRC2:TIDIG_COMP_CNT: 1
; COMPUTE_PGM_RSRC3_GFX90A:ACCUM_OFFSET: 46
; COMPUTE_PGM_RSRC3_GFX90A:TG_SPLIT: 0
	.section	.text._ZN9rocsolver6v33100L23getf2_npvt_small_kernelILi60EdiiPKPdEEvT1_T3_lS5_lPT2_S5_S5_,"axG",@progbits,_ZN9rocsolver6v33100L23getf2_npvt_small_kernelILi60EdiiPKPdEEvT1_T3_lS5_lPT2_S5_S5_,comdat
	.globl	_ZN9rocsolver6v33100L23getf2_npvt_small_kernelILi60EdiiPKPdEEvT1_T3_lS5_lPT2_S5_S5_ ; -- Begin function _ZN9rocsolver6v33100L23getf2_npvt_small_kernelILi60EdiiPKPdEEvT1_T3_lS5_lPT2_S5_S5_
	.p2align	8
	.type	_ZN9rocsolver6v33100L23getf2_npvt_small_kernelILi60EdiiPKPdEEvT1_T3_lS5_lPT2_S5_S5_,@function
_ZN9rocsolver6v33100L23getf2_npvt_small_kernelILi60EdiiPKPdEEvT1_T3_lS5_lPT2_S5_S5_: ; @_ZN9rocsolver6v33100L23getf2_npvt_small_kernelILi60EdiiPKPdEEvT1_T3_lS5_lPT2_S5_S5_
; %bb.0:
	s_mov_b64 s[18:19], s[2:3]
	s_mov_b64 s[16:17], s[0:1]
	s_add_u32 s16, s16, s8
	s_load_dword s0, s[4:5], 0x44
	s_load_dwordx2 s[8:9], s[4:5], 0x30
	s_addc_u32 s17, s17, 0
	v_bfe_u32 v1, v0, 10, 10
	s_waitcnt lgkmcnt(0)
	s_lshr_b32 s6, s0, 16
	s_mul_i32 s7, s7, s6
	v_add_u32_e32 v68, s7, v1
	v_cmp_gt_i32_e32 vcc, s8, v68
	s_and_saveexec_b64 s[0:1], vcc
	s_cbranch_execz .LBB119_303
; %bb.1:
	s_load_dwordx4 s[12:15], s[4:5], 0x8
	s_load_dword s0, s[4:5], 0x18
	v_ashrrev_i32_e32 v69, 31, v68
	v_lshlrev_b64 v[2:3], 3, v[68:69]
	v_and_b32_e32 v60, 0x3ff, v0
	s_waitcnt lgkmcnt(0)
	v_mov_b32_e32 v4, s13
	v_add_co_u32_e32 v2, vcc, s12, v2
	v_addc_co_u32_e32 v3, vcc, v4, v3, vcc
	global_load_dwordx2 v[2:3], v[2:3], off
	s_add_i32 s1, s0, s0
	s_lshl_b64 s[2:3], s[14:15], 3
	v_add_u32_e32 v4, s1, v60
	v_mov_b32_e32 v0, s3
	v_ashrrev_i32_e32 v5, 31, v4
	v_add_u32_e32 v6, s0, v4
	v_lshlrev_b64 v[4:5], 3, v[4:5]
	v_ashrrev_i32_e32 v7, 31, v6
	v_add_u32_e32 v8, s0, v6
	v_lshlrev_b64 v[6:7], 3, v[6:7]
	;; [unrolled: 3-line block ×10, first 2 shown]
	v_ashrrev_i32_e32 v25, 31, v24
	s_ashr_i32 s1, s0, 31
	s_mulk_i32 s6, 0x1e0
	s_waitcnt vmcnt(0)
	v_add_co_u32_e32 v26, vcc, s2, v2
	v_addc_co_u32_e32 v0, vcc, v3, v0, vcc
	v_add_co_u32_e32 v70, vcc, v26, v4
	v_addc_co_u32_e32 v71, vcc, v0, v5, vcc
	;; [unrolled: 2-line block ×11, first 2 shown]
	v_lshlrev_b64 v[2:3], 3, v[24:25]
	v_add_co_u32_e32 v90, vcc, v26, v2
	v_add_u32_e32 v2, s0, v24
	v_addc_co_u32_e32 v91, vcc, v0, v3, vcc
	v_ashrrev_i32_e32 v3, 31, v2
	v_lshlrev_b64 v[4:5], 3, v[2:3]
	v_add_u32_e32 v2, s0, v2
	v_add_co_u32_e32 v92, vcc, v26, v4
	v_ashrrev_i32_e32 v3, 31, v2
	v_addc_co_u32_e32 v93, vcc, v0, v5, vcc
	v_lshlrev_b64 v[4:5], 3, v[2:3]
	v_add_u32_e32 v2, s0, v2
	v_add_co_u32_e32 v94, vcc, v26, v4
	v_ashrrev_i32_e32 v3, 31, v2
	v_addc_co_u32_e32 v95, vcc, v0, v5, vcc
	;; [unrolled: 5-line block ×46, first 2 shown]
	v_lshlrev_b64 v[2:3], 3, v[2:3]
	v_add_co_u32_e32 v52, vcc, v26, v2
	v_addc_co_u32_e32 v53, vcc, v0, v3, vcc
	v_lshlrev_b32_e32 v2, 3, v60
	v_add_co_u32_e32 v2, vcc, v26, v2
	v_addc_co_u32_e32 v3, vcc, 0, v0, vcc
	s_lshl_b64 s[0:1], s[0:1], 3
	v_mov_b32_e32 v0, s1
	v_add_co_u32_e32 v26, vcc, s0, v2
	v_addc_co_u32_e32 v27, vcc, v3, v0, vcc
	buffer_store_dword v2, off, s[16:19], 0 offset:192 ; 4-byte Folded Spill
	s_nop 0
	buffer_store_dword v3, off, s[16:19], 0 offset:196 ; 4-byte Folded Spill
	s_movk_i32 s0, 0x1e0
	s_add_i32 s1, s6, 0
	v_mad_u32_u24 v59, v1, s0, 0
	v_lshl_add_u32 v58, v1, 3, s1
	v_cmp_ne_u32_e64 s[2:3], 0, v60
	v_cmp_eq_u32_e64 s[0:1], 0, v60
	global_load_dwordx2 v[122:123], v[2:3], off
	s_nop 0
	buffer_store_dword v26, off, s[16:19], 0 offset:200 ; 4-byte Folded Spill
	s_nop 0
	buffer_store_dword v27, off, s[16:19], 0 offset:204 ; 4-byte Folded Spill
	global_load_dwordx2 v[180:181], v[26:27], off
	global_load_dwordx2 v[238:239], v[70:71], off
	;; [unrolled: 1-line block ×35, first 2 shown]
	s_nop 0
	buffer_store_dword v6, off, s[16:19], 0 ; 4-byte Folded Spill
	s_nop 0
	buffer_store_dword v7, off, s[16:19], 0 offset:4 ; 4-byte Folded Spill
	global_load_dwordx2 v[204:205], v[6:7], off
	s_nop 0
	buffer_store_dword v8, off, s[16:19], 0 offset:8 ; 4-byte Folded Spill
	s_nop 0
	buffer_store_dword v9, off, s[16:19], 0 offset:12 ; 4-byte Folded Spill
	global_load_dwordx2 v[144:145], v[8:9], off
	s_nop 0
	buffer_store_dword v10, off, s[16:19], 0 offset:16 ; 4-byte Folded Spill
	;; [unrolled: 5-line block ×23, first 2 shown]
	s_nop 0
	buffer_store_dword v53, off, s[16:19], 0 offset:188 ; 4-byte Folded Spill
	global_load_dwordx2 v[240:241], v[52:53], off
	s_and_saveexec_b64 s[6:7], s[0:1]
	s_cbranch_execz .LBB119_4
; %bb.2:
	s_waitcnt vmcnt(62)
	ds_write_b64 v58, v[122:123]
	ds_write2_b64 v59, v[180:181], v[238:239] offset0:1 offset1:2
	ds_write2_b64 v59, v[178:179], v[236:237] offset0:3 offset1:4
	;; [unrolled: 1-line block ×19, first 2 shown]
	s_waitcnt vmcnt(57)
	ds_write2_b64 v59, v[142:143], v[200:201] offset0:39 offset1:40
	s_waitcnt vmcnt(51)
	ds_write2_b64 v59, v[140:141], v[198:199] offset0:41 offset1:42
	;; [unrolled: 2-line block ×10, first 2 shown]
	s_waitcnt vmcnt(0)
	ds_write_b64 v59, v[240:241] offset:472
	ds_read_b64 v[0:1], v58
	s_waitcnt lgkmcnt(0)
	v_cmp_neq_f64_e32 vcc, 0, v[0:1]
	s_and_b64 exec, exec, vcc
	s_cbranch_execz .LBB119_4
; %bb.3:
	v_div_scale_f64 v[2:3], s[10:11], v[0:1], v[0:1], 1.0
	v_rcp_f64_e32 v[4:5], v[2:3]
	v_div_scale_f64 v[6:7], vcc, 1.0, v[0:1], 1.0
	v_fma_f64 v[8:9], -v[2:3], v[4:5], 1.0
	v_fmac_f64_e32 v[4:5], v[4:5], v[8:9]
	v_fma_f64 v[8:9], -v[2:3], v[4:5], 1.0
	v_fmac_f64_e32 v[4:5], v[4:5], v[8:9]
	v_mul_f64 v[8:9], v[6:7], v[4:5]
	v_fma_f64 v[2:3], -v[2:3], v[8:9], v[6:7]
	v_div_fmas_f64 v[2:3], v[2:3], v[4:5], v[8:9]
	v_div_fixup_f64 v[0:1], v[2:3], v[0:1], 1.0
	ds_write_b64 v58, v[0:1]
.LBB119_4:
	s_or_b64 exec, exec, s[6:7]
	s_waitcnt lgkmcnt(0)
	s_barrier
	ds_read_b64 v[0:1], v58
	s_waitcnt lgkmcnt(0)
	buffer_store_dword v0, off, s[16:19], 0 offset:208 ; 4-byte Folded Spill
	s_nop 0
	buffer_store_dword v1, off, s[16:19], 0 offset:212 ; 4-byte Folded Spill
	s_and_saveexec_b64 s[6:7], s[2:3]
	s_cbranch_execz .LBB119_6
; %bb.5:
	buffer_load_dword v0, off, s[16:19], 0 offset:208 ; 4-byte Folded Reload
	buffer_load_dword v1, off, s[16:19], 0 offset:212 ; 4-byte Folded Reload
	s_waitcnt vmcnt(0)
	v_mul_f64 v[122:123], v[0:1], v[122:123]
	ds_read2_b64 v[0:3], v59 offset0:1 offset1:2
	s_waitcnt lgkmcnt(0)
	v_fma_f64 v[180:181], -v[122:123], v[0:1], v[180:181]
	v_fma_f64 v[238:239], -v[122:123], v[2:3], v[238:239]
	ds_read2_b64 v[0:3], v59 offset0:3 offset1:4
	s_waitcnt lgkmcnt(0)
	v_fma_f64 v[178:179], -v[122:123], v[0:1], v[178:179]
	v_fma_f64 v[236:237], -v[122:123], v[2:3], v[236:237]
	;; [unrolled: 4-line block ×28, first 2 shown]
	ds_read2_b64 v[0:3], v59 offset0:57 offset1:58
	s_waitcnt lgkmcnt(0)
	v_fma_f64 v[124:125], -v[122:123], v[0:1], v[124:125]
	ds_read_b64 v[0:1], v59 offset:472
	v_fma_f64 v[182:183], -v[122:123], v[2:3], v[182:183]
	s_waitcnt lgkmcnt(0)
	v_fma_f64 v[240:241], -v[122:123], v[0:1], v[240:241]
.LBB119_6:
	s_or_b64 exec, exec, s[6:7]
	v_cmp_eq_u32_e32 vcc, 1, v60
	s_waitcnt vmcnt(63) expcnt(7) lgkmcnt(15)
	s_barrier
	s_and_saveexec_b64 s[2:3], vcc
	s_cbranch_execz .LBB119_9
; %bb.7:
	v_mov_b32_e32 v0, v238
	v_mov_b32_e32 v1, v239
	;; [unrolled: 1-line block ×4, first 2 shown]
	ds_write_b64 v58, v[180:181]
	ds_write2_b64 v59, v[0:1], v[2:3] offset0:2 offset1:3
	v_mov_b32_e32 v0, v236
	v_mov_b32_e32 v1, v237
	v_mov_b32_e32 v2, v176
	v_mov_b32_e32 v3, v177
	ds_write2_b64 v59, v[0:1], v[2:3] offset0:4 offset1:5
	v_mov_b32_e32 v0, v234
	v_mov_b32_e32 v1, v235
	v_mov_b32_e32 v2, v174
	v_mov_b32_e32 v3, v175
	;; [unrolled: 5-line block ×17, first 2 shown]
	ds_write2_b64 v59, v[0:1], v[2:3] offset0:36 offset1:37
	v_mov_b32_e32 v0, v202
	v_mov_b32_e32 v1, v203
	s_waitcnt vmcnt(62)
	v_mov_b32_e32 v2, v142
	v_mov_b32_e32 v3, v143
	ds_write2_b64 v59, v[0:1], v[2:3] offset0:38 offset1:39
	s_waitcnt vmcnt(59)
	v_mov_b32_e32 v0, v200
	v_mov_b32_e32 v1, v201
	s_waitcnt vmcnt(56)
	v_mov_b32_e32 v2, v140
	v_mov_b32_e32 v3, v141
	ds_write2_b64 v59, v[0:1], v[2:3] offset0:40 offset1:41
	s_waitcnt vmcnt(53)
	;; [unrolled: 7-line block ×10, first 2 shown]
	v_mov_b32_e32 v0, v182
	v_mov_b32_e32 v1, v183
	s_waitcnt vmcnt(2)
	ds_write2_b64 v59, v[0:1], v[240:241] offset0:58 offset1:59
	ds_read_b64 v[0:1], v58
	s_waitcnt lgkmcnt(0)
	v_cmp_neq_f64_e32 vcc, 0, v[0:1]
	s_and_b64 exec, exec, vcc
	s_cbranch_execz .LBB119_9
; %bb.8:
	v_div_scale_f64 v[2:3], s[6:7], v[0:1], v[0:1], 1.0
	v_rcp_f64_e32 v[4:5], v[2:3]
	v_div_scale_f64 v[6:7], vcc, 1.0, v[0:1], 1.0
	v_fma_f64 v[8:9], -v[2:3], v[4:5], 1.0
	v_fmac_f64_e32 v[4:5], v[4:5], v[8:9]
	v_fma_f64 v[8:9], -v[2:3], v[4:5], 1.0
	v_fmac_f64_e32 v[4:5], v[4:5], v[8:9]
	v_mul_f64 v[8:9], v[6:7], v[4:5]
	v_fma_f64 v[2:3], -v[2:3], v[8:9], v[6:7]
	v_div_fmas_f64 v[2:3], v[2:3], v[4:5], v[8:9]
	v_div_fixup_f64 v[0:1], v[2:3], v[0:1], 1.0
	ds_write_b64 v58, v[0:1]
.LBB119_9:
	s_or_b64 exec, exec, s[2:3]
	s_waitcnt lgkmcnt(0)
	s_barrier
	ds_read_b64 v[0:1], v58
	v_cmp_lt_u32_e32 vcc, 1, v60
	s_waitcnt lgkmcnt(0)
	buffer_store_dword v0, off, s[16:19], 0 offset:216 ; 4-byte Folded Spill
	s_nop 0
	buffer_store_dword v1, off, s[16:19], 0 offset:220 ; 4-byte Folded Spill
	s_and_saveexec_b64 s[2:3], vcc
	s_cbranch_execz .LBB119_11
; %bb.10:
	buffer_load_dword v0, off, s[16:19], 0 offset:216 ; 4-byte Folded Reload
	buffer_load_dword v1, off, s[16:19], 0 offset:220 ; 4-byte Folded Reload
	s_waitcnt vmcnt(0)
	v_mul_f64 v[180:181], v[0:1], v[180:181]
	ds_read2_b64 v[0:3], v59 offset0:2 offset1:3
	s_waitcnt lgkmcnt(0)
	v_fma_f64 v[238:239], -v[180:181], v[0:1], v[238:239]
	v_fma_f64 v[178:179], -v[180:181], v[2:3], v[178:179]
	ds_read2_b64 v[0:3], v59 offset0:4 offset1:5
	s_waitcnt lgkmcnt(0)
	v_fma_f64 v[236:237], -v[180:181], v[0:1], v[236:237]
	v_fma_f64 v[176:177], -v[180:181], v[2:3], v[176:177]
	ds_read2_b64 v[0:3], v59 offset0:6 offset1:7
	s_waitcnt lgkmcnt(0)
	v_fma_f64 v[234:235], -v[180:181], v[0:1], v[234:235]
	v_fma_f64 v[174:175], -v[180:181], v[2:3], v[174:175]
	ds_read2_b64 v[0:3], v59 offset0:8 offset1:9
	s_waitcnt lgkmcnt(0)
	v_fma_f64 v[232:233], -v[180:181], v[0:1], v[232:233]
	v_fma_f64 v[172:173], -v[180:181], v[2:3], v[172:173]
	ds_read2_b64 v[0:3], v59 offset0:10 offset1:11
	s_waitcnt lgkmcnt(0)
	v_fma_f64 v[230:231], -v[180:181], v[0:1], v[230:231]
	v_fma_f64 v[170:171], -v[180:181], v[2:3], v[170:171]
	ds_read2_b64 v[0:3], v59 offset0:12 offset1:13
	s_waitcnt lgkmcnt(0)
	v_fma_f64 v[228:229], -v[180:181], v[0:1], v[228:229]
	v_fma_f64 v[168:169], -v[180:181], v[2:3], v[168:169]
	ds_read2_b64 v[0:3], v59 offset0:14 offset1:15
	s_waitcnt lgkmcnt(0)
	v_fma_f64 v[226:227], -v[180:181], v[0:1], v[226:227]
	v_fma_f64 v[166:167], -v[180:181], v[2:3], v[166:167]
	ds_read2_b64 v[0:3], v59 offset0:16 offset1:17
	s_waitcnt lgkmcnt(0)
	v_fma_f64 v[224:225], -v[180:181], v[0:1], v[224:225]
	v_fma_f64 v[164:165], -v[180:181], v[2:3], v[164:165]
	ds_read2_b64 v[0:3], v59 offset0:18 offset1:19
	s_waitcnt lgkmcnt(0)
	v_fma_f64 v[222:223], -v[180:181], v[0:1], v[222:223]
	v_fma_f64 v[162:163], -v[180:181], v[2:3], v[162:163]
	ds_read2_b64 v[0:3], v59 offset0:20 offset1:21
	s_waitcnt lgkmcnt(0)
	v_fma_f64 v[220:221], -v[180:181], v[0:1], v[220:221]
	v_fma_f64 v[160:161], -v[180:181], v[2:3], v[160:161]
	ds_read2_b64 v[0:3], v59 offset0:22 offset1:23
	s_waitcnt lgkmcnt(0)
	v_fma_f64 v[218:219], -v[180:181], v[0:1], v[218:219]
	v_fma_f64 v[158:159], -v[180:181], v[2:3], v[158:159]
	ds_read2_b64 v[0:3], v59 offset0:24 offset1:25
	s_waitcnt lgkmcnt(0)
	v_fma_f64 v[216:217], -v[180:181], v[0:1], v[216:217]
	v_fma_f64 v[156:157], -v[180:181], v[2:3], v[156:157]
	ds_read2_b64 v[0:3], v59 offset0:26 offset1:27
	s_waitcnt lgkmcnt(0)
	v_fma_f64 v[214:215], -v[180:181], v[0:1], v[214:215]
	v_fma_f64 v[154:155], -v[180:181], v[2:3], v[154:155]
	ds_read2_b64 v[0:3], v59 offset0:28 offset1:29
	s_waitcnt lgkmcnt(0)
	v_fma_f64 v[212:213], -v[180:181], v[0:1], v[212:213]
	v_fma_f64 v[152:153], -v[180:181], v[2:3], v[152:153]
	ds_read2_b64 v[0:3], v59 offset0:30 offset1:31
	s_waitcnt lgkmcnt(0)
	v_fma_f64 v[210:211], -v[180:181], v[0:1], v[210:211]
	v_fma_f64 v[150:151], -v[180:181], v[2:3], v[150:151]
	ds_read2_b64 v[0:3], v59 offset0:32 offset1:33
	s_waitcnt lgkmcnt(0)
	v_fma_f64 v[208:209], -v[180:181], v[0:1], v[208:209]
	v_fma_f64 v[148:149], -v[180:181], v[2:3], v[148:149]
	ds_read2_b64 v[0:3], v59 offset0:34 offset1:35
	s_waitcnt lgkmcnt(0)
	v_fma_f64 v[206:207], -v[180:181], v[0:1], v[206:207]
	v_fma_f64 v[146:147], -v[180:181], v[2:3], v[146:147]
	ds_read2_b64 v[0:3], v59 offset0:36 offset1:37
	s_waitcnt lgkmcnt(0)
	v_fma_f64 v[204:205], -v[180:181], v[0:1], v[204:205]
	v_fma_f64 v[144:145], -v[180:181], v[2:3], v[144:145]
	ds_read2_b64 v[0:3], v59 offset0:38 offset1:39
	s_waitcnt lgkmcnt(0)
	v_fma_f64 v[202:203], -v[180:181], v[0:1], v[202:203]
	v_fma_f64 v[142:143], -v[180:181], v[2:3], v[142:143]
	ds_read2_b64 v[0:3], v59 offset0:40 offset1:41
	s_waitcnt lgkmcnt(0)
	v_fma_f64 v[200:201], -v[180:181], v[0:1], v[200:201]
	v_fma_f64 v[140:141], -v[180:181], v[2:3], v[140:141]
	ds_read2_b64 v[0:3], v59 offset0:42 offset1:43
	s_waitcnt lgkmcnt(0)
	v_fma_f64 v[198:199], -v[180:181], v[0:1], v[198:199]
	v_fma_f64 v[138:139], -v[180:181], v[2:3], v[138:139]
	ds_read2_b64 v[0:3], v59 offset0:44 offset1:45
	s_waitcnt lgkmcnt(0)
	v_fma_f64 v[196:197], -v[180:181], v[0:1], v[196:197]
	v_fma_f64 v[136:137], -v[180:181], v[2:3], v[136:137]
	ds_read2_b64 v[0:3], v59 offset0:46 offset1:47
	s_waitcnt lgkmcnt(0)
	v_fma_f64 v[194:195], -v[180:181], v[0:1], v[194:195]
	v_fma_f64 v[134:135], -v[180:181], v[2:3], v[134:135]
	ds_read2_b64 v[0:3], v59 offset0:48 offset1:49
	s_waitcnt lgkmcnt(0)
	v_fma_f64 v[192:193], -v[180:181], v[0:1], v[192:193]
	v_fma_f64 v[132:133], -v[180:181], v[2:3], v[132:133]
	ds_read2_b64 v[0:3], v59 offset0:50 offset1:51
	s_waitcnt lgkmcnt(0)
	v_fma_f64 v[190:191], -v[180:181], v[0:1], v[190:191]
	v_fma_f64 v[130:131], -v[180:181], v[2:3], v[130:131]
	ds_read2_b64 v[0:3], v59 offset0:52 offset1:53
	s_waitcnt lgkmcnt(0)
	v_fma_f64 v[188:189], -v[180:181], v[0:1], v[188:189]
	v_fma_f64 v[128:129], -v[180:181], v[2:3], v[128:129]
	ds_read2_b64 v[0:3], v59 offset0:54 offset1:55
	s_waitcnt lgkmcnt(0)
	v_fma_f64 v[186:187], -v[180:181], v[0:1], v[186:187]
	v_fma_f64 v[126:127], -v[180:181], v[2:3], v[126:127]
	ds_read2_b64 v[0:3], v59 offset0:56 offset1:57
	s_waitcnt lgkmcnt(0)
	v_fma_f64 v[184:185], -v[180:181], v[0:1], v[184:185]
	v_fma_f64 v[124:125], -v[180:181], v[2:3], v[124:125]
	ds_read2_b64 v[0:3], v59 offset0:58 offset1:59
	s_waitcnt lgkmcnt(0)
	v_fma_f64 v[182:183], -v[180:181], v[0:1], v[182:183]
	v_fma_f64 v[240:241], -v[180:181], v[2:3], v[240:241]
.LBB119_11:
	s_or_b64 exec, exec, s[2:3]
	v_cmp_eq_u32_e32 vcc, 2, v60
	s_waitcnt vmcnt(63) expcnt(7) lgkmcnt(15)
	s_barrier
	s_and_saveexec_b64 s[2:3], vcc
	s_cbranch_execz .LBB119_14
; %bb.12:
	ds_write_b64 v58, v[238:239]
	ds_write2_b64 v59, v[178:179], v[236:237] offset0:3 offset1:4
	ds_write2_b64 v59, v[176:177], v[234:235] offset0:5 offset1:6
	;; [unrolled: 1-line block ×18, first 2 shown]
	s_waitcnt vmcnt(61)
	ds_write2_b64 v59, v[142:143], v[200:201] offset0:39 offset1:40
	s_waitcnt vmcnt(55)
	ds_write2_b64 v59, v[140:141], v[198:199] offset0:41 offset1:42
	;; [unrolled: 2-line block ×10, first 2 shown]
	s_waitcnt vmcnt(4)
	ds_write_b64 v59, v[240:241] offset:472
	ds_read_b64 v[0:1], v58
	s_waitcnt lgkmcnt(0)
	v_cmp_neq_f64_e32 vcc, 0, v[0:1]
	s_and_b64 exec, exec, vcc
	s_cbranch_execz .LBB119_14
; %bb.13:
	v_div_scale_f64 v[2:3], s[6:7], v[0:1], v[0:1], 1.0
	v_rcp_f64_e32 v[4:5], v[2:3]
	v_div_scale_f64 v[6:7], vcc, 1.0, v[0:1], 1.0
	v_fma_f64 v[8:9], -v[2:3], v[4:5], 1.0
	v_fmac_f64_e32 v[4:5], v[4:5], v[8:9]
	v_fma_f64 v[8:9], -v[2:3], v[4:5], 1.0
	v_fmac_f64_e32 v[4:5], v[4:5], v[8:9]
	v_mul_f64 v[8:9], v[6:7], v[4:5]
	v_fma_f64 v[2:3], -v[2:3], v[8:9], v[6:7]
	v_div_fmas_f64 v[2:3], v[2:3], v[4:5], v[8:9]
	v_div_fixup_f64 v[0:1], v[2:3], v[0:1], 1.0
	ds_write_b64 v58, v[0:1]
.LBB119_14:
	s_or_b64 exec, exec, s[2:3]
	s_waitcnt lgkmcnt(0)
	s_barrier
	ds_read_b64 v[0:1], v58
	v_cmp_lt_u32_e32 vcc, 2, v60
	s_waitcnt lgkmcnt(0)
	buffer_store_dword v0, off, s[16:19], 0 offset:224 ; 4-byte Folded Spill
	s_nop 0
	buffer_store_dword v1, off, s[16:19], 0 offset:228 ; 4-byte Folded Spill
	s_and_saveexec_b64 s[2:3], vcc
	s_cbranch_execz .LBB119_16
; %bb.15:
	buffer_load_dword v0, off, s[16:19], 0 offset:224 ; 4-byte Folded Reload
	buffer_load_dword v1, off, s[16:19], 0 offset:228 ; 4-byte Folded Reload
	s_waitcnt vmcnt(0)
	v_mul_f64 v[238:239], v[0:1], v[238:239]
	ds_read2_b64 v[0:3], v59 offset0:3 offset1:4
	s_waitcnt lgkmcnt(0)
	v_fma_f64 v[178:179], -v[238:239], v[0:1], v[178:179]
	v_fma_f64 v[236:237], -v[238:239], v[2:3], v[236:237]
	ds_read2_b64 v[0:3], v59 offset0:5 offset1:6
	s_waitcnt lgkmcnt(0)
	v_fma_f64 v[176:177], -v[238:239], v[0:1], v[176:177]
	v_fma_f64 v[234:235], -v[238:239], v[2:3], v[234:235]
	;; [unrolled: 4-line block ×27, first 2 shown]
	ds_read2_b64 v[0:3], v59 offset0:57 offset1:58
	s_waitcnt lgkmcnt(0)
	v_fma_f64 v[124:125], -v[238:239], v[0:1], v[124:125]
	ds_read_b64 v[0:1], v59 offset:472
	v_fma_f64 v[182:183], -v[238:239], v[2:3], v[182:183]
	s_waitcnt lgkmcnt(0)
	v_fma_f64 v[240:241], -v[238:239], v[0:1], v[240:241]
.LBB119_16:
	s_or_b64 exec, exec, s[2:3]
	v_cmp_eq_u32_e32 vcc, 3, v60
	s_waitcnt vmcnt(63) expcnt(7) lgkmcnt(15)
	s_barrier
	s_and_saveexec_b64 s[2:3], vcc
	s_cbranch_execz .LBB119_19
; %bb.17:
	v_mov_b32_e32 v0, v236
	v_mov_b32_e32 v1, v237
	;; [unrolled: 1-line block ×4, first 2 shown]
	ds_write_b64 v58, v[178:179]
	ds_write2_b64 v59, v[0:1], v[2:3] offset0:4 offset1:5
	v_mov_b32_e32 v0, v234
	v_mov_b32_e32 v1, v235
	v_mov_b32_e32 v2, v174
	v_mov_b32_e32 v3, v175
	ds_write2_b64 v59, v[0:1], v[2:3] offset0:6 offset1:7
	v_mov_b32_e32 v0, v232
	v_mov_b32_e32 v1, v233
	v_mov_b32_e32 v2, v172
	v_mov_b32_e32 v3, v173
	ds_write2_b64 v59, v[0:1], v[2:3] offset0:8 offset1:9
	v_mov_b32_e32 v0, v230
	v_mov_b32_e32 v1, v231
	v_mov_b32_e32 v2, v170
	v_mov_b32_e32 v3, v171
	ds_write2_b64 v59, v[0:1], v[2:3] offset0:10 offset1:11
	v_mov_b32_e32 v0, v228
	v_mov_b32_e32 v1, v229
	v_mov_b32_e32 v2, v168
	v_mov_b32_e32 v3, v169
	ds_write2_b64 v59, v[0:1], v[2:3] offset0:12 offset1:13
	v_mov_b32_e32 v0, v226
	v_mov_b32_e32 v1, v227
	v_mov_b32_e32 v2, v166
	v_mov_b32_e32 v3, v167
	ds_write2_b64 v59, v[0:1], v[2:3] offset0:14 offset1:15
	v_mov_b32_e32 v0, v224
	v_mov_b32_e32 v1, v225
	v_mov_b32_e32 v2, v164
	v_mov_b32_e32 v3, v165
	ds_write2_b64 v59, v[0:1], v[2:3] offset0:16 offset1:17
	v_mov_b32_e32 v0, v222
	v_mov_b32_e32 v1, v223
	v_mov_b32_e32 v2, v162
	v_mov_b32_e32 v3, v163
	ds_write2_b64 v59, v[0:1], v[2:3] offset0:18 offset1:19
	v_mov_b32_e32 v0, v220
	v_mov_b32_e32 v1, v221
	v_mov_b32_e32 v2, v160
	v_mov_b32_e32 v3, v161
	ds_write2_b64 v59, v[0:1], v[2:3] offset0:20 offset1:21
	v_mov_b32_e32 v0, v218
	v_mov_b32_e32 v1, v219
	v_mov_b32_e32 v2, v158
	v_mov_b32_e32 v3, v159
	ds_write2_b64 v59, v[0:1], v[2:3] offset0:22 offset1:23
	v_mov_b32_e32 v0, v216
	v_mov_b32_e32 v1, v217
	v_mov_b32_e32 v2, v156
	v_mov_b32_e32 v3, v157
	ds_write2_b64 v59, v[0:1], v[2:3] offset0:24 offset1:25
	v_mov_b32_e32 v0, v214
	v_mov_b32_e32 v1, v215
	v_mov_b32_e32 v2, v154
	v_mov_b32_e32 v3, v155
	ds_write2_b64 v59, v[0:1], v[2:3] offset0:26 offset1:27
	v_mov_b32_e32 v0, v212
	v_mov_b32_e32 v1, v213
	v_mov_b32_e32 v2, v152
	v_mov_b32_e32 v3, v153
	ds_write2_b64 v59, v[0:1], v[2:3] offset0:28 offset1:29
	v_mov_b32_e32 v0, v210
	v_mov_b32_e32 v1, v211
	v_mov_b32_e32 v2, v150
	v_mov_b32_e32 v3, v151
	ds_write2_b64 v59, v[0:1], v[2:3] offset0:30 offset1:31
	v_mov_b32_e32 v0, v208
	v_mov_b32_e32 v1, v209
	v_mov_b32_e32 v2, v148
	v_mov_b32_e32 v3, v149
	ds_write2_b64 v59, v[0:1], v[2:3] offset0:32 offset1:33
	v_mov_b32_e32 v0, v206
	v_mov_b32_e32 v1, v207
	v_mov_b32_e32 v2, v146
	v_mov_b32_e32 v3, v147
	ds_write2_b64 v59, v[0:1], v[2:3] offset0:34 offset1:35
	v_mov_b32_e32 v0, v204
	v_mov_b32_e32 v1, v205
	v_mov_b32_e32 v2, v144
	v_mov_b32_e32 v3, v145
	ds_write2_b64 v59, v[0:1], v[2:3] offset0:36 offset1:37
	v_mov_b32_e32 v0, v202
	v_mov_b32_e32 v1, v203
	v_mov_b32_e32 v2, v142
	v_mov_b32_e32 v3, v143
	ds_write2_b64 v59, v[0:1], v[2:3] offset0:38 offset1:39
	v_mov_b32_e32 v0, v200
	v_mov_b32_e32 v1, v201
	s_waitcnt vmcnt(60)
	v_mov_b32_e32 v2, v140
	v_mov_b32_e32 v3, v141
	ds_write2_b64 v59, v[0:1], v[2:3] offset0:40 offset1:41
	s_waitcnt vmcnt(57)
	v_mov_b32_e32 v0, v198
	v_mov_b32_e32 v1, v199
	s_waitcnt vmcnt(54)
	v_mov_b32_e32 v2, v138
	v_mov_b32_e32 v3, v139
	ds_write2_b64 v59, v[0:1], v[2:3] offset0:42 offset1:43
	s_waitcnt vmcnt(51)
	;; [unrolled: 7-line block ×9, first 2 shown]
	v_mov_b32_e32 v0, v182
	v_mov_b32_e32 v1, v183
	s_waitcnt vmcnt(6)
	ds_write2_b64 v59, v[0:1], v[240:241] offset0:58 offset1:59
	ds_read_b64 v[0:1], v58
	s_waitcnt lgkmcnt(0)
	v_cmp_neq_f64_e32 vcc, 0, v[0:1]
	s_and_b64 exec, exec, vcc
	s_cbranch_execz .LBB119_19
; %bb.18:
	v_div_scale_f64 v[2:3], s[6:7], v[0:1], v[0:1], 1.0
	v_rcp_f64_e32 v[4:5], v[2:3]
	v_div_scale_f64 v[6:7], vcc, 1.0, v[0:1], 1.0
	v_fma_f64 v[8:9], -v[2:3], v[4:5], 1.0
	v_fmac_f64_e32 v[4:5], v[4:5], v[8:9]
	v_fma_f64 v[8:9], -v[2:3], v[4:5], 1.0
	v_fmac_f64_e32 v[4:5], v[4:5], v[8:9]
	v_mul_f64 v[8:9], v[6:7], v[4:5]
	v_fma_f64 v[2:3], -v[2:3], v[8:9], v[6:7]
	v_div_fmas_f64 v[2:3], v[2:3], v[4:5], v[8:9]
	v_div_fixup_f64 v[0:1], v[2:3], v[0:1], 1.0
	ds_write_b64 v58, v[0:1]
.LBB119_19:
	s_or_b64 exec, exec, s[2:3]
	s_waitcnt lgkmcnt(0)
	s_barrier
	ds_read_b64 v[0:1], v58
	v_cmp_lt_u32_e32 vcc, 3, v60
	s_waitcnt lgkmcnt(0)
	buffer_store_dword v0, off, s[16:19], 0 offset:232 ; 4-byte Folded Spill
	s_nop 0
	buffer_store_dword v1, off, s[16:19], 0 offset:236 ; 4-byte Folded Spill
	s_and_saveexec_b64 s[2:3], vcc
	s_cbranch_execz .LBB119_21
; %bb.20:
	buffer_load_dword v0, off, s[16:19], 0 offset:232 ; 4-byte Folded Reload
	buffer_load_dword v1, off, s[16:19], 0 offset:236 ; 4-byte Folded Reload
	s_waitcnt vmcnt(0)
	v_mul_f64 v[178:179], v[0:1], v[178:179]
	ds_read2_b64 v[0:3], v59 offset0:4 offset1:5
	s_waitcnt lgkmcnt(0)
	v_fma_f64 v[236:237], -v[178:179], v[0:1], v[236:237]
	v_fma_f64 v[176:177], -v[178:179], v[2:3], v[176:177]
	ds_read2_b64 v[0:3], v59 offset0:6 offset1:7
	s_waitcnt lgkmcnt(0)
	v_fma_f64 v[234:235], -v[178:179], v[0:1], v[234:235]
	v_fma_f64 v[174:175], -v[178:179], v[2:3], v[174:175]
	;; [unrolled: 4-line block ×28, first 2 shown]
.LBB119_21:
	s_or_b64 exec, exec, s[2:3]
	v_cmp_eq_u32_e32 vcc, 4, v60
	s_waitcnt vmcnt(63) expcnt(7) lgkmcnt(15)
	s_barrier
	s_and_saveexec_b64 s[2:3], vcc
	s_cbranch_execz .LBB119_24
; %bb.22:
	ds_write_b64 v58, v[236:237]
	ds_write2_b64 v59, v[176:177], v[234:235] offset0:5 offset1:6
	ds_write2_b64 v59, v[174:175], v[232:233] offset0:7 offset1:8
	;; [unrolled: 1-line block ×18, first 2 shown]
	s_waitcnt vmcnt(59)
	ds_write2_b64 v59, v[140:141], v[198:199] offset0:41 offset1:42
	s_waitcnt vmcnt(53)
	ds_write2_b64 v59, v[138:139], v[196:197] offset0:43 offset1:44
	;; [unrolled: 2-line block ×9, first 2 shown]
	s_waitcnt vmcnt(8)
	ds_write_b64 v59, v[240:241] offset:472
	ds_read_b64 v[0:1], v58
	s_waitcnt lgkmcnt(0)
	v_cmp_neq_f64_e32 vcc, 0, v[0:1]
	s_and_b64 exec, exec, vcc
	s_cbranch_execz .LBB119_24
; %bb.23:
	v_div_scale_f64 v[2:3], s[6:7], v[0:1], v[0:1], 1.0
	v_rcp_f64_e32 v[4:5], v[2:3]
	v_div_scale_f64 v[6:7], vcc, 1.0, v[0:1], 1.0
	v_fma_f64 v[8:9], -v[2:3], v[4:5], 1.0
	v_fmac_f64_e32 v[4:5], v[4:5], v[8:9]
	v_fma_f64 v[8:9], -v[2:3], v[4:5], 1.0
	v_fmac_f64_e32 v[4:5], v[4:5], v[8:9]
	v_mul_f64 v[8:9], v[6:7], v[4:5]
	v_fma_f64 v[2:3], -v[2:3], v[8:9], v[6:7]
	v_div_fmas_f64 v[2:3], v[2:3], v[4:5], v[8:9]
	v_div_fixup_f64 v[0:1], v[2:3], v[0:1], 1.0
	ds_write_b64 v58, v[0:1]
.LBB119_24:
	s_or_b64 exec, exec, s[2:3]
	s_waitcnt lgkmcnt(0)
	s_barrier
	ds_read_b64 v[0:1], v58
	v_cmp_lt_u32_e32 vcc, 4, v60
	s_waitcnt lgkmcnt(0)
	buffer_store_dword v0, off, s[16:19], 0 offset:240 ; 4-byte Folded Spill
	s_nop 0
	buffer_store_dword v1, off, s[16:19], 0 offset:244 ; 4-byte Folded Spill
	s_and_saveexec_b64 s[2:3], vcc
	s_cbranch_execz .LBB119_26
; %bb.25:
	buffer_load_dword v0, off, s[16:19], 0 offset:240 ; 4-byte Folded Reload
	buffer_load_dword v1, off, s[16:19], 0 offset:244 ; 4-byte Folded Reload
	s_waitcnt vmcnt(0)
	v_mul_f64 v[236:237], v[0:1], v[236:237]
	ds_read2_b64 v[0:3], v59 offset0:5 offset1:6
	s_waitcnt lgkmcnt(0)
	v_fma_f64 v[176:177], -v[236:237], v[0:1], v[176:177]
	v_fma_f64 v[234:235], -v[236:237], v[2:3], v[234:235]
	ds_read2_b64 v[0:3], v59 offset0:7 offset1:8
	s_waitcnt lgkmcnt(0)
	v_fma_f64 v[174:175], -v[236:237], v[0:1], v[174:175]
	v_fma_f64 v[232:233], -v[236:237], v[2:3], v[232:233]
	;; [unrolled: 4-line block ×26, first 2 shown]
	ds_read2_b64 v[0:3], v59 offset0:57 offset1:58
	s_waitcnt lgkmcnt(0)
	v_fma_f64 v[124:125], -v[236:237], v[0:1], v[124:125]
	ds_read_b64 v[0:1], v59 offset:472
	v_fma_f64 v[182:183], -v[236:237], v[2:3], v[182:183]
	s_waitcnt lgkmcnt(0)
	v_fma_f64 v[240:241], -v[236:237], v[0:1], v[240:241]
.LBB119_26:
	s_or_b64 exec, exec, s[2:3]
	v_cmp_eq_u32_e32 vcc, 5, v60
	s_waitcnt vmcnt(63) expcnt(7) lgkmcnt(15)
	s_barrier
	s_and_saveexec_b64 s[2:3], vcc
	s_cbranch_execz .LBB119_29
; %bb.27:
	v_mov_b32_e32 v0, v234
	v_mov_b32_e32 v1, v235
	;; [unrolled: 1-line block ×4, first 2 shown]
	ds_write_b64 v58, v[176:177]
	ds_write2_b64 v59, v[0:1], v[2:3] offset0:6 offset1:7
	v_mov_b32_e32 v0, v232
	v_mov_b32_e32 v1, v233
	v_mov_b32_e32 v2, v172
	v_mov_b32_e32 v3, v173
	ds_write2_b64 v59, v[0:1], v[2:3] offset0:8 offset1:9
	v_mov_b32_e32 v0, v230
	v_mov_b32_e32 v1, v231
	v_mov_b32_e32 v2, v170
	v_mov_b32_e32 v3, v171
	;; [unrolled: 5-line block ×17, first 2 shown]
	ds_write2_b64 v59, v[0:1], v[2:3] offset0:40 offset1:41
	s_waitcnt vmcnt(61)
	v_mov_b32_e32 v0, v198
	v_mov_b32_e32 v1, v199
	s_waitcnt vmcnt(58)
	v_mov_b32_e32 v2, v138
	v_mov_b32_e32 v3, v139
	ds_write2_b64 v59, v[0:1], v[2:3] offset0:42 offset1:43
	s_waitcnt vmcnt(55)
	v_mov_b32_e32 v0, v196
	v_mov_b32_e32 v1, v197
	s_waitcnt vmcnt(52)
	v_mov_b32_e32 v2, v136
	v_mov_b32_e32 v3, v137
	;; [unrolled: 7-line block ×8, first 2 shown]
	ds_write2_b64 v59, v[0:1], v[2:3] offset0:56 offset1:57
	s_waitcnt vmcnt(13)
	v_mov_b32_e32 v0, v182
	v_mov_b32_e32 v1, v183
	s_waitcnt vmcnt(10)
	ds_write2_b64 v59, v[0:1], v[240:241] offset0:58 offset1:59
	ds_read_b64 v[0:1], v58
	s_waitcnt lgkmcnt(0)
	v_cmp_neq_f64_e32 vcc, 0, v[0:1]
	s_and_b64 exec, exec, vcc
	s_cbranch_execz .LBB119_29
; %bb.28:
	v_div_scale_f64 v[2:3], s[6:7], v[0:1], v[0:1], 1.0
	v_rcp_f64_e32 v[4:5], v[2:3]
	v_div_scale_f64 v[6:7], vcc, 1.0, v[0:1], 1.0
	v_fma_f64 v[8:9], -v[2:3], v[4:5], 1.0
	v_fmac_f64_e32 v[4:5], v[4:5], v[8:9]
	v_fma_f64 v[8:9], -v[2:3], v[4:5], 1.0
	v_fmac_f64_e32 v[4:5], v[4:5], v[8:9]
	v_mul_f64 v[8:9], v[6:7], v[4:5]
	v_fma_f64 v[2:3], -v[2:3], v[8:9], v[6:7]
	v_div_fmas_f64 v[2:3], v[2:3], v[4:5], v[8:9]
	v_div_fixup_f64 v[0:1], v[2:3], v[0:1], 1.0
	ds_write_b64 v58, v[0:1]
.LBB119_29:
	s_or_b64 exec, exec, s[2:3]
	s_waitcnt lgkmcnt(0)
	s_barrier
	ds_read_b64 v[0:1], v58
	v_cmp_lt_u32_e32 vcc, 5, v60
	s_waitcnt lgkmcnt(0)
	buffer_store_dword v0, off, s[16:19], 0 offset:248 ; 4-byte Folded Spill
	s_nop 0
	buffer_store_dword v1, off, s[16:19], 0 offset:252 ; 4-byte Folded Spill
	s_and_saveexec_b64 s[2:3], vcc
	s_cbranch_execz .LBB119_31
; %bb.30:
	buffer_load_dword v0, off, s[16:19], 0 offset:248 ; 4-byte Folded Reload
	buffer_load_dword v1, off, s[16:19], 0 offset:252 ; 4-byte Folded Reload
	s_waitcnt vmcnt(0)
	v_mul_f64 v[176:177], v[0:1], v[176:177]
	ds_read2_b64 v[0:3], v59 offset0:6 offset1:7
	s_waitcnt lgkmcnt(0)
	v_fma_f64 v[234:235], -v[176:177], v[0:1], v[234:235]
	v_fma_f64 v[174:175], -v[176:177], v[2:3], v[174:175]
	ds_read2_b64 v[0:3], v59 offset0:8 offset1:9
	s_waitcnt lgkmcnt(0)
	v_fma_f64 v[232:233], -v[176:177], v[0:1], v[232:233]
	v_fma_f64 v[172:173], -v[176:177], v[2:3], v[172:173]
	;; [unrolled: 4-line block ×27, first 2 shown]
.LBB119_31:
	s_or_b64 exec, exec, s[2:3]
	v_cmp_eq_u32_e32 vcc, 6, v60
	s_waitcnt vmcnt(63) expcnt(7) lgkmcnt(15)
	s_barrier
	s_and_saveexec_b64 s[2:3], vcc
	s_cbranch_execz .LBB119_34
; %bb.32:
	ds_write_b64 v58, v[234:235]
	ds_write2_b64 v59, v[174:175], v[232:233] offset0:7 offset1:8
	ds_write2_b64 v59, v[172:173], v[230:231] offset0:9 offset1:10
	;; [unrolled: 1-line block ×18, first 2 shown]
	s_waitcnt vmcnt(57)
	ds_write2_b64 v59, v[138:139], v[196:197] offset0:43 offset1:44
	s_waitcnt vmcnt(51)
	ds_write2_b64 v59, v[136:137], v[194:195] offset0:45 offset1:46
	;; [unrolled: 2-line block ×8, first 2 shown]
	s_waitcnt vmcnt(12)
	ds_write_b64 v59, v[240:241] offset:472
	ds_read_b64 v[0:1], v58
	s_waitcnt lgkmcnt(0)
	v_cmp_neq_f64_e32 vcc, 0, v[0:1]
	s_and_b64 exec, exec, vcc
	s_cbranch_execz .LBB119_34
; %bb.33:
	v_div_scale_f64 v[2:3], s[6:7], v[0:1], v[0:1], 1.0
	v_rcp_f64_e32 v[4:5], v[2:3]
	v_div_scale_f64 v[6:7], vcc, 1.0, v[0:1], 1.0
	v_fma_f64 v[8:9], -v[2:3], v[4:5], 1.0
	v_fmac_f64_e32 v[4:5], v[4:5], v[8:9]
	v_fma_f64 v[8:9], -v[2:3], v[4:5], 1.0
	v_fmac_f64_e32 v[4:5], v[4:5], v[8:9]
	v_mul_f64 v[8:9], v[6:7], v[4:5]
	v_fma_f64 v[2:3], -v[2:3], v[8:9], v[6:7]
	v_div_fmas_f64 v[2:3], v[2:3], v[4:5], v[8:9]
	v_div_fixup_f64 v[0:1], v[2:3], v[0:1], 1.0
	ds_write_b64 v58, v[0:1]
.LBB119_34:
	s_or_b64 exec, exec, s[2:3]
	s_waitcnt lgkmcnt(0)
	s_barrier
	ds_read_b64 v[0:1], v58
	v_cmp_lt_u32_e32 vcc, 6, v60
	s_waitcnt lgkmcnt(0)
	buffer_store_dword v0, off, s[16:19], 0 offset:256 ; 4-byte Folded Spill
	s_nop 0
	buffer_store_dword v1, off, s[16:19], 0 offset:260 ; 4-byte Folded Spill
	s_and_saveexec_b64 s[2:3], vcc
	s_cbranch_execz .LBB119_36
; %bb.35:
	buffer_load_dword v0, off, s[16:19], 0 offset:256 ; 4-byte Folded Reload
	buffer_load_dword v1, off, s[16:19], 0 offset:260 ; 4-byte Folded Reload
	s_waitcnt vmcnt(0)
	v_mul_f64 v[234:235], v[0:1], v[234:235]
	ds_read2_b64 v[0:3], v59 offset0:7 offset1:8
	s_waitcnt lgkmcnt(0)
	v_fma_f64 v[174:175], -v[234:235], v[0:1], v[174:175]
	v_fma_f64 v[232:233], -v[234:235], v[2:3], v[232:233]
	ds_read2_b64 v[0:3], v59 offset0:9 offset1:10
	s_waitcnt lgkmcnt(0)
	v_fma_f64 v[172:173], -v[234:235], v[0:1], v[172:173]
	v_fma_f64 v[230:231], -v[234:235], v[2:3], v[230:231]
	;; [unrolled: 4-line block ×25, first 2 shown]
	ds_read2_b64 v[0:3], v59 offset0:57 offset1:58
	s_waitcnt lgkmcnt(0)
	v_fma_f64 v[124:125], -v[234:235], v[0:1], v[124:125]
	ds_read_b64 v[0:1], v59 offset:472
	v_fma_f64 v[182:183], -v[234:235], v[2:3], v[182:183]
	s_waitcnt lgkmcnt(0)
	v_fma_f64 v[240:241], -v[234:235], v[0:1], v[240:241]
.LBB119_36:
	s_or_b64 exec, exec, s[2:3]
	v_cmp_eq_u32_e32 vcc, 7, v60
	s_waitcnt vmcnt(63) expcnt(7) lgkmcnt(15)
	s_barrier
	s_and_saveexec_b64 s[2:3], vcc
	s_cbranch_execz .LBB119_39
; %bb.37:
	v_mov_b32_e32 v0, v232
	v_mov_b32_e32 v1, v233
	;; [unrolled: 1-line block ×4, first 2 shown]
	ds_write_b64 v58, v[174:175]
	ds_write2_b64 v59, v[0:1], v[2:3] offset0:8 offset1:9
	v_mov_b32_e32 v0, v230
	v_mov_b32_e32 v1, v231
	v_mov_b32_e32 v2, v170
	v_mov_b32_e32 v3, v171
	ds_write2_b64 v59, v[0:1], v[2:3] offset0:10 offset1:11
	v_mov_b32_e32 v0, v228
	v_mov_b32_e32 v1, v229
	v_mov_b32_e32 v2, v168
	v_mov_b32_e32 v3, v169
	;; [unrolled: 5-line block ×16, first 2 shown]
	ds_write2_b64 v59, v[0:1], v[2:3] offset0:40 offset1:41
	v_mov_b32_e32 v0, v198
	v_mov_b32_e32 v1, v199
	s_waitcnt vmcnt(62)
	v_mov_b32_e32 v2, v138
	v_mov_b32_e32 v3, v139
	ds_write2_b64 v59, v[0:1], v[2:3] offset0:42 offset1:43
	s_waitcnt vmcnt(59)
	v_mov_b32_e32 v0, v196
	v_mov_b32_e32 v1, v197
	s_waitcnt vmcnt(56)
	v_mov_b32_e32 v2, v136
	v_mov_b32_e32 v3, v137
	ds_write2_b64 v59, v[0:1], v[2:3] offset0:44 offset1:45
	s_waitcnt vmcnt(53)
	;; [unrolled: 7-line block ×8, first 2 shown]
	v_mov_b32_e32 v0, v182
	v_mov_b32_e32 v1, v183
	s_waitcnt vmcnt(14)
	ds_write2_b64 v59, v[0:1], v[240:241] offset0:58 offset1:59
	ds_read_b64 v[0:1], v58
	s_waitcnt lgkmcnt(0)
	v_cmp_neq_f64_e32 vcc, 0, v[0:1]
	s_and_b64 exec, exec, vcc
	s_cbranch_execz .LBB119_39
; %bb.38:
	v_div_scale_f64 v[2:3], s[6:7], v[0:1], v[0:1], 1.0
	v_rcp_f64_e32 v[4:5], v[2:3]
	v_div_scale_f64 v[6:7], vcc, 1.0, v[0:1], 1.0
	v_fma_f64 v[8:9], -v[2:3], v[4:5], 1.0
	v_fmac_f64_e32 v[4:5], v[4:5], v[8:9]
	v_fma_f64 v[8:9], -v[2:3], v[4:5], 1.0
	v_fmac_f64_e32 v[4:5], v[4:5], v[8:9]
	v_mul_f64 v[8:9], v[6:7], v[4:5]
	v_fma_f64 v[2:3], -v[2:3], v[8:9], v[6:7]
	v_div_fmas_f64 v[2:3], v[2:3], v[4:5], v[8:9]
	v_div_fixup_f64 v[0:1], v[2:3], v[0:1], 1.0
	ds_write_b64 v58, v[0:1]
.LBB119_39:
	s_or_b64 exec, exec, s[2:3]
	s_waitcnt lgkmcnt(0)
	s_barrier
	ds_read_b64 v[0:1], v58
	v_cmp_lt_u32_e32 vcc, 7, v60
	s_waitcnt lgkmcnt(0)
	buffer_store_dword v0, off, s[16:19], 0 offset:264 ; 4-byte Folded Spill
	s_nop 0
	buffer_store_dword v1, off, s[16:19], 0 offset:268 ; 4-byte Folded Spill
	s_and_saveexec_b64 s[2:3], vcc
	s_cbranch_execz .LBB119_41
; %bb.40:
	buffer_load_dword v0, off, s[16:19], 0 offset:264 ; 4-byte Folded Reload
	buffer_load_dword v1, off, s[16:19], 0 offset:268 ; 4-byte Folded Reload
	s_waitcnt vmcnt(0)
	v_mul_f64 v[174:175], v[0:1], v[174:175]
	ds_read2_b64 v[0:3], v59 offset0:8 offset1:9
	s_waitcnt lgkmcnt(0)
	v_fma_f64 v[232:233], -v[174:175], v[0:1], v[232:233]
	v_fma_f64 v[172:173], -v[174:175], v[2:3], v[172:173]
	ds_read2_b64 v[0:3], v59 offset0:10 offset1:11
	s_waitcnt lgkmcnt(0)
	v_fma_f64 v[230:231], -v[174:175], v[0:1], v[230:231]
	v_fma_f64 v[170:171], -v[174:175], v[2:3], v[170:171]
	;; [unrolled: 4-line block ×26, first 2 shown]
.LBB119_41:
	s_or_b64 exec, exec, s[2:3]
	v_cmp_eq_u32_e32 vcc, 8, v60
	s_waitcnt vmcnt(63) expcnt(7) lgkmcnt(15)
	s_barrier
	s_and_saveexec_b64 s[2:3], vcc
	s_cbranch_execz .LBB119_44
; %bb.42:
	ds_write_b64 v58, v[232:233]
	ds_write2_b64 v59, v[172:173], v[230:231] offset0:9 offset1:10
	ds_write2_b64 v59, v[170:171], v[228:229] offset0:11 offset1:12
	;; [unrolled: 1-line block ×17, first 2 shown]
	s_waitcnt vmcnt(61)
	ds_write2_b64 v59, v[138:139], v[196:197] offset0:43 offset1:44
	s_waitcnt vmcnt(55)
	ds_write2_b64 v59, v[136:137], v[194:195] offset0:45 offset1:46
	;; [unrolled: 2-line block ×8, first 2 shown]
	s_waitcnt vmcnt(16)
	ds_write_b64 v59, v[240:241] offset:472
	ds_read_b64 v[0:1], v58
	s_waitcnt lgkmcnt(0)
	v_cmp_neq_f64_e32 vcc, 0, v[0:1]
	s_and_b64 exec, exec, vcc
	s_cbranch_execz .LBB119_44
; %bb.43:
	v_div_scale_f64 v[2:3], s[6:7], v[0:1], v[0:1], 1.0
	v_rcp_f64_e32 v[4:5], v[2:3]
	v_div_scale_f64 v[6:7], vcc, 1.0, v[0:1], 1.0
	v_fma_f64 v[8:9], -v[2:3], v[4:5], 1.0
	v_fmac_f64_e32 v[4:5], v[4:5], v[8:9]
	v_fma_f64 v[8:9], -v[2:3], v[4:5], 1.0
	v_fmac_f64_e32 v[4:5], v[4:5], v[8:9]
	v_mul_f64 v[8:9], v[6:7], v[4:5]
	v_fma_f64 v[2:3], -v[2:3], v[8:9], v[6:7]
	v_div_fmas_f64 v[2:3], v[2:3], v[4:5], v[8:9]
	v_div_fixup_f64 v[0:1], v[2:3], v[0:1], 1.0
	ds_write_b64 v58, v[0:1]
.LBB119_44:
	s_or_b64 exec, exec, s[2:3]
	s_waitcnt lgkmcnt(0)
	s_barrier
	ds_read_b64 v[0:1], v58
	v_cmp_lt_u32_e32 vcc, 8, v60
	s_waitcnt lgkmcnt(0)
	buffer_store_dword v0, off, s[16:19], 0 offset:272 ; 4-byte Folded Spill
	s_nop 0
	buffer_store_dword v1, off, s[16:19], 0 offset:276 ; 4-byte Folded Spill
	s_and_saveexec_b64 s[2:3], vcc
	s_cbranch_execz .LBB119_46
; %bb.45:
	buffer_load_dword v0, off, s[16:19], 0 offset:272 ; 4-byte Folded Reload
	buffer_load_dword v1, off, s[16:19], 0 offset:276 ; 4-byte Folded Reload
	s_waitcnt vmcnt(0)
	v_mul_f64 v[232:233], v[0:1], v[232:233]
	ds_read2_b64 v[0:3], v59 offset0:9 offset1:10
	s_waitcnt lgkmcnt(0)
	v_fma_f64 v[172:173], -v[232:233], v[0:1], v[172:173]
	v_fma_f64 v[230:231], -v[232:233], v[2:3], v[230:231]
	ds_read2_b64 v[0:3], v59 offset0:11 offset1:12
	s_waitcnt lgkmcnt(0)
	v_fma_f64 v[170:171], -v[232:233], v[0:1], v[170:171]
	v_fma_f64 v[228:229], -v[232:233], v[2:3], v[228:229]
	;; [unrolled: 4-line block ×24, first 2 shown]
	ds_read2_b64 v[0:3], v59 offset0:57 offset1:58
	s_waitcnt lgkmcnt(0)
	v_fma_f64 v[124:125], -v[232:233], v[0:1], v[124:125]
	ds_read_b64 v[0:1], v59 offset:472
	v_fma_f64 v[182:183], -v[232:233], v[2:3], v[182:183]
	s_waitcnt lgkmcnt(0)
	v_fma_f64 v[240:241], -v[232:233], v[0:1], v[240:241]
.LBB119_46:
	s_or_b64 exec, exec, s[2:3]
	v_cmp_eq_u32_e32 vcc, 9, v60
	s_waitcnt vmcnt(63) expcnt(7) lgkmcnt(15)
	s_barrier
	s_and_saveexec_b64 s[2:3], vcc
	s_cbranch_execz .LBB119_49
; %bb.47:
	v_mov_b32_e32 v0, v230
	v_mov_b32_e32 v1, v231
	;; [unrolled: 1-line block ×4, first 2 shown]
	ds_write_b64 v58, v[172:173]
	ds_write2_b64 v59, v[0:1], v[2:3] offset0:10 offset1:11
	v_mov_b32_e32 v0, v228
	v_mov_b32_e32 v1, v229
	v_mov_b32_e32 v2, v168
	v_mov_b32_e32 v3, v169
	ds_write2_b64 v59, v[0:1], v[2:3] offset0:12 offset1:13
	v_mov_b32_e32 v0, v226
	v_mov_b32_e32 v1, v227
	v_mov_b32_e32 v2, v166
	v_mov_b32_e32 v3, v167
	;; [unrolled: 5-line block ×16, first 2 shown]
	ds_write2_b64 v59, v[0:1], v[2:3] offset0:42 offset1:43
	v_mov_b32_e32 v0, v196
	v_mov_b32_e32 v1, v197
	s_waitcnt vmcnt(60)
	v_mov_b32_e32 v2, v136
	v_mov_b32_e32 v3, v137
	ds_write2_b64 v59, v[0:1], v[2:3] offset0:44 offset1:45
	s_waitcnt vmcnt(57)
	v_mov_b32_e32 v0, v194
	v_mov_b32_e32 v1, v195
	s_waitcnt vmcnt(54)
	v_mov_b32_e32 v2, v134
	v_mov_b32_e32 v3, v135
	ds_write2_b64 v59, v[0:1], v[2:3] offset0:46 offset1:47
	s_waitcnt vmcnt(51)
	;; [unrolled: 7-line block ×7, first 2 shown]
	v_mov_b32_e32 v0, v182
	v_mov_b32_e32 v1, v183
	s_waitcnt vmcnt(18)
	ds_write2_b64 v59, v[0:1], v[240:241] offset0:58 offset1:59
	ds_read_b64 v[0:1], v58
	s_waitcnt lgkmcnt(0)
	v_cmp_neq_f64_e32 vcc, 0, v[0:1]
	s_and_b64 exec, exec, vcc
	s_cbranch_execz .LBB119_49
; %bb.48:
	v_div_scale_f64 v[2:3], s[6:7], v[0:1], v[0:1], 1.0
	v_rcp_f64_e32 v[4:5], v[2:3]
	v_div_scale_f64 v[6:7], vcc, 1.0, v[0:1], 1.0
	v_fma_f64 v[8:9], -v[2:3], v[4:5], 1.0
	v_fmac_f64_e32 v[4:5], v[4:5], v[8:9]
	v_fma_f64 v[8:9], -v[2:3], v[4:5], 1.0
	v_fmac_f64_e32 v[4:5], v[4:5], v[8:9]
	v_mul_f64 v[8:9], v[6:7], v[4:5]
	v_fma_f64 v[2:3], -v[2:3], v[8:9], v[6:7]
	v_div_fmas_f64 v[2:3], v[2:3], v[4:5], v[8:9]
	v_div_fixup_f64 v[0:1], v[2:3], v[0:1], 1.0
	ds_write_b64 v58, v[0:1]
.LBB119_49:
	s_or_b64 exec, exec, s[2:3]
	s_waitcnt lgkmcnt(0)
	s_barrier
	ds_read_b64 v[0:1], v58
	v_cmp_lt_u32_e32 vcc, 9, v60
	s_waitcnt lgkmcnt(0)
	buffer_store_dword v0, off, s[16:19], 0 offset:280 ; 4-byte Folded Spill
	s_nop 0
	buffer_store_dword v1, off, s[16:19], 0 offset:284 ; 4-byte Folded Spill
	s_and_saveexec_b64 s[2:3], vcc
	s_cbranch_execz .LBB119_51
; %bb.50:
	buffer_load_dword v0, off, s[16:19], 0 offset:280 ; 4-byte Folded Reload
	buffer_load_dword v1, off, s[16:19], 0 offset:284 ; 4-byte Folded Reload
	s_waitcnt vmcnt(0)
	v_mul_f64 v[172:173], v[0:1], v[172:173]
	ds_read2_b64 v[0:3], v59 offset0:10 offset1:11
	s_waitcnt lgkmcnt(0)
	v_fma_f64 v[230:231], -v[172:173], v[0:1], v[230:231]
	v_fma_f64 v[170:171], -v[172:173], v[2:3], v[170:171]
	ds_read2_b64 v[0:3], v59 offset0:12 offset1:13
	s_waitcnt lgkmcnt(0)
	v_fma_f64 v[228:229], -v[172:173], v[0:1], v[228:229]
	v_fma_f64 v[168:169], -v[172:173], v[2:3], v[168:169]
	;; [unrolled: 4-line block ×25, first 2 shown]
.LBB119_51:
	s_or_b64 exec, exec, s[2:3]
	v_cmp_eq_u32_e32 vcc, 10, v60
	s_waitcnt vmcnt(63) expcnt(7) lgkmcnt(15)
	s_barrier
	s_and_saveexec_b64 s[2:3], vcc
	s_cbranch_execz .LBB119_54
; %bb.52:
	ds_write_b64 v58, v[230:231]
	ds_write2_b64 v59, v[170:171], v[228:229] offset0:11 offset1:12
	ds_write2_b64 v59, v[168:169], v[226:227] offset0:13 offset1:14
	;; [unrolled: 1-line block ×17, first 2 shown]
	s_waitcnt vmcnt(59)
	ds_write2_b64 v59, v[136:137], v[194:195] offset0:45 offset1:46
	s_waitcnt vmcnt(53)
	ds_write2_b64 v59, v[134:135], v[192:193] offset0:47 offset1:48
	;; [unrolled: 2-line block ×7, first 2 shown]
	s_waitcnt vmcnt(20)
	ds_write_b64 v59, v[240:241] offset:472
	ds_read_b64 v[0:1], v58
	s_waitcnt lgkmcnt(0)
	v_cmp_neq_f64_e32 vcc, 0, v[0:1]
	s_and_b64 exec, exec, vcc
	s_cbranch_execz .LBB119_54
; %bb.53:
	v_div_scale_f64 v[2:3], s[6:7], v[0:1], v[0:1], 1.0
	v_rcp_f64_e32 v[4:5], v[2:3]
	v_div_scale_f64 v[6:7], vcc, 1.0, v[0:1], 1.0
	v_fma_f64 v[8:9], -v[2:3], v[4:5], 1.0
	v_fmac_f64_e32 v[4:5], v[4:5], v[8:9]
	v_fma_f64 v[8:9], -v[2:3], v[4:5], 1.0
	v_fmac_f64_e32 v[4:5], v[4:5], v[8:9]
	v_mul_f64 v[8:9], v[6:7], v[4:5]
	v_fma_f64 v[2:3], -v[2:3], v[8:9], v[6:7]
	v_div_fmas_f64 v[2:3], v[2:3], v[4:5], v[8:9]
	v_div_fixup_f64 v[0:1], v[2:3], v[0:1], 1.0
	ds_write_b64 v58, v[0:1]
.LBB119_54:
	s_or_b64 exec, exec, s[2:3]
	s_waitcnt lgkmcnt(0)
	s_barrier
	ds_read_b64 v[0:1], v58
	v_cmp_lt_u32_e32 vcc, 10, v60
	s_waitcnt lgkmcnt(0)
	buffer_store_dword v0, off, s[16:19], 0 offset:288 ; 4-byte Folded Spill
	s_nop 0
	buffer_store_dword v1, off, s[16:19], 0 offset:292 ; 4-byte Folded Spill
	s_and_saveexec_b64 s[2:3], vcc
	s_cbranch_execz .LBB119_56
; %bb.55:
	buffer_load_dword v0, off, s[16:19], 0 offset:288 ; 4-byte Folded Reload
	buffer_load_dword v1, off, s[16:19], 0 offset:292 ; 4-byte Folded Reload
	s_waitcnt vmcnt(0)
	v_mul_f64 v[230:231], v[0:1], v[230:231]
	ds_read2_b64 v[0:3], v59 offset0:11 offset1:12
	s_waitcnt lgkmcnt(0)
	v_fma_f64 v[170:171], -v[230:231], v[0:1], v[170:171]
	v_fma_f64 v[228:229], -v[230:231], v[2:3], v[228:229]
	ds_read2_b64 v[0:3], v59 offset0:13 offset1:14
	s_waitcnt lgkmcnt(0)
	v_fma_f64 v[168:169], -v[230:231], v[0:1], v[168:169]
	v_fma_f64 v[226:227], -v[230:231], v[2:3], v[226:227]
	ds_read2_b64 v[0:3], v59 offset0:15 offset1:16
	s_waitcnt lgkmcnt(0)
	v_fma_f64 v[166:167], -v[230:231], v[0:1], v[166:167]
	v_fma_f64 v[224:225], -v[230:231], v[2:3], v[224:225]
	ds_read2_b64 v[0:3], v59 offset0:17 offset1:18
	s_waitcnt lgkmcnt(0)
	v_fma_f64 v[164:165], -v[230:231], v[0:1], v[164:165]
	v_fma_f64 v[222:223], -v[230:231], v[2:3], v[222:223]
	ds_read2_b64 v[0:3], v59 offset0:19 offset1:20
	s_waitcnt lgkmcnt(0)
	v_fma_f64 v[162:163], -v[230:231], v[0:1], v[162:163]
	v_fma_f64 v[220:221], -v[230:231], v[2:3], v[220:221]
	ds_read2_b64 v[0:3], v59 offset0:21 offset1:22
	s_waitcnt lgkmcnt(0)
	v_fma_f64 v[160:161], -v[230:231], v[0:1], v[160:161]
	v_fma_f64 v[218:219], -v[230:231], v[2:3], v[218:219]
	ds_read2_b64 v[0:3], v59 offset0:23 offset1:24
	s_waitcnt lgkmcnt(0)
	v_fma_f64 v[158:159], -v[230:231], v[0:1], v[158:159]
	v_fma_f64 v[216:217], -v[230:231], v[2:3], v[216:217]
	ds_read2_b64 v[0:3], v59 offset0:25 offset1:26
	s_waitcnt lgkmcnt(0)
	v_fma_f64 v[156:157], -v[230:231], v[0:1], v[156:157]
	v_fma_f64 v[214:215], -v[230:231], v[2:3], v[214:215]
	ds_read2_b64 v[0:3], v59 offset0:27 offset1:28
	s_waitcnt lgkmcnt(0)
	v_fma_f64 v[154:155], -v[230:231], v[0:1], v[154:155]
	v_fma_f64 v[212:213], -v[230:231], v[2:3], v[212:213]
	ds_read2_b64 v[0:3], v59 offset0:29 offset1:30
	s_waitcnt lgkmcnt(0)
	v_fma_f64 v[152:153], -v[230:231], v[0:1], v[152:153]
	v_fma_f64 v[210:211], -v[230:231], v[2:3], v[210:211]
	ds_read2_b64 v[0:3], v59 offset0:31 offset1:32
	s_waitcnt lgkmcnt(0)
	v_fma_f64 v[150:151], -v[230:231], v[0:1], v[150:151]
	v_fma_f64 v[208:209], -v[230:231], v[2:3], v[208:209]
	ds_read2_b64 v[0:3], v59 offset0:33 offset1:34
	s_waitcnt lgkmcnt(0)
	v_fma_f64 v[148:149], -v[230:231], v[0:1], v[148:149]
	v_fma_f64 v[206:207], -v[230:231], v[2:3], v[206:207]
	ds_read2_b64 v[0:3], v59 offset0:35 offset1:36
	s_waitcnt lgkmcnt(0)
	v_fma_f64 v[146:147], -v[230:231], v[0:1], v[146:147]
	v_fma_f64 v[204:205], -v[230:231], v[2:3], v[204:205]
	ds_read2_b64 v[0:3], v59 offset0:37 offset1:38
	s_waitcnt lgkmcnt(0)
	v_fma_f64 v[144:145], -v[230:231], v[0:1], v[144:145]
	v_fma_f64 v[202:203], -v[230:231], v[2:3], v[202:203]
	ds_read2_b64 v[0:3], v59 offset0:39 offset1:40
	s_waitcnt lgkmcnt(0)
	v_fma_f64 v[142:143], -v[230:231], v[0:1], v[142:143]
	v_fma_f64 v[200:201], -v[230:231], v[2:3], v[200:201]
	ds_read2_b64 v[0:3], v59 offset0:41 offset1:42
	s_waitcnt lgkmcnt(0)
	v_fma_f64 v[140:141], -v[230:231], v[0:1], v[140:141]
	v_fma_f64 v[198:199], -v[230:231], v[2:3], v[198:199]
	ds_read2_b64 v[0:3], v59 offset0:43 offset1:44
	s_waitcnt lgkmcnt(0)
	v_fma_f64 v[138:139], -v[230:231], v[0:1], v[138:139]
	v_fma_f64 v[196:197], -v[230:231], v[2:3], v[196:197]
	ds_read2_b64 v[0:3], v59 offset0:45 offset1:46
	s_waitcnt lgkmcnt(0)
	v_fma_f64 v[136:137], -v[230:231], v[0:1], v[136:137]
	v_fma_f64 v[194:195], -v[230:231], v[2:3], v[194:195]
	ds_read2_b64 v[0:3], v59 offset0:47 offset1:48
	s_waitcnt lgkmcnt(0)
	v_fma_f64 v[134:135], -v[230:231], v[0:1], v[134:135]
	v_fma_f64 v[192:193], -v[230:231], v[2:3], v[192:193]
	ds_read2_b64 v[0:3], v59 offset0:49 offset1:50
	s_waitcnt lgkmcnt(0)
	v_fma_f64 v[132:133], -v[230:231], v[0:1], v[132:133]
	v_fma_f64 v[190:191], -v[230:231], v[2:3], v[190:191]
	ds_read2_b64 v[0:3], v59 offset0:51 offset1:52
	s_waitcnt lgkmcnt(0)
	v_fma_f64 v[130:131], -v[230:231], v[0:1], v[130:131]
	v_fma_f64 v[188:189], -v[230:231], v[2:3], v[188:189]
	ds_read2_b64 v[0:3], v59 offset0:53 offset1:54
	s_waitcnt lgkmcnt(0)
	v_fma_f64 v[128:129], -v[230:231], v[0:1], v[128:129]
	v_fma_f64 v[186:187], -v[230:231], v[2:3], v[186:187]
	ds_read2_b64 v[0:3], v59 offset0:55 offset1:56
	s_waitcnt lgkmcnt(0)
	v_fma_f64 v[126:127], -v[230:231], v[0:1], v[126:127]
	v_fma_f64 v[184:185], -v[230:231], v[2:3], v[184:185]
	ds_read2_b64 v[0:3], v59 offset0:57 offset1:58
	s_waitcnt lgkmcnt(0)
	v_fma_f64 v[124:125], -v[230:231], v[0:1], v[124:125]
	ds_read_b64 v[0:1], v59 offset:472
	v_fma_f64 v[182:183], -v[230:231], v[2:3], v[182:183]
	s_waitcnt lgkmcnt(0)
	v_fma_f64 v[240:241], -v[230:231], v[0:1], v[240:241]
.LBB119_56:
	s_or_b64 exec, exec, s[2:3]
	v_cmp_eq_u32_e32 vcc, 11, v60
	s_waitcnt vmcnt(63) expcnt(7) lgkmcnt(15)
	s_barrier
	s_and_saveexec_b64 s[2:3], vcc
	s_cbranch_execz .LBB119_59
; %bb.57:
	v_mov_b32_e32 v0, v228
	v_mov_b32_e32 v1, v229
	;; [unrolled: 1-line block ×4, first 2 shown]
	ds_write_b64 v58, v[170:171]
	ds_write2_b64 v59, v[0:1], v[2:3] offset0:12 offset1:13
	v_mov_b32_e32 v0, v226
	v_mov_b32_e32 v1, v227
	v_mov_b32_e32 v2, v166
	v_mov_b32_e32 v3, v167
	ds_write2_b64 v59, v[0:1], v[2:3] offset0:14 offset1:15
	v_mov_b32_e32 v0, v224
	v_mov_b32_e32 v1, v225
	v_mov_b32_e32 v2, v164
	v_mov_b32_e32 v3, v165
	;; [unrolled: 5-line block ×16, first 2 shown]
	ds_write2_b64 v59, v[0:1], v[2:3] offset0:44 offset1:45
	s_waitcnt vmcnt(61)
	v_mov_b32_e32 v0, v194
	v_mov_b32_e32 v1, v195
	s_waitcnt vmcnt(58)
	v_mov_b32_e32 v2, v134
	v_mov_b32_e32 v3, v135
	ds_write2_b64 v59, v[0:1], v[2:3] offset0:46 offset1:47
	s_waitcnt vmcnt(55)
	v_mov_b32_e32 v0, v192
	v_mov_b32_e32 v1, v193
	s_waitcnt vmcnt(52)
	v_mov_b32_e32 v2, v132
	v_mov_b32_e32 v3, v133
	;; [unrolled: 7-line block ×6, first 2 shown]
	ds_write2_b64 v59, v[0:1], v[2:3] offset0:56 offset1:57
	s_waitcnt vmcnt(25)
	v_mov_b32_e32 v0, v182
	v_mov_b32_e32 v1, v183
	s_waitcnt vmcnt(22)
	ds_write2_b64 v59, v[0:1], v[240:241] offset0:58 offset1:59
	ds_read_b64 v[0:1], v58
	s_waitcnt lgkmcnt(0)
	v_cmp_neq_f64_e32 vcc, 0, v[0:1]
	s_and_b64 exec, exec, vcc
	s_cbranch_execz .LBB119_59
; %bb.58:
	v_div_scale_f64 v[2:3], s[6:7], v[0:1], v[0:1], 1.0
	v_rcp_f64_e32 v[4:5], v[2:3]
	v_div_scale_f64 v[6:7], vcc, 1.0, v[0:1], 1.0
	v_fma_f64 v[8:9], -v[2:3], v[4:5], 1.0
	v_fmac_f64_e32 v[4:5], v[4:5], v[8:9]
	v_fma_f64 v[8:9], -v[2:3], v[4:5], 1.0
	v_fmac_f64_e32 v[4:5], v[4:5], v[8:9]
	v_mul_f64 v[8:9], v[6:7], v[4:5]
	v_fma_f64 v[2:3], -v[2:3], v[8:9], v[6:7]
	v_div_fmas_f64 v[2:3], v[2:3], v[4:5], v[8:9]
	v_div_fixup_f64 v[0:1], v[2:3], v[0:1], 1.0
	ds_write_b64 v58, v[0:1]
.LBB119_59:
	s_or_b64 exec, exec, s[2:3]
	s_waitcnt lgkmcnt(0)
	s_barrier
	ds_read_b64 v[0:1], v58
	v_cmp_lt_u32_e32 vcc, 11, v60
	s_waitcnt lgkmcnt(0)
	buffer_store_dword v0, off, s[16:19], 0 offset:296 ; 4-byte Folded Spill
	s_nop 0
	buffer_store_dword v1, off, s[16:19], 0 offset:300 ; 4-byte Folded Spill
	s_and_saveexec_b64 s[2:3], vcc
	s_cbranch_execz .LBB119_61
; %bb.60:
	buffer_load_dword v0, off, s[16:19], 0 offset:296 ; 4-byte Folded Reload
	buffer_load_dword v1, off, s[16:19], 0 offset:300 ; 4-byte Folded Reload
	s_waitcnt vmcnt(0)
	v_mul_f64 v[170:171], v[0:1], v[170:171]
	ds_read2_b64 v[0:3], v59 offset0:12 offset1:13
	s_waitcnt lgkmcnt(0)
	v_fma_f64 v[228:229], -v[170:171], v[0:1], v[228:229]
	v_fma_f64 v[168:169], -v[170:171], v[2:3], v[168:169]
	ds_read2_b64 v[0:3], v59 offset0:14 offset1:15
	s_waitcnt lgkmcnt(0)
	v_fma_f64 v[226:227], -v[170:171], v[0:1], v[226:227]
	v_fma_f64 v[166:167], -v[170:171], v[2:3], v[166:167]
	;; [unrolled: 4-line block ×24, first 2 shown]
.LBB119_61:
	s_or_b64 exec, exec, s[2:3]
	v_cmp_eq_u32_e32 vcc, 12, v60
	s_waitcnt vmcnt(63) expcnt(7) lgkmcnt(15)
	s_barrier
	s_and_saveexec_b64 s[2:3], vcc
	s_cbranch_execz .LBB119_64
; %bb.62:
	ds_write_b64 v58, v[228:229]
	ds_write2_b64 v59, v[168:169], v[226:227] offset0:13 offset1:14
	ds_write2_b64 v59, v[166:167], v[224:225] offset0:15 offset1:16
	;; [unrolled: 1-line block ×17, first 2 shown]
	s_waitcnt vmcnt(57)
	ds_write2_b64 v59, v[134:135], v[192:193] offset0:47 offset1:48
	s_waitcnt vmcnt(51)
	ds_write2_b64 v59, v[132:133], v[190:191] offset0:49 offset1:50
	;; [unrolled: 2-line block ×6, first 2 shown]
	s_waitcnt vmcnt(24)
	ds_write_b64 v59, v[240:241] offset:472
	ds_read_b64 v[0:1], v58
	s_waitcnt lgkmcnt(0)
	v_cmp_neq_f64_e32 vcc, 0, v[0:1]
	s_and_b64 exec, exec, vcc
	s_cbranch_execz .LBB119_64
; %bb.63:
	v_div_scale_f64 v[2:3], s[6:7], v[0:1], v[0:1], 1.0
	v_rcp_f64_e32 v[4:5], v[2:3]
	v_div_scale_f64 v[6:7], vcc, 1.0, v[0:1], 1.0
	v_fma_f64 v[8:9], -v[2:3], v[4:5], 1.0
	v_fmac_f64_e32 v[4:5], v[4:5], v[8:9]
	v_fma_f64 v[8:9], -v[2:3], v[4:5], 1.0
	v_fmac_f64_e32 v[4:5], v[4:5], v[8:9]
	v_mul_f64 v[8:9], v[6:7], v[4:5]
	v_fma_f64 v[2:3], -v[2:3], v[8:9], v[6:7]
	v_div_fmas_f64 v[2:3], v[2:3], v[4:5], v[8:9]
	v_div_fixup_f64 v[0:1], v[2:3], v[0:1], 1.0
	ds_write_b64 v58, v[0:1]
.LBB119_64:
	s_or_b64 exec, exec, s[2:3]
	s_waitcnt lgkmcnt(0)
	s_barrier
	ds_read_b64 v[0:1], v58
	v_cmp_lt_u32_e32 vcc, 12, v60
	s_waitcnt lgkmcnt(0)
	buffer_store_dword v0, off, s[16:19], 0 offset:304 ; 4-byte Folded Spill
	s_nop 0
	buffer_store_dword v1, off, s[16:19], 0 offset:308 ; 4-byte Folded Spill
	s_and_saveexec_b64 s[2:3], vcc
	s_cbranch_execz .LBB119_66
; %bb.65:
	buffer_load_dword v0, off, s[16:19], 0 offset:304 ; 4-byte Folded Reload
	buffer_load_dword v1, off, s[16:19], 0 offset:308 ; 4-byte Folded Reload
	s_waitcnt vmcnt(0)
	v_mul_f64 v[228:229], v[0:1], v[228:229]
	ds_read2_b64 v[0:3], v59 offset0:13 offset1:14
	s_waitcnt lgkmcnt(0)
	v_fma_f64 v[168:169], -v[228:229], v[0:1], v[168:169]
	v_fma_f64 v[226:227], -v[228:229], v[2:3], v[226:227]
	ds_read2_b64 v[0:3], v59 offset0:15 offset1:16
	s_waitcnt lgkmcnt(0)
	v_fma_f64 v[166:167], -v[228:229], v[0:1], v[166:167]
	v_fma_f64 v[224:225], -v[228:229], v[2:3], v[224:225]
	;; [unrolled: 4-line block ×22, first 2 shown]
	ds_read2_b64 v[0:3], v59 offset0:57 offset1:58
	s_waitcnt lgkmcnt(0)
	v_fma_f64 v[124:125], -v[228:229], v[0:1], v[124:125]
	ds_read_b64 v[0:1], v59 offset:472
	v_fma_f64 v[182:183], -v[228:229], v[2:3], v[182:183]
	s_waitcnt lgkmcnt(0)
	v_fma_f64 v[240:241], -v[228:229], v[0:1], v[240:241]
.LBB119_66:
	s_or_b64 exec, exec, s[2:3]
	v_cmp_eq_u32_e32 vcc, 13, v60
	s_waitcnt vmcnt(63) expcnt(7) lgkmcnt(15)
	s_barrier
	s_and_saveexec_b64 s[2:3], vcc
	s_cbranch_execz .LBB119_69
; %bb.67:
	v_mov_b32_e32 v0, v226
	v_mov_b32_e32 v1, v227
	;; [unrolled: 1-line block ×4, first 2 shown]
	ds_write_b64 v58, v[168:169]
	ds_write2_b64 v59, v[0:1], v[2:3] offset0:14 offset1:15
	v_mov_b32_e32 v0, v224
	v_mov_b32_e32 v1, v225
	v_mov_b32_e32 v2, v164
	v_mov_b32_e32 v3, v165
	ds_write2_b64 v59, v[0:1], v[2:3] offset0:16 offset1:17
	v_mov_b32_e32 v0, v222
	v_mov_b32_e32 v1, v223
	v_mov_b32_e32 v2, v162
	v_mov_b32_e32 v3, v163
	ds_write2_b64 v59, v[0:1], v[2:3] offset0:18 offset1:19
	v_mov_b32_e32 v0, v220
	v_mov_b32_e32 v1, v221
	v_mov_b32_e32 v2, v160
	v_mov_b32_e32 v3, v161
	ds_write2_b64 v59, v[0:1], v[2:3] offset0:20 offset1:21
	v_mov_b32_e32 v0, v218
	v_mov_b32_e32 v1, v219
	v_mov_b32_e32 v2, v158
	v_mov_b32_e32 v3, v159
	ds_write2_b64 v59, v[0:1], v[2:3] offset0:22 offset1:23
	v_mov_b32_e32 v0, v216
	v_mov_b32_e32 v1, v217
	v_mov_b32_e32 v2, v156
	v_mov_b32_e32 v3, v157
	ds_write2_b64 v59, v[0:1], v[2:3] offset0:24 offset1:25
	v_mov_b32_e32 v0, v214
	v_mov_b32_e32 v1, v215
	v_mov_b32_e32 v2, v154
	v_mov_b32_e32 v3, v155
	ds_write2_b64 v59, v[0:1], v[2:3] offset0:26 offset1:27
	v_mov_b32_e32 v0, v212
	v_mov_b32_e32 v1, v213
	v_mov_b32_e32 v2, v152
	v_mov_b32_e32 v3, v153
	ds_write2_b64 v59, v[0:1], v[2:3] offset0:28 offset1:29
	v_mov_b32_e32 v0, v210
	v_mov_b32_e32 v1, v211
	v_mov_b32_e32 v2, v150
	v_mov_b32_e32 v3, v151
	ds_write2_b64 v59, v[0:1], v[2:3] offset0:30 offset1:31
	v_mov_b32_e32 v0, v208
	v_mov_b32_e32 v1, v209
	v_mov_b32_e32 v2, v148
	v_mov_b32_e32 v3, v149
	ds_write2_b64 v59, v[0:1], v[2:3] offset0:32 offset1:33
	v_mov_b32_e32 v0, v206
	v_mov_b32_e32 v1, v207
	v_mov_b32_e32 v2, v146
	v_mov_b32_e32 v3, v147
	ds_write2_b64 v59, v[0:1], v[2:3] offset0:34 offset1:35
	v_mov_b32_e32 v0, v204
	v_mov_b32_e32 v1, v205
	v_mov_b32_e32 v2, v144
	v_mov_b32_e32 v3, v145
	ds_write2_b64 v59, v[0:1], v[2:3] offset0:36 offset1:37
	v_mov_b32_e32 v0, v202
	v_mov_b32_e32 v1, v203
	v_mov_b32_e32 v2, v142
	v_mov_b32_e32 v3, v143
	ds_write2_b64 v59, v[0:1], v[2:3] offset0:38 offset1:39
	v_mov_b32_e32 v0, v200
	v_mov_b32_e32 v1, v201
	v_mov_b32_e32 v2, v140
	v_mov_b32_e32 v3, v141
	ds_write2_b64 v59, v[0:1], v[2:3] offset0:40 offset1:41
	v_mov_b32_e32 v0, v198
	v_mov_b32_e32 v1, v199
	v_mov_b32_e32 v2, v138
	v_mov_b32_e32 v3, v139
	ds_write2_b64 v59, v[0:1], v[2:3] offset0:42 offset1:43
	v_mov_b32_e32 v0, v196
	v_mov_b32_e32 v1, v197
	v_mov_b32_e32 v2, v136
	v_mov_b32_e32 v3, v137
	ds_write2_b64 v59, v[0:1], v[2:3] offset0:44 offset1:45
	v_mov_b32_e32 v0, v194
	v_mov_b32_e32 v1, v195
	s_waitcnt vmcnt(62)
	v_mov_b32_e32 v2, v134
	v_mov_b32_e32 v3, v135
	ds_write2_b64 v59, v[0:1], v[2:3] offset0:46 offset1:47
	s_waitcnt vmcnt(59)
	v_mov_b32_e32 v0, v192
	v_mov_b32_e32 v1, v193
	s_waitcnt vmcnt(56)
	v_mov_b32_e32 v2, v132
	v_mov_b32_e32 v3, v133
	ds_write2_b64 v59, v[0:1], v[2:3] offset0:48 offset1:49
	s_waitcnt vmcnt(53)
	;; [unrolled: 7-line block ×6, first 2 shown]
	v_mov_b32_e32 v0, v182
	v_mov_b32_e32 v1, v183
	s_waitcnt vmcnt(26)
	ds_write2_b64 v59, v[0:1], v[240:241] offset0:58 offset1:59
	ds_read_b64 v[0:1], v58
	s_waitcnt lgkmcnt(0)
	v_cmp_neq_f64_e32 vcc, 0, v[0:1]
	s_and_b64 exec, exec, vcc
	s_cbranch_execz .LBB119_69
; %bb.68:
	v_div_scale_f64 v[2:3], s[6:7], v[0:1], v[0:1], 1.0
	v_rcp_f64_e32 v[4:5], v[2:3]
	v_div_scale_f64 v[6:7], vcc, 1.0, v[0:1], 1.0
	v_fma_f64 v[8:9], -v[2:3], v[4:5], 1.0
	v_fmac_f64_e32 v[4:5], v[4:5], v[8:9]
	v_fma_f64 v[8:9], -v[2:3], v[4:5], 1.0
	v_fmac_f64_e32 v[4:5], v[4:5], v[8:9]
	v_mul_f64 v[8:9], v[6:7], v[4:5]
	v_fma_f64 v[2:3], -v[2:3], v[8:9], v[6:7]
	v_div_fmas_f64 v[2:3], v[2:3], v[4:5], v[8:9]
	v_div_fixup_f64 v[0:1], v[2:3], v[0:1], 1.0
	ds_write_b64 v58, v[0:1]
.LBB119_69:
	s_or_b64 exec, exec, s[2:3]
	s_waitcnt lgkmcnt(0)
	s_barrier
	ds_read_b64 v[0:1], v58
	v_cmp_lt_u32_e32 vcc, 13, v60
	s_waitcnt lgkmcnt(0)
	buffer_store_dword v0, off, s[16:19], 0 offset:312 ; 4-byte Folded Spill
	s_nop 0
	buffer_store_dword v1, off, s[16:19], 0 offset:316 ; 4-byte Folded Spill
	s_and_saveexec_b64 s[2:3], vcc
	s_cbranch_execz .LBB119_71
; %bb.70:
	buffer_load_dword v0, off, s[16:19], 0 offset:312 ; 4-byte Folded Reload
	buffer_load_dword v1, off, s[16:19], 0 offset:316 ; 4-byte Folded Reload
	s_waitcnt vmcnt(0)
	v_mul_f64 v[168:169], v[0:1], v[168:169]
	ds_read2_b64 v[0:3], v59 offset0:14 offset1:15
	s_waitcnt lgkmcnt(0)
	v_fma_f64 v[226:227], -v[168:169], v[0:1], v[226:227]
	v_fma_f64 v[166:167], -v[168:169], v[2:3], v[166:167]
	ds_read2_b64 v[0:3], v59 offset0:16 offset1:17
	s_waitcnt lgkmcnt(0)
	v_fma_f64 v[224:225], -v[168:169], v[0:1], v[224:225]
	v_fma_f64 v[164:165], -v[168:169], v[2:3], v[164:165]
	;; [unrolled: 4-line block ×23, first 2 shown]
.LBB119_71:
	s_or_b64 exec, exec, s[2:3]
	v_cmp_eq_u32_e32 vcc, 14, v60
	s_waitcnt vmcnt(63) expcnt(7) lgkmcnt(15)
	s_barrier
	s_and_saveexec_b64 s[2:3], vcc
	s_cbranch_execz .LBB119_74
; %bb.72:
	ds_write_b64 v58, v[226:227]
	ds_write2_b64 v59, v[166:167], v[224:225] offset0:15 offset1:16
	ds_write2_b64 v59, v[164:165], v[222:223] offset0:17 offset1:18
	;; [unrolled: 1-line block ×16, first 2 shown]
	s_waitcnt vmcnt(61)
	ds_write2_b64 v59, v[134:135], v[192:193] offset0:47 offset1:48
	s_waitcnt vmcnt(55)
	ds_write2_b64 v59, v[132:133], v[190:191] offset0:49 offset1:50
	;; [unrolled: 2-line block ×6, first 2 shown]
	s_waitcnt vmcnt(28)
	ds_write_b64 v59, v[240:241] offset:472
	ds_read_b64 v[0:1], v58
	s_waitcnt lgkmcnt(0)
	v_cmp_neq_f64_e32 vcc, 0, v[0:1]
	s_and_b64 exec, exec, vcc
	s_cbranch_execz .LBB119_74
; %bb.73:
	v_div_scale_f64 v[2:3], s[6:7], v[0:1], v[0:1], 1.0
	v_rcp_f64_e32 v[4:5], v[2:3]
	v_div_scale_f64 v[6:7], vcc, 1.0, v[0:1], 1.0
	v_fma_f64 v[8:9], -v[2:3], v[4:5], 1.0
	v_fmac_f64_e32 v[4:5], v[4:5], v[8:9]
	v_fma_f64 v[8:9], -v[2:3], v[4:5], 1.0
	v_fmac_f64_e32 v[4:5], v[4:5], v[8:9]
	v_mul_f64 v[8:9], v[6:7], v[4:5]
	v_fma_f64 v[2:3], -v[2:3], v[8:9], v[6:7]
	v_div_fmas_f64 v[2:3], v[2:3], v[4:5], v[8:9]
	v_div_fixup_f64 v[0:1], v[2:3], v[0:1], 1.0
	ds_write_b64 v58, v[0:1]
.LBB119_74:
	s_or_b64 exec, exec, s[2:3]
	s_waitcnt lgkmcnt(0)
	s_barrier
	ds_read_b64 v[0:1], v58
	v_cmp_lt_u32_e32 vcc, 14, v60
	s_waitcnt lgkmcnt(0)
	buffer_store_dword v0, off, s[16:19], 0 offset:320 ; 4-byte Folded Spill
	s_nop 0
	buffer_store_dword v1, off, s[16:19], 0 offset:324 ; 4-byte Folded Spill
	s_and_saveexec_b64 s[2:3], vcc
	s_cbranch_execz .LBB119_76
; %bb.75:
	buffer_load_dword v0, off, s[16:19], 0 offset:320 ; 4-byte Folded Reload
	buffer_load_dword v1, off, s[16:19], 0 offset:324 ; 4-byte Folded Reload
	s_waitcnt vmcnt(0)
	v_mul_f64 v[226:227], v[0:1], v[226:227]
	ds_read2_b64 v[0:3], v59 offset0:15 offset1:16
	s_waitcnt lgkmcnt(0)
	v_fma_f64 v[166:167], -v[226:227], v[0:1], v[166:167]
	v_fma_f64 v[224:225], -v[226:227], v[2:3], v[224:225]
	ds_read2_b64 v[0:3], v59 offset0:17 offset1:18
	s_waitcnt lgkmcnt(0)
	v_fma_f64 v[164:165], -v[226:227], v[0:1], v[164:165]
	v_fma_f64 v[222:223], -v[226:227], v[2:3], v[222:223]
	;; [unrolled: 4-line block ×21, first 2 shown]
	ds_read2_b64 v[0:3], v59 offset0:57 offset1:58
	s_waitcnt lgkmcnt(0)
	v_fma_f64 v[124:125], -v[226:227], v[0:1], v[124:125]
	ds_read_b64 v[0:1], v59 offset:472
	v_fma_f64 v[182:183], -v[226:227], v[2:3], v[182:183]
	s_waitcnt lgkmcnt(0)
	v_fma_f64 v[240:241], -v[226:227], v[0:1], v[240:241]
.LBB119_76:
	s_or_b64 exec, exec, s[2:3]
	v_cmp_eq_u32_e32 vcc, 15, v60
	s_waitcnt vmcnt(63) expcnt(7) lgkmcnt(15)
	s_barrier
	s_and_saveexec_b64 s[2:3], vcc
	s_cbranch_execz .LBB119_79
; %bb.77:
	v_mov_b32_e32 v0, v224
	v_mov_b32_e32 v1, v225
	;; [unrolled: 1-line block ×4, first 2 shown]
	ds_write_b64 v58, v[166:167]
	ds_write2_b64 v59, v[0:1], v[2:3] offset0:16 offset1:17
	v_mov_b32_e32 v0, v222
	v_mov_b32_e32 v1, v223
	v_mov_b32_e32 v2, v162
	v_mov_b32_e32 v3, v163
	ds_write2_b64 v59, v[0:1], v[2:3] offset0:18 offset1:19
	v_mov_b32_e32 v0, v220
	v_mov_b32_e32 v1, v221
	v_mov_b32_e32 v2, v160
	v_mov_b32_e32 v3, v161
	;; [unrolled: 5-line block ×15, first 2 shown]
	ds_write2_b64 v59, v[0:1], v[2:3] offset0:46 offset1:47
	v_mov_b32_e32 v0, v192
	v_mov_b32_e32 v1, v193
	s_waitcnt vmcnt(60)
	v_mov_b32_e32 v2, v132
	v_mov_b32_e32 v3, v133
	ds_write2_b64 v59, v[0:1], v[2:3] offset0:48 offset1:49
	s_waitcnt vmcnt(57)
	v_mov_b32_e32 v0, v190
	v_mov_b32_e32 v1, v191
	s_waitcnt vmcnt(54)
	v_mov_b32_e32 v2, v130
	v_mov_b32_e32 v3, v131
	ds_write2_b64 v59, v[0:1], v[2:3] offset0:50 offset1:51
	s_waitcnt vmcnt(51)
	;; [unrolled: 7-line block ×5, first 2 shown]
	v_mov_b32_e32 v0, v182
	v_mov_b32_e32 v1, v183
	s_waitcnt vmcnt(30)
	ds_write2_b64 v59, v[0:1], v[240:241] offset0:58 offset1:59
	ds_read_b64 v[0:1], v58
	s_waitcnt lgkmcnt(0)
	v_cmp_neq_f64_e32 vcc, 0, v[0:1]
	s_and_b64 exec, exec, vcc
	s_cbranch_execz .LBB119_79
; %bb.78:
	v_div_scale_f64 v[2:3], s[6:7], v[0:1], v[0:1], 1.0
	v_rcp_f64_e32 v[4:5], v[2:3]
	v_div_scale_f64 v[6:7], vcc, 1.0, v[0:1], 1.0
	v_fma_f64 v[8:9], -v[2:3], v[4:5], 1.0
	v_fmac_f64_e32 v[4:5], v[4:5], v[8:9]
	v_fma_f64 v[8:9], -v[2:3], v[4:5], 1.0
	v_fmac_f64_e32 v[4:5], v[4:5], v[8:9]
	v_mul_f64 v[8:9], v[6:7], v[4:5]
	v_fma_f64 v[2:3], -v[2:3], v[8:9], v[6:7]
	v_div_fmas_f64 v[2:3], v[2:3], v[4:5], v[8:9]
	v_div_fixup_f64 v[0:1], v[2:3], v[0:1], 1.0
	ds_write_b64 v58, v[0:1]
.LBB119_79:
	s_or_b64 exec, exec, s[2:3]
	s_waitcnt lgkmcnt(0)
	s_barrier
	ds_read_b64 v[0:1], v58
	v_cmp_lt_u32_e32 vcc, 15, v60
	s_waitcnt lgkmcnt(0)
	buffer_store_dword v0, off, s[16:19], 0 offset:328 ; 4-byte Folded Spill
	s_nop 0
	buffer_store_dword v1, off, s[16:19], 0 offset:332 ; 4-byte Folded Spill
	s_and_saveexec_b64 s[2:3], vcc
	s_cbranch_execz .LBB119_81
; %bb.80:
	buffer_load_dword v0, off, s[16:19], 0 offset:328 ; 4-byte Folded Reload
	buffer_load_dword v1, off, s[16:19], 0 offset:332 ; 4-byte Folded Reload
	s_waitcnt vmcnt(0)
	v_mul_f64 v[166:167], v[0:1], v[166:167]
	ds_read2_b64 v[0:3], v59 offset0:16 offset1:17
	s_waitcnt lgkmcnt(0)
	v_fma_f64 v[224:225], -v[166:167], v[0:1], v[224:225]
	v_fma_f64 v[164:165], -v[166:167], v[2:3], v[164:165]
	ds_read2_b64 v[0:3], v59 offset0:18 offset1:19
	s_waitcnt lgkmcnt(0)
	v_fma_f64 v[222:223], -v[166:167], v[0:1], v[222:223]
	v_fma_f64 v[162:163], -v[166:167], v[2:3], v[162:163]
	;; [unrolled: 4-line block ×22, first 2 shown]
.LBB119_81:
	s_or_b64 exec, exec, s[2:3]
	v_cmp_eq_u32_e32 vcc, 16, v60
	s_waitcnt vmcnt(63) expcnt(7) lgkmcnt(15)
	s_barrier
	s_and_saveexec_b64 s[2:3], vcc
	s_cbranch_execz .LBB119_84
; %bb.82:
	ds_write_b64 v58, v[224:225]
	ds_write2_b64 v59, v[164:165], v[222:223] offset0:17 offset1:18
	ds_write2_b64 v59, v[162:163], v[220:221] offset0:19 offset1:20
	;; [unrolled: 1-line block ×16, first 2 shown]
	s_waitcnt vmcnt(59)
	ds_write2_b64 v59, v[132:133], v[190:191] offset0:49 offset1:50
	s_waitcnt vmcnt(53)
	ds_write2_b64 v59, v[130:131], v[188:189] offset0:51 offset1:52
	;; [unrolled: 2-line block ×5, first 2 shown]
	s_waitcnt vmcnt(32)
	ds_write_b64 v59, v[240:241] offset:472
	ds_read_b64 v[0:1], v58
	s_waitcnt lgkmcnt(0)
	v_cmp_neq_f64_e32 vcc, 0, v[0:1]
	s_and_b64 exec, exec, vcc
	s_cbranch_execz .LBB119_84
; %bb.83:
	v_div_scale_f64 v[2:3], s[6:7], v[0:1], v[0:1], 1.0
	v_rcp_f64_e32 v[4:5], v[2:3]
	v_div_scale_f64 v[6:7], vcc, 1.0, v[0:1], 1.0
	v_fma_f64 v[8:9], -v[2:3], v[4:5], 1.0
	v_fmac_f64_e32 v[4:5], v[4:5], v[8:9]
	v_fma_f64 v[8:9], -v[2:3], v[4:5], 1.0
	v_fmac_f64_e32 v[4:5], v[4:5], v[8:9]
	v_mul_f64 v[8:9], v[6:7], v[4:5]
	v_fma_f64 v[2:3], -v[2:3], v[8:9], v[6:7]
	v_div_fmas_f64 v[2:3], v[2:3], v[4:5], v[8:9]
	v_div_fixup_f64 v[0:1], v[2:3], v[0:1], 1.0
	ds_write_b64 v58, v[0:1]
.LBB119_84:
	s_or_b64 exec, exec, s[2:3]
	s_waitcnt lgkmcnt(0)
	s_barrier
	ds_read_b64 v[0:1], v58
	v_cmp_lt_u32_e32 vcc, 16, v60
	s_waitcnt lgkmcnt(0)
	buffer_store_dword v0, off, s[16:19], 0 offset:336 ; 4-byte Folded Spill
	s_nop 0
	buffer_store_dword v1, off, s[16:19], 0 offset:340 ; 4-byte Folded Spill
	s_and_saveexec_b64 s[2:3], vcc
	s_cbranch_execz .LBB119_86
; %bb.85:
	buffer_load_dword v0, off, s[16:19], 0 offset:336 ; 4-byte Folded Reload
	buffer_load_dword v1, off, s[16:19], 0 offset:340 ; 4-byte Folded Reload
	s_waitcnt vmcnt(0)
	v_mul_f64 v[224:225], v[0:1], v[224:225]
	ds_read2_b64 v[0:3], v59 offset0:17 offset1:18
	s_waitcnt lgkmcnt(0)
	v_fma_f64 v[164:165], -v[224:225], v[0:1], v[164:165]
	v_fma_f64 v[222:223], -v[224:225], v[2:3], v[222:223]
	ds_read2_b64 v[0:3], v59 offset0:19 offset1:20
	s_waitcnt lgkmcnt(0)
	v_fma_f64 v[162:163], -v[224:225], v[0:1], v[162:163]
	v_fma_f64 v[220:221], -v[224:225], v[2:3], v[220:221]
	;; [unrolled: 4-line block ×20, first 2 shown]
	ds_read2_b64 v[0:3], v59 offset0:57 offset1:58
	s_waitcnt lgkmcnt(0)
	v_fma_f64 v[124:125], -v[224:225], v[0:1], v[124:125]
	ds_read_b64 v[0:1], v59 offset:472
	v_fma_f64 v[182:183], -v[224:225], v[2:3], v[182:183]
	s_waitcnt lgkmcnt(0)
	v_fma_f64 v[240:241], -v[224:225], v[0:1], v[240:241]
.LBB119_86:
	s_or_b64 exec, exec, s[2:3]
	v_cmp_eq_u32_e32 vcc, 17, v60
	s_waitcnt vmcnt(63) expcnt(7) lgkmcnt(15)
	s_barrier
	s_and_saveexec_b64 s[2:3], vcc
	s_cbranch_execz .LBB119_89
; %bb.87:
	v_mov_b32_e32 v0, v222
	v_mov_b32_e32 v1, v223
	;; [unrolled: 1-line block ×4, first 2 shown]
	ds_write_b64 v58, v[164:165]
	ds_write2_b64 v59, v[0:1], v[2:3] offset0:18 offset1:19
	v_mov_b32_e32 v0, v220
	v_mov_b32_e32 v1, v221
	v_mov_b32_e32 v2, v160
	v_mov_b32_e32 v3, v161
	ds_write2_b64 v59, v[0:1], v[2:3] offset0:20 offset1:21
	v_mov_b32_e32 v0, v218
	v_mov_b32_e32 v1, v219
	v_mov_b32_e32 v2, v158
	v_mov_b32_e32 v3, v159
	;; [unrolled: 5-line block ×15, first 2 shown]
	ds_write2_b64 v59, v[0:1], v[2:3] offset0:48 offset1:49
	s_waitcnt vmcnt(61)
	v_mov_b32_e32 v0, v190
	v_mov_b32_e32 v1, v191
	s_waitcnt vmcnt(58)
	v_mov_b32_e32 v2, v130
	v_mov_b32_e32 v3, v131
	ds_write2_b64 v59, v[0:1], v[2:3] offset0:50 offset1:51
	s_waitcnt vmcnt(55)
	v_mov_b32_e32 v0, v188
	v_mov_b32_e32 v1, v189
	s_waitcnt vmcnt(52)
	v_mov_b32_e32 v2, v128
	v_mov_b32_e32 v3, v129
	;; [unrolled: 7-line block ×4, first 2 shown]
	ds_write2_b64 v59, v[0:1], v[2:3] offset0:56 offset1:57
	s_waitcnt vmcnt(37)
	v_mov_b32_e32 v0, v182
	v_mov_b32_e32 v1, v183
	s_waitcnt vmcnt(34)
	ds_write2_b64 v59, v[0:1], v[240:241] offset0:58 offset1:59
	ds_read_b64 v[0:1], v58
	s_waitcnt lgkmcnt(0)
	v_cmp_neq_f64_e32 vcc, 0, v[0:1]
	s_and_b64 exec, exec, vcc
	s_cbranch_execz .LBB119_89
; %bb.88:
	v_div_scale_f64 v[2:3], s[6:7], v[0:1], v[0:1], 1.0
	v_rcp_f64_e32 v[4:5], v[2:3]
	v_div_scale_f64 v[6:7], vcc, 1.0, v[0:1], 1.0
	v_fma_f64 v[8:9], -v[2:3], v[4:5], 1.0
	v_fmac_f64_e32 v[4:5], v[4:5], v[8:9]
	v_fma_f64 v[8:9], -v[2:3], v[4:5], 1.0
	v_fmac_f64_e32 v[4:5], v[4:5], v[8:9]
	v_mul_f64 v[8:9], v[6:7], v[4:5]
	v_fma_f64 v[2:3], -v[2:3], v[8:9], v[6:7]
	v_div_fmas_f64 v[2:3], v[2:3], v[4:5], v[8:9]
	v_div_fixup_f64 v[0:1], v[2:3], v[0:1], 1.0
	ds_write_b64 v58, v[0:1]
.LBB119_89:
	s_or_b64 exec, exec, s[2:3]
	s_waitcnt lgkmcnt(0)
	s_barrier
	ds_read_b64 v[0:1], v58
	v_cmp_lt_u32_e32 vcc, 17, v60
	s_waitcnt lgkmcnt(0)
	buffer_store_dword v0, off, s[16:19], 0 offset:344 ; 4-byte Folded Spill
	s_nop 0
	buffer_store_dword v1, off, s[16:19], 0 offset:348 ; 4-byte Folded Spill
	s_and_saveexec_b64 s[2:3], vcc
	s_cbranch_execz .LBB119_91
; %bb.90:
	buffer_load_dword v0, off, s[16:19], 0 offset:344 ; 4-byte Folded Reload
	buffer_load_dword v1, off, s[16:19], 0 offset:348 ; 4-byte Folded Reload
	s_waitcnt vmcnt(0)
	v_mul_f64 v[164:165], v[0:1], v[164:165]
	ds_read2_b64 v[0:3], v59 offset0:18 offset1:19
	s_waitcnt lgkmcnt(0)
	v_fma_f64 v[222:223], -v[164:165], v[0:1], v[222:223]
	v_fma_f64 v[162:163], -v[164:165], v[2:3], v[162:163]
	ds_read2_b64 v[0:3], v59 offset0:20 offset1:21
	s_waitcnt lgkmcnt(0)
	v_fma_f64 v[220:221], -v[164:165], v[0:1], v[220:221]
	v_fma_f64 v[160:161], -v[164:165], v[2:3], v[160:161]
	;; [unrolled: 4-line block ×21, first 2 shown]
.LBB119_91:
	s_or_b64 exec, exec, s[2:3]
	v_cmp_eq_u32_e32 vcc, 18, v60
	s_waitcnt vmcnt(63) expcnt(7) lgkmcnt(15)
	s_barrier
	s_and_saveexec_b64 s[2:3], vcc
	s_cbranch_execz .LBB119_94
; %bb.92:
	ds_write_b64 v58, v[222:223]
	ds_write2_b64 v59, v[162:163], v[220:221] offset0:19 offset1:20
	ds_write2_b64 v59, v[160:161], v[218:219] offset0:21 offset1:22
	;; [unrolled: 1-line block ×16, first 2 shown]
	s_waitcnt vmcnt(57)
	ds_write2_b64 v59, v[130:131], v[188:189] offset0:51 offset1:52
	s_waitcnt vmcnt(51)
	ds_write2_b64 v59, v[128:129], v[186:187] offset0:53 offset1:54
	;; [unrolled: 2-line block ×4, first 2 shown]
	s_waitcnt vmcnt(36)
	ds_write_b64 v59, v[240:241] offset:472
	ds_read_b64 v[0:1], v58
	s_waitcnt lgkmcnt(0)
	v_cmp_neq_f64_e32 vcc, 0, v[0:1]
	s_and_b64 exec, exec, vcc
	s_cbranch_execz .LBB119_94
; %bb.93:
	v_div_scale_f64 v[2:3], s[6:7], v[0:1], v[0:1], 1.0
	v_rcp_f64_e32 v[4:5], v[2:3]
	v_div_scale_f64 v[6:7], vcc, 1.0, v[0:1], 1.0
	v_fma_f64 v[8:9], -v[2:3], v[4:5], 1.0
	v_fmac_f64_e32 v[4:5], v[4:5], v[8:9]
	v_fma_f64 v[8:9], -v[2:3], v[4:5], 1.0
	v_fmac_f64_e32 v[4:5], v[4:5], v[8:9]
	v_mul_f64 v[8:9], v[6:7], v[4:5]
	v_fma_f64 v[2:3], -v[2:3], v[8:9], v[6:7]
	v_div_fmas_f64 v[2:3], v[2:3], v[4:5], v[8:9]
	v_div_fixup_f64 v[0:1], v[2:3], v[0:1], 1.0
	ds_write_b64 v58, v[0:1]
.LBB119_94:
	s_or_b64 exec, exec, s[2:3]
	s_waitcnt lgkmcnt(0)
	s_barrier
	ds_read_b64 v[0:1], v58
	v_cmp_lt_u32_e32 vcc, 18, v60
	s_waitcnt lgkmcnt(0)
	buffer_store_dword v0, off, s[16:19], 0 offset:352 ; 4-byte Folded Spill
	s_nop 0
	buffer_store_dword v1, off, s[16:19], 0 offset:356 ; 4-byte Folded Spill
	s_and_saveexec_b64 s[2:3], vcc
	s_cbranch_execz .LBB119_96
; %bb.95:
	buffer_load_dword v0, off, s[16:19], 0 offset:352 ; 4-byte Folded Reload
	buffer_load_dword v1, off, s[16:19], 0 offset:356 ; 4-byte Folded Reload
	s_waitcnt vmcnt(0)
	v_mul_f64 v[222:223], v[0:1], v[222:223]
	ds_read2_b64 v[0:3], v59 offset0:19 offset1:20
	s_waitcnt lgkmcnt(0)
	v_fma_f64 v[162:163], -v[222:223], v[0:1], v[162:163]
	v_fma_f64 v[220:221], -v[222:223], v[2:3], v[220:221]
	ds_read2_b64 v[0:3], v59 offset0:21 offset1:22
	s_waitcnt lgkmcnt(0)
	v_fma_f64 v[160:161], -v[222:223], v[0:1], v[160:161]
	v_fma_f64 v[218:219], -v[222:223], v[2:3], v[218:219]
	;; [unrolled: 4-line block ×19, first 2 shown]
	ds_read2_b64 v[0:3], v59 offset0:57 offset1:58
	s_waitcnt lgkmcnt(0)
	v_fma_f64 v[124:125], -v[222:223], v[0:1], v[124:125]
	ds_read_b64 v[0:1], v59 offset:472
	v_fma_f64 v[182:183], -v[222:223], v[2:3], v[182:183]
	s_waitcnt lgkmcnt(0)
	v_fma_f64 v[240:241], -v[222:223], v[0:1], v[240:241]
.LBB119_96:
	s_or_b64 exec, exec, s[2:3]
	v_cmp_eq_u32_e32 vcc, 19, v60
	s_waitcnt vmcnt(63) expcnt(7) lgkmcnt(15)
	s_barrier
	s_and_saveexec_b64 s[2:3], vcc
	s_cbranch_execz .LBB119_99
; %bb.97:
	v_mov_b32_e32 v0, v220
	v_mov_b32_e32 v1, v221
	;; [unrolled: 1-line block ×4, first 2 shown]
	ds_write_b64 v58, v[162:163]
	ds_write2_b64 v59, v[0:1], v[2:3] offset0:20 offset1:21
	v_mov_b32_e32 v0, v218
	v_mov_b32_e32 v1, v219
	v_mov_b32_e32 v2, v158
	v_mov_b32_e32 v3, v159
	ds_write2_b64 v59, v[0:1], v[2:3] offset0:22 offset1:23
	v_mov_b32_e32 v0, v216
	v_mov_b32_e32 v1, v217
	v_mov_b32_e32 v2, v156
	v_mov_b32_e32 v3, v157
	;; [unrolled: 5-line block ×14, first 2 shown]
	ds_write2_b64 v59, v[0:1], v[2:3] offset0:48 offset1:49
	v_mov_b32_e32 v0, v190
	v_mov_b32_e32 v1, v191
	s_waitcnt vmcnt(62)
	v_mov_b32_e32 v2, v130
	v_mov_b32_e32 v3, v131
	ds_write2_b64 v59, v[0:1], v[2:3] offset0:50 offset1:51
	s_waitcnt vmcnt(59)
	v_mov_b32_e32 v0, v188
	v_mov_b32_e32 v1, v189
	s_waitcnt vmcnt(56)
	v_mov_b32_e32 v2, v128
	v_mov_b32_e32 v3, v129
	ds_write2_b64 v59, v[0:1], v[2:3] offset0:52 offset1:53
	s_waitcnt vmcnt(53)
	;; [unrolled: 7-line block ×4, first 2 shown]
	v_mov_b32_e32 v0, v182
	v_mov_b32_e32 v1, v183
	s_waitcnt vmcnt(38)
	ds_write2_b64 v59, v[0:1], v[240:241] offset0:58 offset1:59
	ds_read_b64 v[0:1], v58
	s_waitcnt lgkmcnt(0)
	v_cmp_neq_f64_e32 vcc, 0, v[0:1]
	s_and_b64 exec, exec, vcc
	s_cbranch_execz .LBB119_99
; %bb.98:
	v_div_scale_f64 v[2:3], s[6:7], v[0:1], v[0:1], 1.0
	v_rcp_f64_e32 v[4:5], v[2:3]
	v_div_scale_f64 v[6:7], vcc, 1.0, v[0:1], 1.0
	v_fma_f64 v[8:9], -v[2:3], v[4:5], 1.0
	v_fmac_f64_e32 v[4:5], v[4:5], v[8:9]
	v_fma_f64 v[8:9], -v[2:3], v[4:5], 1.0
	v_fmac_f64_e32 v[4:5], v[4:5], v[8:9]
	v_mul_f64 v[8:9], v[6:7], v[4:5]
	v_fma_f64 v[2:3], -v[2:3], v[8:9], v[6:7]
	v_div_fmas_f64 v[2:3], v[2:3], v[4:5], v[8:9]
	v_div_fixup_f64 v[0:1], v[2:3], v[0:1], 1.0
	ds_write_b64 v58, v[0:1]
.LBB119_99:
	s_or_b64 exec, exec, s[2:3]
	s_waitcnt lgkmcnt(0)
	s_barrier
	ds_read_b64 v[0:1], v58
	v_cmp_lt_u32_e32 vcc, 19, v60
	s_waitcnt lgkmcnt(0)
	buffer_store_dword v0, off, s[16:19], 0 offset:360 ; 4-byte Folded Spill
	s_nop 0
	buffer_store_dword v1, off, s[16:19], 0 offset:364 ; 4-byte Folded Spill
	s_and_saveexec_b64 s[2:3], vcc
	s_cbranch_execz .LBB119_101
; %bb.100:
	buffer_load_dword v0, off, s[16:19], 0 offset:360 ; 4-byte Folded Reload
	buffer_load_dword v1, off, s[16:19], 0 offset:364 ; 4-byte Folded Reload
	s_waitcnt vmcnt(0)
	v_mul_f64 v[162:163], v[0:1], v[162:163]
	ds_read2_b64 v[0:3], v59 offset0:20 offset1:21
	s_waitcnt lgkmcnt(0)
	v_fma_f64 v[220:221], -v[162:163], v[0:1], v[220:221]
	v_fma_f64 v[160:161], -v[162:163], v[2:3], v[160:161]
	ds_read2_b64 v[0:3], v59 offset0:22 offset1:23
	s_waitcnt lgkmcnt(0)
	v_fma_f64 v[218:219], -v[162:163], v[0:1], v[218:219]
	v_fma_f64 v[158:159], -v[162:163], v[2:3], v[158:159]
	;; [unrolled: 4-line block ×20, first 2 shown]
.LBB119_101:
	s_or_b64 exec, exec, s[2:3]
	v_cmp_eq_u32_e32 vcc, 20, v60
	s_waitcnt vmcnt(63) expcnt(7) lgkmcnt(15)
	s_barrier
	s_and_saveexec_b64 s[2:3], vcc
	s_cbranch_execz .LBB119_104
; %bb.102:
	ds_write_b64 v58, v[220:221]
	ds_write2_b64 v59, v[160:161], v[218:219] offset0:21 offset1:22
	ds_write2_b64 v59, v[158:159], v[216:217] offset0:23 offset1:24
	ds_write2_b64 v59, v[156:157], v[214:215] offset0:25 offset1:26
	ds_write2_b64 v59, v[154:155], v[212:213] offset0:27 offset1:28
	ds_write2_b64 v59, v[152:153], v[210:211] offset0:29 offset1:30
	ds_write2_b64 v59, v[150:151], v[208:209] offset0:31 offset1:32
	ds_write2_b64 v59, v[148:149], v[206:207] offset0:33 offset1:34
	ds_write2_b64 v59, v[146:147], v[204:205] offset0:35 offset1:36
	ds_write2_b64 v59, v[144:145], v[202:203] offset0:37 offset1:38
	ds_write2_b64 v59, v[142:143], v[200:201] offset0:39 offset1:40
	ds_write2_b64 v59, v[140:141], v[198:199] offset0:41 offset1:42
	ds_write2_b64 v59, v[138:139], v[196:197] offset0:43 offset1:44
	ds_write2_b64 v59, v[136:137], v[194:195] offset0:45 offset1:46
	ds_write2_b64 v59, v[134:135], v[192:193] offset0:47 offset1:48
	ds_write2_b64 v59, v[132:133], v[190:191] offset0:49 offset1:50
	s_waitcnt vmcnt(61)
	ds_write2_b64 v59, v[130:131], v[188:189] offset0:51 offset1:52
	s_waitcnt vmcnt(55)
	ds_write2_b64 v59, v[128:129], v[186:187] offset0:53 offset1:54
	s_waitcnt vmcnt(49)
	ds_write2_b64 v59, v[126:127], v[184:185] offset0:55 offset1:56
	s_waitcnt vmcnt(43)
	ds_write2_b64 v59, v[124:125], v[182:183] offset0:57 offset1:58
	s_waitcnt vmcnt(40)
	ds_write_b64 v59, v[240:241] offset:472
	ds_read_b64 v[0:1], v58
	s_waitcnt lgkmcnt(0)
	v_cmp_neq_f64_e32 vcc, 0, v[0:1]
	s_and_b64 exec, exec, vcc
	s_cbranch_execz .LBB119_104
; %bb.103:
	v_div_scale_f64 v[2:3], s[6:7], v[0:1], v[0:1], 1.0
	v_rcp_f64_e32 v[4:5], v[2:3]
	v_div_scale_f64 v[6:7], vcc, 1.0, v[0:1], 1.0
	v_fma_f64 v[8:9], -v[2:3], v[4:5], 1.0
	v_fmac_f64_e32 v[4:5], v[4:5], v[8:9]
	v_fma_f64 v[8:9], -v[2:3], v[4:5], 1.0
	v_fmac_f64_e32 v[4:5], v[4:5], v[8:9]
	v_mul_f64 v[8:9], v[6:7], v[4:5]
	v_fma_f64 v[2:3], -v[2:3], v[8:9], v[6:7]
	v_div_fmas_f64 v[2:3], v[2:3], v[4:5], v[8:9]
	v_div_fixup_f64 v[0:1], v[2:3], v[0:1], 1.0
	ds_write_b64 v58, v[0:1]
.LBB119_104:
	s_or_b64 exec, exec, s[2:3]
	s_waitcnt lgkmcnt(0)
	s_barrier
	ds_read_b64 v[0:1], v58
	v_cmp_lt_u32_e32 vcc, 20, v60
	s_waitcnt lgkmcnt(0)
	buffer_store_dword v0, off, s[16:19], 0 offset:368 ; 4-byte Folded Spill
	s_nop 0
	buffer_store_dword v1, off, s[16:19], 0 offset:372 ; 4-byte Folded Spill
	s_and_saveexec_b64 s[2:3], vcc
	s_cbranch_execz .LBB119_106
; %bb.105:
	buffer_load_dword v0, off, s[16:19], 0 offset:368 ; 4-byte Folded Reload
	buffer_load_dword v1, off, s[16:19], 0 offset:372 ; 4-byte Folded Reload
	s_waitcnt vmcnt(0)
	v_mul_f64 v[220:221], v[0:1], v[220:221]
	ds_read2_b64 v[0:3], v59 offset0:21 offset1:22
	s_waitcnt lgkmcnt(0)
	v_fma_f64 v[160:161], -v[220:221], v[0:1], v[160:161]
	v_fma_f64 v[218:219], -v[220:221], v[2:3], v[218:219]
	ds_read2_b64 v[0:3], v59 offset0:23 offset1:24
	s_waitcnt lgkmcnt(0)
	v_fma_f64 v[158:159], -v[220:221], v[0:1], v[158:159]
	v_fma_f64 v[216:217], -v[220:221], v[2:3], v[216:217]
	;; [unrolled: 4-line block ×18, first 2 shown]
	ds_read2_b64 v[0:3], v59 offset0:57 offset1:58
	s_waitcnt lgkmcnt(0)
	v_fma_f64 v[124:125], -v[220:221], v[0:1], v[124:125]
	ds_read_b64 v[0:1], v59 offset:472
	v_fma_f64 v[182:183], -v[220:221], v[2:3], v[182:183]
	s_waitcnt lgkmcnt(0)
	v_fma_f64 v[240:241], -v[220:221], v[0:1], v[240:241]
.LBB119_106:
	s_or_b64 exec, exec, s[2:3]
	v_cmp_eq_u32_e32 vcc, 21, v60
	s_waitcnt vmcnt(63) expcnt(7) lgkmcnt(15)
	s_barrier
	s_and_saveexec_b64 s[2:3], vcc
	s_cbranch_execz .LBB119_109
; %bb.107:
	v_mov_b32_e32 v0, v218
	v_mov_b32_e32 v1, v219
	;; [unrolled: 1-line block ×4, first 2 shown]
	ds_write_b64 v58, v[160:161]
	ds_write2_b64 v59, v[0:1], v[2:3] offset0:22 offset1:23
	v_mov_b32_e32 v0, v216
	v_mov_b32_e32 v1, v217
	v_mov_b32_e32 v2, v156
	v_mov_b32_e32 v3, v157
	ds_write2_b64 v59, v[0:1], v[2:3] offset0:24 offset1:25
	v_mov_b32_e32 v0, v214
	v_mov_b32_e32 v1, v215
	v_mov_b32_e32 v2, v154
	v_mov_b32_e32 v3, v155
	;; [unrolled: 5-line block ×14, first 2 shown]
	ds_write2_b64 v59, v[0:1], v[2:3] offset0:50 offset1:51
	v_mov_b32_e32 v0, v188
	v_mov_b32_e32 v1, v189
	s_waitcnt vmcnt(60)
	v_mov_b32_e32 v2, v128
	v_mov_b32_e32 v3, v129
	ds_write2_b64 v59, v[0:1], v[2:3] offset0:52 offset1:53
	s_waitcnt vmcnt(57)
	v_mov_b32_e32 v0, v186
	v_mov_b32_e32 v1, v187
	s_waitcnt vmcnt(54)
	v_mov_b32_e32 v2, v126
	v_mov_b32_e32 v3, v127
	ds_write2_b64 v59, v[0:1], v[2:3] offset0:54 offset1:55
	s_waitcnt vmcnt(51)
	v_mov_b32_e32 v0, v184
	v_mov_b32_e32 v1, v185
	s_waitcnt vmcnt(48)
	v_mov_b32_e32 v2, v124
	v_mov_b32_e32 v3, v125
	ds_write2_b64 v59, v[0:1], v[2:3] offset0:56 offset1:57
	s_waitcnt vmcnt(45)
	v_mov_b32_e32 v0, v182
	v_mov_b32_e32 v1, v183
	s_waitcnt vmcnt(42)
	ds_write2_b64 v59, v[0:1], v[240:241] offset0:58 offset1:59
	ds_read_b64 v[0:1], v58
	s_waitcnt lgkmcnt(0)
	v_cmp_neq_f64_e32 vcc, 0, v[0:1]
	s_and_b64 exec, exec, vcc
	s_cbranch_execz .LBB119_109
; %bb.108:
	v_div_scale_f64 v[2:3], s[6:7], v[0:1], v[0:1], 1.0
	v_rcp_f64_e32 v[4:5], v[2:3]
	v_div_scale_f64 v[6:7], vcc, 1.0, v[0:1], 1.0
	v_fma_f64 v[8:9], -v[2:3], v[4:5], 1.0
	v_fmac_f64_e32 v[4:5], v[4:5], v[8:9]
	v_fma_f64 v[8:9], -v[2:3], v[4:5], 1.0
	v_fmac_f64_e32 v[4:5], v[4:5], v[8:9]
	v_mul_f64 v[8:9], v[6:7], v[4:5]
	v_fma_f64 v[2:3], -v[2:3], v[8:9], v[6:7]
	v_div_fmas_f64 v[2:3], v[2:3], v[4:5], v[8:9]
	v_div_fixup_f64 v[0:1], v[2:3], v[0:1], 1.0
	ds_write_b64 v58, v[0:1]
.LBB119_109:
	s_or_b64 exec, exec, s[2:3]
	s_waitcnt lgkmcnt(0)
	s_barrier
	ds_read_b64 v[0:1], v58
	v_cmp_lt_u32_e32 vcc, 21, v60
	s_waitcnt lgkmcnt(0)
	buffer_store_dword v0, off, s[16:19], 0 offset:376 ; 4-byte Folded Spill
	s_nop 0
	buffer_store_dword v1, off, s[16:19], 0 offset:380 ; 4-byte Folded Spill
	s_and_saveexec_b64 s[2:3], vcc
	s_cbranch_execz .LBB119_111
; %bb.110:
	buffer_load_dword v0, off, s[16:19], 0 offset:376 ; 4-byte Folded Reload
	buffer_load_dword v1, off, s[16:19], 0 offset:380 ; 4-byte Folded Reload
	s_waitcnt vmcnt(0)
	v_mul_f64 v[160:161], v[0:1], v[160:161]
	ds_read2_b64 v[0:3], v59 offset0:22 offset1:23
	s_waitcnt lgkmcnt(0)
	v_fma_f64 v[218:219], -v[160:161], v[0:1], v[218:219]
	v_fma_f64 v[158:159], -v[160:161], v[2:3], v[158:159]
	ds_read2_b64 v[0:3], v59 offset0:24 offset1:25
	s_waitcnt lgkmcnt(0)
	v_fma_f64 v[216:217], -v[160:161], v[0:1], v[216:217]
	v_fma_f64 v[156:157], -v[160:161], v[2:3], v[156:157]
	ds_read2_b64 v[0:3], v59 offset0:26 offset1:27
	s_waitcnt lgkmcnt(0)
	v_fma_f64 v[214:215], -v[160:161], v[0:1], v[214:215]
	v_fma_f64 v[154:155], -v[160:161], v[2:3], v[154:155]
	ds_read2_b64 v[0:3], v59 offset0:28 offset1:29
	s_waitcnt lgkmcnt(0)
	v_fma_f64 v[212:213], -v[160:161], v[0:1], v[212:213]
	v_fma_f64 v[152:153], -v[160:161], v[2:3], v[152:153]
	ds_read2_b64 v[0:3], v59 offset0:30 offset1:31
	s_waitcnt lgkmcnt(0)
	v_fma_f64 v[210:211], -v[160:161], v[0:1], v[210:211]
	v_fma_f64 v[150:151], -v[160:161], v[2:3], v[150:151]
	ds_read2_b64 v[0:3], v59 offset0:32 offset1:33
	s_waitcnt lgkmcnt(0)
	v_fma_f64 v[208:209], -v[160:161], v[0:1], v[208:209]
	v_fma_f64 v[148:149], -v[160:161], v[2:3], v[148:149]
	ds_read2_b64 v[0:3], v59 offset0:34 offset1:35
	s_waitcnt lgkmcnt(0)
	v_fma_f64 v[206:207], -v[160:161], v[0:1], v[206:207]
	v_fma_f64 v[146:147], -v[160:161], v[2:3], v[146:147]
	ds_read2_b64 v[0:3], v59 offset0:36 offset1:37
	s_waitcnt lgkmcnt(0)
	v_fma_f64 v[204:205], -v[160:161], v[0:1], v[204:205]
	v_fma_f64 v[144:145], -v[160:161], v[2:3], v[144:145]
	ds_read2_b64 v[0:3], v59 offset0:38 offset1:39
	s_waitcnt lgkmcnt(0)
	v_fma_f64 v[202:203], -v[160:161], v[0:1], v[202:203]
	v_fma_f64 v[142:143], -v[160:161], v[2:3], v[142:143]
	ds_read2_b64 v[0:3], v59 offset0:40 offset1:41
	s_waitcnt lgkmcnt(0)
	v_fma_f64 v[200:201], -v[160:161], v[0:1], v[200:201]
	v_fma_f64 v[140:141], -v[160:161], v[2:3], v[140:141]
	ds_read2_b64 v[0:3], v59 offset0:42 offset1:43
	s_waitcnt lgkmcnt(0)
	v_fma_f64 v[198:199], -v[160:161], v[0:1], v[198:199]
	v_fma_f64 v[138:139], -v[160:161], v[2:3], v[138:139]
	ds_read2_b64 v[0:3], v59 offset0:44 offset1:45
	s_waitcnt lgkmcnt(0)
	v_fma_f64 v[196:197], -v[160:161], v[0:1], v[196:197]
	v_fma_f64 v[136:137], -v[160:161], v[2:3], v[136:137]
	ds_read2_b64 v[0:3], v59 offset0:46 offset1:47
	s_waitcnt lgkmcnt(0)
	v_fma_f64 v[194:195], -v[160:161], v[0:1], v[194:195]
	v_fma_f64 v[134:135], -v[160:161], v[2:3], v[134:135]
	ds_read2_b64 v[0:3], v59 offset0:48 offset1:49
	s_waitcnt lgkmcnt(0)
	v_fma_f64 v[192:193], -v[160:161], v[0:1], v[192:193]
	v_fma_f64 v[132:133], -v[160:161], v[2:3], v[132:133]
	ds_read2_b64 v[0:3], v59 offset0:50 offset1:51
	s_waitcnt lgkmcnt(0)
	v_fma_f64 v[190:191], -v[160:161], v[0:1], v[190:191]
	v_fma_f64 v[130:131], -v[160:161], v[2:3], v[130:131]
	ds_read2_b64 v[0:3], v59 offset0:52 offset1:53
	s_waitcnt lgkmcnt(0)
	v_fma_f64 v[188:189], -v[160:161], v[0:1], v[188:189]
	v_fma_f64 v[128:129], -v[160:161], v[2:3], v[128:129]
	ds_read2_b64 v[0:3], v59 offset0:54 offset1:55
	s_waitcnt lgkmcnt(0)
	v_fma_f64 v[186:187], -v[160:161], v[0:1], v[186:187]
	v_fma_f64 v[126:127], -v[160:161], v[2:3], v[126:127]
	ds_read2_b64 v[0:3], v59 offset0:56 offset1:57
	s_waitcnt lgkmcnt(0)
	v_fma_f64 v[184:185], -v[160:161], v[0:1], v[184:185]
	v_fma_f64 v[124:125], -v[160:161], v[2:3], v[124:125]
	ds_read2_b64 v[0:3], v59 offset0:58 offset1:59
	s_waitcnt lgkmcnt(0)
	v_fma_f64 v[182:183], -v[160:161], v[0:1], v[182:183]
	v_fma_f64 v[240:241], -v[160:161], v[2:3], v[240:241]
.LBB119_111:
	s_or_b64 exec, exec, s[2:3]
	v_cmp_eq_u32_e32 vcc, 22, v60
	s_waitcnt vmcnt(63) expcnt(7) lgkmcnt(15)
	s_barrier
	s_and_saveexec_b64 s[2:3], vcc
	s_cbranch_execz .LBB119_114
; %bb.112:
	ds_write_b64 v58, v[218:219]
	ds_write2_b64 v59, v[158:159], v[216:217] offset0:23 offset1:24
	ds_write2_b64 v59, v[156:157], v[214:215] offset0:25 offset1:26
	;; [unrolled: 1-line block ×15, first 2 shown]
	s_waitcnt vmcnt(59)
	ds_write2_b64 v59, v[128:129], v[186:187] offset0:53 offset1:54
	s_waitcnt vmcnt(53)
	ds_write2_b64 v59, v[126:127], v[184:185] offset0:55 offset1:56
	;; [unrolled: 2-line block ×3, first 2 shown]
	s_waitcnt vmcnt(44)
	ds_write_b64 v59, v[240:241] offset:472
	ds_read_b64 v[0:1], v58
	s_waitcnt lgkmcnt(0)
	v_cmp_neq_f64_e32 vcc, 0, v[0:1]
	s_and_b64 exec, exec, vcc
	s_cbranch_execz .LBB119_114
; %bb.113:
	v_div_scale_f64 v[2:3], s[6:7], v[0:1], v[0:1], 1.0
	v_rcp_f64_e32 v[4:5], v[2:3]
	v_div_scale_f64 v[6:7], vcc, 1.0, v[0:1], 1.0
	v_fma_f64 v[8:9], -v[2:3], v[4:5], 1.0
	v_fmac_f64_e32 v[4:5], v[4:5], v[8:9]
	v_fma_f64 v[8:9], -v[2:3], v[4:5], 1.0
	v_fmac_f64_e32 v[4:5], v[4:5], v[8:9]
	v_mul_f64 v[8:9], v[6:7], v[4:5]
	v_fma_f64 v[2:3], -v[2:3], v[8:9], v[6:7]
	v_div_fmas_f64 v[2:3], v[2:3], v[4:5], v[8:9]
	v_div_fixup_f64 v[0:1], v[2:3], v[0:1], 1.0
	ds_write_b64 v58, v[0:1]
.LBB119_114:
	s_or_b64 exec, exec, s[2:3]
	s_waitcnt lgkmcnt(0)
	s_barrier
	ds_read_b64 v[0:1], v58
	v_cmp_lt_u32_e32 vcc, 22, v60
	s_waitcnt lgkmcnt(0)
	buffer_store_dword v0, off, s[16:19], 0 offset:384 ; 4-byte Folded Spill
	s_nop 0
	buffer_store_dword v1, off, s[16:19], 0 offset:388 ; 4-byte Folded Spill
	s_and_saveexec_b64 s[2:3], vcc
	s_cbranch_execz .LBB119_116
; %bb.115:
	buffer_load_dword v0, off, s[16:19], 0 offset:384 ; 4-byte Folded Reload
	buffer_load_dword v1, off, s[16:19], 0 offset:388 ; 4-byte Folded Reload
	s_waitcnt vmcnt(0)
	v_mul_f64 v[218:219], v[0:1], v[218:219]
	ds_read2_b64 v[0:3], v59 offset0:23 offset1:24
	s_waitcnt lgkmcnt(0)
	v_fma_f64 v[158:159], -v[218:219], v[0:1], v[158:159]
	v_fma_f64 v[216:217], -v[218:219], v[2:3], v[216:217]
	ds_read2_b64 v[0:3], v59 offset0:25 offset1:26
	s_waitcnt lgkmcnt(0)
	v_fma_f64 v[156:157], -v[218:219], v[0:1], v[156:157]
	v_fma_f64 v[214:215], -v[218:219], v[2:3], v[214:215]
	;; [unrolled: 4-line block ×17, first 2 shown]
	ds_read2_b64 v[0:3], v59 offset0:57 offset1:58
	s_waitcnt lgkmcnt(0)
	v_fma_f64 v[124:125], -v[218:219], v[0:1], v[124:125]
	ds_read_b64 v[0:1], v59 offset:472
	v_fma_f64 v[182:183], -v[218:219], v[2:3], v[182:183]
	s_waitcnt lgkmcnt(0)
	v_fma_f64 v[240:241], -v[218:219], v[0:1], v[240:241]
.LBB119_116:
	s_or_b64 exec, exec, s[2:3]
	v_cmp_eq_u32_e32 vcc, 23, v60
	s_waitcnt vmcnt(63) expcnt(7) lgkmcnt(15)
	s_barrier
	s_and_saveexec_b64 s[2:3], vcc
	s_cbranch_execz .LBB119_119
; %bb.117:
	v_mov_b32_e32 v0, v216
	v_mov_b32_e32 v1, v217
	;; [unrolled: 1-line block ×4, first 2 shown]
	ds_write_b64 v58, v[158:159]
	ds_write2_b64 v59, v[0:1], v[2:3] offset0:24 offset1:25
	v_mov_b32_e32 v0, v214
	v_mov_b32_e32 v1, v215
	v_mov_b32_e32 v2, v154
	v_mov_b32_e32 v3, v155
	ds_write2_b64 v59, v[0:1], v[2:3] offset0:26 offset1:27
	v_mov_b32_e32 v0, v212
	v_mov_b32_e32 v1, v213
	v_mov_b32_e32 v2, v152
	v_mov_b32_e32 v3, v153
	;; [unrolled: 5-line block ×14, first 2 shown]
	ds_write2_b64 v59, v[0:1], v[2:3] offset0:52 offset1:53
	s_waitcnt vmcnt(61)
	v_mov_b32_e32 v0, v186
	v_mov_b32_e32 v1, v187
	s_waitcnt vmcnt(58)
	v_mov_b32_e32 v2, v126
	v_mov_b32_e32 v3, v127
	ds_write2_b64 v59, v[0:1], v[2:3] offset0:54 offset1:55
	s_waitcnt vmcnt(55)
	v_mov_b32_e32 v0, v184
	v_mov_b32_e32 v1, v185
	s_waitcnt vmcnt(52)
	v_mov_b32_e32 v2, v124
	v_mov_b32_e32 v3, v125
	ds_write2_b64 v59, v[0:1], v[2:3] offset0:56 offset1:57
	s_waitcnt vmcnt(49)
	v_mov_b32_e32 v0, v182
	v_mov_b32_e32 v1, v183
	s_waitcnt vmcnt(46)
	ds_write2_b64 v59, v[0:1], v[240:241] offset0:58 offset1:59
	ds_read_b64 v[0:1], v58
	s_waitcnt lgkmcnt(0)
	v_cmp_neq_f64_e32 vcc, 0, v[0:1]
	s_and_b64 exec, exec, vcc
	s_cbranch_execz .LBB119_119
; %bb.118:
	v_div_scale_f64 v[2:3], s[6:7], v[0:1], v[0:1], 1.0
	v_rcp_f64_e32 v[4:5], v[2:3]
	v_div_scale_f64 v[6:7], vcc, 1.0, v[0:1], 1.0
	v_fma_f64 v[8:9], -v[2:3], v[4:5], 1.0
	v_fmac_f64_e32 v[4:5], v[4:5], v[8:9]
	v_fma_f64 v[8:9], -v[2:3], v[4:5], 1.0
	v_fmac_f64_e32 v[4:5], v[4:5], v[8:9]
	v_mul_f64 v[8:9], v[6:7], v[4:5]
	v_fma_f64 v[2:3], -v[2:3], v[8:9], v[6:7]
	v_div_fmas_f64 v[2:3], v[2:3], v[4:5], v[8:9]
	v_div_fixup_f64 v[0:1], v[2:3], v[0:1], 1.0
	ds_write_b64 v58, v[0:1]
.LBB119_119:
	s_or_b64 exec, exec, s[2:3]
	s_waitcnt lgkmcnt(0)
	s_barrier
	ds_read_b64 v[0:1], v58
	v_cmp_lt_u32_e32 vcc, 23, v60
	s_and_saveexec_b64 s[2:3], vcc
	s_cbranch_execz .LBB119_121
; %bb.120:
	ds_read2_b64 v[4:7], v59 offset0:24 offset1:25
	s_waitcnt lgkmcnt(1)
	v_mul_f64 v[158:159], v[0:1], v[158:159]
	s_waitcnt lgkmcnt(0)
	v_fma_f64 v[216:217], -v[158:159], v[4:5], v[216:217]
	v_fma_f64 v[156:157], -v[158:159], v[6:7], v[156:157]
	ds_read2_b64 v[4:7], v59 offset0:26 offset1:27
	s_waitcnt lgkmcnt(0)
	v_fma_f64 v[214:215], -v[158:159], v[4:5], v[214:215]
	v_fma_f64 v[154:155], -v[158:159], v[6:7], v[154:155]
	ds_read2_b64 v[4:7], v59 offset0:28 offset1:29
	;; [unrolled: 4-line block ×15, first 2 shown]
	s_waitcnt vmcnt(61) lgkmcnt(0)
	v_fma_f64 v[186:187], -v[158:159], v[4:5], v[186:187]
	s_waitcnt vmcnt(58)
	v_fma_f64 v[126:127], -v[158:159], v[6:7], v[126:127]
	ds_read2_b64 v[4:7], v59 offset0:56 offset1:57
	s_waitcnt vmcnt(55) lgkmcnt(0)
	v_fma_f64 v[184:185], -v[158:159], v[4:5], v[184:185]
	s_waitcnt vmcnt(52)
	v_fma_f64 v[124:125], -v[158:159], v[6:7], v[124:125]
	ds_read2_b64 v[4:7], v59 offset0:58 offset1:59
	s_waitcnt vmcnt(49) lgkmcnt(0)
	v_fma_f64 v[182:183], -v[158:159], v[4:5], v[182:183]
	s_waitcnt vmcnt(46)
	v_fma_f64 v[240:241], -v[158:159], v[6:7], v[240:241]
.LBB119_121:
	s_or_b64 exec, exec, s[2:3]
	v_cmp_eq_u32_e32 vcc, 24, v60
	s_waitcnt lgkmcnt(0)
	buffer_store_dword v0, off, s[16:19], 0 offset:432 ; 4-byte Folded Spill
	s_nop 0
	buffer_store_dword v1, off, s[16:19], 0 offset:436 ; 4-byte Folded Spill
	s_waitcnt vmcnt(63) expcnt(7) lgkmcnt(15)
	s_barrier
	s_and_saveexec_b64 s[2:3], vcc
	s_cbranch_execz .LBB119_124
; %bb.122:
	ds_write_b64 v58, v[216:217]
	ds_write2_b64 v59, v[156:157], v[214:215] offset0:25 offset1:26
	ds_write2_b64 v59, v[154:155], v[212:213] offset0:27 offset1:28
	;; [unrolled: 1-line block ×15, first 2 shown]
	s_waitcnt vmcnt(57)
	ds_write2_b64 v59, v[126:127], v[184:185] offset0:55 offset1:56
	s_waitcnt vmcnt(51)
	ds_write2_b64 v59, v[124:125], v[182:183] offset0:57 offset1:58
	s_waitcnt vmcnt(48)
	ds_write_b64 v59, v[240:241] offset:472
	ds_read_b64 v[0:1], v58
	s_waitcnt lgkmcnt(0)
	v_cmp_neq_f64_e32 vcc, 0, v[0:1]
	s_and_b64 exec, exec, vcc
	s_cbranch_execz .LBB119_124
; %bb.123:
	v_div_scale_f64 v[4:5], s[6:7], v[0:1], v[0:1], 1.0
	v_rcp_f64_e32 v[6:7], v[4:5]
	v_div_scale_f64 v[8:9], vcc, 1.0, v[0:1], 1.0
	v_fma_f64 v[10:11], -v[4:5], v[6:7], 1.0
	v_fmac_f64_e32 v[6:7], v[6:7], v[10:11]
	v_fma_f64 v[10:11], -v[4:5], v[6:7], 1.0
	v_fmac_f64_e32 v[6:7], v[6:7], v[10:11]
	v_mul_f64 v[10:11], v[8:9], v[6:7]
	v_fma_f64 v[4:5], -v[4:5], v[10:11], v[8:9]
	v_div_fmas_f64 v[4:5], v[4:5], v[6:7], v[10:11]
	v_div_fixup_f64 v[0:1], v[4:5], v[0:1], 1.0
	ds_write_b64 v58, v[0:1]
.LBB119_124:
	s_or_b64 exec, exec, s[2:3]
	s_waitcnt lgkmcnt(0)
	s_barrier
	ds_read_b64 v[0:1], v58
	v_cmp_lt_u32_e32 vcc, 24, v60
	s_waitcnt lgkmcnt(0)
	buffer_store_dword v0, off, s[16:19], 0 offset:392 ; 4-byte Folded Spill
	s_nop 0
	buffer_store_dword v1, off, s[16:19], 0 offset:396 ; 4-byte Folded Spill
	s_and_saveexec_b64 s[2:3], vcc
	s_cbranch_execz .LBB119_126
; %bb.125:
	buffer_load_dword v0, off, s[16:19], 0 offset:392 ; 4-byte Folded Reload
	buffer_load_dword v1, off, s[16:19], 0 offset:396 ; 4-byte Folded Reload
	ds_read2_b64 v[4:7], v59 offset0:25 offset1:26
	s_waitcnt vmcnt(0)
	v_mul_f64 v[216:217], v[0:1], v[216:217]
	ds_read_b64 v[0:1], v59 offset:472
	s_waitcnt lgkmcnt(1)
	v_fma_f64 v[156:157], -v[216:217], v[4:5], v[156:157]
	v_fma_f64 v[214:215], -v[216:217], v[6:7], v[214:215]
	ds_read2_b64 v[4:7], v59 offset0:27 offset1:28
	s_waitcnt lgkmcnt(1)
	v_fma_f64 v[240:241], -v[216:217], v[0:1], v[240:241]
	s_waitcnt lgkmcnt(0)
	v_fma_f64 v[154:155], -v[216:217], v[4:5], v[154:155]
	v_fma_f64 v[212:213], -v[216:217], v[6:7], v[212:213]
	ds_read2_b64 v[4:7], v59 offset0:29 offset1:30
	s_waitcnt lgkmcnt(0)
	v_fma_f64 v[152:153], -v[216:217], v[4:5], v[152:153]
	v_fma_f64 v[210:211], -v[216:217], v[6:7], v[210:211]
	ds_read2_b64 v[4:7], v59 offset0:31 offset1:32
	;; [unrolled: 4-line block ×15, first 2 shown]
	s_waitcnt lgkmcnt(0)
	v_fma_f64 v[124:125], -v[216:217], v[4:5], v[124:125]
	v_fma_f64 v[182:183], -v[216:217], v[6:7], v[182:183]
.LBB119_126:
	s_or_b64 exec, exec, s[2:3]
	v_cmp_eq_u32_e32 vcc, 25, v60
	s_waitcnt vmcnt(63) expcnt(7) lgkmcnt(15)
	s_barrier
	s_and_saveexec_b64 s[2:3], vcc
	s_cbranch_execz .LBB119_129
; %bb.127:
	v_mov_b32_e32 v0, v214
	v_mov_b32_e32 v1, v215
	;; [unrolled: 1-line block ×4, first 2 shown]
	ds_write_b64 v58, v[156:157]
	ds_write2_b64 v59, v[0:1], v[4:5] offset0:26 offset1:27
	v_mov_b32_e32 v0, v212
	v_mov_b32_e32 v1, v213
	v_mov_b32_e32 v4, v152
	v_mov_b32_e32 v5, v153
	ds_write2_b64 v59, v[0:1], v[4:5] offset0:28 offset1:29
	v_mov_b32_e32 v0, v210
	v_mov_b32_e32 v1, v211
	v_mov_b32_e32 v4, v150
	v_mov_b32_e32 v5, v151
	;; [unrolled: 5-line block ×13, first 2 shown]
	ds_write2_b64 v59, v[0:1], v[4:5] offset0:52 offset1:53
	v_mov_b32_e32 v0, v186
	v_mov_b32_e32 v1, v187
	s_waitcnt vmcnt(62)
	v_mov_b32_e32 v4, v126
	v_mov_b32_e32 v5, v127
	ds_write2_b64 v59, v[0:1], v[4:5] offset0:54 offset1:55
	s_waitcnt vmcnt(59)
	v_mov_b32_e32 v0, v184
	v_mov_b32_e32 v1, v185
	s_waitcnt vmcnt(56)
	v_mov_b32_e32 v4, v124
	v_mov_b32_e32 v5, v125
	ds_write2_b64 v59, v[0:1], v[4:5] offset0:56 offset1:57
	s_waitcnt vmcnt(53)
	v_mov_b32_e32 v0, v182
	v_mov_b32_e32 v1, v183
	s_waitcnt vmcnt(50)
	ds_write2_b64 v59, v[0:1], v[240:241] offset0:58 offset1:59
	ds_read_b64 v[0:1], v58
	s_waitcnt lgkmcnt(0)
	v_cmp_neq_f64_e32 vcc, 0, v[0:1]
	s_and_b64 exec, exec, vcc
	s_cbranch_execz .LBB119_129
; %bb.128:
	v_div_scale_f64 v[4:5], s[6:7], v[0:1], v[0:1], 1.0
	v_rcp_f64_e32 v[6:7], v[4:5]
	v_div_scale_f64 v[8:9], vcc, 1.0, v[0:1], 1.0
	v_fma_f64 v[10:11], -v[4:5], v[6:7], 1.0
	v_fmac_f64_e32 v[6:7], v[6:7], v[10:11]
	v_fma_f64 v[10:11], -v[4:5], v[6:7], 1.0
	v_fmac_f64_e32 v[6:7], v[6:7], v[10:11]
	v_mul_f64 v[10:11], v[8:9], v[6:7]
	v_fma_f64 v[4:5], -v[4:5], v[10:11], v[8:9]
	v_div_fmas_f64 v[4:5], v[4:5], v[6:7], v[10:11]
	v_div_fixup_f64 v[0:1], v[4:5], v[0:1], 1.0
	ds_write_b64 v58, v[0:1]
.LBB119_129:
	s_or_b64 exec, exec, s[2:3]
	s_waitcnt lgkmcnt(0)
	s_barrier
	ds_read_b64 v[0:1], v58
	v_cmp_lt_u32_e32 vcc, 25, v60
	s_and_saveexec_b64 s[2:3], vcc
	s_cbranch_execz .LBB119_131
; %bb.130:
	ds_read2_b64 v[4:7], v59 offset0:26 offset1:27
	s_waitcnt lgkmcnt(1)
	v_mul_f64 v[156:157], v[0:1], v[156:157]
	s_waitcnt lgkmcnt(0)
	v_fma_f64 v[214:215], -v[156:157], v[4:5], v[214:215]
	v_fma_f64 v[154:155], -v[156:157], v[6:7], v[154:155]
	ds_read2_b64 v[4:7], v59 offset0:28 offset1:29
	s_waitcnt lgkmcnt(0)
	v_fma_f64 v[212:213], -v[156:157], v[4:5], v[212:213]
	v_fma_f64 v[152:153], -v[156:157], v[6:7], v[152:153]
	ds_read2_b64 v[4:7], v59 offset0:30 offset1:31
	s_waitcnt lgkmcnt(0)
	v_fma_f64 v[210:211], -v[156:157], v[4:5], v[210:211]
	v_fma_f64 v[150:151], -v[156:157], v[6:7], v[150:151]
	ds_read2_b64 v[4:7], v59 offset0:32 offset1:33
	s_waitcnt lgkmcnt(0)
	v_fma_f64 v[208:209], -v[156:157], v[4:5], v[208:209]
	v_fma_f64 v[148:149], -v[156:157], v[6:7], v[148:149]
	ds_read2_b64 v[4:7], v59 offset0:34 offset1:35
	s_waitcnt lgkmcnt(0)
	v_fma_f64 v[206:207], -v[156:157], v[4:5], v[206:207]
	v_fma_f64 v[146:147], -v[156:157], v[6:7], v[146:147]
	ds_read2_b64 v[4:7], v59 offset0:36 offset1:37
	s_waitcnt lgkmcnt(0)
	v_fma_f64 v[204:205], -v[156:157], v[4:5], v[204:205]
	v_fma_f64 v[144:145], -v[156:157], v[6:7], v[144:145]
	ds_read2_b64 v[4:7], v59 offset0:38 offset1:39
	s_waitcnt lgkmcnt(0)
	v_fma_f64 v[202:203], -v[156:157], v[4:5], v[202:203]
	v_fma_f64 v[142:143], -v[156:157], v[6:7], v[142:143]
	ds_read2_b64 v[4:7], v59 offset0:40 offset1:41
	s_waitcnt lgkmcnt(0)
	v_fma_f64 v[200:201], -v[156:157], v[4:5], v[200:201]
	v_fma_f64 v[140:141], -v[156:157], v[6:7], v[140:141]
	ds_read2_b64 v[4:7], v59 offset0:42 offset1:43
	s_waitcnt lgkmcnt(0)
	v_fma_f64 v[198:199], -v[156:157], v[4:5], v[198:199]
	v_fma_f64 v[138:139], -v[156:157], v[6:7], v[138:139]
	ds_read2_b64 v[4:7], v59 offset0:44 offset1:45
	s_waitcnt lgkmcnt(0)
	v_fma_f64 v[196:197], -v[156:157], v[4:5], v[196:197]
	v_fma_f64 v[136:137], -v[156:157], v[6:7], v[136:137]
	ds_read2_b64 v[4:7], v59 offset0:46 offset1:47
	s_waitcnt lgkmcnt(0)
	v_fma_f64 v[194:195], -v[156:157], v[4:5], v[194:195]
	v_fma_f64 v[134:135], -v[156:157], v[6:7], v[134:135]
	ds_read2_b64 v[4:7], v59 offset0:48 offset1:49
	s_waitcnt lgkmcnt(0)
	v_fma_f64 v[192:193], -v[156:157], v[4:5], v[192:193]
	v_fma_f64 v[132:133], -v[156:157], v[6:7], v[132:133]
	ds_read2_b64 v[4:7], v59 offset0:50 offset1:51
	s_waitcnt lgkmcnt(0)
	v_fma_f64 v[190:191], -v[156:157], v[4:5], v[190:191]
	v_fma_f64 v[130:131], -v[156:157], v[6:7], v[130:131]
	ds_read2_b64 v[4:7], v59 offset0:52 offset1:53
	s_waitcnt lgkmcnt(0)
	v_fma_f64 v[188:189], -v[156:157], v[4:5], v[188:189]
	v_fma_f64 v[128:129], -v[156:157], v[6:7], v[128:129]
	ds_read2_b64 v[4:7], v59 offset0:54 offset1:55
	s_waitcnt lgkmcnt(0)
	v_fma_f64 v[186:187], -v[156:157], v[4:5], v[186:187]
	s_waitcnt vmcnt(62)
	v_fma_f64 v[126:127], -v[156:157], v[6:7], v[126:127]
	ds_read2_b64 v[4:7], v59 offset0:56 offset1:57
	s_waitcnt vmcnt(59) lgkmcnt(0)
	v_fma_f64 v[184:185], -v[156:157], v[4:5], v[184:185]
	s_waitcnt vmcnt(56)
	v_fma_f64 v[124:125], -v[156:157], v[6:7], v[124:125]
	ds_read2_b64 v[4:7], v59 offset0:58 offset1:59
	s_waitcnt vmcnt(53) lgkmcnt(0)
	v_fma_f64 v[182:183], -v[156:157], v[4:5], v[182:183]
	s_waitcnt vmcnt(50)
	v_fma_f64 v[240:241], -v[156:157], v[6:7], v[240:241]
.LBB119_131:
	s_or_b64 exec, exec, s[2:3]
	v_cmp_eq_u32_e32 vcc, 26, v60
	s_waitcnt lgkmcnt(0)
	buffer_store_dword v0, off, s[16:19], 0 offset:440 ; 4-byte Folded Spill
	s_nop 0
	buffer_store_dword v1, off, s[16:19], 0 offset:444 ; 4-byte Folded Spill
	s_waitcnt vmcnt(63) expcnt(7) lgkmcnt(15)
	s_barrier
	s_and_saveexec_b64 s[2:3], vcc
	s_cbranch_execz .LBB119_134
; %bb.132:
	ds_write_b64 v58, v[214:215]
	ds_write2_b64 v59, v[154:155], v[212:213] offset0:27 offset1:28
	ds_write2_b64 v59, v[152:153], v[210:211] offset0:29 offset1:30
	;; [unrolled: 1-line block ×14, first 2 shown]
	s_waitcnt vmcnt(61)
	ds_write2_b64 v59, v[126:127], v[184:185] offset0:55 offset1:56
	s_waitcnt vmcnt(55)
	ds_write2_b64 v59, v[124:125], v[182:183] offset0:57 offset1:58
	s_waitcnt vmcnt(52)
	ds_write_b64 v59, v[240:241] offset:472
	ds_read_b64 v[0:1], v58
	s_waitcnt lgkmcnt(0)
	v_cmp_neq_f64_e32 vcc, 0, v[0:1]
	s_and_b64 exec, exec, vcc
	s_cbranch_execz .LBB119_134
; %bb.133:
	v_div_scale_f64 v[4:5], s[6:7], v[0:1], v[0:1], 1.0
	v_rcp_f64_e32 v[6:7], v[4:5]
	v_div_scale_f64 v[8:9], vcc, 1.0, v[0:1], 1.0
	v_fma_f64 v[10:11], -v[4:5], v[6:7], 1.0
	v_fmac_f64_e32 v[6:7], v[6:7], v[10:11]
	v_fma_f64 v[10:11], -v[4:5], v[6:7], 1.0
	v_fmac_f64_e32 v[6:7], v[6:7], v[10:11]
	v_mul_f64 v[10:11], v[8:9], v[6:7]
	v_fma_f64 v[4:5], -v[4:5], v[10:11], v[8:9]
	v_div_fmas_f64 v[4:5], v[4:5], v[6:7], v[10:11]
	v_div_fixup_f64 v[0:1], v[4:5], v[0:1], 1.0
	ds_write_b64 v58, v[0:1]
.LBB119_134:
	s_or_b64 exec, exec, s[2:3]
	s_waitcnt lgkmcnt(0)
	s_barrier
	ds_read_b64 v[0:1], v58
	v_cmp_lt_u32_e32 vcc, 26, v60
	s_waitcnt lgkmcnt(0)
	buffer_store_dword v0, off, s[16:19], 0 offset:400 ; 4-byte Folded Spill
	s_nop 0
	buffer_store_dword v1, off, s[16:19], 0 offset:404 ; 4-byte Folded Spill
	s_and_saveexec_b64 s[2:3], vcc
	s_cbranch_execz .LBB119_136
; %bb.135:
	buffer_load_dword v0, off, s[16:19], 0 offset:400 ; 4-byte Folded Reload
	buffer_load_dword v1, off, s[16:19], 0 offset:404 ; 4-byte Folded Reload
	ds_read2_b64 v[4:7], v59 offset0:27 offset1:28
	s_waitcnt vmcnt(0)
	v_mul_f64 v[214:215], v[0:1], v[214:215]
	ds_read_b64 v[0:1], v59 offset:472
	s_waitcnt lgkmcnt(1)
	v_fma_f64 v[154:155], -v[214:215], v[4:5], v[154:155]
	v_fma_f64 v[212:213], -v[214:215], v[6:7], v[212:213]
	ds_read2_b64 v[4:7], v59 offset0:29 offset1:30
	s_waitcnt lgkmcnt(1)
	v_fma_f64 v[240:241], -v[214:215], v[0:1], v[240:241]
	s_waitcnt lgkmcnt(0)
	v_fma_f64 v[152:153], -v[214:215], v[4:5], v[152:153]
	v_fma_f64 v[210:211], -v[214:215], v[6:7], v[210:211]
	ds_read2_b64 v[4:7], v59 offset0:31 offset1:32
	s_waitcnt lgkmcnt(0)
	v_fma_f64 v[150:151], -v[214:215], v[4:5], v[150:151]
	v_fma_f64 v[208:209], -v[214:215], v[6:7], v[208:209]
	ds_read2_b64 v[4:7], v59 offset0:33 offset1:34
	;; [unrolled: 4-line block ×14, first 2 shown]
	s_waitcnt lgkmcnt(0)
	v_fma_f64 v[124:125], -v[214:215], v[4:5], v[124:125]
	v_fma_f64 v[182:183], -v[214:215], v[6:7], v[182:183]
.LBB119_136:
	s_or_b64 exec, exec, s[2:3]
	v_cmp_eq_u32_e32 vcc, 27, v60
	s_waitcnt vmcnt(63) expcnt(7) lgkmcnt(15)
	s_barrier
	s_and_saveexec_b64 s[2:3], vcc
	s_cbranch_execz .LBB119_139
; %bb.137:
	v_mov_b32_e32 v0, v212
	v_mov_b32_e32 v1, v213
	;; [unrolled: 1-line block ×4, first 2 shown]
	ds_write_b64 v58, v[154:155]
	ds_write2_b64 v59, v[0:1], v[4:5] offset0:28 offset1:29
	v_mov_b32_e32 v0, v210
	v_mov_b32_e32 v1, v211
	v_mov_b32_e32 v4, v150
	v_mov_b32_e32 v5, v151
	ds_write2_b64 v59, v[0:1], v[4:5] offset0:30 offset1:31
	v_mov_b32_e32 v0, v208
	v_mov_b32_e32 v1, v209
	v_mov_b32_e32 v4, v148
	v_mov_b32_e32 v5, v149
	;; [unrolled: 5-line block ×13, first 2 shown]
	ds_write2_b64 v59, v[0:1], v[4:5] offset0:54 offset1:55
	v_mov_b32_e32 v0, v184
	v_mov_b32_e32 v1, v185
	s_waitcnt vmcnt(60)
	v_mov_b32_e32 v4, v124
	v_mov_b32_e32 v5, v125
	ds_write2_b64 v59, v[0:1], v[4:5] offset0:56 offset1:57
	s_waitcnt vmcnt(57)
	v_mov_b32_e32 v0, v182
	v_mov_b32_e32 v1, v183
	s_waitcnt vmcnt(54)
	ds_write2_b64 v59, v[0:1], v[240:241] offset0:58 offset1:59
	ds_read_b64 v[0:1], v58
	s_waitcnt lgkmcnt(0)
	v_cmp_neq_f64_e32 vcc, 0, v[0:1]
	s_and_b64 exec, exec, vcc
	s_cbranch_execz .LBB119_139
; %bb.138:
	v_div_scale_f64 v[4:5], s[6:7], v[0:1], v[0:1], 1.0
	v_rcp_f64_e32 v[6:7], v[4:5]
	v_div_scale_f64 v[8:9], vcc, 1.0, v[0:1], 1.0
	v_fma_f64 v[10:11], -v[4:5], v[6:7], 1.0
	v_fmac_f64_e32 v[6:7], v[6:7], v[10:11]
	v_fma_f64 v[10:11], -v[4:5], v[6:7], 1.0
	v_fmac_f64_e32 v[6:7], v[6:7], v[10:11]
	v_mul_f64 v[10:11], v[8:9], v[6:7]
	v_fma_f64 v[4:5], -v[4:5], v[10:11], v[8:9]
	v_div_fmas_f64 v[4:5], v[4:5], v[6:7], v[10:11]
	v_div_fixup_f64 v[0:1], v[4:5], v[0:1], 1.0
	ds_write_b64 v58, v[0:1]
.LBB119_139:
	s_or_b64 exec, exec, s[2:3]
	s_waitcnt lgkmcnt(0)
	s_barrier
	ds_read_b64 v[0:1], v58
	v_cmp_lt_u32_e32 vcc, 27, v60
	s_and_saveexec_b64 s[2:3], vcc
	s_cbranch_execz .LBB119_141
; %bb.140:
	ds_read2_b64 v[4:7], v59 offset0:28 offset1:29
	s_waitcnt lgkmcnt(1)
	v_mul_f64 v[154:155], v[0:1], v[154:155]
	s_waitcnt lgkmcnt(0)
	v_fma_f64 v[212:213], -v[154:155], v[4:5], v[212:213]
	v_fma_f64 v[152:153], -v[154:155], v[6:7], v[152:153]
	ds_read2_b64 v[4:7], v59 offset0:30 offset1:31
	s_waitcnt lgkmcnt(0)
	v_fma_f64 v[210:211], -v[154:155], v[4:5], v[210:211]
	v_fma_f64 v[150:151], -v[154:155], v[6:7], v[150:151]
	ds_read2_b64 v[4:7], v59 offset0:32 offset1:33
	;; [unrolled: 4-line block ×14, first 2 shown]
	s_waitcnt lgkmcnt(0)
	v_fma_f64 v[184:185], -v[154:155], v[4:5], v[184:185]
	s_waitcnt vmcnt(60)
	v_fma_f64 v[124:125], -v[154:155], v[6:7], v[124:125]
	ds_read2_b64 v[4:7], v59 offset0:58 offset1:59
	s_waitcnt vmcnt(57) lgkmcnt(0)
	v_fma_f64 v[182:183], -v[154:155], v[4:5], v[182:183]
	s_waitcnt vmcnt(54)
	v_fma_f64 v[240:241], -v[154:155], v[6:7], v[240:241]
.LBB119_141:
	s_or_b64 exec, exec, s[2:3]
	v_cmp_eq_u32_e32 vcc, 28, v60
	s_waitcnt lgkmcnt(0)
	buffer_store_dword v0, off, s[16:19], 0 offset:448 ; 4-byte Folded Spill
	s_nop 0
	buffer_store_dword v1, off, s[16:19], 0 offset:452 ; 4-byte Folded Spill
	s_waitcnt vmcnt(63) expcnt(7) lgkmcnt(15)
	s_barrier
	s_and_saveexec_b64 s[2:3], vcc
	s_cbranch_execz .LBB119_144
; %bb.142:
	ds_write_b64 v58, v[212:213]
	ds_write2_b64 v59, v[152:153], v[210:211] offset0:29 offset1:30
	ds_write2_b64 v59, v[150:151], v[208:209] offset0:31 offset1:32
	;; [unrolled: 1-line block ×14, first 2 shown]
	s_waitcnt vmcnt(59)
	ds_write2_b64 v59, v[124:125], v[182:183] offset0:57 offset1:58
	s_waitcnt vmcnt(56)
	ds_write_b64 v59, v[240:241] offset:472
	ds_read_b64 v[0:1], v58
	s_waitcnt lgkmcnt(0)
	v_cmp_neq_f64_e32 vcc, 0, v[0:1]
	s_and_b64 exec, exec, vcc
	s_cbranch_execz .LBB119_144
; %bb.143:
	v_div_scale_f64 v[4:5], s[6:7], v[0:1], v[0:1], 1.0
	v_rcp_f64_e32 v[6:7], v[4:5]
	v_div_scale_f64 v[8:9], vcc, 1.0, v[0:1], 1.0
	v_fma_f64 v[10:11], -v[4:5], v[6:7], 1.0
	v_fmac_f64_e32 v[6:7], v[6:7], v[10:11]
	v_fma_f64 v[10:11], -v[4:5], v[6:7], 1.0
	v_fmac_f64_e32 v[6:7], v[6:7], v[10:11]
	v_mul_f64 v[10:11], v[8:9], v[6:7]
	v_fma_f64 v[4:5], -v[4:5], v[10:11], v[8:9]
	v_div_fmas_f64 v[4:5], v[4:5], v[6:7], v[10:11]
	v_div_fixup_f64 v[0:1], v[4:5], v[0:1], 1.0
	ds_write_b64 v58, v[0:1]
.LBB119_144:
	s_or_b64 exec, exec, s[2:3]
	s_waitcnt lgkmcnt(0)
	s_barrier
	ds_read_b64 v[0:1], v58
	v_cmp_lt_u32_e32 vcc, 28, v60
	s_waitcnt lgkmcnt(0)
	buffer_store_dword v0, off, s[16:19], 0 offset:408 ; 4-byte Folded Spill
	s_nop 0
	buffer_store_dword v1, off, s[16:19], 0 offset:412 ; 4-byte Folded Spill
	s_and_saveexec_b64 s[2:3], vcc
	s_cbranch_execz .LBB119_146
; %bb.145:
	buffer_load_dword v0, off, s[16:19], 0 offset:408 ; 4-byte Folded Reload
	buffer_load_dword v1, off, s[16:19], 0 offset:412 ; 4-byte Folded Reload
	ds_read2_b64 v[4:7], v59 offset0:29 offset1:30
	s_waitcnt vmcnt(0)
	v_mul_f64 v[212:213], v[0:1], v[212:213]
	ds_read_b64 v[0:1], v59 offset:472
	s_waitcnt lgkmcnt(1)
	v_fma_f64 v[152:153], -v[212:213], v[4:5], v[152:153]
	v_fma_f64 v[210:211], -v[212:213], v[6:7], v[210:211]
	ds_read2_b64 v[4:7], v59 offset0:31 offset1:32
	s_waitcnt lgkmcnt(1)
	v_fma_f64 v[240:241], -v[212:213], v[0:1], v[240:241]
	s_waitcnt lgkmcnt(0)
	v_fma_f64 v[150:151], -v[212:213], v[4:5], v[150:151]
	v_fma_f64 v[208:209], -v[212:213], v[6:7], v[208:209]
	ds_read2_b64 v[4:7], v59 offset0:33 offset1:34
	s_waitcnt lgkmcnt(0)
	v_fma_f64 v[148:149], -v[212:213], v[4:5], v[148:149]
	v_fma_f64 v[206:207], -v[212:213], v[6:7], v[206:207]
	ds_read2_b64 v[4:7], v59 offset0:35 offset1:36
	;; [unrolled: 4-line block ×13, first 2 shown]
	s_waitcnt lgkmcnt(0)
	v_fma_f64 v[124:125], -v[212:213], v[4:5], v[124:125]
	v_fma_f64 v[182:183], -v[212:213], v[6:7], v[182:183]
.LBB119_146:
	s_or_b64 exec, exec, s[2:3]
	v_cmp_eq_u32_e32 vcc, 29, v60
	s_waitcnt vmcnt(63) expcnt(7) lgkmcnt(15)
	s_barrier
	s_and_saveexec_b64 s[2:3], vcc
	s_cbranch_execz .LBB119_149
; %bb.147:
	v_mov_b32_e32 v0, v210
	v_mov_b32_e32 v1, v211
	;; [unrolled: 1-line block ×4, first 2 shown]
	ds_write_b64 v58, v[152:153]
	ds_write2_b64 v59, v[0:1], v[4:5] offset0:30 offset1:31
	v_mov_b32_e32 v0, v208
	v_mov_b32_e32 v1, v209
	v_mov_b32_e32 v4, v148
	v_mov_b32_e32 v5, v149
	ds_write2_b64 v59, v[0:1], v[4:5] offset0:32 offset1:33
	v_mov_b32_e32 v0, v206
	v_mov_b32_e32 v1, v207
	v_mov_b32_e32 v4, v146
	v_mov_b32_e32 v5, v147
	ds_write2_b64 v59, v[0:1], v[4:5] offset0:34 offset1:35
	v_mov_b32_e32 v0, v204
	v_mov_b32_e32 v1, v205
	v_mov_b32_e32 v4, v144
	v_mov_b32_e32 v5, v145
	ds_write2_b64 v59, v[0:1], v[4:5] offset0:36 offset1:37
	v_mov_b32_e32 v0, v202
	v_mov_b32_e32 v1, v203
	v_mov_b32_e32 v4, v142
	v_mov_b32_e32 v5, v143
	ds_write2_b64 v59, v[0:1], v[4:5] offset0:38 offset1:39
	v_mov_b32_e32 v0, v200
	v_mov_b32_e32 v1, v201
	v_mov_b32_e32 v4, v140
	v_mov_b32_e32 v5, v141
	ds_write2_b64 v59, v[0:1], v[4:5] offset0:40 offset1:41
	v_mov_b32_e32 v0, v198
	v_mov_b32_e32 v1, v199
	v_mov_b32_e32 v4, v138
	v_mov_b32_e32 v5, v139
	ds_write2_b64 v59, v[0:1], v[4:5] offset0:42 offset1:43
	v_mov_b32_e32 v0, v196
	v_mov_b32_e32 v1, v197
	v_mov_b32_e32 v4, v136
	v_mov_b32_e32 v5, v137
	ds_write2_b64 v59, v[0:1], v[4:5] offset0:44 offset1:45
	v_mov_b32_e32 v0, v194
	v_mov_b32_e32 v1, v195
	v_mov_b32_e32 v4, v134
	v_mov_b32_e32 v5, v135
	ds_write2_b64 v59, v[0:1], v[4:5] offset0:46 offset1:47
	v_mov_b32_e32 v0, v192
	v_mov_b32_e32 v1, v193
	v_mov_b32_e32 v4, v132
	v_mov_b32_e32 v5, v133
	ds_write2_b64 v59, v[0:1], v[4:5] offset0:48 offset1:49
	v_mov_b32_e32 v0, v190
	v_mov_b32_e32 v1, v191
	v_mov_b32_e32 v4, v130
	v_mov_b32_e32 v5, v131
	ds_write2_b64 v59, v[0:1], v[4:5] offset0:50 offset1:51
	v_mov_b32_e32 v0, v188
	v_mov_b32_e32 v1, v189
	v_mov_b32_e32 v4, v128
	v_mov_b32_e32 v5, v129
	ds_write2_b64 v59, v[0:1], v[4:5] offset0:52 offset1:53
	v_mov_b32_e32 v0, v186
	v_mov_b32_e32 v1, v187
	v_mov_b32_e32 v4, v126
	v_mov_b32_e32 v5, v127
	ds_write2_b64 v59, v[0:1], v[4:5] offset0:54 offset1:55
	v_mov_b32_e32 v0, v184
	v_mov_b32_e32 v1, v185
	v_mov_b32_e32 v4, v124
	v_mov_b32_e32 v5, v125
	ds_write2_b64 v59, v[0:1], v[4:5] offset0:56 offset1:57
	s_waitcnt vmcnt(61)
	v_mov_b32_e32 v0, v182
	v_mov_b32_e32 v1, v183
	s_waitcnt vmcnt(58)
	ds_write2_b64 v59, v[0:1], v[240:241] offset0:58 offset1:59
	ds_read_b64 v[0:1], v58
	s_waitcnt lgkmcnt(0)
	v_cmp_neq_f64_e32 vcc, 0, v[0:1]
	s_and_b64 exec, exec, vcc
	s_cbranch_execz .LBB119_149
; %bb.148:
	v_div_scale_f64 v[4:5], s[6:7], v[0:1], v[0:1], 1.0
	v_rcp_f64_e32 v[6:7], v[4:5]
	v_div_scale_f64 v[8:9], vcc, 1.0, v[0:1], 1.0
	v_fma_f64 v[10:11], -v[4:5], v[6:7], 1.0
	v_fmac_f64_e32 v[6:7], v[6:7], v[10:11]
	v_fma_f64 v[10:11], -v[4:5], v[6:7], 1.0
	v_fmac_f64_e32 v[6:7], v[6:7], v[10:11]
	v_mul_f64 v[10:11], v[8:9], v[6:7]
	v_fma_f64 v[4:5], -v[4:5], v[10:11], v[8:9]
	v_div_fmas_f64 v[4:5], v[4:5], v[6:7], v[10:11]
	v_div_fixup_f64 v[0:1], v[4:5], v[0:1], 1.0
	ds_write_b64 v58, v[0:1]
.LBB119_149:
	s_or_b64 exec, exec, s[2:3]
	s_waitcnt lgkmcnt(0)
	s_barrier
	ds_read_b64 v[0:1], v58
	v_cmp_lt_u32_e32 vcc, 29, v60
	s_and_saveexec_b64 s[2:3], vcc
	s_cbranch_execz .LBB119_151
; %bb.150:
	ds_read2_b64 v[4:7], v59 offset0:30 offset1:31
	s_waitcnt lgkmcnt(1)
	v_mul_f64 v[152:153], v[0:1], v[152:153]
	s_waitcnt lgkmcnt(0)
	v_fma_f64 v[210:211], -v[152:153], v[4:5], v[210:211]
	v_fma_f64 v[150:151], -v[152:153], v[6:7], v[150:151]
	ds_read2_b64 v[4:7], v59 offset0:32 offset1:33
	s_waitcnt lgkmcnt(0)
	v_fma_f64 v[208:209], -v[152:153], v[4:5], v[208:209]
	v_fma_f64 v[148:149], -v[152:153], v[6:7], v[148:149]
	ds_read2_b64 v[4:7], v59 offset0:34 offset1:35
	;; [unrolled: 4-line block ×14, first 2 shown]
	s_waitcnt vmcnt(61) lgkmcnt(0)
	v_fma_f64 v[182:183], -v[152:153], v[4:5], v[182:183]
	s_waitcnt vmcnt(58)
	v_fma_f64 v[240:241], -v[152:153], v[6:7], v[240:241]
.LBB119_151:
	s_or_b64 exec, exec, s[2:3]
	v_cmp_eq_u32_e32 vcc, 30, v60
	s_waitcnt lgkmcnt(0)
	buffer_store_dword v0, off, s[16:19], 0 offset:456 ; 4-byte Folded Spill
	s_nop 0
	buffer_store_dword v1, off, s[16:19], 0 offset:460 ; 4-byte Folded Spill
	s_waitcnt vmcnt(63) expcnt(7) lgkmcnt(15)
	s_barrier
	s_and_saveexec_b64 s[2:3], vcc
	s_cbranch_execz .LBB119_154
; %bb.152:
	ds_write_b64 v58, v[210:211]
	ds_write2_b64 v59, v[150:151], v[208:209] offset0:31 offset1:32
	ds_write2_b64 v59, v[148:149], v[206:207] offset0:33 offset1:34
	;; [unrolled: 1-line block ×14, first 2 shown]
	s_waitcnt vmcnt(60)
	ds_write_b64 v59, v[240:241] offset:472
	ds_read_b64 v[0:1], v58
	s_waitcnt lgkmcnt(0)
	v_cmp_neq_f64_e32 vcc, 0, v[0:1]
	s_and_b64 exec, exec, vcc
	s_cbranch_execz .LBB119_154
; %bb.153:
	v_div_scale_f64 v[4:5], s[6:7], v[0:1], v[0:1], 1.0
	v_rcp_f64_e32 v[6:7], v[4:5]
	v_div_scale_f64 v[8:9], vcc, 1.0, v[0:1], 1.0
	v_fma_f64 v[10:11], -v[4:5], v[6:7], 1.0
	v_fmac_f64_e32 v[6:7], v[6:7], v[10:11]
	v_fma_f64 v[10:11], -v[4:5], v[6:7], 1.0
	v_fmac_f64_e32 v[6:7], v[6:7], v[10:11]
	v_mul_f64 v[10:11], v[8:9], v[6:7]
	v_fma_f64 v[4:5], -v[4:5], v[10:11], v[8:9]
	v_div_fmas_f64 v[4:5], v[4:5], v[6:7], v[10:11]
	v_div_fixup_f64 v[0:1], v[4:5], v[0:1], 1.0
	ds_write_b64 v58, v[0:1]
.LBB119_154:
	s_or_b64 exec, exec, s[2:3]
	s_waitcnt lgkmcnt(0)
	s_barrier
	ds_read_b64 v[0:1], v58
	v_cmp_lt_u32_e32 vcc, 30, v60
	s_waitcnt lgkmcnt(0)
	buffer_store_dword v0, off, s[16:19], 0 offset:416 ; 4-byte Folded Spill
	s_nop 0
	buffer_store_dword v1, off, s[16:19], 0 offset:420 ; 4-byte Folded Spill
	s_and_saveexec_b64 s[2:3], vcc
	s_cbranch_execz .LBB119_156
; %bb.155:
	buffer_load_dword v0, off, s[16:19], 0 offset:416 ; 4-byte Folded Reload
	buffer_load_dword v1, off, s[16:19], 0 offset:420 ; 4-byte Folded Reload
	ds_read2_b64 v[4:7], v59 offset0:31 offset1:32
	s_waitcnt vmcnt(0)
	v_mul_f64 v[210:211], v[0:1], v[210:211]
	ds_read_b64 v[0:1], v59 offset:472
	s_waitcnt lgkmcnt(1)
	v_fma_f64 v[150:151], -v[210:211], v[4:5], v[150:151]
	v_fma_f64 v[208:209], -v[210:211], v[6:7], v[208:209]
	ds_read2_b64 v[4:7], v59 offset0:33 offset1:34
	s_waitcnt lgkmcnt(1)
	v_fma_f64 v[240:241], -v[210:211], v[0:1], v[240:241]
	s_waitcnt lgkmcnt(0)
	v_fma_f64 v[148:149], -v[210:211], v[4:5], v[148:149]
	v_fma_f64 v[206:207], -v[210:211], v[6:7], v[206:207]
	ds_read2_b64 v[4:7], v59 offset0:35 offset1:36
	s_waitcnt lgkmcnt(0)
	v_fma_f64 v[146:147], -v[210:211], v[4:5], v[146:147]
	v_fma_f64 v[204:205], -v[210:211], v[6:7], v[204:205]
	ds_read2_b64 v[4:7], v59 offset0:37 offset1:38
	;; [unrolled: 4-line block ×12, first 2 shown]
	s_waitcnt lgkmcnt(0)
	v_fma_f64 v[124:125], -v[210:211], v[4:5], v[124:125]
	v_fma_f64 v[182:183], -v[210:211], v[6:7], v[182:183]
.LBB119_156:
	s_or_b64 exec, exec, s[2:3]
	v_cmp_eq_u32_e32 vcc, 31, v60
	s_waitcnt vmcnt(63) expcnt(7) lgkmcnt(15)
	s_barrier
	s_and_saveexec_b64 s[2:3], vcc
	s_cbranch_execz .LBB119_159
; %bb.157:
	v_mov_b32_e32 v0, v208
	v_mov_b32_e32 v1, v209
	;; [unrolled: 1-line block ×4, first 2 shown]
	ds_write_b64 v58, v[150:151]
	ds_write2_b64 v59, v[0:1], v[4:5] offset0:32 offset1:33
	v_mov_b32_e32 v0, v206
	v_mov_b32_e32 v1, v207
	v_mov_b32_e32 v4, v146
	v_mov_b32_e32 v5, v147
	ds_write2_b64 v59, v[0:1], v[4:5] offset0:34 offset1:35
	v_mov_b32_e32 v0, v204
	v_mov_b32_e32 v1, v205
	v_mov_b32_e32 v4, v144
	v_mov_b32_e32 v5, v145
	;; [unrolled: 5-line block ×12, first 2 shown]
	ds_write2_b64 v59, v[0:1], v[4:5] offset0:56 offset1:57
	v_mov_b32_e32 v0, v182
	v_mov_b32_e32 v1, v183
	s_waitcnt vmcnt(62)
	ds_write2_b64 v59, v[0:1], v[240:241] offset0:58 offset1:59
	ds_read_b64 v[0:1], v58
	s_waitcnt lgkmcnt(0)
	v_cmp_neq_f64_e32 vcc, 0, v[0:1]
	s_and_b64 exec, exec, vcc
	s_cbranch_execz .LBB119_159
; %bb.158:
	v_div_scale_f64 v[4:5], s[6:7], v[0:1], v[0:1], 1.0
	v_rcp_f64_e32 v[6:7], v[4:5]
	v_div_scale_f64 v[8:9], vcc, 1.0, v[0:1], 1.0
	v_fma_f64 v[10:11], -v[4:5], v[6:7], 1.0
	v_fmac_f64_e32 v[6:7], v[6:7], v[10:11]
	v_fma_f64 v[10:11], -v[4:5], v[6:7], 1.0
	v_fmac_f64_e32 v[6:7], v[6:7], v[10:11]
	v_mul_f64 v[10:11], v[8:9], v[6:7]
	v_fma_f64 v[4:5], -v[4:5], v[10:11], v[8:9]
	v_div_fmas_f64 v[4:5], v[4:5], v[6:7], v[10:11]
	v_div_fixup_f64 v[0:1], v[4:5], v[0:1], 1.0
	ds_write_b64 v58, v[0:1]
.LBB119_159:
	s_or_b64 exec, exec, s[2:3]
	s_waitcnt lgkmcnt(0)
	s_barrier
	ds_read_b64 v[0:1], v58
	v_cmp_lt_u32_e32 vcc, 31, v60
	s_waitcnt lgkmcnt(0)
	buffer_store_dword v0, off, s[16:19], 0 offset:424 ; 4-byte Folded Spill
	s_nop 0
	buffer_store_dword v1, off, s[16:19], 0 offset:428 ; 4-byte Folded Spill
	s_and_saveexec_b64 s[2:3], vcc
	s_cbranch_execz .LBB119_161
; %bb.160:
	buffer_load_dword v0, off, s[16:19], 0 offset:424 ; 4-byte Folded Reload
	buffer_load_dword v1, off, s[16:19], 0 offset:428 ; 4-byte Folded Reload
	ds_read2_b64 v[4:7], v59 offset0:32 offset1:33
	s_waitcnt vmcnt(0)
	v_mul_f64 v[150:151], v[0:1], v[150:151]
	s_waitcnt lgkmcnt(0)
	v_fma_f64 v[208:209], -v[150:151], v[4:5], v[208:209]
	v_fma_f64 v[148:149], -v[150:151], v[6:7], v[148:149]
	ds_read2_b64 v[4:7], v59 offset0:34 offset1:35
	s_waitcnt lgkmcnt(0)
	v_fma_f64 v[206:207], -v[150:151], v[4:5], v[206:207]
	v_fma_f64 v[146:147], -v[150:151], v[6:7], v[146:147]
	ds_read2_b64 v[4:7], v59 offset0:36 offset1:37
	;; [unrolled: 4-line block ×13, first 2 shown]
	s_waitcnt lgkmcnt(0)
	v_fma_f64 v[182:183], -v[150:151], v[4:5], v[182:183]
	v_fma_f64 v[240:241], -v[150:151], v[6:7], v[240:241]
.LBB119_161:
	s_or_b64 exec, exec, s[2:3]
	v_cmp_eq_u32_e32 vcc, 32, v60
	s_waitcnt vmcnt(63) expcnt(7) lgkmcnt(15)
	s_barrier
	s_and_saveexec_b64 s[2:3], vcc
	s_cbranch_execz .LBB119_164
; %bb.162:
	ds_write_b64 v58, v[208:209]
	ds_write2_b64 v59, v[148:149], v[206:207] offset0:33 offset1:34
	ds_write2_b64 v59, v[146:147], v[204:205] offset0:35 offset1:36
	;; [unrolled: 1-line block ×13, first 2 shown]
	ds_write_b64 v59, v[240:241] offset:472
	ds_read_b64 v[4:5], v58
	s_waitcnt lgkmcnt(0)
	v_cmp_neq_f64_e32 vcc, 0, v[4:5]
	s_and_b64 exec, exec, vcc
	s_cbranch_execz .LBB119_164
; %bb.163:
	v_div_scale_f64 v[6:7], s[6:7], v[4:5], v[4:5], 1.0
	v_rcp_f64_e32 v[8:9], v[6:7]
	v_div_scale_f64 v[10:11], vcc, 1.0, v[4:5], 1.0
	v_fma_f64 v[12:13], -v[6:7], v[8:9], 1.0
	v_fmac_f64_e32 v[8:9], v[8:9], v[12:13]
	v_fma_f64 v[12:13], -v[6:7], v[8:9], 1.0
	v_fmac_f64_e32 v[8:9], v[8:9], v[12:13]
	v_mul_f64 v[12:13], v[10:11], v[8:9]
	v_fma_f64 v[6:7], -v[6:7], v[12:13], v[10:11]
	v_div_fmas_f64 v[6:7], v[6:7], v[8:9], v[12:13]
	v_div_fixup_f64 v[4:5], v[6:7], v[4:5], 1.0
	ds_write_b64 v58, v[4:5]
.LBB119_164:
	s_or_b64 exec, exec, s[2:3]
	s_waitcnt lgkmcnt(0)
	s_barrier
	ds_read_b64 v[4:5], v58
	v_cmp_lt_u32_e32 vcc, 32, v60
	s_and_saveexec_b64 s[2:3], vcc
	s_cbranch_execz .LBB119_166
; %bb.165:
	ds_read2_b64 v[6:9], v59 offset0:33 offset1:34
	s_waitcnt lgkmcnt(1)
	v_mul_f64 v[208:209], v[4:5], v[208:209]
	s_waitcnt lgkmcnt(0)
	v_fma_f64 v[148:149], -v[208:209], v[6:7], v[148:149]
	v_fma_f64 v[206:207], -v[208:209], v[8:9], v[206:207]
	ds_read2_b64 v[6:9], v59 offset0:35 offset1:36
	s_waitcnt lgkmcnt(0)
	v_fma_f64 v[146:147], -v[208:209], v[6:7], v[146:147]
	v_fma_f64 v[204:205], -v[208:209], v[8:9], v[204:205]
	ds_read2_b64 v[6:9], v59 offset0:37 offset1:38
	;; [unrolled: 4-line block ×12, first 2 shown]
	s_waitcnt lgkmcnt(0)
	v_fma_f64 v[124:125], -v[208:209], v[6:7], v[124:125]
	ds_read_b64 v[6:7], v59 offset:472
	v_fma_f64 v[182:183], -v[208:209], v[8:9], v[182:183]
	s_waitcnt lgkmcnt(0)
	v_fma_f64 v[240:241], -v[208:209], v[6:7], v[240:241]
.LBB119_166:
	s_or_b64 exec, exec, s[2:3]
	v_cmp_eq_u32_e32 vcc, 33, v60
	s_waitcnt lgkmcnt(0)
	s_barrier
	s_and_saveexec_b64 s[2:3], vcc
	s_cbranch_execz .LBB119_169
; %bb.167:
	v_mov_b32_e32 v6, v206
	v_mov_b32_e32 v7, v207
	;; [unrolled: 1-line block ×4, first 2 shown]
	ds_write_b64 v58, v[148:149]
	ds_write2_b64 v59, v[6:7], v[8:9] offset0:34 offset1:35
	v_mov_b32_e32 v6, v204
	v_mov_b32_e32 v7, v205
	v_mov_b32_e32 v8, v144
	v_mov_b32_e32 v9, v145
	ds_write2_b64 v59, v[6:7], v[8:9] offset0:36 offset1:37
	v_mov_b32_e32 v6, v202
	v_mov_b32_e32 v7, v203
	v_mov_b32_e32 v8, v142
	v_mov_b32_e32 v9, v143
	;; [unrolled: 5-line block ×11, first 2 shown]
	ds_write2_b64 v59, v[6:7], v[8:9] offset0:56 offset1:57
	v_mov_b32_e32 v6, v182
	v_mov_b32_e32 v7, v183
	ds_write2_b64 v59, v[6:7], v[240:241] offset0:58 offset1:59
	ds_read_b64 v[6:7], v58
	s_waitcnt lgkmcnt(0)
	v_cmp_neq_f64_e32 vcc, 0, v[6:7]
	s_and_b64 exec, exec, vcc
	s_cbranch_execz .LBB119_169
; %bb.168:
	v_div_scale_f64 v[8:9], s[6:7], v[6:7], v[6:7], 1.0
	v_rcp_f64_e32 v[10:11], v[8:9]
	v_div_scale_f64 v[12:13], vcc, 1.0, v[6:7], 1.0
	v_fma_f64 v[14:15], -v[8:9], v[10:11], 1.0
	v_fmac_f64_e32 v[10:11], v[10:11], v[14:15]
	v_fma_f64 v[14:15], -v[8:9], v[10:11], 1.0
	v_fmac_f64_e32 v[10:11], v[10:11], v[14:15]
	v_mul_f64 v[14:15], v[12:13], v[10:11]
	v_fma_f64 v[8:9], -v[8:9], v[14:15], v[12:13]
	v_div_fmas_f64 v[8:9], v[8:9], v[10:11], v[14:15]
	v_div_fixup_f64 v[6:7], v[8:9], v[6:7], 1.0
	ds_write_b64 v58, v[6:7]
.LBB119_169:
	s_or_b64 exec, exec, s[2:3]
	s_waitcnt lgkmcnt(0)
	s_barrier
	ds_read_b64 v[6:7], v58
	v_cmp_lt_u32_e32 vcc, 33, v60
	s_and_saveexec_b64 s[2:3], vcc
	s_cbranch_execz .LBB119_171
; %bb.170:
	ds_read2_b64 v[8:11], v59 offset0:34 offset1:35
	s_waitcnt lgkmcnt(1)
	v_mul_f64 v[148:149], v[6:7], v[148:149]
	s_waitcnt lgkmcnt(0)
	v_fma_f64 v[206:207], -v[148:149], v[8:9], v[206:207]
	v_fma_f64 v[146:147], -v[148:149], v[10:11], v[146:147]
	ds_read2_b64 v[8:11], v59 offset0:36 offset1:37
	s_waitcnt lgkmcnt(0)
	v_fma_f64 v[204:205], -v[148:149], v[8:9], v[204:205]
	v_fma_f64 v[144:145], -v[148:149], v[10:11], v[144:145]
	ds_read2_b64 v[8:11], v59 offset0:38 offset1:39
	;; [unrolled: 4-line block ×12, first 2 shown]
	s_waitcnt lgkmcnt(0)
	v_fma_f64 v[182:183], -v[148:149], v[8:9], v[182:183]
	v_fma_f64 v[240:241], -v[148:149], v[10:11], v[240:241]
.LBB119_171:
	s_or_b64 exec, exec, s[2:3]
	v_cmp_eq_u32_e32 vcc, 34, v60
	s_waitcnt lgkmcnt(0)
	s_barrier
	s_and_saveexec_b64 s[2:3], vcc
	s_cbranch_execz .LBB119_174
; %bb.172:
	ds_write_b64 v58, v[206:207]
	ds_write2_b64 v59, v[146:147], v[204:205] offset0:35 offset1:36
	ds_write2_b64 v59, v[144:145], v[202:203] offset0:37 offset1:38
	;; [unrolled: 1-line block ×12, first 2 shown]
	ds_write_b64 v59, v[240:241] offset:472
	ds_read_b64 v[8:9], v58
	s_waitcnt lgkmcnt(0)
	v_cmp_neq_f64_e32 vcc, 0, v[8:9]
	s_and_b64 exec, exec, vcc
	s_cbranch_execz .LBB119_174
; %bb.173:
	v_div_scale_f64 v[10:11], s[6:7], v[8:9], v[8:9], 1.0
	v_rcp_f64_e32 v[12:13], v[10:11]
	v_div_scale_f64 v[14:15], vcc, 1.0, v[8:9], 1.0
	v_fma_f64 v[16:17], -v[10:11], v[12:13], 1.0
	v_fmac_f64_e32 v[12:13], v[12:13], v[16:17]
	v_fma_f64 v[16:17], -v[10:11], v[12:13], 1.0
	v_fmac_f64_e32 v[12:13], v[12:13], v[16:17]
	v_mul_f64 v[16:17], v[14:15], v[12:13]
	v_fma_f64 v[10:11], -v[10:11], v[16:17], v[14:15]
	v_div_fmas_f64 v[10:11], v[10:11], v[12:13], v[16:17]
	v_div_fixup_f64 v[8:9], v[10:11], v[8:9], 1.0
	ds_write_b64 v58, v[8:9]
.LBB119_174:
	s_or_b64 exec, exec, s[2:3]
	s_waitcnt lgkmcnt(0)
	s_barrier
	ds_read_b64 v[8:9], v58
	v_cmp_lt_u32_e32 vcc, 34, v60
	s_and_saveexec_b64 s[2:3], vcc
	s_cbranch_execz .LBB119_176
; %bb.175:
	ds_read2_b64 v[10:13], v59 offset0:35 offset1:36
	s_waitcnt lgkmcnt(1)
	v_mul_f64 v[206:207], v[8:9], v[206:207]
	s_waitcnt lgkmcnt(0)
	v_fma_f64 v[146:147], -v[206:207], v[10:11], v[146:147]
	v_fma_f64 v[204:205], -v[206:207], v[12:13], v[204:205]
	ds_read2_b64 v[10:13], v59 offset0:37 offset1:38
	s_waitcnt lgkmcnt(0)
	v_fma_f64 v[144:145], -v[206:207], v[10:11], v[144:145]
	v_fma_f64 v[202:203], -v[206:207], v[12:13], v[202:203]
	ds_read2_b64 v[10:13], v59 offset0:39 offset1:40
	;; [unrolled: 4-line block ×11, first 2 shown]
	s_waitcnt lgkmcnt(0)
	v_fma_f64 v[124:125], -v[206:207], v[10:11], v[124:125]
	ds_read_b64 v[10:11], v59 offset:472
	v_fma_f64 v[182:183], -v[206:207], v[12:13], v[182:183]
	s_waitcnt lgkmcnt(0)
	v_fma_f64 v[240:241], -v[206:207], v[10:11], v[240:241]
.LBB119_176:
	s_or_b64 exec, exec, s[2:3]
	v_cmp_eq_u32_e32 vcc, 35, v60
	s_waitcnt lgkmcnt(0)
	s_barrier
	s_and_saveexec_b64 s[2:3], vcc
	s_cbranch_execz .LBB119_179
; %bb.177:
	v_mov_b32_e32 v10, v204
	v_mov_b32_e32 v11, v205
	;; [unrolled: 1-line block ×4, first 2 shown]
	ds_write_b64 v58, v[146:147]
	ds_write2_b64 v59, v[10:11], v[12:13] offset0:36 offset1:37
	v_mov_b32_e32 v10, v202
	v_mov_b32_e32 v11, v203
	v_mov_b32_e32 v12, v142
	v_mov_b32_e32 v13, v143
	ds_write2_b64 v59, v[10:11], v[12:13] offset0:38 offset1:39
	v_mov_b32_e32 v10, v200
	v_mov_b32_e32 v11, v201
	v_mov_b32_e32 v12, v140
	v_mov_b32_e32 v13, v141
	;; [unrolled: 5-line block ×10, first 2 shown]
	ds_write2_b64 v59, v[10:11], v[12:13] offset0:56 offset1:57
	v_mov_b32_e32 v10, v182
	v_mov_b32_e32 v11, v183
	ds_write2_b64 v59, v[10:11], v[240:241] offset0:58 offset1:59
	ds_read_b64 v[10:11], v58
	s_waitcnt lgkmcnt(0)
	v_cmp_neq_f64_e32 vcc, 0, v[10:11]
	s_and_b64 exec, exec, vcc
	s_cbranch_execz .LBB119_179
; %bb.178:
	v_div_scale_f64 v[12:13], s[6:7], v[10:11], v[10:11], 1.0
	v_rcp_f64_e32 v[14:15], v[12:13]
	v_div_scale_f64 v[16:17], vcc, 1.0, v[10:11], 1.0
	v_fma_f64 v[18:19], -v[12:13], v[14:15], 1.0
	v_fmac_f64_e32 v[14:15], v[14:15], v[18:19]
	v_fma_f64 v[18:19], -v[12:13], v[14:15], 1.0
	v_fmac_f64_e32 v[14:15], v[14:15], v[18:19]
	v_mul_f64 v[18:19], v[16:17], v[14:15]
	v_fma_f64 v[12:13], -v[12:13], v[18:19], v[16:17]
	v_div_fmas_f64 v[12:13], v[12:13], v[14:15], v[18:19]
	v_div_fixup_f64 v[10:11], v[12:13], v[10:11], 1.0
	ds_write_b64 v58, v[10:11]
.LBB119_179:
	s_or_b64 exec, exec, s[2:3]
	s_waitcnt lgkmcnt(0)
	s_barrier
	ds_read_b64 v[10:11], v58
	v_cmp_lt_u32_e32 vcc, 35, v60
	s_and_saveexec_b64 s[2:3], vcc
	s_cbranch_execz .LBB119_181
; %bb.180:
	ds_read2_b64 v[12:15], v59 offset0:36 offset1:37
	s_waitcnt lgkmcnt(1)
	v_mul_f64 v[146:147], v[10:11], v[146:147]
	s_waitcnt lgkmcnt(0)
	v_fma_f64 v[204:205], -v[146:147], v[12:13], v[204:205]
	v_fma_f64 v[144:145], -v[146:147], v[14:15], v[144:145]
	ds_read2_b64 v[12:15], v59 offset0:38 offset1:39
	s_waitcnt lgkmcnt(0)
	v_fma_f64 v[202:203], -v[146:147], v[12:13], v[202:203]
	v_fma_f64 v[142:143], -v[146:147], v[14:15], v[142:143]
	ds_read2_b64 v[12:15], v59 offset0:40 offset1:41
	;; [unrolled: 4-line block ×11, first 2 shown]
	s_waitcnt lgkmcnt(0)
	v_fma_f64 v[182:183], -v[146:147], v[12:13], v[182:183]
	v_fma_f64 v[240:241], -v[146:147], v[14:15], v[240:241]
.LBB119_181:
	s_or_b64 exec, exec, s[2:3]
	v_cmp_eq_u32_e32 vcc, 36, v60
	s_waitcnt lgkmcnt(0)
	s_barrier
	s_and_saveexec_b64 s[2:3], vcc
	s_cbranch_execz .LBB119_184
; %bb.182:
	ds_write_b64 v58, v[204:205]
	ds_write2_b64 v59, v[144:145], v[202:203] offset0:37 offset1:38
	ds_write2_b64 v59, v[142:143], v[200:201] offset0:39 offset1:40
	;; [unrolled: 1-line block ×11, first 2 shown]
	ds_write_b64 v59, v[240:241] offset:472
	ds_read_b64 v[12:13], v58
	s_waitcnt lgkmcnt(0)
	v_cmp_neq_f64_e32 vcc, 0, v[12:13]
	s_and_b64 exec, exec, vcc
	s_cbranch_execz .LBB119_184
; %bb.183:
	v_div_scale_f64 v[14:15], s[6:7], v[12:13], v[12:13], 1.0
	v_rcp_f64_e32 v[16:17], v[14:15]
	v_div_scale_f64 v[18:19], vcc, 1.0, v[12:13], 1.0
	v_fma_f64 v[20:21], -v[14:15], v[16:17], 1.0
	v_fmac_f64_e32 v[16:17], v[16:17], v[20:21]
	v_fma_f64 v[20:21], -v[14:15], v[16:17], 1.0
	v_fmac_f64_e32 v[16:17], v[16:17], v[20:21]
	v_mul_f64 v[20:21], v[18:19], v[16:17]
	v_fma_f64 v[14:15], -v[14:15], v[20:21], v[18:19]
	v_div_fmas_f64 v[14:15], v[14:15], v[16:17], v[20:21]
	v_div_fixup_f64 v[12:13], v[14:15], v[12:13], 1.0
	ds_write_b64 v58, v[12:13]
.LBB119_184:
	s_or_b64 exec, exec, s[2:3]
	s_waitcnt lgkmcnt(0)
	s_barrier
	ds_read_b64 v[12:13], v58
	v_cmp_lt_u32_e32 vcc, 36, v60
	s_and_saveexec_b64 s[2:3], vcc
	s_cbranch_execz .LBB119_186
; %bb.185:
	ds_read2_b64 v[14:17], v59 offset0:37 offset1:38
	s_waitcnt lgkmcnt(1)
	v_mul_f64 v[204:205], v[12:13], v[204:205]
	s_waitcnt lgkmcnt(0)
	v_fma_f64 v[144:145], -v[204:205], v[14:15], v[144:145]
	v_fma_f64 v[202:203], -v[204:205], v[16:17], v[202:203]
	ds_read2_b64 v[14:17], v59 offset0:39 offset1:40
	s_waitcnt lgkmcnt(0)
	v_fma_f64 v[142:143], -v[204:205], v[14:15], v[142:143]
	v_fma_f64 v[200:201], -v[204:205], v[16:17], v[200:201]
	ds_read2_b64 v[14:17], v59 offset0:41 offset1:42
	;; [unrolled: 4-line block ×10, first 2 shown]
	s_waitcnt lgkmcnt(0)
	v_fma_f64 v[124:125], -v[204:205], v[14:15], v[124:125]
	ds_read_b64 v[14:15], v59 offset:472
	v_fma_f64 v[182:183], -v[204:205], v[16:17], v[182:183]
	s_waitcnt lgkmcnt(0)
	v_fma_f64 v[240:241], -v[204:205], v[14:15], v[240:241]
.LBB119_186:
	s_or_b64 exec, exec, s[2:3]
	v_cmp_eq_u32_e32 vcc, 37, v60
	s_waitcnt lgkmcnt(0)
	s_barrier
	s_and_saveexec_b64 s[2:3], vcc
	s_cbranch_execz .LBB119_189
; %bb.187:
	v_mov_b32_e32 v14, v202
	v_mov_b32_e32 v15, v203
	;; [unrolled: 1-line block ×4, first 2 shown]
	ds_write_b64 v58, v[144:145]
	ds_write2_b64 v59, v[14:15], v[16:17] offset0:38 offset1:39
	v_mov_b32_e32 v14, v200
	v_mov_b32_e32 v15, v201
	v_mov_b32_e32 v16, v140
	v_mov_b32_e32 v17, v141
	ds_write2_b64 v59, v[14:15], v[16:17] offset0:40 offset1:41
	v_mov_b32_e32 v14, v198
	v_mov_b32_e32 v15, v199
	v_mov_b32_e32 v16, v138
	v_mov_b32_e32 v17, v139
	ds_write2_b64 v59, v[14:15], v[16:17] offset0:42 offset1:43
	v_mov_b32_e32 v14, v196
	v_mov_b32_e32 v15, v197
	v_mov_b32_e32 v16, v136
	v_mov_b32_e32 v17, v137
	ds_write2_b64 v59, v[14:15], v[16:17] offset0:44 offset1:45
	v_mov_b32_e32 v14, v194
	v_mov_b32_e32 v15, v195
	v_mov_b32_e32 v16, v134
	v_mov_b32_e32 v17, v135
	ds_write2_b64 v59, v[14:15], v[16:17] offset0:46 offset1:47
	v_mov_b32_e32 v14, v192
	v_mov_b32_e32 v15, v193
	v_mov_b32_e32 v16, v132
	v_mov_b32_e32 v17, v133
	ds_write2_b64 v59, v[14:15], v[16:17] offset0:48 offset1:49
	v_mov_b32_e32 v14, v190
	v_mov_b32_e32 v15, v191
	v_mov_b32_e32 v16, v130
	v_mov_b32_e32 v17, v131
	ds_write2_b64 v59, v[14:15], v[16:17] offset0:50 offset1:51
	v_mov_b32_e32 v14, v188
	v_mov_b32_e32 v15, v189
	v_mov_b32_e32 v16, v128
	v_mov_b32_e32 v17, v129
	ds_write2_b64 v59, v[14:15], v[16:17] offset0:52 offset1:53
	v_mov_b32_e32 v14, v186
	v_mov_b32_e32 v15, v187
	v_mov_b32_e32 v16, v126
	v_mov_b32_e32 v17, v127
	ds_write2_b64 v59, v[14:15], v[16:17] offset0:54 offset1:55
	v_mov_b32_e32 v14, v184
	v_mov_b32_e32 v15, v185
	v_mov_b32_e32 v16, v124
	v_mov_b32_e32 v17, v125
	ds_write2_b64 v59, v[14:15], v[16:17] offset0:56 offset1:57
	v_mov_b32_e32 v14, v182
	v_mov_b32_e32 v15, v183
	ds_write2_b64 v59, v[14:15], v[240:241] offset0:58 offset1:59
	ds_read_b64 v[14:15], v58
	s_waitcnt lgkmcnt(0)
	v_cmp_neq_f64_e32 vcc, 0, v[14:15]
	s_and_b64 exec, exec, vcc
	s_cbranch_execz .LBB119_189
; %bb.188:
	v_div_scale_f64 v[16:17], s[6:7], v[14:15], v[14:15], 1.0
	v_rcp_f64_e32 v[18:19], v[16:17]
	v_div_scale_f64 v[20:21], vcc, 1.0, v[14:15], 1.0
	v_fma_f64 v[22:23], -v[16:17], v[18:19], 1.0
	v_fmac_f64_e32 v[18:19], v[18:19], v[22:23]
	v_fma_f64 v[22:23], -v[16:17], v[18:19], 1.0
	v_fmac_f64_e32 v[18:19], v[18:19], v[22:23]
	v_mul_f64 v[22:23], v[20:21], v[18:19]
	v_fma_f64 v[16:17], -v[16:17], v[22:23], v[20:21]
	v_div_fmas_f64 v[16:17], v[16:17], v[18:19], v[22:23]
	v_div_fixup_f64 v[14:15], v[16:17], v[14:15], 1.0
	ds_write_b64 v58, v[14:15]
.LBB119_189:
	s_or_b64 exec, exec, s[2:3]
	s_waitcnt lgkmcnt(0)
	s_barrier
	ds_read_b64 v[14:15], v58
	v_cmp_lt_u32_e32 vcc, 37, v60
	s_and_saveexec_b64 s[2:3], vcc
	s_cbranch_execz .LBB119_191
; %bb.190:
	ds_read2_b64 v[16:19], v59 offset0:38 offset1:39
	s_waitcnt lgkmcnt(1)
	v_mul_f64 v[144:145], v[14:15], v[144:145]
	s_waitcnt lgkmcnt(0)
	v_fma_f64 v[202:203], -v[144:145], v[16:17], v[202:203]
	v_fma_f64 v[142:143], -v[144:145], v[18:19], v[142:143]
	ds_read2_b64 v[16:19], v59 offset0:40 offset1:41
	s_waitcnt lgkmcnt(0)
	v_fma_f64 v[200:201], -v[144:145], v[16:17], v[200:201]
	v_fma_f64 v[140:141], -v[144:145], v[18:19], v[140:141]
	ds_read2_b64 v[16:19], v59 offset0:42 offset1:43
	;; [unrolled: 4-line block ×10, first 2 shown]
	s_waitcnt lgkmcnt(0)
	v_fma_f64 v[182:183], -v[144:145], v[16:17], v[182:183]
	v_fma_f64 v[240:241], -v[144:145], v[18:19], v[240:241]
.LBB119_191:
	s_or_b64 exec, exec, s[2:3]
	v_cmp_eq_u32_e32 vcc, 38, v60
	s_waitcnt lgkmcnt(0)
	s_barrier
	s_and_saveexec_b64 s[2:3], vcc
	s_cbranch_execz .LBB119_194
; %bb.192:
	ds_write_b64 v58, v[202:203]
	ds_write2_b64 v59, v[142:143], v[200:201] offset0:39 offset1:40
	ds_write2_b64 v59, v[140:141], v[198:199] offset0:41 offset1:42
	;; [unrolled: 1-line block ×10, first 2 shown]
	ds_write_b64 v59, v[240:241] offset:472
	ds_read_b64 v[16:17], v58
	s_waitcnt lgkmcnt(0)
	v_cmp_neq_f64_e32 vcc, 0, v[16:17]
	s_and_b64 exec, exec, vcc
	s_cbranch_execz .LBB119_194
; %bb.193:
	v_div_scale_f64 v[18:19], s[6:7], v[16:17], v[16:17], 1.0
	v_rcp_f64_e32 v[20:21], v[18:19]
	v_div_scale_f64 v[22:23], vcc, 1.0, v[16:17], 1.0
	v_fma_f64 v[24:25], -v[18:19], v[20:21], 1.0
	v_fmac_f64_e32 v[20:21], v[20:21], v[24:25]
	v_fma_f64 v[24:25], -v[18:19], v[20:21], 1.0
	v_fmac_f64_e32 v[20:21], v[20:21], v[24:25]
	v_mul_f64 v[24:25], v[22:23], v[20:21]
	v_fma_f64 v[18:19], -v[18:19], v[24:25], v[22:23]
	v_div_fmas_f64 v[18:19], v[18:19], v[20:21], v[24:25]
	v_div_fixup_f64 v[16:17], v[18:19], v[16:17], 1.0
	ds_write_b64 v58, v[16:17]
.LBB119_194:
	s_or_b64 exec, exec, s[2:3]
	s_waitcnt lgkmcnt(0)
	s_barrier
	ds_read_b64 v[16:17], v58
	v_cmp_lt_u32_e32 vcc, 38, v60
	s_and_saveexec_b64 s[2:3], vcc
	s_cbranch_execz .LBB119_196
; %bb.195:
	ds_read2_b64 v[18:21], v59 offset0:39 offset1:40
	s_waitcnt lgkmcnt(1)
	v_mul_f64 v[202:203], v[16:17], v[202:203]
	s_waitcnt lgkmcnt(0)
	v_fma_f64 v[142:143], -v[202:203], v[18:19], v[142:143]
	v_fma_f64 v[200:201], -v[202:203], v[20:21], v[200:201]
	ds_read2_b64 v[18:21], v59 offset0:41 offset1:42
	s_waitcnt lgkmcnt(0)
	v_fma_f64 v[140:141], -v[202:203], v[18:19], v[140:141]
	v_fma_f64 v[198:199], -v[202:203], v[20:21], v[198:199]
	ds_read2_b64 v[18:21], v59 offset0:43 offset1:44
	;; [unrolled: 4-line block ×9, first 2 shown]
	s_waitcnt lgkmcnt(0)
	v_fma_f64 v[124:125], -v[202:203], v[18:19], v[124:125]
	ds_read_b64 v[18:19], v59 offset:472
	v_fma_f64 v[182:183], -v[202:203], v[20:21], v[182:183]
	s_waitcnt lgkmcnt(0)
	v_fma_f64 v[240:241], -v[202:203], v[18:19], v[240:241]
.LBB119_196:
	s_or_b64 exec, exec, s[2:3]
	v_cmp_eq_u32_e32 vcc, 39, v60
	s_waitcnt lgkmcnt(0)
	s_barrier
	s_and_saveexec_b64 s[2:3], vcc
	s_cbranch_execz .LBB119_199
; %bb.197:
	v_mov_b32_e32 v18, v200
	v_mov_b32_e32 v19, v201
	;; [unrolled: 1-line block ×4, first 2 shown]
	ds_write_b64 v58, v[142:143]
	ds_write2_b64 v59, v[18:19], v[20:21] offset0:40 offset1:41
	v_mov_b32_e32 v18, v198
	v_mov_b32_e32 v19, v199
	v_mov_b32_e32 v20, v138
	v_mov_b32_e32 v21, v139
	ds_write2_b64 v59, v[18:19], v[20:21] offset0:42 offset1:43
	v_mov_b32_e32 v18, v196
	v_mov_b32_e32 v19, v197
	v_mov_b32_e32 v20, v136
	v_mov_b32_e32 v21, v137
	ds_write2_b64 v59, v[18:19], v[20:21] offset0:44 offset1:45
	v_mov_b32_e32 v18, v194
	v_mov_b32_e32 v19, v195
	v_mov_b32_e32 v20, v134
	v_mov_b32_e32 v21, v135
	ds_write2_b64 v59, v[18:19], v[20:21] offset0:46 offset1:47
	v_mov_b32_e32 v18, v192
	v_mov_b32_e32 v19, v193
	v_mov_b32_e32 v20, v132
	v_mov_b32_e32 v21, v133
	ds_write2_b64 v59, v[18:19], v[20:21] offset0:48 offset1:49
	v_mov_b32_e32 v18, v190
	v_mov_b32_e32 v19, v191
	v_mov_b32_e32 v20, v130
	v_mov_b32_e32 v21, v131
	ds_write2_b64 v59, v[18:19], v[20:21] offset0:50 offset1:51
	v_mov_b32_e32 v18, v188
	v_mov_b32_e32 v19, v189
	v_mov_b32_e32 v20, v128
	v_mov_b32_e32 v21, v129
	ds_write2_b64 v59, v[18:19], v[20:21] offset0:52 offset1:53
	v_mov_b32_e32 v18, v186
	v_mov_b32_e32 v19, v187
	v_mov_b32_e32 v20, v126
	v_mov_b32_e32 v21, v127
	ds_write2_b64 v59, v[18:19], v[20:21] offset0:54 offset1:55
	v_mov_b32_e32 v18, v184
	v_mov_b32_e32 v19, v185
	v_mov_b32_e32 v20, v124
	v_mov_b32_e32 v21, v125
	ds_write2_b64 v59, v[18:19], v[20:21] offset0:56 offset1:57
	v_mov_b32_e32 v18, v182
	v_mov_b32_e32 v19, v183
	ds_write2_b64 v59, v[18:19], v[240:241] offset0:58 offset1:59
	ds_read_b64 v[18:19], v58
	s_waitcnt lgkmcnt(0)
	v_cmp_neq_f64_e32 vcc, 0, v[18:19]
	s_and_b64 exec, exec, vcc
	s_cbranch_execz .LBB119_199
; %bb.198:
	v_div_scale_f64 v[20:21], s[6:7], v[18:19], v[18:19], 1.0
	v_rcp_f64_e32 v[22:23], v[20:21]
	v_div_scale_f64 v[24:25], vcc, 1.0, v[18:19], 1.0
	v_fma_f64 v[26:27], -v[20:21], v[22:23], 1.0
	v_fmac_f64_e32 v[22:23], v[22:23], v[26:27]
	v_fma_f64 v[26:27], -v[20:21], v[22:23], 1.0
	v_fmac_f64_e32 v[22:23], v[22:23], v[26:27]
	v_mul_f64 v[26:27], v[24:25], v[22:23]
	v_fma_f64 v[20:21], -v[20:21], v[26:27], v[24:25]
	v_div_fmas_f64 v[20:21], v[20:21], v[22:23], v[26:27]
	v_div_fixup_f64 v[18:19], v[20:21], v[18:19], 1.0
	ds_write_b64 v58, v[18:19]
.LBB119_199:
	s_or_b64 exec, exec, s[2:3]
	s_waitcnt lgkmcnt(0)
	s_barrier
	ds_read_b64 v[18:19], v58
	v_cmp_lt_u32_e32 vcc, 39, v60
	s_and_saveexec_b64 s[2:3], vcc
	s_cbranch_execz .LBB119_201
; %bb.200:
	ds_read2_b64 v[20:23], v59 offset0:40 offset1:41
	s_waitcnt lgkmcnt(1)
	v_mul_f64 v[142:143], v[18:19], v[142:143]
	s_waitcnt lgkmcnt(0)
	v_fma_f64 v[200:201], -v[142:143], v[20:21], v[200:201]
	v_fma_f64 v[140:141], -v[142:143], v[22:23], v[140:141]
	ds_read2_b64 v[20:23], v59 offset0:42 offset1:43
	s_waitcnt lgkmcnt(0)
	v_fma_f64 v[198:199], -v[142:143], v[20:21], v[198:199]
	v_fma_f64 v[138:139], -v[142:143], v[22:23], v[138:139]
	ds_read2_b64 v[20:23], v59 offset0:44 offset1:45
	;; [unrolled: 4-line block ×9, first 2 shown]
	s_waitcnt lgkmcnt(0)
	v_fma_f64 v[182:183], -v[142:143], v[20:21], v[182:183]
	v_fma_f64 v[240:241], -v[142:143], v[22:23], v[240:241]
.LBB119_201:
	s_or_b64 exec, exec, s[2:3]
	v_cmp_eq_u32_e32 vcc, 40, v60
	s_waitcnt lgkmcnt(0)
	s_barrier
	s_and_saveexec_b64 s[2:3], vcc
	s_cbranch_execz .LBB119_204
; %bb.202:
	ds_write_b64 v58, v[200:201]
	ds_write2_b64 v59, v[140:141], v[198:199] offset0:41 offset1:42
	ds_write2_b64 v59, v[138:139], v[196:197] offset0:43 offset1:44
	;; [unrolled: 1-line block ×9, first 2 shown]
	ds_write_b64 v59, v[240:241] offset:472
	ds_read_b64 v[20:21], v58
	s_waitcnt lgkmcnt(0)
	v_cmp_neq_f64_e32 vcc, 0, v[20:21]
	s_and_b64 exec, exec, vcc
	s_cbranch_execz .LBB119_204
; %bb.203:
	v_div_scale_f64 v[22:23], s[6:7], v[20:21], v[20:21], 1.0
	v_rcp_f64_e32 v[24:25], v[22:23]
	v_div_scale_f64 v[26:27], vcc, 1.0, v[20:21], 1.0
	v_fma_f64 v[28:29], -v[22:23], v[24:25], 1.0
	v_fmac_f64_e32 v[24:25], v[24:25], v[28:29]
	v_fma_f64 v[28:29], -v[22:23], v[24:25], 1.0
	v_fmac_f64_e32 v[24:25], v[24:25], v[28:29]
	v_mul_f64 v[28:29], v[26:27], v[24:25]
	v_fma_f64 v[22:23], -v[22:23], v[28:29], v[26:27]
	v_div_fmas_f64 v[22:23], v[22:23], v[24:25], v[28:29]
	v_div_fixup_f64 v[20:21], v[22:23], v[20:21], 1.0
	ds_write_b64 v58, v[20:21]
.LBB119_204:
	s_or_b64 exec, exec, s[2:3]
	s_waitcnt lgkmcnt(0)
	s_barrier
	ds_read_b64 v[20:21], v58
	v_cmp_lt_u32_e32 vcc, 40, v60
	s_and_saveexec_b64 s[2:3], vcc
	s_cbranch_execz .LBB119_206
; %bb.205:
	ds_read2_b64 v[22:25], v59 offset0:41 offset1:42
	s_waitcnt lgkmcnt(1)
	v_mul_f64 v[200:201], v[20:21], v[200:201]
	s_waitcnt lgkmcnt(0)
	v_fma_f64 v[140:141], -v[200:201], v[22:23], v[140:141]
	v_fma_f64 v[198:199], -v[200:201], v[24:25], v[198:199]
	ds_read2_b64 v[22:25], v59 offset0:43 offset1:44
	s_waitcnt lgkmcnt(0)
	v_fma_f64 v[138:139], -v[200:201], v[22:23], v[138:139]
	v_fma_f64 v[196:197], -v[200:201], v[24:25], v[196:197]
	ds_read2_b64 v[22:25], v59 offset0:45 offset1:46
	;; [unrolled: 4-line block ×8, first 2 shown]
	s_waitcnt lgkmcnt(0)
	v_fma_f64 v[124:125], -v[200:201], v[22:23], v[124:125]
	ds_read_b64 v[22:23], v59 offset:472
	v_fma_f64 v[182:183], -v[200:201], v[24:25], v[182:183]
	s_waitcnt lgkmcnt(0)
	v_fma_f64 v[240:241], -v[200:201], v[22:23], v[240:241]
.LBB119_206:
	s_or_b64 exec, exec, s[2:3]
	v_cmp_eq_u32_e32 vcc, 41, v60
	s_waitcnt lgkmcnt(0)
	s_barrier
	s_and_saveexec_b64 s[2:3], vcc
	s_cbranch_execz .LBB119_209
; %bb.207:
	v_mov_b32_e32 v22, v198
	v_mov_b32_e32 v23, v199
	;; [unrolled: 1-line block ×4, first 2 shown]
	ds_write_b64 v58, v[140:141]
	ds_write2_b64 v59, v[22:23], v[24:25] offset0:42 offset1:43
	v_mov_b32_e32 v22, v196
	v_mov_b32_e32 v23, v197
	v_mov_b32_e32 v24, v136
	v_mov_b32_e32 v25, v137
	ds_write2_b64 v59, v[22:23], v[24:25] offset0:44 offset1:45
	v_mov_b32_e32 v22, v194
	v_mov_b32_e32 v23, v195
	v_mov_b32_e32 v24, v134
	v_mov_b32_e32 v25, v135
	;; [unrolled: 5-line block ×7, first 2 shown]
	ds_write2_b64 v59, v[22:23], v[24:25] offset0:56 offset1:57
	v_mov_b32_e32 v22, v182
	v_mov_b32_e32 v23, v183
	ds_write2_b64 v59, v[22:23], v[240:241] offset0:58 offset1:59
	ds_read_b64 v[22:23], v58
	s_waitcnt lgkmcnt(0)
	v_cmp_neq_f64_e32 vcc, 0, v[22:23]
	s_and_b64 exec, exec, vcc
	s_cbranch_execz .LBB119_209
; %bb.208:
	v_div_scale_f64 v[24:25], s[6:7], v[22:23], v[22:23], 1.0
	v_rcp_f64_e32 v[26:27], v[24:25]
	v_div_scale_f64 v[28:29], vcc, 1.0, v[22:23], 1.0
	v_fma_f64 v[30:31], -v[24:25], v[26:27], 1.0
	v_fmac_f64_e32 v[26:27], v[26:27], v[30:31]
	v_fma_f64 v[30:31], -v[24:25], v[26:27], 1.0
	v_fmac_f64_e32 v[26:27], v[26:27], v[30:31]
	v_mul_f64 v[30:31], v[28:29], v[26:27]
	v_fma_f64 v[24:25], -v[24:25], v[30:31], v[28:29]
	v_div_fmas_f64 v[24:25], v[24:25], v[26:27], v[30:31]
	v_div_fixup_f64 v[22:23], v[24:25], v[22:23], 1.0
	ds_write_b64 v58, v[22:23]
.LBB119_209:
	s_or_b64 exec, exec, s[2:3]
	s_waitcnt lgkmcnt(0)
	s_barrier
	ds_read_b64 v[22:23], v58
	v_cmp_lt_u32_e32 vcc, 41, v60
	s_and_saveexec_b64 s[2:3], vcc
	s_cbranch_execz .LBB119_211
; %bb.210:
	ds_read2_b64 v[24:27], v59 offset0:42 offset1:43
	s_waitcnt lgkmcnt(1)
	v_mul_f64 v[140:141], v[22:23], v[140:141]
	s_waitcnt lgkmcnt(0)
	v_fma_f64 v[198:199], -v[140:141], v[24:25], v[198:199]
	v_fma_f64 v[138:139], -v[140:141], v[26:27], v[138:139]
	ds_read2_b64 v[24:27], v59 offset0:44 offset1:45
	s_waitcnt lgkmcnt(0)
	v_fma_f64 v[196:197], -v[140:141], v[24:25], v[196:197]
	v_fma_f64 v[136:137], -v[140:141], v[26:27], v[136:137]
	ds_read2_b64 v[24:27], v59 offset0:46 offset1:47
	;; [unrolled: 4-line block ×8, first 2 shown]
	s_waitcnt lgkmcnt(0)
	v_fma_f64 v[182:183], -v[140:141], v[24:25], v[182:183]
	v_fma_f64 v[240:241], -v[140:141], v[26:27], v[240:241]
.LBB119_211:
	s_or_b64 exec, exec, s[2:3]
	v_cmp_eq_u32_e32 vcc, 42, v60
	s_waitcnt lgkmcnt(0)
	s_barrier
	s_and_saveexec_b64 s[2:3], vcc
	s_cbranch_execz .LBB119_214
; %bb.212:
	ds_write_b64 v58, v[198:199]
	ds_write2_b64 v59, v[138:139], v[196:197] offset0:43 offset1:44
	ds_write2_b64 v59, v[136:137], v[194:195] offset0:45 offset1:46
	;; [unrolled: 1-line block ×8, first 2 shown]
	ds_write_b64 v59, v[240:241] offset:472
	ds_read_b64 v[24:25], v58
	s_waitcnt lgkmcnt(0)
	v_cmp_neq_f64_e32 vcc, 0, v[24:25]
	s_and_b64 exec, exec, vcc
	s_cbranch_execz .LBB119_214
; %bb.213:
	v_div_scale_f64 v[26:27], s[6:7], v[24:25], v[24:25], 1.0
	v_rcp_f64_e32 v[28:29], v[26:27]
	v_div_scale_f64 v[30:31], vcc, 1.0, v[24:25], 1.0
	v_fma_f64 v[32:33], -v[26:27], v[28:29], 1.0
	v_fmac_f64_e32 v[28:29], v[28:29], v[32:33]
	v_fma_f64 v[32:33], -v[26:27], v[28:29], 1.0
	v_fmac_f64_e32 v[28:29], v[28:29], v[32:33]
	v_mul_f64 v[32:33], v[30:31], v[28:29]
	v_fma_f64 v[26:27], -v[26:27], v[32:33], v[30:31]
	v_div_fmas_f64 v[26:27], v[26:27], v[28:29], v[32:33]
	v_div_fixup_f64 v[24:25], v[26:27], v[24:25], 1.0
	ds_write_b64 v58, v[24:25]
.LBB119_214:
	s_or_b64 exec, exec, s[2:3]
	s_waitcnt lgkmcnt(0)
	s_barrier
	ds_read_b64 v[24:25], v58
	v_cmp_lt_u32_e32 vcc, 42, v60
	s_and_saveexec_b64 s[2:3], vcc
	s_cbranch_execz .LBB119_216
; %bb.215:
	ds_read2_b64 v[26:29], v59 offset0:43 offset1:44
	s_waitcnt lgkmcnt(1)
	v_mul_f64 v[198:199], v[24:25], v[198:199]
	s_waitcnt lgkmcnt(0)
	v_fma_f64 v[138:139], -v[198:199], v[26:27], v[138:139]
	v_fma_f64 v[196:197], -v[198:199], v[28:29], v[196:197]
	ds_read2_b64 v[26:29], v59 offset0:45 offset1:46
	s_waitcnt lgkmcnt(0)
	v_fma_f64 v[136:137], -v[198:199], v[26:27], v[136:137]
	v_fma_f64 v[194:195], -v[198:199], v[28:29], v[194:195]
	ds_read2_b64 v[26:29], v59 offset0:47 offset1:48
	;; [unrolled: 4-line block ×7, first 2 shown]
	s_waitcnt lgkmcnt(0)
	v_fma_f64 v[124:125], -v[198:199], v[26:27], v[124:125]
	ds_read_b64 v[26:27], v59 offset:472
	v_fma_f64 v[182:183], -v[198:199], v[28:29], v[182:183]
	s_waitcnt lgkmcnt(0)
	v_fma_f64 v[240:241], -v[198:199], v[26:27], v[240:241]
.LBB119_216:
	s_or_b64 exec, exec, s[2:3]
	v_cmp_eq_u32_e32 vcc, 43, v60
	s_waitcnt lgkmcnt(0)
	s_barrier
	s_and_saveexec_b64 s[2:3], vcc
	s_cbranch_execz .LBB119_219
; %bb.217:
	v_mov_b32_e32 v26, v196
	v_mov_b32_e32 v27, v197
	;; [unrolled: 1-line block ×4, first 2 shown]
	ds_write_b64 v58, v[138:139]
	ds_write2_b64 v59, v[26:27], v[28:29] offset0:44 offset1:45
	v_mov_b32_e32 v26, v194
	v_mov_b32_e32 v27, v195
	v_mov_b32_e32 v28, v134
	v_mov_b32_e32 v29, v135
	ds_write2_b64 v59, v[26:27], v[28:29] offset0:46 offset1:47
	v_mov_b32_e32 v26, v192
	v_mov_b32_e32 v27, v193
	v_mov_b32_e32 v28, v132
	v_mov_b32_e32 v29, v133
	;; [unrolled: 5-line block ×6, first 2 shown]
	ds_write2_b64 v59, v[26:27], v[28:29] offset0:56 offset1:57
	v_mov_b32_e32 v26, v182
	v_mov_b32_e32 v27, v183
	ds_write2_b64 v59, v[26:27], v[240:241] offset0:58 offset1:59
	ds_read_b64 v[26:27], v58
	s_waitcnt lgkmcnt(0)
	v_cmp_neq_f64_e32 vcc, 0, v[26:27]
	s_and_b64 exec, exec, vcc
	s_cbranch_execz .LBB119_219
; %bb.218:
	v_div_scale_f64 v[28:29], s[6:7], v[26:27], v[26:27], 1.0
	v_rcp_f64_e32 v[30:31], v[28:29]
	v_div_scale_f64 v[32:33], vcc, 1.0, v[26:27], 1.0
	v_fma_f64 v[34:35], -v[28:29], v[30:31], 1.0
	v_fmac_f64_e32 v[30:31], v[30:31], v[34:35]
	v_fma_f64 v[34:35], -v[28:29], v[30:31], 1.0
	v_fmac_f64_e32 v[30:31], v[30:31], v[34:35]
	v_mul_f64 v[34:35], v[32:33], v[30:31]
	v_fma_f64 v[28:29], -v[28:29], v[34:35], v[32:33]
	v_div_fmas_f64 v[28:29], v[28:29], v[30:31], v[34:35]
	v_div_fixup_f64 v[26:27], v[28:29], v[26:27], 1.0
	ds_write_b64 v58, v[26:27]
.LBB119_219:
	s_or_b64 exec, exec, s[2:3]
	s_waitcnt lgkmcnt(0)
	s_barrier
	ds_read_b64 v[26:27], v58
	v_cmp_lt_u32_e32 vcc, 43, v60
	s_and_saveexec_b64 s[2:3], vcc
	s_cbranch_execz .LBB119_221
; %bb.220:
	ds_read2_b64 v[28:31], v59 offset0:44 offset1:45
	s_waitcnt lgkmcnt(1)
	v_mul_f64 v[138:139], v[26:27], v[138:139]
	s_waitcnt lgkmcnt(0)
	v_fma_f64 v[196:197], -v[138:139], v[28:29], v[196:197]
	v_fma_f64 v[136:137], -v[138:139], v[30:31], v[136:137]
	ds_read2_b64 v[28:31], v59 offset0:46 offset1:47
	s_waitcnt lgkmcnt(0)
	v_fma_f64 v[194:195], -v[138:139], v[28:29], v[194:195]
	v_fma_f64 v[134:135], -v[138:139], v[30:31], v[134:135]
	ds_read2_b64 v[28:31], v59 offset0:48 offset1:49
	;; [unrolled: 4-line block ×7, first 2 shown]
	s_waitcnt lgkmcnt(0)
	v_fma_f64 v[182:183], -v[138:139], v[28:29], v[182:183]
	v_fma_f64 v[240:241], -v[138:139], v[30:31], v[240:241]
.LBB119_221:
	s_or_b64 exec, exec, s[2:3]
	v_cmp_eq_u32_e32 vcc, 44, v60
	s_waitcnt lgkmcnt(0)
	s_barrier
	s_and_saveexec_b64 s[2:3], vcc
	s_cbranch_execz .LBB119_224
; %bb.222:
	ds_write_b64 v58, v[196:197]
	ds_write2_b64 v59, v[136:137], v[194:195] offset0:45 offset1:46
	ds_write2_b64 v59, v[134:135], v[192:193] offset0:47 offset1:48
	;; [unrolled: 1-line block ×7, first 2 shown]
	ds_write_b64 v59, v[240:241] offset:472
	ds_read_b64 v[28:29], v58
	s_waitcnt lgkmcnt(0)
	v_cmp_neq_f64_e32 vcc, 0, v[28:29]
	s_and_b64 exec, exec, vcc
	s_cbranch_execz .LBB119_224
; %bb.223:
	v_div_scale_f64 v[30:31], s[6:7], v[28:29], v[28:29], 1.0
	v_rcp_f64_e32 v[32:33], v[30:31]
	v_div_scale_f64 v[34:35], vcc, 1.0, v[28:29], 1.0
	v_fma_f64 v[36:37], -v[30:31], v[32:33], 1.0
	v_fmac_f64_e32 v[32:33], v[32:33], v[36:37]
	v_fma_f64 v[36:37], -v[30:31], v[32:33], 1.0
	v_fmac_f64_e32 v[32:33], v[32:33], v[36:37]
	v_mul_f64 v[36:37], v[34:35], v[32:33]
	v_fma_f64 v[30:31], -v[30:31], v[36:37], v[34:35]
	v_div_fmas_f64 v[30:31], v[30:31], v[32:33], v[36:37]
	v_div_fixup_f64 v[28:29], v[30:31], v[28:29], 1.0
	ds_write_b64 v58, v[28:29]
.LBB119_224:
	s_or_b64 exec, exec, s[2:3]
	s_waitcnt lgkmcnt(0)
	s_barrier
	ds_read_b64 v[28:29], v58
	v_cmp_lt_u32_e32 vcc, 44, v60
	s_and_saveexec_b64 s[2:3], vcc
	s_cbranch_execz .LBB119_226
; %bb.225:
	ds_read2_b64 v[30:33], v59 offset0:45 offset1:46
	s_waitcnt lgkmcnt(1)
	v_mul_f64 v[196:197], v[28:29], v[196:197]
	s_waitcnt lgkmcnt(0)
	v_fma_f64 v[136:137], -v[196:197], v[30:31], v[136:137]
	v_fma_f64 v[194:195], -v[196:197], v[32:33], v[194:195]
	ds_read2_b64 v[30:33], v59 offset0:47 offset1:48
	s_waitcnt lgkmcnt(0)
	v_fma_f64 v[134:135], -v[196:197], v[30:31], v[134:135]
	v_fma_f64 v[192:193], -v[196:197], v[32:33], v[192:193]
	ds_read2_b64 v[30:33], v59 offset0:49 offset1:50
	;; [unrolled: 4-line block ×6, first 2 shown]
	s_waitcnt lgkmcnt(0)
	v_fma_f64 v[124:125], -v[196:197], v[30:31], v[124:125]
	ds_read_b64 v[30:31], v59 offset:472
	v_fma_f64 v[182:183], -v[196:197], v[32:33], v[182:183]
	s_waitcnt lgkmcnt(0)
	v_fma_f64 v[240:241], -v[196:197], v[30:31], v[240:241]
.LBB119_226:
	s_or_b64 exec, exec, s[2:3]
	v_cmp_eq_u32_e32 vcc, 45, v60
	s_waitcnt lgkmcnt(0)
	s_barrier
	s_and_saveexec_b64 s[2:3], vcc
	s_cbranch_execz .LBB119_229
; %bb.227:
	v_mov_b32_e32 v30, v194
	v_mov_b32_e32 v31, v195
	;; [unrolled: 1-line block ×4, first 2 shown]
	ds_write_b64 v58, v[136:137]
	ds_write2_b64 v59, v[30:31], v[32:33] offset0:46 offset1:47
	v_mov_b32_e32 v30, v192
	v_mov_b32_e32 v31, v193
	v_mov_b32_e32 v32, v132
	v_mov_b32_e32 v33, v133
	ds_write2_b64 v59, v[30:31], v[32:33] offset0:48 offset1:49
	v_mov_b32_e32 v30, v190
	v_mov_b32_e32 v31, v191
	v_mov_b32_e32 v32, v130
	v_mov_b32_e32 v33, v131
	;; [unrolled: 5-line block ×5, first 2 shown]
	ds_write2_b64 v59, v[30:31], v[32:33] offset0:56 offset1:57
	v_mov_b32_e32 v30, v182
	v_mov_b32_e32 v31, v183
	ds_write2_b64 v59, v[30:31], v[240:241] offset0:58 offset1:59
	ds_read_b64 v[30:31], v58
	s_waitcnt lgkmcnt(0)
	v_cmp_neq_f64_e32 vcc, 0, v[30:31]
	s_and_b64 exec, exec, vcc
	s_cbranch_execz .LBB119_229
; %bb.228:
	v_div_scale_f64 v[32:33], s[6:7], v[30:31], v[30:31], 1.0
	v_rcp_f64_e32 v[34:35], v[32:33]
	v_div_scale_f64 v[36:37], vcc, 1.0, v[30:31], 1.0
	v_fma_f64 v[38:39], -v[32:33], v[34:35], 1.0
	v_fmac_f64_e32 v[34:35], v[34:35], v[38:39]
	v_fma_f64 v[38:39], -v[32:33], v[34:35], 1.0
	v_fmac_f64_e32 v[34:35], v[34:35], v[38:39]
	v_mul_f64 v[38:39], v[36:37], v[34:35]
	v_fma_f64 v[32:33], -v[32:33], v[38:39], v[36:37]
	v_div_fmas_f64 v[32:33], v[32:33], v[34:35], v[38:39]
	v_div_fixup_f64 v[30:31], v[32:33], v[30:31], 1.0
	ds_write_b64 v58, v[30:31]
.LBB119_229:
	s_or_b64 exec, exec, s[2:3]
	s_waitcnt lgkmcnt(0)
	s_barrier
	ds_read_b64 v[30:31], v58
	v_cmp_lt_u32_e32 vcc, 45, v60
	s_and_saveexec_b64 s[2:3], vcc
	s_cbranch_execz .LBB119_231
; %bb.230:
	ds_read2_b64 v[32:35], v59 offset0:46 offset1:47
	s_waitcnt lgkmcnt(1)
	v_mul_f64 v[136:137], v[30:31], v[136:137]
	s_waitcnt lgkmcnt(0)
	v_fma_f64 v[194:195], -v[136:137], v[32:33], v[194:195]
	v_fma_f64 v[134:135], -v[136:137], v[34:35], v[134:135]
	ds_read2_b64 v[32:35], v59 offset0:48 offset1:49
	s_waitcnt lgkmcnt(0)
	v_fma_f64 v[192:193], -v[136:137], v[32:33], v[192:193]
	v_fma_f64 v[132:133], -v[136:137], v[34:35], v[132:133]
	ds_read2_b64 v[32:35], v59 offset0:50 offset1:51
	;; [unrolled: 4-line block ×6, first 2 shown]
	s_waitcnt lgkmcnt(0)
	v_fma_f64 v[182:183], -v[136:137], v[32:33], v[182:183]
	v_fma_f64 v[240:241], -v[136:137], v[34:35], v[240:241]
.LBB119_231:
	s_or_b64 exec, exec, s[2:3]
	v_cmp_eq_u32_e32 vcc, 46, v60
	s_waitcnt lgkmcnt(0)
	s_barrier
	s_and_saveexec_b64 s[2:3], vcc
	s_cbranch_execz .LBB119_234
; %bb.232:
	ds_write_b64 v58, v[194:195]
	ds_write2_b64 v59, v[134:135], v[192:193] offset0:47 offset1:48
	ds_write2_b64 v59, v[132:133], v[190:191] offset0:49 offset1:50
	;; [unrolled: 1-line block ×6, first 2 shown]
	ds_write_b64 v59, v[240:241] offset:472
	ds_read_b64 v[32:33], v58
	s_waitcnt lgkmcnt(0)
	v_cmp_neq_f64_e32 vcc, 0, v[32:33]
	s_and_b64 exec, exec, vcc
	s_cbranch_execz .LBB119_234
; %bb.233:
	v_div_scale_f64 v[34:35], s[6:7], v[32:33], v[32:33], 1.0
	v_rcp_f64_e32 v[36:37], v[34:35]
	v_div_scale_f64 v[38:39], vcc, 1.0, v[32:33], 1.0
	v_fma_f64 v[40:41], -v[34:35], v[36:37], 1.0
	v_fmac_f64_e32 v[36:37], v[36:37], v[40:41]
	v_fma_f64 v[40:41], -v[34:35], v[36:37], 1.0
	v_fmac_f64_e32 v[36:37], v[36:37], v[40:41]
	v_mul_f64 v[40:41], v[38:39], v[36:37]
	v_fma_f64 v[34:35], -v[34:35], v[40:41], v[38:39]
	v_div_fmas_f64 v[34:35], v[34:35], v[36:37], v[40:41]
	v_div_fixup_f64 v[32:33], v[34:35], v[32:33], 1.0
	ds_write_b64 v58, v[32:33]
.LBB119_234:
	s_or_b64 exec, exec, s[2:3]
	s_waitcnt lgkmcnt(0)
	s_barrier
	ds_read_b64 v[32:33], v58
	v_cmp_lt_u32_e32 vcc, 46, v60
	s_and_saveexec_b64 s[2:3], vcc
	s_cbranch_execz .LBB119_236
; %bb.235:
	ds_read2_b64 v[34:37], v59 offset0:47 offset1:48
	s_waitcnt lgkmcnt(1)
	v_mul_f64 v[194:195], v[32:33], v[194:195]
	s_waitcnt lgkmcnt(0)
	v_fma_f64 v[134:135], -v[194:195], v[34:35], v[134:135]
	v_fma_f64 v[192:193], -v[194:195], v[36:37], v[192:193]
	ds_read2_b64 v[34:37], v59 offset0:49 offset1:50
	s_waitcnt lgkmcnt(0)
	v_fma_f64 v[132:133], -v[194:195], v[34:35], v[132:133]
	v_fma_f64 v[190:191], -v[194:195], v[36:37], v[190:191]
	ds_read2_b64 v[34:37], v59 offset0:51 offset1:52
	s_waitcnt lgkmcnt(0)
	v_fma_f64 v[130:131], -v[194:195], v[34:35], v[130:131]
	v_fma_f64 v[188:189], -v[194:195], v[36:37], v[188:189]
	ds_read2_b64 v[34:37], v59 offset0:53 offset1:54
	s_waitcnt lgkmcnt(0)
	v_fma_f64 v[128:129], -v[194:195], v[34:35], v[128:129]
	v_fma_f64 v[186:187], -v[194:195], v[36:37], v[186:187]
	ds_read2_b64 v[34:37], v59 offset0:55 offset1:56
	s_waitcnt lgkmcnt(0)
	v_fma_f64 v[126:127], -v[194:195], v[34:35], v[126:127]
	v_fma_f64 v[184:185], -v[194:195], v[36:37], v[184:185]
	ds_read2_b64 v[34:37], v59 offset0:57 offset1:58
	s_waitcnt lgkmcnt(0)
	v_fma_f64 v[124:125], -v[194:195], v[34:35], v[124:125]
	ds_read_b64 v[34:35], v59 offset:472
	v_fma_f64 v[182:183], -v[194:195], v[36:37], v[182:183]
	s_waitcnt lgkmcnt(0)
	v_fma_f64 v[240:241], -v[194:195], v[34:35], v[240:241]
.LBB119_236:
	s_or_b64 exec, exec, s[2:3]
	v_cmp_eq_u32_e32 vcc, 47, v60
	s_waitcnt lgkmcnt(0)
	s_barrier
	s_and_saveexec_b64 s[2:3], vcc
	s_cbranch_execz .LBB119_239
; %bb.237:
	v_mov_b32_e32 v34, v192
	v_mov_b32_e32 v35, v193
	;; [unrolled: 1-line block ×4, first 2 shown]
	ds_write_b64 v58, v[134:135]
	ds_write2_b64 v59, v[34:35], v[36:37] offset0:48 offset1:49
	v_mov_b32_e32 v34, v190
	v_mov_b32_e32 v35, v191
	v_mov_b32_e32 v36, v130
	v_mov_b32_e32 v37, v131
	ds_write2_b64 v59, v[34:35], v[36:37] offset0:50 offset1:51
	v_mov_b32_e32 v34, v188
	v_mov_b32_e32 v35, v189
	v_mov_b32_e32 v36, v128
	v_mov_b32_e32 v37, v129
	;; [unrolled: 5-line block ×4, first 2 shown]
	ds_write2_b64 v59, v[34:35], v[36:37] offset0:56 offset1:57
	v_mov_b32_e32 v34, v182
	v_mov_b32_e32 v35, v183
	ds_write2_b64 v59, v[34:35], v[240:241] offset0:58 offset1:59
	ds_read_b64 v[34:35], v58
	s_waitcnt lgkmcnt(0)
	v_cmp_neq_f64_e32 vcc, 0, v[34:35]
	s_and_b64 exec, exec, vcc
	s_cbranch_execz .LBB119_239
; %bb.238:
	v_div_scale_f64 v[36:37], s[6:7], v[34:35], v[34:35], 1.0
	v_rcp_f64_e32 v[38:39], v[36:37]
	v_div_scale_f64 v[40:41], vcc, 1.0, v[34:35], 1.0
	v_fma_f64 v[42:43], -v[36:37], v[38:39], 1.0
	v_fmac_f64_e32 v[38:39], v[38:39], v[42:43]
	v_fma_f64 v[42:43], -v[36:37], v[38:39], 1.0
	v_fmac_f64_e32 v[38:39], v[38:39], v[42:43]
	v_mul_f64 v[42:43], v[40:41], v[38:39]
	v_fma_f64 v[36:37], -v[36:37], v[42:43], v[40:41]
	v_div_fmas_f64 v[36:37], v[36:37], v[38:39], v[42:43]
	v_div_fixup_f64 v[34:35], v[36:37], v[34:35], 1.0
	ds_write_b64 v58, v[34:35]
.LBB119_239:
	s_or_b64 exec, exec, s[2:3]
	s_waitcnt lgkmcnt(0)
	s_barrier
	ds_read_b64 v[34:35], v58
	v_cmp_lt_u32_e32 vcc, 47, v60
	s_and_saveexec_b64 s[2:3], vcc
	s_cbranch_execz .LBB119_241
; %bb.240:
	ds_read2_b64 v[36:39], v59 offset0:48 offset1:49
	s_waitcnt lgkmcnt(1)
	v_mul_f64 v[134:135], v[34:35], v[134:135]
	s_waitcnt lgkmcnt(0)
	v_fma_f64 v[192:193], -v[134:135], v[36:37], v[192:193]
	v_fma_f64 v[132:133], -v[134:135], v[38:39], v[132:133]
	ds_read2_b64 v[36:39], v59 offset0:50 offset1:51
	s_waitcnt lgkmcnt(0)
	v_fma_f64 v[190:191], -v[134:135], v[36:37], v[190:191]
	v_fma_f64 v[130:131], -v[134:135], v[38:39], v[130:131]
	ds_read2_b64 v[36:39], v59 offset0:52 offset1:53
	s_waitcnt lgkmcnt(0)
	v_fma_f64 v[188:189], -v[134:135], v[36:37], v[188:189]
	v_fma_f64 v[128:129], -v[134:135], v[38:39], v[128:129]
	ds_read2_b64 v[36:39], v59 offset0:54 offset1:55
	s_waitcnt lgkmcnt(0)
	v_fma_f64 v[186:187], -v[134:135], v[36:37], v[186:187]
	v_fma_f64 v[126:127], -v[134:135], v[38:39], v[126:127]
	ds_read2_b64 v[36:39], v59 offset0:56 offset1:57
	s_waitcnt lgkmcnt(0)
	v_fma_f64 v[184:185], -v[134:135], v[36:37], v[184:185]
	v_fma_f64 v[124:125], -v[134:135], v[38:39], v[124:125]
	ds_read2_b64 v[36:39], v59 offset0:58 offset1:59
	s_waitcnt lgkmcnt(0)
	v_fma_f64 v[182:183], -v[134:135], v[36:37], v[182:183]
	v_fma_f64 v[240:241], -v[134:135], v[38:39], v[240:241]
.LBB119_241:
	s_or_b64 exec, exec, s[2:3]
	v_cmp_eq_u32_e32 vcc, 48, v60
	s_waitcnt lgkmcnt(0)
	s_barrier
	s_and_saveexec_b64 s[2:3], vcc
	s_cbranch_execz .LBB119_244
; %bb.242:
	ds_write_b64 v58, v[192:193]
	ds_write2_b64 v59, v[132:133], v[190:191] offset0:49 offset1:50
	ds_write2_b64 v59, v[130:131], v[188:189] offset0:51 offset1:52
	;; [unrolled: 1-line block ×5, first 2 shown]
	ds_write_b64 v59, v[240:241] offset:472
	ds_read_b64 v[36:37], v58
	s_waitcnt lgkmcnt(0)
	v_cmp_neq_f64_e32 vcc, 0, v[36:37]
	s_and_b64 exec, exec, vcc
	s_cbranch_execz .LBB119_244
; %bb.243:
	v_div_scale_f64 v[38:39], s[6:7], v[36:37], v[36:37], 1.0
	v_rcp_f64_e32 v[40:41], v[38:39]
	v_div_scale_f64 v[42:43], vcc, 1.0, v[36:37], 1.0
	v_fma_f64 v[44:45], -v[38:39], v[40:41], 1.0
	v_fmac_f64_e32 v[40:41], v[40:41], v[44:45]
	v_fma_f64 v[44:45], -v[38:39], v[40:41], 1.0
	v_fmac_f64_e32 v[40:41], v[40:41], v[44:45]
	v_mul_f64 v[44:45], v[42:43], v[40:41]
	v_fma_f64 v[38:39], -v[38:39], v[44:45], v[42:43]
	v_div_fmas_f64 v[38:39], v[38:39], v[40:41], v[44:45]
	v_div_fixup_f64 v[36:37], v[38:39], v[36:37], 1.0
	ds_write_b64 v58, v[36:37]
.LBB119_244:
	s_or_b64 exec, exec, s[2:3]
	s_waitcnt lgkmcnt(0)
	s_barrier
	ds_read_b64 v[36:37], v58
	v_cmp_lt_u32_e32 vcc, 48, v60
	s_and_saveexec_b64 s[2:3], vcc
	s_cbranch_execz .LBB119_246
; %bb.245:
	ds_read2_b64 v[38:41], v59 offset0:49 offset1:50
	s_waitcnt lgkmcnt(1)
	v_mul_f64 v[192:193], v[36:37], v[192:193]
	s_waitcnt lgkmcnt(0)
	v_fma_f64 v[132:133], -v[192:193], v[38:39], v[132:133]
	v_fma_f64 v[190:191], -v[192:193], v[40:41], v[190:191]
	ds_read2_b64 v[38:41], v59 offset0:51 offset1:52
	s_waitcnt lgkmcnt(0)
	v_fma_f64 v[130:131], -v[192:193], v[38:39], v[130:131]
	v_fma_f64 v[188:189], -v[192:193], v[40:41], v[188:189]
	ds_read2_b64 v[38:41], v59 offset0:53 offset1:54
	;; [unrolled: 4-line block ×4, first 2 shown]
	s_waitcnt lgkmcnt(0)
	v_fma_f64 v[124:125], -v[192:193], v[38:39], v[124:125]
	ds_read_b64 v[38:39], v59 offset:472
	v_fma_f64 v[182:183], -v[192:193], v[40:41], v[182:183]
	s_waitcnt lgkmcnt(0)
	v_fma_f64 v[240:241], -v[192:193], v[38:39], v[240:241]
.LBB119_246:
	s_or_b64 exec, exec, s[2:3]
	v_cmp_eq_u32_e32 vcc, 49, v60
	s_waitcnt lgkmcnt(0)
	s_barrier
	s_and_saveexec_b64 s[2:3], vcc
	s_cbranch_execz .LBB119_249
; %bb.247:
	v_mov_b32_e32 v38, v190
	v_mov_b32_e32 v39, v191
	;; [unrolled: 1-line block ×4, first 2 shown]
	ds_write_b64 v58, v[132:133]
	ds_write2_b64 v59, v[38:39], v[40:41] offset0:50 offset1:51
	v_mov_b32_e32 v38, v188
	v_mov_b32_e32 v39, v189
	v_mov_b32_e32 v40, v128
	v_mov_b32_e32 v41, v129
	ds_write2_b64 v59, v[38:39], v[40:41] offset0:52 offset1:53
	v_mov_b32_e32 v38, v186
	v_mov_b32_e32 v39, v187
	v_mov_b32_e32 v40, v126
	v_mov_b32_e32 v41, v127
	;; [unrolled: 5-line block ×3, first 2 shown]
	ds_write2_b64 v59, v[38:39], v[40:41] offset0:56 offset1:57
	v_mov_b32_e32 v38, v182
	v_mov_b32_e32 v39, v183
	ds_write2_b64 v59, v[38:39], v[240:241] offset0:58 offset1:59
	ds_read_b64 v[38:39], v58
	s_waitcnt lgkmcnt(0)
	v_cmp_neq_f64_e32 vcc, 0, v[38:39]
	s_and_b64 exec, exec, vcc
	s_cbranch_execz .LBB119_249
; %bb.248:
	v_div_scale_f64 v[40:41], s[6:7], v[38:39], v[38:39], 1.0
	v_rcp_f64_e32 v[42:43], v[40:41]
	v_div_scale_f64 v[44:45], vcc, 1.0, v[38:39], 1.0
	v_fma_f64 v[46:47], -v[40:41], v[42:43], 1.0
	v_fmac_f64_e32 v[42:43], v[42:43], v[46:47]
	v_fma_f64 v[46:47], -v[40:41], v[42:43], 1.0
	v_fmac_f64_e32 v[42:43], v[42:43], v[46:47]
	v_mul_f64 v[46:47], v[44:45], v[42:43]
	v_fma_f64 v[40:41], -v[40:41], v[46:47], v[44:45]
	v_div_fmas_f64 v[40:41], v[40:41], v[42:43], v[46:47]
	v_div_fixup_f64 v[38:39], v[40:41], v[38:39], 1.0
	ds_write_b64 v58, v[38:39]
.LBB119_249:
	s_or_b64 exec, exec, s[2:3]
	s_waitcnt lgkmcnt(0)
	s_barrier
	ds_read_b64 v[38:39], v58
	v_cmp_lt_u32_e32 vcc, 49, v60
	s_and_saveexec_b64 s[2:3], vcc
	s_cbranch_execz .LBB119_251
; %bb.250:
	ds_read2_b64 v[40:43], v59 offset0:50 offset1:51
	s_waitcnt lgkmcnt(1)
	v_mul_f64 v[132:133], v[38:39], v[132:133]
	s_waitcnt lgkmcnt(0)
	v_fma_f64 v[190:191], -v[132:133], v[40:41], v[190:191]
	v_fma_f64 v[130:131], -v[132:133], v[42:43], v[130:131]
	ds_read2_b64 v[40:43], v59 offset0:52 offset1:53
	s_waitcnt lgkmcnt(0)
	v_fma_f64 v[188:189], -v[132:133], v[40:41], v[188:189]
	v_fma_f64 v[128:129], -v[132:133], v[42:43], v[128:129]
	ds_read2_b64 v[40:43], v59 offset0:54 offset1:55
	;; [unrolled: 4-line block ×4, first 2 shown]
	s_waitcnt lgkmcnt(0)
	v_fma_f64 v[182:183], -v[132:133], v[40:41], v[182:183]
	v_fma_f64 v[240:241], -v[132:133], v[42:43], v[240:241]
.LBB119_251:
	s_or_b64 exec, exec, s[2:3]
	v_cmp_eq_u32_e32 vcc, 50, v60
	s_waitcnt lgkmcnt(0)
	s_barrier
	s_and_saveexec_b64 s[2:3], vcc
	s_cbranch_execz .LBB119_254
; %bb.252:
	ds_write_b64 v58, v[190:191]
	ds_write2_b64 v59, v[130:131], v[188:189] offset0:51 offset1:52
	ds_write2_b64 v59, v[128:129], v[186:187] offset0:53 offset1:54
	;; [unrolled: 1-line block ×4, first 2 shown]
	ds_write_b64 v59, v[240:241] offset:472
	ds_read_b64 v[40:41], v58
	s_waitcnt lgkmcnt(0)
	v_cmp_neq_f64_e32 vcc, 0, v[40:41]
	s_and_b64 exec, exec, vcc
	s_cbranch_execz .LBB119_254
; %bb.253:
	v_div_scale_f64 v[42:43], s[6:7], v[40:41], v[40:41], 1.0
	v_rcp_f64_e32 v[44:45], v[42:43]
	v_div_scale_f64 v[46:47], vcc, 1.0, v[40:41], 1.0
	v_fma_f64 v[48:49], -v[42:43], v[44:45], 1.0
	v_fmac_f64_e32 v[44:45], v[44:45], v[48:49]
	v_fma_f64 v[48:49], -v[42:43], v[44:45], 1.0
	v_fmac_f64_e32 v[44:45], v[44:45], v[48:49]
	v_mul_f64 v[48:49], v[46:47], v[44:45]
	v_fma_f64 v[42:43], -v[42:43], v[48:49], v[46:47]
	v_div_fmas_f64 v[42:43], v[42:43], v[44:45], v[48:49]
	v_div_fixup_f64 v[40:41], v[42:43], v[40:41], 1.0
	ds_write_b64 v58, v[40:41]
.LBB119_254:
	s_or_b64 exec, exec, s[2:3]
	s_waitcnt lgkmcnt(0)
	s_barrier
	ds_read_b64 v[40:41], v58
	v_cmp_lt_u32_e32 vcc, 50, v60
	s_and_saveexec_b64 s[2:3], vcc
	s_cbranch_execz .LBB119_256
; %bb.255:
	ds_read2_b64 v[42:45], v59 offset0:51 offset1:52
	s_waitcnt lgkmcnt(1)
	v_mul_f64 v[190:191], v[40:41], v[190:191]
	s_waitcnt lgkmcnt(0)
	v_fma_f64 v[130:131], -v[190:191], v[42:43], v[130:131]
	v_fma_f64 v[188:189], -v[190:191], v[44:45], v[188:189]
	ds_read2_b64 v[42:45], v59 offset0:53 offset1:54
	s_waitcnt lgkmcnt(0)
	v_fma_f64 v[128:129], -v[190:191], v[42:43], v[128:129]
	v_fma_f64 v[186:187], -v[190:191], v[44:45], v[186:187]
	ds_read2_b64 v[42:45], v59 offset0:55 offset1:56
	;; [unrolled: 4-line block ×3, first 2 shown]
	s_waitcnt lgkmcnt(0)
	v_fma_f64 v[124:125], -v[190:191], v[42:43], v[124:125]
	ds_read_b64 v[42:43], v59 offset:472
	v_fma_f64 v[182:183], -v[190:191], v[44:45], v[182:183]
	s_waitcnt lgkmcnt(0)
	v_fma_f64 v[240:241], -v[190:191], v[42:43], v[240:241]
.LBB119_256:
	s_or_b64 exec, exec, s[2:3]
	v_cmp_eq_u32_e32 vcc, 51, v60
	s_waitcnt lgkmcnt(0)
	s_barrier
	s_and_saveexec_b64 s[2:3], vcc
	s_cbranch_execz .LBB119_259
; %bb.257:
	v_mov_b32_e32 v42, v188
	v_mov_b32_e32 v43, v189
	;; [unrolled: 1-line block ×4, first 2 shown]
	ds_write_b64 v58, v[130:131]
	ds_write2_b64 v59, v[42:43], v[44:45] offset0:52 offset1:53
	v_mov_b32_e32 v42, v186
	v_mov_b32_e32 v43, v187
	;; [unrolled: 1-line block ×4, first 2 shown]
	ds_write2_b64 v59, v[42:43], v[44:45] offset0:54 offset1:55
	v_mov_b32_e32 v42, v184
	v_mov_b32_e32 v43, v185
	;; [unrolled: 1-line block ×4, first 2 shown]
	ds_write2_b64 v59, v[42:43], v[44:45] offset0:56 offset1:57
	v_mov_b32_e32 v42, v182
	v_mov_b32_e32 v43, v183
	ds_write2_b64 v59, v[42:43], v[240:241] offset0:58 offset1:59
	ds_read_b64 v[42:43], v58
	s_waitcnt lgkmcnt(0)
	v_cmp_neq_f64_e32 vcc, 0, v[42:43]
	s_and_b64 exec, exec, vcc
	s_cbranch_execz .LBB119_259
; %bb.258:
	v_div_scale_f64 v[44:45], s[6:7], v[42:43], v[42:43], 1.0
	v_rcp_f64_e32 v[46:47], v[44:45]
	v_div_scale_f64 v[48:49], vcc, 1.0, v[42:43], 1.0
	v_fma_f64 v[50:51], -v[44:45], v[46:47], 1.0
	v_fmac_f64_e32 v[46:47], v[46:47], v[50:51]
	v_fma_f64 v[50:51], -v[44:45], v[46:47], 1.0
	v_fmac_f64_e32 v[46:47], v[46:47], v[50:51]
	v_mul_f64 v[50:51], v[48:49], v[46:47]
	v_fma_f64 v[44:45], -v[44:45], v[50:51], v[48:49]
	v_div_fmas_f64 v[44:45], v[44:45], v[46:47], v[50:51]
	v_div_fixup_f64 v[42:43], v[44:45], v[42:43], 1.0
	ds_write_b64 v58, v[42:43]
.LBB119_259:
	s_or_b64 exec, exec, s[2:3]
	s_waitcnt lgkmcnt(0)
	s_barrier
	ds_read_b64 v[42:43], v58
	v_cmp_lt_u32_e32 vcc, 51, v60
	s_and_saveexec_b64 s[2:3], vcc
	s_cbranch_execz .LBB119_261
; %bb.260:
	ds_read2_b64 v[44:47], v59 offset0:52 offset1:53
	s_waitcnt lgkmcnt(1)
	v_mul_f64 v[130:131], v[42:43], v[130:131]
	s_waitcnt lgkmcnt(0)
	v_fma_f64 v[188:189], -v[130:131], v[44:45], v[188:189]
	v_fma_f64 v[128:129], -v[130:131], v[46:47], v[128:129]
	ds_read2_b64 v[44:47], v59 offset0:54 offset1:55
	s_waitcnt lgkmcnt(0)
	v_fma_f64 v[186:187], -v[130:131], v[44:45], v[186:187]
	v_fma_f64 v[126:127], -v[130:131], v[46:47], v[126:127]
	ds_read2_b64 v[44:47], v59 offset0:56 offset1:57
	;; [unrolled: 4-line block ×3, first 2 shown]
	s_waitcnt lgkmcnt(0)
	v_fma_f64 v[182:183], -v[130:131], v[44:45], v[182:183]
	v_fma_f64 v[240:241], -v[130:131], v[46:47], v[240:241]
.LBB119_261:
	s_or_b64 exec, exec, s[2:3]
	v_cmp_eq_u32_e32 vcc, 52, v60
	s_waitcnt lgkmcnt(0)
	s_barrier
	s_and_saveexec_b64 s[2:3], vcc
	s_cbranch_execz .LBB119_264
; %bb.262:
	ds_write_b64 v58, v[188:189]
	ds_write2_b64 v59, v[128:129], v[186:187] offset0:53 offset1:54
	ds_write2_b64 v59, v[126:127], v[184:185] offset0:55 offset1:56
	;; [unrolled: 1-line block ×3, first 2 shown]
	ds_write_b64 v59, v[240:241] offset:472
	ds_read_b64 v[44:45], v58
	s_waitcnt lgkmcnt(0)
	v_cmp_neq_f64_e32 vcc, 0, v[44:45]
	s_and_b64 exec, exec, vcc
	s_cbranch_execz .LBB119_264
; %bb.263:
	v_div_scale_f64 v[46:47], s[6:7], v[44:45], v[44:45], 1.0
	v_rcp_f64_e32 v[48:49], v[46:47]
	v_div_scale_f64 v[50:51], vcc, 1.0, v[44:45], 1.0
	v_fma_f64 v[52:53], -v[46:47], v[48:49], 1.0
	v_fmac_f64_e32 v[48:49], v[48:49], v[52:53]
	v_fma_f64 v[52:53], -v[46:47], v[48:49], 1.0
	v_fmac_f64_e32 v[48:49], v[48:49], v[52:53]
	v_mul_f64 v[52:53], v[50:51], v[48:49]
	v_fma_f64 v[46:47], -v[46:47], v[52:53], v[50:51]
	v_div_fmas_f64 v[46:47], v[46:47], v[48:49], v[52:53]
	v_div_fixup_f64 v[44:45], v[46:47], v[44:45], 1.0
	ds_write_b64 v58, v[44:45]
.LBB119_264:
	s_or_b64 exec, exec, s[2:3]
	s_waitcnt lgkmcnt(0)
	s_barrier
	ds_read_b64 v[44:45], v58
	v_cmp_lt_u32_e32 vcc, 52, v60
	s_and_saveexec_b64 s[2:3], vcc
	s_cbranch_execz .LBB119_266
; %bb.265:
	ds_read2_b64 v[46:49], v59 offset0:53 offset1:54
	s_waitcnt lgkmcnt(1)
	v_mul_f64 v[188:189], v[44:45], v[188:189]
	s_waitcnt lgkmcnt(0)
	v_fma_f64 v[128:129], -v[188:189], v[46:47], v[128:129]
	v_fma_f64 v[186:187], -v[188:189], v[48:49], v[186:187]
	ds_read2_b64 v[46:49], v59 offset0:55 offset1:56
	s_waitcnt lgkmcnt(0)
	v_fma_f64 v[126:127], -v[188:189], v[46:47], v[126:127]
	v_fma_f64 v[184:185], -v[188:189], v[48:49], v[184:185]
	ds_read2_b64 v[46:49], v59 offset0:57 offset1:58
	s_waitcnt lgkmcnt(0)
	v_fma_f64 v[124:125], -v[188:189], v[46:47], v[124:125]
	ds_read_b64 v[46:47], v59 offset:472
	v_fma_f64 v[182:183], -v[188:189], v[48:49], v[182:183]
	s_waitcnt lgkmcnt(0)
	v_fma_f64 v[240:241], -v[188:189], v[46:47], v[240:241]
.LBB119_266:
	s_or_b64 exec, exec, s[2:3]
	v_cmp_eq_u32_e32 vcc, 53, v60
	s_waitcnt lgkmcnt(0)
	s_barrier
	s_and_saveexec_b64 s[2:3], vcc
	s_cbranch_execz .LBB119_269
; %bb.267:
	v_mov_b32_e32 v46, v186
	v_mov_b32_e32 v47, v187
	;; [unrolled: 1-line block ×4, first 2 shown]
	ds_write_b64 v58, v[128:129]
	ds_write2_b64 v59, v[46:47], v[48:49] offset0:54 offset1:55
	v_mov_b32_e32 v46, v184
	v_mov_b32_e32 v47, v185
	;; [unrolled: 1-line block ×4, first 2 shown]
	ds_write2_b64 v59, v[46:47], v[48:49] offset0:56 offset1:57
	v_mov_b32_e32 v46, v182
	v_mov_b32_e32 v47, v183
	ds_write2_b64 v59, v[46:47], v[240:241] offset0:58 offset1:59
	ds_read_b64 v[46:47], v58
	s_waitcnt lgkmcnt(0)
	v_cmp_neq_f64_e32 vcc, 0, v[46:47]
	s_and_b64 exec, exec, vcc
	s_cbranch_execz .LBB119_269
; %bb.268:
	v_div_scale_f64 v[48:49], s[6:7], v[46:47], v[46:47], 1.0
	v_rcp_f64_e32 v[50:51], v[48:49]
	v_div_scale_f64 v[52:53], vcc, 1.0, v[46:47], 1.0
	v_fma_f64 v[54:55], -v[48:49], v[50:51], 1.0
	v_fmac_f64_e32 v[50:51], v[50:51], v[54:55]
	v_fma_f64 v[54:55], -v[48:49], v[50:51], 1.0
	v_fmac_f64_e32 v[50:51], v[50:51], v[54:55]
	v_mul_f64 v[54:55], v[52:53], v[50:51]
	v_fma_f64 v[48:49], -v[48:49], v[54:55], v[52:53]
	v_div_fmas_f64 v[48:49], v[48:49], v[50:51], v[54:55]
	v_div_fixup_f64 v[46:47], v[48:49], v[46:47], 1.0
	ds_write_b64 v58, v[46:47]
.LBB119_269:
	s_or_b64 exec, exec, s[2:3]
	s_waitcnt lgkmcnt(0)
	s_barrier
	ds_read_b64 v[46:47], v58
	v_cmp_lt_u32_e32 vcc, 53, v60
	s_and_saveexec_b64 s[2:3], vcc
	s_cbranch_execz .LBB119_271
; %bb.270:
	ds_read2_b64 v[48:51], v59 offset0:54 offset1:55
	s_waitcnt lgkmcnt(1)
	v_mul_f64 v[128:129], v[46:47], v[128:129]
	s_waitcnt lgkmcnt(0)
	v_fma_f64 v[186:187], -v[128:129], v[48:49], v[186:187]
	v_fma_f64 v[126:127], -v[128:129], v[50:51], v[126:127]
	ds_read2_b64 v[48:51], v59 offset0:56 offset1:57
	s_waitcnt lgkmcnt(0)
	v_fma_f64 v[184:185], -v[128:129], v[48:49], v[184:185]
	v_fma_f64 v[124:125], -v[128:129], v[50:51], v[124:125]
	ds_read2_b64 v[48:51], v59 offset0:58 offset1:59
	s_waitcnt lgkmcnt(0)
	v_fma_f64 v[182:183], -v[128:129], v[48:49], v[182:183]
	v_fma_f64 v[240:241], -v[128:129], v[50:51], v[240:241]
.LBB119_271:
	s_or_b64 exec, exec, s[2:3]
	v_cmp_eq_u32_e32 vcc, 54, v60
	s_waitcnt lgkmcnt(0)
	s_barrier
	s_and_saveexec_b64 s[2:3], vcc
	s_cbranch_execz .LBB119_274
; %bb.272:
	ds_write_b64 v58, v[186:187]
	ds_write2_b64 v59, v[126:127], v[184:185] offset0:55 offset1:56
	ds_write2_b64 v59, v[124:125], v[182:183] offset0:57 offset1:58
	ds_write_b64 v59, v[240:241] offset:472
	ds_read_b64 v[48:49], v58
	s_waitcnt lgkmcnt(0)
	v_cmp_neq_f64_e32 vcc, 0, v[48:49]
	s_and_b64 exec, exec, vcc
	s_cbranch_execz .LBB119_274
; %bb.273:
	v_div_scale_f64 v[50:51], s[6:7], v[48:49], v[48:49], 1.0
	v_rcp_f64_e32 v[52:53], v[50:51]
	v_div_scale_f64 v[54:55], vcc, 1.0, v[48:49], 1.0
	v_fma_f64 v[56:57], -v[50:51], v[52:53], 1.0
	v_fmac_f64_e32 v[52:53], v[52:53], v[56:57]
	v_fma_f64 v[56:57], -v[50:51], v[52:53], 1.0
	v_fmac_f64_e32 v[52:53], v[52:53], v[56:57]
	v_mul_f64 v[56:57], v[54:55], v[52:53]
	v_fma_f64 v[50:51], -v[50:51], v[56:57], v[54:55]
	v_div_fmas_f64 v[50:51], v[50:51], v[52:53], v[56:57]
	v_div_fixup_f64 v[48:49], v[50:51], v[48:49], 1.0
	ds_write_b64 v58, v[48:49]
.LBB119_274:
	s_or_b64 exec, exec, s[2:3]
	s_waitcnt lgkmcnt(0)
	s_barrier
	ds_read_b64 v[48:49], v58
	v_cmp_lt_u32_e32 vcc, 54, v60
	s_and_saveexec_b64 s[2:3], vcc
	s_cbranch_execz .LBB119_276
; %bb.275:
	ds_read2_b64 v[50:53], v59 offset0:55 offset1:56
	s_waitcnt lgkmcnt(1)
	v_mul_f64 v[186:187], v[48:49], v[186:187]
	s_waitcnt lgkmcnt(0)
	v_fma_f64 v[126:127], -v[186:187], v[50:51], v[126:127]
	v_fma_f64 v[184:185], -v[186:187], v[52:53], v[184:185]
	ds_read2_b64 v[50:53], v59 offset0:57 offset1:58
	s_waitcnt lgkmcnt(0)
	v_fma_f64 v[124:125], -v[186:187], v[50:51], v[124:125]
	ds_read_b64 v[50:51], v59 offset:472
	v_fma_f64 v[182:183], -v[186:187], v[52:53], v[182:183]
	s_waitcnt lgkmcnt(0)
	v_fma_f64 v[240:241], -v[186:187], v[50:51], v[240:241]
.LBB119_276:
	s_or_b64 exec, exec, s[2:3]
	v_cmp_eq_u32_e32 vcc, 55, v60
	s_waitcnt lgkmcnt(0)
	s_barrier
	s_and_saveexec_b64 s[2:3], vcc
	s_cbranch_execz .LBB119_279
; %bb.277:
	v_mov_b32_e32 v50, v184
	v_mov_b32_e32 v51, v185
	;; [unrolled: 1-line block ×4, first 2 shown]
	ds_write_b64 v58, v[126:127]
	ds_write2_b64 v59, v[50:51], v[52:53] offset0:56 offset1:57
	v_mov_b32_e32 v50, v182
	v_mov_b32_e32 v51, v183
	ds_write2_b64 v59, v[50:51], v[240:241] offset0:58 offset1:59
	ds_read_b64 v[50:51], v58
	s_waitcnt lgkmcnt(0)
	v_cmp_neq_f64_e32 vcc, 0, v[50:51]
	s_and_b64 exec, exec, vcc
	s_cbranch_execz .LBB119_279
; %bb.278:
	v_div_scale_f64 v[52:53], s[6:7], v[50:51], v[50:51], 1.0
	v_rcp_f64_e32 v[54:55], v[52:53]
	v_div_scale_f64 v[56:57], vcc, 1.0, v[50:51], 1.0
	v_fma_f64 v[62:63], -v[52:53], v[54:55], 1.0
	v_fmac_f64_e32 v[54:55], v[54:55], v[62:63]
	v_fma_f64 v[62:63], -v[52:53], v[54:55], 1.0
	v_fmac_f64_e32 v[54:55], v[54:55], v[62:63]
	v_mul_f64 v[62:63], v[56:57], v[54:55]
	v_fma_f64 v[52:53], -v[52:53], v[62:63], v[56:57]
	v_div_fmas_f64 v[52:53], v[52:53], v[54:55], v[62:63]
	v_div_fixup_f64 v[50:51], v[52:53], v[50:51], 1.0
	ds_write_b64 v58, v[50:51]
.LBB119_279:
	s_or_b64 exec, exec, s[2:3]
	s_waitcnt lgkmcnt(0)
	s_barrier
	ds_read_b64 v[50:51], v58
	v_cmp_lt_u32_e32 vcc, 55, v60
	s_and_saveexec_b64 s[2:3], vcc
	s_cbranch_execz .LBB119_281
; %bb.280:
	ds_read2_b64 v[52:55], v59 offset0:56 offset1:57
	s_waitcnt lgkmcnt(1)
	v_mul_f64 v[126:127], v[50:51], v[126:127]
	s_waitcnt lgkmcnt(0)
	v_fma_f64 v[184:185], -v[126:127], v[52:53], v[184:185]
	v_fma_f64 v[124:125], -v[126:127], v[54:55], v[124:125]
	ds_read2_b64 v[52:55], v59 offset0:58 offset1:59
	s_waitcnt lgkmcnt(0)
	v_fma_f64 v[182:183], -v[126:127], v[52:53], v[182:183]
	v_fma_f64 v[240:241], -v[126:127], v[54:55], v[240:241]
.LBB119_281:
	s_or_b64 exec, exec, s[2:3]
	v_cmp_eq_u32_e32 vcc, 56, v60
	s_waitcnt lgkmcnt(0)
	s_barrier
	s_and_saveexec_b64 s[2:3], vcc
	s_cbranch_execz .LBB119_284
; %bb.282:
	ds_write_b64 v58, v[184:185]
	ds_write2_b64 v59, v[124:125], v[182:183] offset0:57 offset1:58
	ds_write_b64 v59, v[240:241] offset:472
	ds_read_b64 v[52:53], v58
	s_waitcnt lgkmcnt(0)
	v_cmp_neq_f64_e32 vcc, 0, v[52:53]
	s_and_b64 exec, exec, vcc
	s_cbranch_execz .LBB119_284
; %bb.283:
	v_div_scale_f64 v[54:55], s[6:7], v[52:53], v[52:53], 1.0
	v_rcp_f64_e32 v[56:57], v[54:55]
	v_div_scale_f64 v[62:63], vcc, 1.0, v[52:53], 1.0
	v_fma_f64 v[64:65], -v[54:55], v[56:57], 1.0
	v_fmac_f64_e32 v[56:57], v[56:57], v[64:65]
	v_fma_f64 v[64:65], -v[54:55], v[56:57], 1.0
	v_fmac_f64_e32 v[56:57], v[56:57], v[64:65]
	v_mul_f64 v[64:65], v[62:63], v[56:57]
	v_fma_f64 v[54:55], -v[54:55], v[64:65], v[62:63]
	v_div_fmas_f64 v[54:55], v[54:55], v[56:57], v[64:65]
	v_div_fixup_f64 v[52:53], v[54:55], v[52:53], 1.0
	ds_write_b64 v58, v[52:53]
.LBB119_284:
	s_or_b64 exec, exec, s[2:3]
	s_waitcnt lgkmcnt(0)
	s_barrier
	ds_read_b64 v[52:53], v58
	v_cmp_lt_u32_e32 vcc, 56, v60
	s_and_saveexec_b64 s[2:3], vcc
	s_cbranch_execz .LBB119_286
; %bb.285:
	ds_read2_b64 v[54:57], v59 offset0:57 offset1:58
	s_waitcnt lgkmcnt(1)
	v_mul_f64 v[184:185], v[52:53], v[184:185]
	s_waitcnt lgkmcnt(0)
	v_fma_f64 v[124:125], -v[184:185], v[54:55], v[124:125]
	ds_read_b64 v[54:55], v59 offset:472
	v_fma_f64 v[182:183], -v[184:185], v[56:57], v[182:183]
	s_waitcnt lgkmcnt(0)
	v_fma_f64 v[240:241], -v[184:185], v[54:55], v[240:241]
.LBB119_286:
	s_or_b64 exec, exec, s[2:3]
	v_cmp_eq_u32_e32 vcc, 57, v60
	s_waitcnt lgkmcnt(0)
	s_barrier
	s_and_saveexec_b64 s[2:3], vcc
	s_cbranch_execz .LBB119_289
; %bb.287:
	v_mov_b32_e32 v54, v182
	v_mov_b32_e32 v55, v183
	ds_write_b64 v58, v[124:125]
	ds_write2_b64 v59, v[54:55], v[240:241] offset0:58 offset1:59
	ds_read_b64 v[54:55], v58
	s_waitcnt lgkmcnt(0)
	v_cmp_neq_f64_e32 vcc, 0, v[54:55]
	s_and_b64 exec, exec, vcc
	s_cbranch_execz .LBB119_289
; %bb.288:
	v_div_scale_f64 v[56:57], s[6:7], v[54:55], v[54:55], 1.0
	v_rcp_f64_e32 v[62:63], v[56:57]
	v_pk_mov_b32 v[2:3], v[66:67], v[66:67] op_sel:[0,1]
	v_div_scale_f64 v[64:65], vcc, 1.0, v[54:55], 1.0
	v_fma_f64 v[66:67], -v[56:57], v[62:63], 1.0
	v_fmac_f64_e32 v[62:63], v[62:63], v[66:67]
	v_fma_f64 v[66:67], -v[56:57], v[62:63], 1.0
	v_fmac_f64_e32 v[62:63], v[62:63], v[66:67]
	v_mul_f64 v[66:67], v[64:65], v[62:63]
	v_fma_f64 v[56:57], -v[56:57], v[66:67], v[64:65]
	v_div_fmas_f64 v[56:57], v[56:57], v[62:63], v[66:67]
	v_pk_mov_b32 v[66:67], v[2:3], v[2:3] op_sel:[0,1]
	v_div_fixup_f64 v[54:55], v[56:57], v[54:55], 1.0
	ds_write_b64 v58, v[54:55]
.LBB119_289:
	s_or_b64 exec, exec, s[2:3]
	s_waitcnt lgkmcnt(0)
	s_barrier
	ds_read_b64 v[54:55], v58
	v_cmp_lt_u32_e32 vcc, 57, v60
	s_and_saveexec_b64 s[2:3], vcc
	s_cbranch_execz .LBB119_291
; %bb.290:
	ds_read2_b64 v[62:65], v59 offset0:58 offset1:59
	s_waitcnt lgkmcnt(1)
	v_mul_f64 v[124:125], v[54:55], v[124:125]
	s_waitcnt lgkmcnt(0)
	v_fma_f64 v[182:183], -v[124:125], v[62:63], v[182:183]
	v_fma_f64 v[240:241], -v[124:125], v[64:65], v[240:241]
.LBB119_291:
	s_or_b64 exec, exec, s[2:3]
	v_cmp_eq_u32_e32 vcc, 58, v60
	s_waitcnt lgkmcnt(0)
	s_barrier
	s_and_saveexec_b64 s[2:3], vcc
	s_cbranch_execz .LBB119_294
; %bb.292:
	ds_write_b64 v58, v[182:183]
	ds_write_b64 v59, v[240:241] offset:472
	ds_read_b64 v[56:57], v58
	s_waitcnt lgkmcnt(0)
	v_cmp_neq_f64_e32 vcc, 0, v[56:57]
	s_and_b64 exec, exec, vcc
	s_cbranch_execz .LBB119_294
; %bb.293:
	v_div_scale_f64 v[62:63], s[6:7], v[56:57], v[56:57], 1.0
	v_rcp_f64_e32 v[64:65], v[62:63]
	v_pk_mov_b32 v[2:3], v[120:121], v[120:121] op_sel:[0,1]
	v_pk_mov_b32 v[120:121], v[116:117], v[116:117] op_sel:[0,1]
	v_pk_mov_b32 v[116:117], v[114:115], v[114:115] op_sel:[0,1]
	v_pk_mov_b32 v[114:115], v[112:113], v[112:113] op_sel:[0,1]
	v_pk_mov_b32 v[112:113], v[110:111], v[110:111] op_sel:[0,1]
	v_pk_mov_b32 v[110:111], v[108:109], v[108:109] op_sel:[0,1]
	v_pk_mov_b32 v[108:109], v[106:107], v[106:107] op_sel:[0,1]
	v_pk_mov_b32 v[106:107], v[104:105], v[104:105] op_sel:[0,1]
	v_pk_mov_b32 v[104:105], v[102:103], v[102:103] op_sel:[0,1]
	v_pk_mov_b32 v[102:103], v[100:101], v[100:101] op_sel:[0,1]
	v_pk_mov_b32 v[100:101], v[98:99], v[98:99] op_sel:[0,1]
	v_pk_mov_b32 v[98:99], v[96:97], v[96:97] op_sel:[0,1]
	v_pk_mov_b32 v[96:97], v[94:95], v[94:95] op_sel:[0,1]
	v_pk_mov_b32 v[94:95], v[92:93], v[92:93] op_sel:[0,1]
	v_pk_mov_b32 v[92:93], v[90:91], v[90:91] op_sel:[0,1]
	v_pk_mov_b32 v[90:91], v[88:89], v[88:89] op_sel:[0,1]
	v_pk_mov_b32 v[88:89], v[86:87], v[86:87] op_sel:[0,1]
	v_pk_mov_b32 v[86:87], v[84:85], v[84:85] op_sel:[0,1]
	v_pk_mov_b32 v[84:85], v[82:83], v[82:83] op_sel:[0,1]
	v_pk_mov_b32 v[82:83], v[80:81], v[80:81] op_sel:[0,1]
	v_pk_mov_b32 v[80:81], v[78:79], v[78:79] op_sel:[0,1]
	v_pk_mov_b32 v[78:79], v[76:77], v[76:77] op_sel:[0,1]
	v_pk_mov_b32 v[76:77], v[74:75], v[74:75] op_sel:[0,1]
	v_pk_mov_b32 v[74:75], v[72:73], v[72:73] op_sel:[0,1]
	v_pk_mov_b32 v[72:73], v[68:69], v[68:69] op_sel:[0,1]
	v_fma_f64 v[68:69], -v[62:63], v[64:65], 1.0
	v_fmac_f64_e32 v[64:65], v[64:65], v[68:69]
	v_fma_f64 v[68:69], -v[62:63], v[64:65], 1.0
	v_pk_mov_b32 v[0:1], v[244:245], v[244:245] op_sel:[0,1]
	v_pk_mov_b32 v[244:245], v[242:243], v[242:243] op_sel:[0,1]
	v_pk_mov_b32 v[242:243], v[118:119], v[118:119] op_sel:[0,1]
	v_pk_mov_b32 v[118:119], v[254:255], v[254:255] op_sel:[0,1]
	v_pk_mov_b32 v[254:255], v[252:253], v[252:253] op_sel:[0,1]
	v_pk_mov_b32 v[252:253], v[250:251], v[250:251] op_sel:[0,1]
	v_pk_mov_b32 v[250:251], v[248:249], v[248:249] op_sel:[0,1]
	v_pk_mov_b32 v[248:249], v[246:247], v[246:247] op_sel:[0,1]
	v_pk_mov_b32 v[246:247], v[66:67], v[66:67] op_sel:[0,1]
	v_div_scale_f64 v[66:67], vcc, 1.0, v[56:57], 1.0
	v_fmac_f64_e32 v[64:65], v[64:65], v[68:69]
	v_mul_f64 v[68:69], v[66:67], v[64:65]
	v_fma_f64 v[62:63], -v[62:63], v[68:69], v[66:67]
	s_nop 0
	v_div_fmas_f64 v[62:63], v[62:63], v[64:65], v[68:69]
	v_pk_mov_b32 v[66:67], v[246:247], v[246:247] op_sel:[0,1]
	v_pk_mov_b32 v[246:247], v[248:249], v[248:249] op_sel:[0,1]
	;; [unrolled: 1-line block ×34, first 2 shown]
	v_div_fixup_f64 v[56:57], v[62:63], v[56:57], 1.0
	ds_write_b64 v58, v[56:57]
.LBB119_294:
	s_or_b64 exec, exec, s[2:3]
	s_waitcnt lgkmcnt(0)
	s_barrier
	ds_read_b64 v[56:57], v58
	v_cmp_lt_u32_e32 vcc, 58, v60
	s_and_saveexec_b64 s[2:3], vcc
	s_cbranch_execz .LBB119_296
; %bb.295:
	ds_read_b64 v[62:63], v59 offset:472
	s_waitcnt lgkmcnt(1)
	v_mul_f64 v[182:183], v[56:57], v[182:183]
	s_waitcnt lgkmcnt(0)
	v_fma_f64 v[240:241], -v[182:183], v[62:63], v[240:241]
.LBB119_296:
	s_or_b64 exec, exec, s[2:3]
	v_cmp_eq_u32_e32 vcc, 59, v60
	s_waitcnt lgkmcnt(0)
	s_barrier
	s_and_saveexec_b64 s[2:3], vcc
	s_cbranch_execz .LBB119_299
; %bb.297:
	v_cmp_neq_f64_e32 vcc, 0, v[240:241]
	ds_write_b64 v58, v[240:241]
	s_and_b64 exec, exec, vcc
	s_cbranch_execz .LBB119_299
; %bb.298:
	v_div_scale_f64 v[62:63], s[6:7], v[240:241], v[240:241], 1.0
	v_rcp_f64_e32 v[64:65], v[62:63]
	v_pk_mov_b32 v[2:3], v[120:121], v[120:121] op_sel:[0,1]
	v_pk_mov_b32 v[120:121], v[116:117], v[116:117] op_sel:[0,1]
	;; [unrolled: 1-line block ×26, first 2 shown]
	v_fma_f64 v[68:69], -v[62:63], v[64:65], 1.0
	v_fmac_f64_e32 v[64:65], v[64:65], v[68:69]
	v_fma_f64 v[68:69], -v[62:63], v[64:65], 1.0
	v_pk_mov_b32 v[0:1], v[244:245], v[244:245] op_sel:[0,1]
	v_pk_mov_b32 v[244:245], v[242:243], v[242:243] op_sel:[0,1]
	;; [unrolled: 1-line block ×9, first 2 shown]
	v_div_scale_f64 v[66:67], vcc, 1.0, v[240:241], 1.0
	v_fmac_f64_e32 v[64:65], v[64:65], v[68:69]
	v_mul_f64 v[68:69], v[66:67], v[64:65]
	v_fma_f64 v[62:63], -v[62:63], v[68:69], v[66:67]
	s_nop 0
	v_div_fmas_f64 v[62:63], v[62:63], v[64:65], v[68:69]
	v_pk_mov_b32 v[66:67], v[246:247], v[246:247] op_sel:[0,1]
	v_pk_mov_b32 v[246:247], v[248:249], v[248:249] op_sel:[0,1]
	;; [unrolled: 1-line block ×35, first 2 shown]
	v_div_fixup_f64 v[62:63], v[62:63], v[240:241], 1.0
	ds_write_b64 v58, v[62:63]
.LBB119_299:
	s_or_b64 exec, exec, s[2:3]
	s_waitcnt lgkmcnt(0)
	s_barrier
	ds_read_b64 v[58:59], v58
	s_waitcnt lgkmcnt(0)
	s_barrier
	s_and_saveexec_b64 s[2:3], s[0:1]
	s_cbranch_execz .LBB119_302
; %bb.300:
	buffer_load_dword v0, off, s[16:19], 0 offset:208 ; 4-byte Folded Reload
	buffer_load_dword v1, off, s[16:19], 0 offset:212 ; 4-byte Folded Reload
	s_load_dwordx2 s[4:5], s[4:5], 0x28
	s_waitcnt lgkmcnt(0)
	v_mov_b32_e32 v3, s5
	s_waitcnt vmcnt(0)
	v_cmp_eq_f64_e32 vcc, 0, v[0:1]
	buffer_load_dword v0, off, s[16:19], 0 offset:216 ; 4-byte Folded Reload
	buffer_load_dword v1, off, s[16:19], 0 offset:220 ; 4-byte Folded Reload
	v_cndmask_b32_e64 v61, 0, 1, vcc
	s_waitcnt vmcnt(0)
	v_cmp_neq_f64_e64 s[0:1], 0, v[0:1]
	buffer_load_dword v0, off, s[16:19], 0 offset:224 ; 4-byte Folded Reload
	buffer_load_dword v1, off, s[16:19], 0 offset:228 ; 4-byte Folded Reload
	s_or_b64 vcc, s[0:1], vcc
	v_cndmask_b32_e32 v61, 2, v61, vcc
	v_cmp_eq_u32_e64 s[0:1], 0, v61
	s_waitcnt vmcnt(0)
	v_cmp_eq_f64_e32 vcc, 0, v[0:1]
	buffer_load_dword v0, off, s[16:19], 0 offset:232 ; 4-byte Folded Reload
	buffer_load_dword v1, off, s[16:19], 0 offset:236 ; 4-byte Folded Reload
	s_and_b64 s[0:1], vcc, s[0:1]
	v_cndmask_b32_e64 v61, v61, 3, s[0:1]
	v_cmp_eq_u32_e64 s[0:1], 0, v61
	s_waitcnt vmcnt(0)
	v_cmp_eq_f64_e32 vcc, 0, v[0:1]
	buffer_load_dword v0, off, s[16:19], 0 offset:240 ; 4-byte Folded Reload
	buffer_load_dword v1, off, s[16:19], 0 offset:244 ; 4-byte Folded Reload
	s_and_b64 s[0:1], vcc, s[0:1]
	v_cndmask_b32_e64 v61, v61, 4, s[0:1]
	;; [unrolled: 7-line block ×29, first 2 shown]
	v_cmp_eq_u32_e64 s[0:1], 0, v2
	s_waitcnt vmcnt(0)
	v_cmp_eq_f64_e32 vcc, 0, v[0:1]
	s_and_b64 s[0:1], vcc, s[0:1]
	v_cndmask_b32_e64 v0, v2, 32, s[0:1]
	v_cmp_eq_f64_e32 vcc, 0, v[4:5]
	v_cmp_eq_u32_e64 s[0:1], 0, v0
	s_and_b64 s[0:1], vcc, s[0:1]
	v_cndmask_b32_e64 v0, v0, 33, s[0:1]
	v_cmp_eq_f64_e32 vcc, 0, v[6:7]
	v_cmp_eq_u32_e64 s[0:1], 0, v0
	;; [unrolled: 4-line block ×8, first 2 shown]
	s_and_b64 s[0:1], vcc, s[0:1]
	v_cndmask_b32_e64 v2, v0, 40, s[0:1]
	v_lshlrev_b64 v[0:1], 2, v[68:69]
	v_add_co_u32_e64 v0, s[0:1], s4, v0
	v_addc_co_u32_e64 v1, s[0:1], v3, v1, s[0:1]
	global_load_dword v3, v[0:1], off
	v_cmp_eq_f64_e32 vcc, 0, v[20:21]
	v_cmp_eq_u32_e64 s[0:1], 0, v2
	s_and_b64 s[0:1], vcc, s[0:1]
	v_cndmask_b32_e64 v2, v2, 41, s[0:1]
	v_cmp_eq_f64_e32 vcc, 0, v[22:23]
	v_cmp_eq_u32_e64 s[0:1], 0, v2
	s_and_b64 s[0:1], vcc, s[0:1]
	v_cndmask_b32_e64 v2, v2, 42, s[0:1]
	;; [unrolled: 4-line block ×20, first 2 shown]
	s_waitcnt vmcnt(0)
	v_cmp_eq_u32_e32 vcc, 0, v3
	v_cmp_ne_u32_e64 s[0:1], 0, v2
	s_and_b64 s[0:1], vcc, s[0:1]
	s_and_b64 exec, exec, s[0:1]
	s_cbranch_execz .LBB119_302
; %bb.301:
	v_add_u32_e32 v2, s9, v2
	global_store_dword v[0:1], v2, off
.LBB119_302:
	s_or_b64 exec, exec, s[2:3]
	buffer_load_dword v2, off, s[16:19], 0 offset:192 ; 4-byte Folded Reload
	buffer_load_dword v3, off, s[16:19], 0 offset:196 ; 4-byte Folded Reload
	v_mul_f64 v[0:1], v[58:59], v[240:241]
	v_cmp_lt_u32_e32 vcc, 59, v60
	v_cndmask_b32_e32 v1, v241, v1, vcc
	v_cndmask_b32_e32 v0, v240, v0, vcc
	s_waitcnt vmcnt(0)
	global_store_dwordx2 v[2:3], v[122:123], off
	buffer_load_dword v2, off, s[16:19], 0 offset:200 ; 4-byte Folded Reload
	s_nop 0
	buffer_load_dword v3, off, s[16:19], 0 offset:204 ; 4-byte Folded Reload
	s_waitcnt vmcnt(0)
	global_store_dwordx2 v[2:3], v[180:181], off
	global_store_dwordx2 v[70:71], v[238:239], off
	;; [unrolled: 1-line block ×35, first 2 shown]
	buffer_load_dword v2, off, s[16:19], 0  ; 4-byte Folded Reload
	buffer_load_dword v3, off, s[16:19], 0 offset:4 ; 4-byte Folded Reload
	s_waitcnt vmcnt(0)
	global_store_dwordx2 v[2:3], v[204:205], off
	buffer_load_dword v2, off, s[16:19], 0 offset:8 ; 4-byte Folded Reload
	s_nop 0
	buffer_load_dword v3, off, s[16:19], 0 offset:12 ; 4-byte Folded Reload
	s_waitcnt vmcnt(0)
	global_store_dwordx2 v[2:3], v[144:145], off
	buffer_load_dword v2, off, s[16:19], 0 offset:16 ; 4-byte Folded Reload
	s_nop 0
	buffer_load_dword v3, off, s[16:19], 0 offset:20 ; 4-byte Folded Reload
	s_waitcnt vmcnt(0)
	global_store_dwordx2 v[2:3], v[202:203], off
	buffer_load_dword v2, off, s[16:19], 0 offset:24 ; 4-byte Folded Reload
	s_nop 0
	buffer_load_dword v3, off, s[16:19], 0 offset:28 ; 4-byte Folded Reload
	s_waitcnt vmcnt(0)
	global_store_dwordx2 v[2:3], v[142:143], off
	buffer_load_dword v2, off, s[16:19], 0 offset:32 ; 4-byte Folded Reload
	s_nop 0
	buffer_load_dword v3, off, s[16:19], 0 offset:36 ; 4-byte Folded Reload
	s_waitcnt vmcnt(0)
	global_store_dwordx2 v[2:3], v[200:201], off
	buffer_load_dword v2, off, s[16:19], 0 offset:40 ; 4-byte Folded Reload
	s_nop 0
	buffer_load_dword v3, off, s[16:19], 0 offset:44 ; 4-byte Folded Reload
	s_waitcnt vmcnt(0)
	global_store_dwordx2 v[2:3], v[140:141], off
	buffer_load_dword v2, off, s[16:19], 0 offset:48 ; 4-byte Folded Reload
	s_nop 0
	buffer_load_dword v3, off, s[16:19], 0 offset:52 ; 4-byte Folded Reload
	s_waitcnt vmcnt(0)
	global_store_dwordx2 v[2:3], v[198:199], off
	buffer_load_dword v2, off, s[16:19], 0 offset:56 ; 4-byte Folded Reload
	s_nop 0
	buffer_load_dword v3, off, s[16:19], 0 offset:60 ; 4-byte Folded Reload
	s_waitcnt vmcnt(0)
	global_store_dwordx2 v[2:3], v[138:139], off
	buffer_load_dword v2, off, s[16:19], 0 offset:64 ; 4-byte Folded Reload
	s_nop 0
	buffer_load_dword v3, off, s[16:19], 0 offset:68 ; 4-byte Folded Reload
	s_waitcnt vmcnt(0)
	global_store_dwordx2 v[2:3], v[196:197], off
	buffer_load_dword v2, off, s[16:19], 0 offset:72 ; 4-byte Folded Reload
	s_nop 0
	buffer_load_dword v3, off, s[16:19], 0 offset:76 ; 4-byte Folded Reload
	s_waitcnt vmcnt(0)
	global_store_dwordx2 v[2:3], v[136:137], off
	buffer_load_dword v2, off, s[16:19], 0 offset:80 ; 4-byte Folded Reload
	s_nop 0
	buffer_load_dword v3, off, s[16:19], 0 offset:84 ; 4-byte Folded Reload
	s_waitcnt vmcnt(0)
	global_store_dwordx2 v[2:3], v[194:195], off
	buffer_load_dword v2, off, s[16:19], 0 offset:88 ; 4-byte Folded Reload
	s_nop 0
	buffer_load_dword v3, off, s[16:19], 0 offset:92 ; 4-byte Folded Reload
	s_waitcnt vmcnt(0)
	global_store_dwordx2 v[2:3], v[134:135], off
	buffer_load_dword v2, off, s[16:19], 0 offset:96 ; 4-byte Folded Reload
	s_nop 0
	buffer_load_dword v3, off, s[16:19], 0 offset:100 ; 4-byte Folded Reload
	s_waitcnt vmcnt(0)
	global_store_dwordx2 v[2:3], v[192:193], off
	buffer_load_dword v2, off, s[16:19], 0 offset:104 ; 4-byte Folded Reload
	s_nop 0
	buffer_load_dword v3, off, s[16:19], 0 offset:108 ; 4-byte Folded Reload
	s_waitcnt vmcnt(0)
	global_store_dwordx2 v[2:3], v[132:133], off
	buffer_load_dword v2, off, s[16:19], 0 offset:112 ; 4-byte Folded Reload
	s_nop 0
	buffer_load_dword v3, off, s[16:19], 0 offset:116 ; 4-byte Folded Reload
	s_waitcnt vmcnt(0)
	global_store_dwordx2 v[2:3], v[190:191], off
	buffer_load_dword v2, off, s[16:19], 0 offset:120 ; 4-byte Folded Reload
	s_nop 0
	buffer_load_dword v3, off, s[16:19], 0 offset:124 ; 4-byte Folded Reload
	s_waitcnt vmcnt(0)
	global_store_dwordx2 v[2:3], v[130:131], off
	buffer_load_dword v2, off, s[16:19], 0 offset:128 ; 4-byte Folded Reload
	s_nop 0
	buffer_load_dword v3, off, s[16:19], 0 offset:132 ; 4-byte Folded Reload
	s_waitcnt vmcnt(0)
	global_store_dwordx2 v[2:3], v[188:189], off
	buffer_load_dword v2, off, s[16:19], 0 offset:136 ; 4-byte Folded Reload
	s_nop 0
	buffer_load_dword v3, off, s[16:19], 0 offset:140 ; 4-byte Folded Reload
	s_waitcnt vmcnt(0)
	global_store_dwordx2 v[2:3], v[128:129], off
	buffer_load_dword v2, off, s[16:19], 0 offset:144 ; 4-byte Folded Reload
	s_nop 0
	buffer_load_dword v3, off, s[16:19], 0 offset:148 ; 4-byte Folded Reload
	s_waitcnt vmcnt(0)
	global_store_dwordx2 v[2:3], v[186:187], off
	buffer_load_dword v2, off, s[16:19], 0 offset:152 ; 4-byte Folded Reload
	s_nop 0
	buffer_load_dword v3, off, s[16:19], 0 offset:156 ; 4-byte Folded Reload
	s_waitcnt vmcnt(0)
	global_store_dwordx2 v[2:3], v[126:127], off
	buffer_load_dword v2, off, s[16:19], 0 offset:160 ; 4-byte Folded Reload
	s_nop 0
	buffer_load_dword v3, off, s[16:19], 0 offset:164 ; 4-byte Folded Reload
	s_waitcnt vmcnt(0)
	global_store_dwordx2 v[2:3], v[184:185], off
	buffer_load_dword v2, off, s[16:19], 0 offset:168 ; 4-byte Folded Reload
	s_nop 0
	buffer_load_dword v3, off, s[16:19], 0 offset:172 ; 4-byte Folded Reload
	s_waitcnt vmcnt(0)
	global_store_dwordx2 v[2:3], v[124:125], off
	buffer_load_dword v2, off, s[16:19], 0 offset:176 ; 4-byte Folded Reload
	s_nop 0
	buffer_load_dword v3, off, s[16:19], 0 offset:180 ; 4-byte Folded Reload
	s_waitcnt vmcnt(0)
	global_store_dwordx2 v[2:3], v[182:183], off
	buffer_load_dword v2, off, s[16:19], 0 offset:184 ; 4-byte Folded Reload
	s_nop 0
	buffer_load_dword v3, off, s[16:19], 0 offset:188 ; 4-byte Folded Reload
	s_waitcnt vmcnt(0)
	global_store_dwordx2 v[2:3], v[0:1], off
.LBB119_303:
	s_endpgm
	.section	.rodata,"a",@progbits
	.p2align	6, 0x0
	.amdhsa_kernel _ZN9rocsolver6v33100L23getf2_npvt_small_kernelILi60EdiiPKPdEEvT1_T3_lS5_lPT2_S5_S5_
		.amdhsa_group_segment_fixed_size 0
		.amdhsa_private_segment_fixed_size 468
		.amdhsa_kernarg_size 312
		.amdhsa_user_sgpr_count 6
		.amdhsa_user_sgpr_private_segment_buffer 1
		.amdhsa_user_sgpr_dispatch_ptr 0
		.amdhsa_user_sgpr_queue_ptr 0
		.amdhsa_user_sgpr_kernarg_segment_ptr 1
		.amdhsa_user_sgpr_dispatch_id 0
		.amdhsa_user_sgpr_flat_scratch_init 0
		.amdhsa_user_sgpr_kernarg_preload_length 0
		.amdhsa_user_sgpr_kernarg_preload_offset 0
		.amdhsa_user_sgpr_private_segment_size 0
		.amdhsa_uses_dynamic_stack 0
		.amdhsa_system_sgpr_private_segment_wavefront_offset 1
		.amdhsa_system_sgpr_workgroup_id_x 1
		.amdhsa_system_sgpr_workgroup_id_y 1
		.amdhsa_system_sgpr_workgroup_id_z 0
		.amdhsa_system_sgpr_workgroup_info 0
		.amdhsa_system_vgpr_workitem_id 1
		.amdhsa_next_free_vgpr 256
		.amdhsa_next_free_sgpr 20
		.amdhsa_accum_offset 256
		.amdhsa_reserve_vcc 1
		.amdhsa_reserve_flat_scratch 0
		.amdhsa_float_round_mode_32 0
		.amdhsa_float_round_mode_16_64 0
		.amdhsa_float_denorm_mode_32 3
		.amdhsa_float_denorm_mode_16_64 3
		.amdhsa_dx10_clamp 1
		.amdhsa_ieee_mode 1
		.amdhsa_fp16_overflow 0
		.amdhsa_tg_split 0
		.amdhsa_exception_fp_ieee_invalid_op 0
		.amdhsa_exception_fp_denorm_src 0
		.amdhsa_exception_fp_ieee_div_zero 0
		.amdhsa_exception_fp_ieee_overflow 0
		.amdhsa_exception_fp_ieee_underflow 0
		.amdhsa_exception_fp_ieee_inexact 0
		.amdhsa_exception_int_div_zero 0
	.end_amdhsa_kernel
	.section	.text._ZN9rocsolver6v33100L23getf2_npvt_small_kernelILi60EdiiPKPdEEvT1_T3_lS5_lPT2_S5_S5_,"axG",@progbits,_ZN9rocsolver6v33100L23getf2_npvt_small_kernelILi60EdiiPKPdEEvT1_T3_lS5_lPT2_S5_S5_,comdat
.Lfunc_end119:
	.size	_ZN9rocsolver6v33100L23getf2_npvt_small_kernelILi60EdiiPKPdEEvT1_T3_lS5_lPT2_S5_S5_, .Lfunc_end119-_ZN9rocsolver6v33100L23getf2_npvt_small_kernelILi60EdiiPKPdEEvT1_T3_lS5_lPT2_S5_S5_
                                        ; -- End function
	.section	.AMDGPU.csdata,"",@progbits
; Kernel info:
; codeLenInByte = 59352
; NumSgprs: 24
; NumVgprs: 256
; NumAgprs: 0
; TotalNumVgprs: 256
; ScratchSize: 468
; MemoryBound: 0
; FloatMode: 240
; IeeeMode: 1
; LDSByteSize: 0 bytes/workgroup (compile time only)
; SGPRBlocks: 2
; VGPRBlocks: 31
; NumSGPRsForWavesPerEU: 24
; NumVGPRsForWavesPerEU: 256
; AccumOffset: 256
; Occupancy: 2
; WaveLimiterHint : 1
; COMPUTE_PGM_RSRC2:SCRATCH_EN: 1
; COMPUTE_PGM_RSRC2:USER_SGPR: 6
; COMPUTE_PGM_RSRC2:TRAP_HANDLER: 0
; COMPUTE_PGM_RSRC2:TGID_X_EN: 1
; COMPUTE_PGM_RSRC2:TGID_Y_EN: 1
; COMPUTE_PGM_RSRC2:TGID_Z_EN: 0
; COMPUTE_PGM_RSRC2:TIDIG_COMP_CNT: 1
; COMPUTE_PGM_RSRC3_GFX90A:ACCUM_OFFSET: 63
; COMPUTE_PGM_RSRC3_GFX90A:TG_SPLIT: 0
	.section	.text._ZN9rocsolver6v33100L18getf2_small_kernelILi61EdiiPKPdEEvT1_T3_lS5_lPS5_llPT2_S5_S5_S7_l,"axG",@progbits,_ZN9rocsolver6v33100L18getf2_small_kernelILi61EdiiPKPdEEvT1_T3_lS5_lPS5_llPT2_S5_S5_S7_l,comdat
	.globl	_ZN9rocsolver6v33100L18getf2_small_kernelILi61EdiiPKPdEEvT1_T3_lS5_lPS5_llPT2_S5_S5_S7_l ; -- Begin function _ZN9rocsolver6v33100L18getf2_small_kernelILi61EdiiPKPdEEvT1_T3_lS5_lPS5_llPT2_S5_S5_S7_l
	.p2align	8
	.type	_ZN9rocsolver6v33100L18getf2_small_kernelILi61EdiiPKPdEEvT1_T3_lS5_lPS5_llPT2_S5_S5_S7_l,@function
_ZN9rocsolver6v33100L18getf2_small_kernelILi61EdiiPKPdEEvT1_T3_lS5_lPS5_llPT2_S5_S5_S7_l: ; @_ZN9rocsolver6v33100L18getf2_small_kernelILi61EdiiPKPdEEvT1_T3_lS5_lPS5_llPT2_S5_S5_S7_l
; %bb.0:
	s_load_dword s0, s[4:5], 0x6c
	s_load_dwordx2 s[12:13], s[4:5], 0x48
	v_bfe_u32 v126, v0, 10, 10
	s_waitcnt lgkmcnt(0)
	s_lshr_b32 s0, s0, 16
	s_mul_i32 s7, s7, s0
	v_add_u32_e32 v2, s7, v126
	v_cmp_gt_i32_e32 vcc, s12, v2
	s_and_saveexec_b64 s[0:1], vcc
	s_cbranch_execz .LBB120_1034
; %bb.1:
	s_load_dwordx4 s[0:3], s[4:5], 0x8
	s_load_dwordx4 s[8:11], s[4:5], 0x50
	v_ashrrev_i32_e32 v3, 31, v2
	v_lshlrev_b64 v[4:5], 3, v[2:3]
	s_waitcnt lgkmcnt(0)
	v_mov_b32_e32 v1, s1
	v_add_co_u32_e32 v4, vcc, s0, v4
	v_addc_co_u32_e32 v5, vcc, v1, v5, vcc
	global_load_dwordx2 v[6:7], v[4:5], off
	s_cmp_eq_u64 s[8:9], 0
	s_cselect_b64 s[6:7], -1, 0
	s_and_b64 vcc, exec, s[6:7]
	v_pk_mov_b32 v[4:5], 0, 0
	s_cbranch_vccnz .LBB120_3
; %bb.2:
	v_mul_lo_u32 v1, v3, s10
	v_mul_lo_u32 v8, v2, s11
	v_mad_u64_u32 v[4:5], s[0:1], v2, s10, 0
	v_add3_u32 v5, v5, v8, v1
	v_lshlrev_b64 v[4:5], 2, v[4:5]
	v_mov_b32_e32 v1, s9
	v_add_co_u32_e32 v4, vcc, s8, v4
	v_addc_co_u32_e32 v5, vcc, v1, v5, vcc
.LBB120_3:
	s_load_dword s8, s[4:5], 0x18
	s_load_dword s18, s[4:5], 0x0
	s_lshl_b64 s[0:1], s[2:3], 3
	v_and_b32_e32 v134, 0x3ff, v0
	v_mov_b32_e32 v1, s1
	s_waitcnt lgkmcnt(0)
	s_add_i32 s12, s8, s8
	s_waitcnt vmcnt(0)
	v_add_co_u32_e32 v132, vcc, s0, v6
	v_add_u32_e32 v6, s12, v134
	v_addc_co_u32_e32 v133, vcc, v7, v1, vcc
	v_ashrrev_i32_e32 v7, 31, v6
	v_lshlrev_b64 v[0:1], 3, v[6:7]
	v_add_u32_e32 v8, s8, v6
	v_add_co_u32_e32 v0, vcc, v132, v0
	v_ashrrev_i32_e32 v9, 31, v8
	v_addc_co_u32_e32 v1, vcc, v133, v1, vcc
	v_lshlrev_b64 v[6:7], 3, v[8:9]
	v_add_u32_e32 v10, s8, v8
	v_add_co_u32_e32 v6, vcc, v132, v6
	v_ashrrev_i32_e32 v11, 31, v10
	v_addc_co_u32_e32 v7, vcc, v133, v7, vcc
	;; [unrolled: 5-line block ×58, first 2 shown]
	v_lshlrev_b64 v[34:35], 3, v[34:35]
	v_add_co_u32_e32 v188, vcc, v132, v34
	v_addc_co_u32_e32 v189, vcc, v133, v35, vcc
	v_lshlrev_b32_e32 v127, 3, v134
	v_add_co_u32_e32 v34, vcc, v132, v127
	s_ashr_i32 s9, s8, 31
	v_addc_co_u32_e32 v35, vcc, 0, v133, vcc
	s_lshl_b64 s[10:11], s[8:9], 3
	v_mov_b32_e32 v65, s11
	v_add_co_u32_e32 v64, vcc, s10, v34
	v_addc_co_u32_e32 v65, vcc, v35, v65, vcc
	global_load_dwordx2 v[120:121], v[34:35], off
	global_load_dwordx2 v[122:123], v[64:65], off
	;; [unrolled: 1-line block ×30, first 2 shown]
	s_nop 0
	global_load_dwordx2 v[62:63], v[62:63], off
	s_nop 0
	global_load_dwordx2 v[60:61], v[124:125], off
	global_load_dwordx2 v[58:59], v[128:129], off
	;; [unrolled: 1-line block ×30, first 2 shown]
	s_max_i32 s0, s18, 61
	v_mul_lo_u32 v128, s0, v126
	v_lshl_add_u32 v130, v128, 3, 0
	v_add_u32_e32 v126, v130, v127
	s_cmp_lt_i32 s18, 2
	v_lshlrev_b32_e32 v135, 3, v128
	v_mov_b32_e32 v128, 0
	s_waitcnt vmcnt(60)
	ds_write_b64 v126, v[120:121]
	s_waitcnt lgkmcnt(0)
	s_barrier
	ds_read_b64 v[126:127], v130
	s_cbranch_scc1 .LBB120_6
; %bb.4:
	v_add3_u32 v129, v135, 0, 8
	s_mov_b32 s0, 1
	v_mov_b32_e32 v128, 0
.LBB120_5:                              ; =>This Inner Loop Header: Depth=1
	ds_read_b64 v[136:137], v129
	v_mov_b32_e32 v131, s0
	s_add_i32 s0, s0, 1
	v_add_u32_e32 v129, 8, v129
	s_cmp_eq_u32 s18, s0
	s_waitcnt lgkmcnt(0)
	v_cmp_lt_f64_e64 vcc, |v[126:127]|, |v[136:137]|
	v_cndmask_b32_e32 v127, v127, v137, vcc
	v_cndmask_b32_e32 v126, v126, v136, vcc
	;; [unrolled: 1-line block ×3, first 2 shown]
	s_cbranch_scc0 .LBB120_5
.LBB120_6:
	v_cmp_ne_u32_e32 vcc, v134, v128
                                        ; implicit-def: $vgpr131
	s_and_saveexec_b64 s[0:1], vcc
	s_xor_b64 s[0:1], exec, s[0:1]
	s_cbranch_execz .LBB120_12
; %bb.7:
	v_cmp_eq_u32_e32 vcc, 0, v134
	s_and_saveexec_b64 s[2:3], vcc
	s_cbranch_execz .LBB120_11
; %bb.8:
	v_cmp_ne_u32_e32 vcc, 0, v128
	s_xor_b64 s[14:15], s[6:7], -1
	s_and_b64 s[16:17], s[14:15], vcc
	s_and_saveexec_b64 s[14:15], s[16:17]
	s_cbranch_execz .LBB120_10
; %bb.9:
	v_ashrrev_i32_e32 v129, 31, v128
	v_lshlrev_b64 v[136:137], 2, v[128:129]
	v_add_co_u32_e32 v136, vcc, v4, v136
	v_addc_co_u32_e32 v137, vcc, v5, v137, vcc
	flat_load_dword v129, v[136:137]
	flat_load_dword v131, v[4:5]
	s_waitcnt vmcnt(0) lgkmcnt(0)
	flat_store_dword v[4:5], v129
	flat_store_dword v[136:137], v131
.LBB120_10:
	s_or_b64 exec, exec, s[14:15]
	v_mov_b32_e32 v134, v128
.LBB120_11:
	s_or_b64 exec, exec, s[2:3]
	v_mov_b32_e32 v131, v134
                                        ; implicit-def: $vgpr134
.LBB120_12:
	s_or_saveexec_b64 s[0:1], s[0:1]
	v_mov_b32_e32 v129, v131
	s_xor_b64 exec, exec, s[0:1]
	s_cbranch_execz .LBB120_14
; %bb.13:
	v_mov_b32_e32 v131, 0
	v_mov_b32_e32 v129, v134
	s_waitcnt vmcnt(0)
	ds_write2_b64 v130, v[122:123], v[118:119] offset0:1 offset1:2
	ds_write2_b64 v130, v[116:117], v[114:115] offset0:3 offset1:4
	;; [unrolled: 1-line block ×30, first 2 shown]
.LBB120_14:
	s_or_b64 exec, exec, s[0:1]
	s_waitcnt lgkmcnt(0)
	v_cmp_eq_f64_e64 s[0:1], 0, v[126:127]
	v_cmp_lt_i32_e32 vcc, 0, v131
	s_barrier
	s_and_saveexec_b64 s[2:3], vcc
	s_cbranch_execz .LBB120_16
; %bb.15:
	v_div_scale_f64 v[136:137], s[14:15], v[126:127], v[126:127], 1.0
	v_rcp_f64_e32 v[138:139], v[136:137]
	v_div_scale_f64 v[140:141], vcc, 1.0, v[126:127], 1.0
	ds_read2_b64 v[144:147], v130 offset0:5 offset1:6
	v_fma_f64 v[142:143], -v[136:137], v[138:139], 1.0
	v_fmac_f64_e32 v[138:139], v[138:139], v[142:143]
	v_fma_f64 v[142:143], -v[136:137], v[138:139], 1.0
	v_fmac_f64_e32 v[138:139], v[138:139], v[142:143]
	v_mul_f64 v[142:143], v[140:141], v[138:139]
	v_fma_f64 v[136:137], -v[136:137], v[142:143], v[140:141]
	v_div_fmas_f64 v[136:137], v[136:137], v[138:139], v[142:143]
	v_div_fixup_f64 v[140:141], v[136:137], v[126:127], 1.0
	ds_read2_b64 v[136:139], v130 offset0:1 offset1:2
	v_cndmask_b32_e64 v127, v141, v127, s[0:1]
	v_cndmask_b32_e64 v126, v140, v126, s[0:1]
	ds_read2_b64 v[140:143], v130 offset0:3 offset1:4
	v_mul_f64 v[120:121], v[126:127], v[120:121]
	s_waitcnt vmcnt(0) lgkmcnt(0)
	v_fma_f64 v[122:123], -v[120:121], v[136:137], v[122:123]
	v_fma_f64 v[118:119], -v[120:121], v[138:139], v[118:119]
	ds_read2_b64 v[136:139], v130 offset0:7 offset1:8
	v_fma_f64 v[116:117], -v[120:121], v[140:141], v[116:117]
	v_fma_f64 v[114:115], -v[120:121], v[142:143], v[114:115]
	;; [unrolled: 1-line block ×3, first 2 shown]
	ds_read2_b64 v[140:143], v130 offset0:9 offset1:10
	v_fma_f64 v[110:111], -v[120:121], v[146:147], v[110:111]
	ds_read2_b64 v[144:147], v130 offset0:11 offset1:12
	s_waitcnt lgkmcnt(2)
	v_fma_f64 v[108:109], -v[120:121], v[136:137], v[108:109]
	v_fma_f64 v[106:107], -v[120:121], v[138:139], v[106:107]
	s_waitcnt lgkmcnt(1)
	v_fma_f64 v[104:105], -v[120:121], v[140:141], v[104:105]
	ds_read2_b64 v[136:139], v130 offset0:13 offset1:14
	v_fma_f64 v[102:103], -v[120:121], v[142:143], v[102:103]
	ds_read2_b64 v[140:143], v130 offset0:15 offset1:16
	s_waitcnt lgkmcnt(2)
	v_fma_f64 v[100:101], -v[120:121], v[144:145], v[100:101]
	v_fma_f64 v[98:99], -v[120:121], v[146:147], v[98:99]
	ds_read2_b64 v[144:147], v130 offset0:17 offset1:18
	s_waitcnt lgkmcnt(2)
	v_fma_f64 v[96:97], -v[120:121], v[136:137], v[96:97]
	v_fma_f64 v[94:95], -v[120:121], v[138:139], v[94:95]
	ds_read2_b64 v[136:139], v130 offset0:19 offset1:20
	s_waitcnt lgkmcnt(2)
	v_fma_f64 v[92:93], -v[120:121], v[140:141], v[92:93]
	v_fma_f64 v[90:91], -v[120:121], v[142:143], v[90:91]
	s_waitcnt lgkmcnt(1)
	v_fma_f64 v[88:89], -v[120:121], v[144:145], v[88:89]
	ds_read2_b64 v[140:143], v130 offset0:21 offset1:22
	v_fma_f64 v[86:87], -v[120:121], v[146:147], v[86:87]
	ds_read2_b64 v[144:147], v130 offset0:23 offset1:24
	s_waitcnt lgkmcnt(2)
	v_fma_f64 v[84:85], -v[120:121], v[136:137], v[84:85]
	v_fma_f64 v[82:83], -v[120:121], v[138:139], v[82:83]
	s_waitcnt lgkmcnt(1)
	v_fma_f64 v[80:81], -v[120:121], v[140:141], v[80:81]
	ds_read2_b64 v[136:139], v130 offset0:25 offset1:26
	v_fma_f64 v[78:79], -v[120:121], v[142:143], v[78:79]
	ds_read2_b64 v[140:143], v130 offset0:27 offset1:28
	s_waitcnt lgkmcnt(2)
	v_fma_f64 v[76:77], -v[120:121], v[144:145], v[76:77]
	v_fma_f64 v[74:75], -v[120:121], v[146:147], v[74:75]
	ds_read2_b64 v[144:147], v130 offset0:29 offset1:30
	s_waitcnt lgkmcnt(2)
	v_fma_f64 v[72:73], -v[120:121], v[136:137], v[72:73]
	v_fma_f64 v[70:71], -v[120:121], v[138:139], v[70:71]
	ds_read2_b64 v[136:139], v130 offset0:31 offset1:32
	s_waitcnt lgkmcnt(2)
	v_fma_f64 v[68:69], -v[120:121], v[140:141], v[68:69]
	v_fma_f64 v[66:67], -v[120:121], v[142:143], v[66:67]
	s_waitcnt lgkmcnt(1)
	v_fma_f64 v[64:65], -v[120:121], v[144:145], v[64:65]
	;; [unrolled: 24-line block ×4, first 2 shown]
	ds_read2_b64 v[140:143], v130 offset0:57 offset1:58
	v_fma_f64 v[14:15], -v[120:121], v[146:147], v[14:15]
	ds_read2_b64 v[144:147], v130 offset0:59 offset1:60
	s_waitcnt lgkmcnt(2)
	v_fma_f64 v[12:13], -v[120:121], v[136:137], v[12:13]
	v_fma_f64 v[10:11], -v[120:121], v[138:139], v[10:11]
	s_waitcnt lgkmcnt(1)
	v_fma_f64 v[8:9], -v[120:121], v[140:141], v[8:9]
	v_fma_f64 v[6:7], -v[120:121], v[142:143], v[6:7]
	;; [unrolled: 3-line block ×3, first 2 shown]
.LBB120_16:
	s_or_b64 exec, exec, s[2:3]
	v_lshl_add_u32 v126, v131, 3, v130
	s_barrier
	s_waitcnt vmcnt(0)
	ds_write_b64 v126, v[122:123]
	s_waitcnt lgkmcnt(0)
	s_barrier
	ds_read_b64 v[126:127], v130 offset:8
	s_cmp_lt_i32 s18, 3
	v_mov_b32_e32 v128, 1
	s_cbranch_scc1 .LBB120_19
; %bb.17:
	v_add3_u32 v134, v135, 0, 16
	s_mov_b32 s2, 2
	v_mov_b32_e32 v128, 1
.LBB120_18:                             ; =>This Inner Loop Header: Depth=1
	ds_read_b64 v[136:137], v134
	v_mov_b32_e32 v138, s2
	s_add_i32 s2, s2, 1
	v_add_u32_e32 v134, 8, v134
	s_cmp_lg_u32 s18, s2
	s_waitcnt lgkmcnt(0)
	v_cmp_lt_f64_e64 vcc, |v[126:127]|, |v[136:137]|
	v_cndmask_b32_e32 v127, v127, v137, vcc
	v_cndmask_b32_e32 v126, v126, v136, vcc
	;; [unrolled: 1-line block ×3, first 2 shown]
	s_cbranch_scc1 .LBB120_18
.LBB120_19:
	v_cmp_ne_u32_e32 vcc, v131, v128
	s_and_saveexec_b64 s[2:3], vcc
	s_xor_b64 s[2:3], exec, s[2:3]
	s_cbranch_execz .LBB120_25
; %bb.20:
	v_cmp_eq_u32_e32 vcc, 1, v131
	s_and_saveexec_b64 s[14:15], vcc
	s_cbranch_execz .LBB120_24
; %bb.21:
	v_cmp_ne_u32_e32 vcc, 1, v128
	s_xor_b64 s[16:17], s[6:7], -1
	s_and_b64 s[20:21], s[16:17], vcc
	s_and_saveexec_b64 s[16:17], s[20:21]
	s_cbranch_execz .LBB120_23
; %bb.22:
	v_ashrrev_i32_e32 v129, 31, v128
	v_lshlrev_b64 v[136:137], 2, v[128:129]
	v_add_co_u32_e32 v136, vcc, v4, v136
	v_addc_co_u32_e32 v137, vcc, v5, v137, vcc
	flat_load_dword v129, v[136:137]
	flat_load_dword v131, v[4:5] offset:4
	s_waitcnt vmcnt(0) lgkmcnt(0)
	flat_store_dword v[4:5], v129 offset:4
	flat_store_dword v[136:137], v131
.LBB120_23:
	s_or_b64 exec, exec, s[16:17]
	v_mov_b32_e32 v129, v128
	v_mov_b32_e32 v131, v128
.LBB120_24:
	s_or_b64 exec, exec, s[14:15]
.LBB120_25:
	s_andn2_saveexec_b64 s[2:3], s[2:3]
	s_cbranch_execz .LBB120_27
; %bb.26:
	v_mov_b32_e32 v136, v118
	v_mov_b32_e32 v137, v119
	v_mov_b32_e32 v138, v116
	v_mov_b32_e32 v139, v117
	ds_write2_b64 v130, v[136:137], v[138:139] offset0:2 offset1:3
	v_mov_b32_e32 v136, v114
	v_mov_b32_e32 v137, v115
	v_mov_b32_e32 v138, v112
	v_mov_b32_e32 v139, v113
	ds_write2_b64 v130, v[136:137], v[138:139] offset0:4 offset1:5
	v_mov_b32_e32 v136, v110
	v_mov_b32_e32 v137, v111
	v_mov_b32_e32 v138, v108
	v_mov_b32_e32 v139, v109
	ds_write2_b64 v130, v[136:137], v[138:139] offset0:6 offset1:7
	v_mov_b32_e32 v136, v106
	v_mov_b32_e32 v137, v107
	v_mov_b32_e32 v138, v104
	v_mov_b32_e32 v139, v105
	ds_write2_b64 v130, v[136:137], v[138:139] offset0:8 offset1:9
	v_mov_b32_e32 v136, v102
	v_mov_b32_e32 v137, v103
	v_mov_b32_e32 v138, v100
	v_mov_b32_e32 v139, v101
	ds_write2_b64 v130, v[136:137], v[138:139] offset0:10 offset1:11
	v_mov_b32_e32 v136, v98
	v_mov_b32_e32 v137, v99
	v_mov_b32_e32 v138, v96
	v_mov_b32_e32 v139, v97
	ds_write2_b64 v130, v[136:137], v[138:139] offset0:12 offset1:13
	v_mov_b32_e32 v136, v94
	v_mov_b32_e32 v137, v95
	v_mov_b32_e32 v138, v92
	v_mov_b32_e32 v139, v93
	ds_write2_b64 v130, v[136:137], v[138:139] offset0:14 offset1:15
	v_mov_b32_e32 v136, v90
	v_mov_b32_e32 v137, v91
	v_mov_b32_e32 v138, v88
	v_mov_b32_e32 v139, v89
	ds_write2_b64 v130, v[136:137], v[138:139] offset0:16 offset1:17
	v_mov_b32_e32 v136, v86
	v_mov_b32_e32 v137, v87
	v_mov_b32_e32 v138, v84
	v_mov_b32_e32 v139, v85
	ds_write2_b64 v130, v[136:137], v[138:139] offset0:18 offset1:19
	v_mov_b32_e32 v136, v82
	v_mov_b32_e32 v137, v83
	v_mov_b32_e32 v138, v80
	v_mov_b32_e32 v139, v81
	ds_write2_b64 v130, v[136:137], v[138:139] offset0:20 offset1:21
	v_mov_b32_e32 v136, v78
	v_mov_b32_e32 v137, v79
	v_mov_b32_e32 v138, v76
	v_mov_b32_e32 v139, v77
	ds_write2_b64 v130, v[136:137], v[138:139] offset0:22 offset1:23
	v_mov_b32_e32 v136, v74
	v_mov_b32_e32 v137, v75
	v_mov_b32_e32 v138, v72
	v_mov_b32_e32 v139, v73
	ds_write2_b64 v130, v[136:137], v[138:139] offset0:24 offset1:25
	v_mov_b32_e32 v136, v70
	v_mov_b32_e32 v137, v71
	v_mov_b32_e32 v138, v68
	v_mov_b32_e32 v139, v69
	ds_write2_b64 v130, v[136:137], v[138:139] offset0:26 offset1:27
	v_mov_b32_e32 v136, v66
	v_mov_b32_e32 v137, v67
	v_mov_b32_e32 v138, v64
	v_mov_b32_e32 v139, v65
	ds_write2_b64 v130, v[136:137], v[138:139] offset0:28 offset1:29
	v_mov_b32_e32 v136, v62
	v_mov_b32_e32 v137, v63
	v_mov_b32_e32 v138, v60
	v_mov_b32_e32 v139, v61
	ds_write2_b64 v130, v[136:137], v[138:139] offset0:30 offset1:31
	v_mov_b32_e32 v136, v58
	v_mov_b32_e32 v137, v59
	v_mov_b32_e32 v138, v56
	v_mov_b32_e32 v139, v57
	ds_write2_b64 v130, v[136:137], v[138:139] offset0:32 offset1:33
	v_mov_b32_e32 v136, v54
	v_mov_b32_e32 v137, v55
	v_mov_b32_e32 v138, v52
	v_mov_b32_e32 v139, v53
	ds_write2_b64 v130, v[136:137], v[138:139] offset0:34 offset1:35
	v_mov_b32_e32 v136, v50
	v_mov_b32_e32 v137, v51
	v_mov_b32_e32 v138, v48
	v_mov_b32_e32 v139, v49
	ds_write2_b64 v130, v[136:137], v[138:139] offset0:36 offset1:37
	v_mov_b32_e32 v136, v46
	v_mov_b32_e32 v137, v47
	v_mov_b32_e32 v138, v44
	v_mov_b32_e32 v139, v45
	ds_write2_b64 v130, v[136:137], v[138:139] offset0:38 offset1:39
	v_mov_b32_e32 v136, v42
	v_mov_b32_e32 v137, v43
	v_mov_b32_e32 v138, v40
	v_mov_b32_e32 v139, v41
	ds_write2_b64 v130, v[136:137], v[138:139] offset0:40 offset1:41
	v_mov_b32_e32 v136, v38
	v_mov_b32_e32 v137, v39
	v_mov_b32_e32 v138, v36
	v_mov_b32_e32 v139, v37
	ds_write2_b64 v130, v[136:137], v[138:139] offset0:42 offset1:43
	v_mov_b32_e32 v136, v34
	v_mov_b32_e32 v137, v35
	v_mov_b32_e32 v138, v32
	v_mov_b32_e32 v139, v33
	ds_write2_b64 v130, v[136:137], v[138:139] offset0:44 offset1:45
	v_mov_b32_e32 v136, v30
	v_mov_b32_e32 v137, v31
	v_mov_b32_e32 v138, v28
	v_mov_b32_e32 v139, v29
	ds_write2_b64 v130, v[136:137], v[138:139] offset0:46 offset1:47
	v_mov_b32_e32 v136, v26
	v_mov_b32_e32 v137, v27
	v_mov_b32_e32 v138, v24
	v_mov_b32_e32 v139, v25
	ds_write2_b64 v130, v[136:137], v[138:139] offset0:48 offset1:49
	v_mov_b32_e32 v136, v22
	v_mov_b32_e32 v137, v23
	v_mov_b32_e32 v138, v20
	v_mov_b32_e32 v139, v21
	ds_write2_b64 v130, v[136:137], v[138:139] offset0:50 offset1:51
	v_mov_b32_e32 v136, v18
	v_mov_b32_e32 v137, v19
	v_mov_b32_e32 v138, v16
	v_mov_b32_e32 v139, v17
	ds_write2_b64 v130, v[136:137], v[138:139] offset0:52 offset1:53
	v_mov_b32_e32 v136, v14
	v_mov_b32_e32 v137, v15
	v_mov_b32_e32 v138, v12
	v_mov_b32_e32 v139, v13
	ds_write2_b64 v130, v[136:137], v[138:139] offset0:54 offset1:55
	v_mov_b32_e32 v136, v10
	v_mov_b32_e32 v137, v11
	v_mov_b32_e32 v138, v8
	v_mov_b32_e32 v139, v9
	ds_write2_b64 v130, v[136:137], v[138:139] offset0:56 offset1:57
	v_mov_b32_e32 v136, v6
	v_mov_b32_e32 v137, v7
	;; [unrolled: 1-line block ×5, first 2 shown]
	ds_write2_b64 v130, v[136:137], v[138:139] offset0:58 offset1:59
	ds_write_b64 v130, v[124:125] offset:480
.LBB120_27:
	s_or_b64 exec, exec, s[2:3]
	s_waitcnt lgkmcnt(0)
	v_cmp_neq_f64_e64 s[2:3], 0, v[126:127]
	v_cmp_lt_i32_e32 vcc, 1, v131
	s_barrier
	s_and_saveexec_b64 s[14:15], vcc
	s_cbranch_execz .LBB120_29
; %bb.28:
	v_div_scale_f64 v[136:137], s[16:17], v[126:127], v[126:127], 1.0
	v_rcp_f64_e32 v[138:139], v[136:137]
	v_div_scale_f64 v[140:141], vcc, 1.0, v[126:127], 1.0
	ds_read2_b64 v[144:147], v130 offset0:6 offset1:7
	v_fma_f64 v[142:143], -v[136:137], v[138:139], 1.0
	v_fmac_f64_e32 v[138:139], v[138:139], v[142:143]
	v_fma_f64 v[142:143], -v[136:137], v[138:139], 1.0
	v_fmac_f64_e32 v[138:139], v[138:139], v[142:143]
	v_mul_f64 v[142:143], v[140:141], v[138:139]
	v_fma_f64 v[136:137], -v[136:137], v[142:143], v[140:141]
	v_div_fmas_f64 v[136:137], v[136:137], v[138:139], v[142:143]
	v_div_fixup_f64 v[140:141], v[136:137], v[126:127], 1.0
	ds_read2_b64 v[136:139], v130 offset0:2 offset1:3
	v_cndmask_b32_e64 v127, v127, v141, s[2:3]
	v_cndmask_b32_e64 v126, v126, v140, s[2:3]
	ds_read2_b64 v[140:143], v130 offset0:4 offset1:5
	v_mul_f64 v[122:123], v[126:127], v[122:123]
	s_waitcnt lgkmcnt(0)
	v_fma_f64 v[118:119], -v[122:123], v[136:137], v[118:119]
	v_fma_f64 v[116:117], -v[122:123], v[138:139], v[116:117]
	ds_read2_b64 v[136:139], v130 offset0:8 offset1:9
	v_fma_f64 v[114:115], -v[122:123], v[140:141], v[114:115]
	v_fma_f64 v[112:113], -v[122:123], v[142:143], v[112:113]
	ds_read2_b64 v[140:143], v130 offset0:10 offset1:11
	;; [unrolled: 3-line block ×3, first 2 shown]
	s_waitcnt lgkmcnt(0)
	v_fma_f64 v[106:107], -v[122:123], v[136:137], v[106:107]
	v_fma_f64 v[104:105], -v[122:123], v[138:139], v[104:105]
	;; [unrolled: 1-line block ×3, first 2 shown]
	ds_read2_b64 v[136:139], v130 offset0:14 offset1:15
	v_fma_f64 v[100:101], -v[122:123], v[142:143], v[100:101]
	ds_read2_b64 v[140:143], v130 offset0:16 offset1:17
	v_fma_f64 v[98:99], -v[122:123], v[144:145], v[98:99]
	v_fma_f64 v[96:97], -v[122:123], v[146:147], v[96:97]
	s_waitcnt lgkmcnt(0)
	v_fma_f64 v[94:95], -v[122:123], v[136:137], v[94:95]
	ds_read2_b64 v[144:147], v130 offset0:18 offset1:19
	v_fma_f64 v[92:93], -v[122:123], v[138:139], v[92:93]
	ds_read2_b64 v[136:139], v130 offset0:20 offset1:21
	v_fma_f64 v[90:91], -v[122:123], v[140:141], v[90:91]
	v_fma_f64 v[88:89], -v[122:123], v[142:143], v[88:89]
	ds_read2_b64 v[140:143], v130 offset0:22 offset1:23
	s_waitcnt lgkmcnt(0)
	v_fma_f64 v[86:87], -v[122:123], v[144:145], v[86:87]
	v_fma_f64 v[84:85], -v[122:123], v[146:147], v[84:85]
	ds_read2_b64 v[144:147], v130 offset0:24 offset1:25
	v_fma_f64 v[82:83], -v[122:123], v[136:137], v[82:83]
	v_fma_f64 v[80:81], -v[122:123], v[138:139], v[80:81]
	v_fma_f64 v[78:79], -v[122:123], v[140:141], v[78:79]
	ds_read2_b64 v[136:139], v130 offset0:26 offset1:27
	v_fma_f64 v[76:77], -v[122:123], v[142:143], v[76:77]
	ds_read2_b64 v[140:143], v130 offset0:28 offset1:29
	s_waitcnt lgkmcnt(0)
	v_fma_f64 v[74:75], -v[122:123], v[144:145], v[74:75]
	v_fma_f64 v[72:73], -v[122:123], v[146:147], v[72:73]
	v_fma_f64 v[70:71], -v[122:123], v[136:137], v[70:71]
	ds_read2_b64 v[144:147], v130 offset0:30 offset1:31
	v_fma_f64 v[68:69], -v[122:123], v[138:139], v[68:69]
	ds_read2_b64 v[136:139], v130 offset0:32 offset1:33
	v_fma_f64 v[66:67], -v[122:123], v[140:141], v[66:67]
	v_fma_f64 v[64:65], -v[122:123], v[142:143], v[64:65]
	ds_read2_b64 v[140:143], v130 offset0:34 offset1:35
	s_waitcnt lgkmcnt(0)
	v_fma_f64 v[62:63], -v[122:123], v[144:145], v[62:63]
	v_fma_f64 v[60:61], -v[122:123], v[146:147], v[60:61]
	ds_read2_b64 v[144:147], v130 offset0:36 offset1:37
	v_fma_f64 v[58:59], -v[122:123], v[136:137], v[58:59]
	v_fma_f64 v[56:57], -v[122:123], v[138:139], v[56:57]
	v_fma_f64 v[54:55], -v[122:123], v[140:141], v[54:55]
	ds_read2_b64 v[136:139], v130 offset0:38 offset1:39
	v_fma_f64 v[52:53], -v[122:123], v[142:143], v[52:53]
	ds_read2_b64 v[140:143], v130 offset0:40 offset1:41
	s_waitcnt lgkmcnt(0)
	v_fma_f64 v[50:51], -v[122:123], v[144:145], v[50:51]
	v_fma_f64 v[48:49], -v[122:123], v[146:147], v[48:49]
	;; [unrolled: 20-line block ×3, first 2 shown]
	v_fma_f64 v[22:23], -v[122:123], v[136:137], v[22:23]
	ds_read2_b64 v[144:147], v130 offset0:54 offset1:55
	v_fma_f64 v[20:21], -v[122:123], v[138:139], v[20:21]
	ds_read2_b64 v[136:139], v130 offset0:56 offset1:57
	v_fma_f64 v[18:19], -v[122:123], v[140:141], v[18:19]
	v_fma_f64 v[16:17], -v[122:123], v[142:143], v[16:17]
	ds_read2_b64 v[140:143], v130 offset0:58 offset1:59
	ds_read_b64 v[126:127], v130 offset:480
	s_waitcnt lgkmcnt(0)
	v_fma_f64 v[14:15], -v[122:123], v[144:145], v[14:15]
	v_fma_f64 v[12:13], -v[122:123], v[146:147], v[12:13]
	;; [unrolled: 1-line block ×7, first 2 shown]
.LBB120_29:
	s_or_b64 exec, exec, s[14:15]
	v_lshl_add_u32 v126, v131, 3, v130
	s_barrier
	ds_write_b64 v126, v[118:119]
	s_waitcnt lgkmcnt(0)
	s_barrier
	ds_read_b64 v[126:127], v130 offset:16
	s_mov_b32 s9, 3
	s_cmp_lt_i32 s18, 4
	v_mov_b32_e32 v128, 2
	s_cbranch_scc1 .LBB120_32
; %bb.30:
	v_add3_u32 v134, v135, 0, 24
	v_mov_b32_e32 v128, 2
.LBB120_31:                             ; =>This Inner Loop Header: Depth=1
	ds_read_b64 v[136:137], v134
	v_mov_b32_e32 v138, s9
	s_add_i32 s9, s9, 1
	v_add_u32_e32 v134, 8, v134
	s_cmp_lg_u32 s18, s9
	s_waitcnt lgkmcnt(0)
	v_cmp_lt_f64_e64 vcc, |v[126:127]|, |v[136:137]|
	v_cndmask_b32_e32 v127, v127, v137, vcc
	v_cndmask_b32_e32 v126, v126, v136, vcc
	;; [unrolled: 1-line block ×3, first 2 shown]
	s_cbranch_scc1 .LBB120_31
.LBB120_32:
	v_cndmask_b32_e64 v134, 2, 1, s[0:1]
	v_cndmask_b32_e64 v136, 0, 1, s[0:1]
	;; [unrolled: 1-line block ×3, first 2 shown]
	s_waitcnt lgkmcnt(0)
	v_cmp_eq_f64_e32 vcc, 0, v[126:127]
	s_and_saveexec_b64 s[0:1], vcc
	s_xor_b64 s[0:1], exec, s[0:1]
; %bb.33:
	v_cmp_ne_u32_e32 vcc, 0, v134
	v_cndmask_b32_e32 v134, 3, v134, vcc
; %bb.34:
	s_andn2_saveexec_b64 s[0:1], s[0:1]
; %bb.35:
	v_div_scale_f64 v[136:137], s[2:3], v[126:127], v[126:127], 1.0
	v_rcp_f64_e32 v[138:139], v[136:137]
	v_div_scale_f64 v[140:141], vcc, 1.0, v[126:127], 1.0
	v_fma_f64 v[142:143], -v[136:137], v[138:139], 1.0
	v_fmac_f64_e32 v[138:139], v[138:139], v[142:143]
	v_fma_f64 v[142:143], -v[136:137], v[138:139], 1.0
	v_fmac_f64_e32 v[138:139], v[138:139], v[142:143]
	v_mul_f64 v[142:143], v[140:141], v[138:139]
	v_fma_f64 v[136:137], -v[136:137], v[142:143], v[140:141]
	v_div_fmas_f64 v[136:137], v[136:137], v[138:139], v[142:143]
	v_div_fixup_f64 v[126:127], v[136:137], v[126:127], 1.0
; %bb.36:
	s_or_b64 exec, exec, s[0:1]
	v_cmp_ne_u32_e32 vcc, v131, v128
	s_and_saveexec_b64 s[0:1], vcc
	s_xor_b64 s[0:1], exec, s[0:1]
	s_cbranch_execz .LBB120_42
; %bb.37:
	v_cmp_eq_u32_e32 vcc, 2, v131
	s_and_saveexec_b64 s[2:3], vcc
	s_cbranch_execz .LBB120_41
; %bb.38:
	v_cmp_ne_u32_e32 vcc, 2, v128
	s_xor_b64 s[14:15], s[6:7], -1
	s_and_b64 s[16:17], s[14:15], vcc
	s_and_saveexec_b64 s[14:15], s[16:17]
	s_cbranch_execz .LBB120_40
; %bb.39:
	v_ashrrev_i32_e32 v129, 31, v128
	v_lshlrev_b64 v[136:137], 2, v[128:129]
	v_add_co_u32_e32 v136, vcc, v4, v136
	v_addc_co_u32_e32 v137, vcc, v5, v137, vcc
	flat_load_dword v129, v[136:137]
	flat_load_dword v131, v[4:5] offset:8
	s_waitcnt vmcnt(0) lgkmcnt(0)
	flat_store_dword v[4:5], v129 offset:8
	flat_store_dword v[136:137], v131
.LBB120_40:
	s_or_b64 exec, exec, s[14:15]
	v_mov_b32_e32 v129, v128
	v_mov_b32_e32 v131, v128
.LBB120_41:
	s_or_b64 exec, exec, s[2:3]
.LBB120_42:
	s_andn2_saveexec_b64 s[0:1], s[0:1]
	s_cbranch_execz .LBB120_44
; %bb.43:
	v_mov_b32_e32 v131, 2
	ds_write2_b64 v130, v[116:117], v[114:115] offset0:3 offset1:4
	ds_write2_b64 v130, v[112:113], v[110:111] offset0:5 offset1:6
	;; [unrolled: 1-line block ×29, first 2 shown]
.LBB120_44:
	s_or_b64 exec, exec, s[0:1]
	v_cmp_lt_i32_e32 vcc, 2, v131
	s_waitcnt lgkmcnt(0)
	s_barrier
	s_and_saveexec_b64 s[0:1], vcc
	s_cbranch_execz .LBB120_46
; %bb.45:
	ds_read2_b64 v[136:139], v130 offset0:3 offset1:4
	ds_read2_b64 v[140:143], v130 offset0:5 offset1:6
	v_mul_f64 v[118:119], v[126:127], v[118:119]
	ds_read2_b64 v[144:147], v130 offset0:7 offset1:8
	s_waitcnt lgkmcnt(0)
	v_fma_f64 v[116:117], -v[118:119], v[136:137], v[116:117]
	v_fma_f64 v[114:115], -v[118:119], v[138:139], v[114:115]
	ds_read2_b64 v[136:139], v130 offset0:9 offset1:10
	v_fma_f64 v[112:113], -v[118:119], v[140:141], v[112:113]
	v_fma_f64 v[110:111], -v[118:119], v[142:143], v[110:111]
	ds_read2_b64 v[140:143], v130 offset0:11 offset1:12
	;; [unrolled: 3-line block ×3, first 2 shown]
	s_waitcnt lgkmcnt(0)
	v_fma_f64 v[104:105], -v[118:119], v[136:137], v[104:105]
	v_fma_f64 v[102:103], -v[118:119], v[138:139], v[102:103]
	v_fma_f64 v[100:101], -v[118:119], v[140:141], v[100:101]
	ds_read2_b64 v[136:139], v130 offset0:15 offset1:16
	v_fma_f64 v[98:99], -v[118:119], v[142:143], v[98:99]
	ds_read2_b64 v[140:143], v130 offset0:17 offset1:18
	v_fma_f64 v[96:97], -v[118:119], v[144:145], v[96:97]
	v_fma_f64 v[94:95], -v[118:119], v[146:147], v[94:95]
	s_waitcnt lgkmcnt(0)
	v_fma_f64 v[92:93], -v[118:119], v[136:137], v[92:93]
	ds_read2_b64 v[144:147], v130 offset0:19 offset1:20
	v_fma_f64 v[90:91], -v[118:119], v[138:139], v[90:91]
	ds_read2_b64 v[136:139], v130 offset0:21 offset1:22
	v_fma_f64 v[88:89], -v[118:119], v[140:141], v[88:89]
	v_fma_f64 v[86:87], -v[118:119], v[142:143], v[86:87]
	ds_read2_b64 v[140:143], v130 offset0:23 offset1:24
	s_waitcnt lgkmcnt(0)
	v_fma_f64 v[84:85], -v[118:119], v[144:145], v[84:85]
	v_fma_f64 v[82:83], -v[118:119], v[146:147], v[82:83]
	ds_read2_b64 v[144:147], v130 offset0:25 offset1:26
	v_fma_f64 v[80:81], -v[118:119], v[136:137], v[80:81]
	v_fma_f64 v[78:79], -v[118:119], v[138:139], v[78:79]
	v_fma_f64 v[76:77], -v[118:119], v[140:141], v[76:77]
	ds_read2_b64 v[136:139], v130 offset0:27 offset1:28
	v_fma_f64 v[74:75], -v[118:119], v[142:143], v[74:75]
	ds_read2_b64 v[140:143], v130 offset0:29 offset1:30
	s_waitcnt lgkmcnt(0)
	v_fma_f64 v[72:73], -v[118:119], v[144:145], v[72:73]
	v_fma_f64 v[70:71], -v[118:119], v[146:147], v[70:71]
	v_fma_f64 v[68:69], -v[118:119], v[136:137], v[68:69]
	ds_read2_b64 v[144:147], v130 offset0:31 offset1:32
	v_fma_f64 v[66:67], -v[118:119], v[138:139], v[66:67]
	ds_read2_b64 v[136:139], v130 offset0:33 offset1:34
	v_fma_f64 v[64:65], -v[118:119], v[140:141], v[64:65]
	v_fma_f64 v[62:63], -v[118:119], v[142:143], v[62:63]
	ds_read2_b64 v[140:143], v130 offset0:35 offset1:36
	s_waitcnt lgkmcnt(0)
	v_fma_f64 v[60:61], -v[118:119], v[144:145], v[60:61]
	v_fma_f64 v[58:59], -v[118:119], v[146:147], v[58:59]
	ds_read2_b64 v[144:147], v130 offset0:37 offset1:38
	v_fma_f64 v[56:57], -v[118:119], v[136:137], v[56:57]
	v_fma_f64 v[54:55], -v[118:119], v[138:139], v[54:55]
	v_fma_f64 v[52:53], -v[118:119], v[140:141], v[52:53]
	ds_read2_b64 v[136:139], v130 offset0:39 offset1:40
	v_fma_f64 v[50:51], -v[118:119], v[142:143], v[50:51]
	ds_read2_b64 v[140:143], v130 offset0:41 offset1:42
	s_waitcnt lgkmcnt(0)
	v_fma_f64 v[48:49], -v[118:119], v[144:145], v[48:49]
	v_fma_f64 v[46:47], -v[118:119], v[146:147], v[46:47]
	;; [unrolled: 20-line block ×3, first 2 shown]
	v_fma_f64 v[20:21], -v[118:119], v[136:137], v[20:21]
	v_fma_f64 v[18:19], -v[118:119], v[138:139], v[18:19]
	ds_read2_b64 v[136:139], v130 offset0:55 offset1:56
	ds_read2_b64 v[144:147], v130 offset0:57 offset1:58
	v_fma_f64 v[16:17], -v[118:119], v[140:141], v[16:17]
	v_fma_f64 v[14:15], -v[118:119], v[142:143], v[14:15]
	ds_read2_b64 v[140:143], v130 offset0:59 offset1:60
	s_waitcnt lgkmcnt(0)
	v_fma_f64 v[12:13], -v[118:119], v[136:137], v[12:13]
	v_fma_f64 v[10:11], -v[118:119], v[138:139], v[10:11]
	;; [unrolled: 1-line block ×6, first 2 shown]
.LBB120_46:
	s_or_b64 exec, exec, s[0:1]
	v_lshl_add_u32 v126, v131, 3, v130
	s_barrier
	ds_write_b64 v126, v[116:117]
	s_waitcnt lgkmcnt(0)
	s_barrier
	ds_read_b64 v[126:127], v130 offset:24
	s_cmp_lt_i32 s18, 5
	v_mov_b32_e32 v128, 3
	s_cbranch_scc1 .LBB120_49
; %bb.47:
	v_add3_u32 v136, v135, 0, 32
	s_mov_b32 s0, 4
	v_mov_b32_e32 v128, 3
.LBB120_48:                             ; =>This Inner Loop Header: Depth=1
	ds_read_b64 v[138:139], v136
	v_mov_b32_e32 v137, s0
	s_add_i32 s0, s0, 1
	v_add_u32_e32 v136, 8, v136
	s_cmp_lg_u32 s18, s0
	s_waitcnt lgkmcnt(0)
	v_cmp_lt_f64_e64 vcc, |v[126:127]|, |v[138:139]|
	v_cndmask_b32_e32 v127, v127, v139, vcc
	v_cndmask_b32_e32 v126, v126, v138, vcc
	;; [unrolled: 1-line block ×3, first 2 shown]
	s_cbranch_scc1 .LBB120_48
.LBB120_49:
	s_waitcnt lgkmcnt(0)
	v_cmp_eq_f64_e32 vcc, 0, v[126:127]
	s_and_saveexec_b64 s[0:1], vcc
	s_xor_b64 s[0:1], exec, s[0:1]
; %bb.50:
	v_cmp_ne_u32_e32 vcc, 0, v134
	v_cndmask_b32_e32 v134, 4, v134, vcc
; %bb.51:
	s_andn2_saveexec_b64 s[0:1], s[0:1]
; %bb.52:
	v_div_scale_f64 v[136:137], s[2:3], v[126:127], v[126:127], 1.0
	v_rcp_f64_e32 v[138:139], v[136:137]
	v_div_scale_f64 v[140:141], vcc, 1.0, v[126:127], 1.0
	v_fma_f64 v[142:143], -v[136:137], v[138:139], 1.0
	v_fmac_f64_e32 v[138:139], v[138:139], v[142:143]
	v_fma_f64 v[142:143], -v[136:137], v[138:139], 1.0
	v_fmac_f64_e32 v[138:139], v[138:139], v[142:143]
	v_mul_f64 v[142:143], v[140:141], v[138:139]
	v_fma_f64 v[136:137], -v[136:137], v[142:143], v[140:141]
	v_div_fmas_f64 v[136:137], v[136:137], v[138:139], v[142:143]
	v_div_fixup_f64 v[126:127], v[136:137], v[126:127], 1.0
; %bb.53:
	s_or_b64 exec, exec, s[0:1]
	v_cmp_ne_u32_e32 vcc, v131, v128
	s_and_saveexec_b64 s[0:1], vcc
	s_xor_b64 s[0:1], exec, s[0:1]
	s_cbranch_execz .LBB120_59
; %bb.54:
	v_cmp_eq_u32_e32 vcc, 3, v131
	s_and_saveexec_b64 s[2:3], vcc
	s_cbranch_execz .LBB120_58
; %bb.55:
	v_cmp_ne_u32_e32 vcc, 3, v128
	s_xor_b64 s[14:15], s[6:7], -1
	s_and_b64 s[16:17], s[14:15], vcc
	s_and_saveexec_b64 s[14:15], s[16:17]
	s_cbranch_execz .LBB120_57
; %bb.56:
	v_ashrrev_i32_e32 v129, 31, v128
	v_lshlrev_b64 v[136:137], 2, v[128:129]
	v_add_co_u32_e32 v136, vcc, v4, v136
	v_addc_co_u32_e32 v137, vcc, v5, v137, vcc
	flat_load_dword v129, v[136:137]
	flat_load_dword v131, v[4:5] offset:12
	s_waitcnt vmcnt(0) lgkmcnt(0)
	flat_store_dword v[4:5], v129 offset:12
	flat_store_dword v[136:137], v131
.LBB120_57:
	s_or_b64 exec, exec, s[14:15]
	v_mov_b32_e32 v129, v128
	v_mov_b32_e32 v131, v128
.LBB120_58:
	s_or_b64 exec, exec, s[2:3]
.LBB120_59:
	s_andn2_saveexec_b64 s[0:1], s[0:1]
	s_cbranch_execz .LBB120_61
; %bb.60:
	v_mov_b32_e32 v136, v114
	v_mov_b32_e32 v137, v115
	v_mov_b32_e32 v138, v112
	v_mov_b32_e32 v139, v113
	ds_write2_b64 v130, v[136:137], v[138:139] offset0:4 offset1:5
	v_mov_b32_e32 v136, v110
	v_mov_b32_e32 v137, v111
	v_mov_b32_e32 v138, v108
	v_mov_b32_e32 v139, v109
	ds_write2_b64 v130, v[136:137], v[138:139] offset0:6 offset1:7
	v_mov_b32_e32 v136, v106
	v_mov_b32_e32 v137, v107
	v_mov_b32_e32 v138, v104
	v_mov_b32_e32 v139, v105
	ds_write2_b64 v130, v[136:137], v[138:139] offset0:8 offset1:9
	v_mov_b32_e32 v136, v102
	v_mov_b32_e32 v137, v103
	v_mov_b32_e32 v138, v100
	v_mov_b32_e32 v139, v101
	ds_write2_b64 v130, v[136:137], v[138:139] offset0:10 offset1:11
	v_mov_b32_e32 v136, v98
	v_mov_b32_e32 v137, v99
	v_mov_b32_e32 v138, v96
	v_mov_b32_e32 v139, v97
	ds_write2_b64 v130, v[136:137], v[138:139] offset0:12 offset1:13
	v_mov_b32_e32 v136, v94
	v_mov_b32_e32 v137, v95
	v_mov_b32_e32 v138, v92
	v_mov_b32_e32 v139, v93
	ds_write2_b64 v130, v[136:137], v[138:139] offset0:14 offset1:15
	v_mov_b32_e32 v136, v90
	v_mov_b32_e32 v137, v91
	v_mov_b32_e32 v138, v88
	v_mov_b32_e32 v139, v89
	ds_write2_b64 v130, v[136:137], v[138:139] offset0:16 offset1:17
	v_mov_b32_e32 v136, v86
	v_mov_b32_e32 v137, v87
	v_mov_b32_e32 v138, v84
	v_mov_b32_e32 v139, v85
	ds_write2_b64 v130, v[136:137], v[138:139] offset0:18 offset1:19
	v_mov_b32_e32 v136, v82
	v_mov_b32_e32 v137, v83
	v_mov_b32_e32 v138, v80
	v_mov_b32_e32 v139, v81
	ds_write2_b64 v130, v[136:137], v[138:139] offset0:20 offset1:21
	v_mov_b32_e32 v136, v78
	v_mov_b32_e32 v137, v79
	v_mov_b32_e32 v138, v76
	v_mov_b32_e32 v139, v77
	ds_write2_b64 v130, v[136:137], v[138:139] offset0:22 offset1:23
	v_mov_b32_e32 v136, v74
	v_mov_b32_e32 v137, v75
	v_mov_b32_e32 v138, v72
	v_mov_b32_e32 v139, v73
	ds_write2_b64 v130, v[136:137], v[138:139] offset0:24 offset1:25
	v_mov_b32_e32 v136, v70
	v_mov_b32_e32 v137, v71
	v_mov_b32_e32 v138, v68
	v_mov_b32_e32 v139, v69
	ds_write2_b64 v130, v[136:137], v[138:139] offset0:26 offset1:27
	v_mov_b32_e32 v136, v66
	v_mov_b32_e32 v137, v67
	v_mov_b32_e32 v138, v64
	v_mov_b32_e32 v139, v65
	ds_write2_b64 v130, v[136:137], v[138:139] offset0:28 offset1:29
	v_mov_b32_e32 v136, v62
	v_mov_b32_e32 v137, v63
	v_mov_b32_e32 v138, v60
	v_mov_b32_e32 v139, v61
	ds_write2_b64 v130, v[136:137], v[138:139] offset0:30 offset1:31
	v_mov_b32_e32 v136, v58
	v_mov_b32_e32 v137, v59
	v_mov_b32_e32 v138, v56
	v_mov_b32_e32 v139, v57
	ds_write2_b64 v130, v[136:137], v[138:139] offset0:32 offset1:33
	v_mov_b32_e32 v136, v54
	v_mov_b32_e32 v137, v55
	v_mov_b32_e32 v138, v52
	v_mov_b32_e32 v139, v53
	ds_write2_b64 v130, v[136:137], v[138:139] offset0:34 offset1:35
	v_mov_b32_e32 v136, v50
	v_mov_b32_e32 v137, v51
	v_mov_b32_e32 v138, v48
	v_mov_b32_e32 v139, v49
	ds_write2_b64 v130, v[136:137], v[138:139] offset0:36 offset1:37
	v_mov_b32_e32 v136, v46
	v_mov_b32_e32 v137, v47
	v_mov_b32_e32 v138, v44
	v_mov_b32_e32 v139, v45
	ds_write2_b64 v130, v[136:137], v[138:139] offset0:38 offset1:39
	v_mov_b32_e32 v136, v42
	v_mov_b32_e32 v137, v43
	v_mov_b32_e32 v138, v40
	v_mov_b32_e32 v139, v41
	ds_write2_b64 v130, v[136:137], v[138:139] offset0:40 offset1:41
	v_mov_b32_e32 v136, v38
	v_mov_b32_e32 v137, v39
	v_mov_b32_e32 v138, v36
	v_mov_b32_e32 v139, v37
	ds_write2_b64 v130, v[136:137], v[138:139] offset0:42 offset1:43
	v_mov_b32_e32 v136, v34
	v_mov_b32_e32 v137, v35
	v_mov_b32_e32 v138, v32
	v_mov_b32_e32 v139, v33
	ds_write2_b64 v130, v[136:137], v[138:139] offset0:44 offset1:45
	v_mov_b32_e32 v136, v30
	v_mov_b32_e32 v137, v31
	v_mov_b32_e32 v138, v28
	v_mov_b32_e32 v139, v29
	ds_write2_b64 v130, v[136:137], v[138:139] offset0:46 offset1:47
	v_mov_b32_e32 v136, v26
	v_mov_b32_e32 v137, v27
	v_mov_b32_e32 v138, v24
	v_mov_b32_e32 v139, v25
	ds_write2_b64 v130, v[136:137], v[138:139] offset0:48 offset1:49
	v_mov_b32_e32 v136, v22
	v_mov_b32_e32 v137, v23
	v_mov_b32_e32 v138, v20
	v_mov_b32_e32 v139, v21
	ds_write2_b64 v130, v[136:137], v[138:139] offset0:50 offset1:51
	v_mov_b32_e32 v136, v18
	v_mov_b32_e32 v137, v19
	v_mov_b32_e32 v138, v16
	v_mov_b32_e32 v139, v17
	ds_write2_b64 v130, v[136:137], v[138:139] offset0:52 offset1:53
	v_mov_b32_e32 v136, v14
	v_mov_b32_e32 v137, v15
	v_mov_b32_e32 v138, v12
	v_mov_b32_e32 v139, v13
	ds_write2_b64 v130, v[136:137], v[138:139] offset0:54 offset1:55
	v_mov_b32_e32 v136, v10
	v_mov_b32_e32 v137, v11
	v_mov_b32_e32 v138, v8
	v_mov_b32_e32 v139, v9
	ds_write2_b64 v130, v[136:137], v[138:139] offset0:56 offset1:57
	v_mov_b32_e32 v136, v6
	v_mov_b32_e32 v137, v7
	;; [unrolled: 1-line block ×5, first 2 shown]
	ds_write2_b64 v130, v[136:137], v[138:139] offset0:58 offset1:59
	ds_write_b64 v130, v[124:125] offset:480
.LBB120_61:
	s_or_b64 exec, exec, s[0:1]
	v_cmp_lt_i32_e32 vcc, 3, v131
	s_waitcnt lgkmcnt(0)
	s_barrier
	s_and_saveexec_b64 s[0:1], vcc
	s_cbranch_execz .LBB120_63
; %bb.62:
	ds_read2_b64 v[136:139], v130 offset0:4 offset1:5
	ds_read2_b64 v[140:143], v130 offset0:6 offset1:7
	v_mul_f64 v[116:117], v[126:127], v[116:117]
	ds_read2_b64 v[144:147], v130 offset0:8 offset1:9
	ds_read_b64 v[126:127], v130 offset:480
	s_waitcnt lgkmcnt(0)
	v_fma_f64 v[114:115], -v[116:117], v[136:137], v[114:115]
	v_fma_f64 v[112:113], -v[116:117], v[138:139], v[112:113]
	ds_read2_b64 v[136:139], v130 offset0:10 offset1:11
	v_fma_f64 v[110:111], -v[116:117], v[140:141], v[110:111]
	v_fma_f64 v[108:109], -v[116:117], v[142:143], v[108:109]
	;; [unrolled: 1-line block ×3, first 2 shown]
	ds_read2_b64 v[140:143], v130 offset0:12 offset1:13
	v_fma_f64 v[104:105], -v[116:117], v[146:147], v[104:105]
	ds_read2_b64 v[144:147], v130 offset0:14 offset1:15
	s_waitcnt lgkmcnt(0)
	v_fma_f64 v[102:103], -v[116:117], v[136:137], v[102:103]
	v_fma_f64 v[100:101], -v[116:117], v[138:139], v[100:101]
	ds_read2_b64 v[136:139], v130 offset0:16 offset1:17
	v_fma_f64 v[98:99], -v[116:117], v[140:141], v[98:99]
	v_fma_f64 v[96:97], -v[116:117], v[142:143], v[96:97]
	ds_read2_b64 v[140:143], v130 offset0:18 offset1:19
	v_fma_f64 v[94:95], -v[116:117], v[144:145], v[94:95]
	v_fma_f64 v[92:93], -v[116:117], v[146:147], v[92:93]
	s_waitcnt lgkmcnt(0)
	v_fma_f64 v[90:91], -v[116:117], v[136:137], v[90:91]
	ds_read2_b64 v[144:147], v130 offset0:20 offset1:21
	v_fma_f64 v[88:89], -v[116:117], v[138:139], v[88:89]
	ds_read2_b64 v[136:139], v130 offset0:22 offset1:23
	v_fma_f64 v[86:87], -v[116:117], v[140:141], v[86:87]
	v_fma_f64 v[84:85], -v[116:117], v[142:143], v[84:85]
	s_waitcnt lgkmcnt(0)
	v_fma_f64 v[82:83], -v[116:117], v[144:145], v[82:83]
	ds_read2_b64 v[140:143], v130 offset0:24 offset1:25
	v_fma_f64 v[80:81], -v[116:117], v[146:147], v[80:81]
	ds_read2_b64 v[144:147], v130 offset0:26 offset1:27
	v_fma_f64 v[78:79], -v[116:117], v[136:137], v[78:79]
	v_fma_f64 v[76:77], -v[116:117], v[138:139], v[76:77]
	ds_read2_b64 v[136:139], v130 offset0:28 offset1:29
	s_waitcnt lgkmcnt(0)
	v_fma_f64 v[74:75], -v[116:117], v[140:141], v[74:75]
	v_fma_f64 v[72:73], -v[116:117], v[142:143], v[72:73]
	ds_read2_b64 v[140:143], v130 offset0:30 offset1:31
	v_fma_f64 v[70:71], -v[116:117], v[144:145], v[70:71]
	v_fma_f64 v[68:69], -v[116:117], v[146:147], v[68:69]
	;; [unrolled: 1-line block ×3, first 2 shown]
	ds_read2_b64 v[144:147], v130 offset0:32 offset1:33
	v_fma_f64 v[64:65], -v[116:117], v[138:139], v[64:65]
	ds_read2_b64 v[136:139], v130 offset0:34 offset1:35
	s_waitcnt lgkmcnt(0)
	v_fma_f64 v[62:63], -v[116:117], v[140:141], v[62:63]
	v_fma_f64 v[60:61], -v[116:117], v[142:143], v[60:61]
	;; [unrolled: 1-line block ×3, first 2 shown]
	ds_read2_b64 v[140:143], v130 offset0:36 offset1:37
	v_fma_f64 v[56:57], -v[116:117], v[146:147], v[56:57]
	ds_read2_b64 v[144:147], v130 offset0:38 offset1:39
	v_fma_f64 v[54:55], -v[116:117], v[136:137], v[54:55]
	v_fma_f64 v[52:53], -v[116:117], v[138:139], v[52:53]
	ds_read2_b64 v[136:139], v130 offset0:40 offset1:41
	s_waitcnt lgkmcnt(0)
	v_fma_f64 v[50:51], -v[116:117], v[140:141], v[50:51]
	v_fma_f64 v[48:49], -v[116:117], v[142:143], v[48:49]
	ds_read2_b64 v[140:143], v130 offset0:42 offset1:43
	v_fma_f64 v[46:47], -v[116:117], v[144:145], v[46:47]
	v_fma_f64 v[44:45], -v[116:117], v[146:147], v[44:45]
	;; [unrolled: 1-line block ×3, first 2 shown]
	ds_read2_b64 v[144:147], v130 offset0:44 offset1:45
	v_fma_f64 v[40:41], -v[116:117], v[138:139], v[40:41]
	ds_read2_b64 v[136:139], v130 offset0:46 offset1:47
	s_waitcnt lgkmcnt(0)
	v_fma_f64 v[38:39], -v[116:117], v[140:141], v[38:39]
	v_fma_f64 v[36:37], -v[116:117], v[142:143], v[36:37]
	;; [unrolled: 1-line block ×3, first 2 shown]
	ds_read2_b64 v[140:143], v130 offset0:48 offset1:49
	v_fma_f64 v[32:33], -v[116:117], v[146:147], v[32:33]
	ds_read2_b64 v[144:147], v130 offset0:50 offset1:51
	v_fma_f64 v[30:31], -v[116:117], v[136:137], v[30:31]
	v_fma_f64 v[28:29], -v[116:117], v[138:139], v[28:29]
	ds_read2_b64 v[136:139], v130 offset0:52 offset1:53
	s_waitcnt lgkmcnt(0)
	v_fma_f64 v[26:27], -v[116:117], v[140:141], v[26:27]
	v_fma_f64 v[24:25], -v[116:117], v[142:143], v[24:25]
	ds_read2_b64 v[140:143], v130 offset0:54 offset1:55
	v_fma_f64 v[22:23], -v[116:117], v[144:145], v[22:23]
	v_fma_f64 v[20:21], -v[116:117], v[146:147], v[20:21]
	;; [unrolled: 1-line block ×4, first 2 shown]
	ds_read2_b64 v[136:139], v130 offset0:56 offset1:57
	ds_read2_b64 v[144:147], v130 offset0:58 offset1:59
	s_waitcnt lgkmcnt(0)
	v_fma_f64 v[14:15], -v[116:117], v[140:141], v[14:15]
	v_fma_f64 v[12:13], -v[116:117], v[142:143], v[12:13]
	;; [unrolled: 1-line block ×7, first 2 shown]
.LBB120_63:
	s_or_b64 exec, exec, s[0:1]
	v_lshl_add_u32 v126, v131, 3, v130
	s_barrier
	ds_write_b64 v126, v[114:115]
	s_waitcnt lgkmcnt(0)
	s_barrier
	ds_read_b64 v[126:127], v130 offset:32
	s_cmp_lt_i32 s18, 6
	v_mov_b32_e32 v128, 4
	s_cbranch_scc1 .LBB120_66
; %bb.64:
	v_add3_u32 v136, v135, 0, 40
	s_mov_b32 s0, 5
	v_mov_b32_e32 v128, 4
.LBB120_65:                             ; =>This Inner Loop Header: Depth=1
	ds_read_b64 v[138:139], v136
	v_mov_b32_e32 v137, s0
	s_add_i32 s0, s0, 1
	v_add_u32_e32 v136, 8, v136
	s_cmp_lg_u32 s18, s0
	s_waitcnt lgkmcnt(0)
	v_cmp_lt_f64_e64 vcc, |v[126:127]|, |v[138:139]|
	v_cndmask_b32_e32 v127, v127, v139, vcc
	v_cndmask_b32_e32 v126, v126, v138, vcc
	;; [unrolled: 1-line block ×3, first 2 shown]
	s_cbranch_scc1 .LBB120_65
.LBB120_66:
	s_waitcnt lgkmcnt(0)
	v_cmp_eq_f64_e32 vcc, 0, v[126:127]
	s_and_saveexec_b64 s[0:1], vcc
	s_xor_b64 s[0:1], exec, s[0:1]
; %bb.67:
	v_cmp_ne_u32_e32 vcc, 0, v134
	v_cndmask_b32_e32 v134, 5, v134, vcc
; %bb.68:
	s_andn2_saveexec_b64 s[0:1], s[0:1]
; %bb.69:
	v_div_scale_f64 v[136:137], s[2:3], v[126:127], v[126:127], 1.0
	v_rcp_f64_e32 v[138:139], v[136:137]
	v_div_scale_f64 v[140:141], vcc, 1.0, v[126:127], 1.0
	v_fma_f64 v[142:143], -v[136:137], v[138:139], 1.0
	v_fmac_f64_e32 v[138:139], v[138:139], v[142:143]
	v_fma_f64 v[142:143], -v[136:137], v[138:139], 1.0
	v_fmac_f64_e32 v[138:139], v[138:139], v[142:143]
	v_mul_f64 v[142:143], v[140:141], v[138:139]
	v_fma_f64 v[136:137], -v[136:137], v[142:143], v[140:141]
	v_div_fmas_f64 v[136:137], v[136:137], v[138:139], v[142:143]
	v_div_fixup_f64 v[126:127], v[136:137], v[126:127], 1.0
; %bb.70:
	s_or_b64 exec, exec, s[0:1]
	v_cmp_ne_u32_e32 vcc, v131, v128
	s_and_saveexec_b64 s[0:1], vcc
	s_xor_b64 s[0:1], exec, s[0:1]
	s_cbranch_execz .LBB120_76
; %bb.71:
	v_cmp_eq_u32_e32 vcc, 4, v131
	s_and_saveexec_b64 s[2:3], vcc
	s_cbranch_execz .LBB120_75
; %bb.72:
	v_cmp_ne_u32_e32 vcc, 4, v128
	s_xor_b64 s[14:15], s[6:7], -1
	s_and_b64 s[16:17], s[14:15], vcc
	s_and_saveexec_b64 s[14:15], s[16:17]
	s_cbranch_execz .LBB120_74
; %bb.73:
	v_ashrrev_i32_e32 v129, 31, v128
	v_lshlrev_b64 v[136:137], 2, v[128:129]
	v_add_co_u32_e32 v136, vcc, v4, v136
	v_addc_co_u32_e32 v137, vcc, v5, v137, vcc
	flat_load_dword v129, v[136:137]
	flat_load_dword v131, v[4:5] offset:16
	s_waitcnt vmcnt(0) lgkmcnt(0)
	flat_store_dword v[4:5], v129 offset:16
	flat_store_dword v[136:137], v131
.LBB120_74:
	s_or_b64 exec, exec, s[14:15]
	v_mov_b32_e32 v129, v128
	v_mov_b32_e32 v131, v128
.LBB120_75:
	s_or_b64 exec, exec, s[2:3]
.LBB120_76:
	s_andn2_saveexec_b64 s[0:1], s[0:1]
	s_cbranch_execz .LBB120_78
; %bb.77:
	v_mov_b32_e32 v131, 4
	ds_write2_b64 v130, v[112:113], v[110:111] offset0:5 offset1:6
	ds_write2_b64 v130, v[108:109], v[106:107] offset0:7 offset1:8
	;; [unrolled: 1-line block ×28, first 2 shown]
.LBB120_78:
	s_or_b64 exec, exec, s[0:1]
	v_cmp_lt_i32_e32 vcc, 4, v131
	s_waitcnt lgkmcnt(0)
	s_barrier
	s_and_saveexec_b64 s[0:1], vcc
	s_cbranch_execz .LBB120_80
; %bb.79:
	ds_read2_b64 v[136:139], v130 offset0:5 offset1:6
	ds_read2_b64 v[140:143], v130 offset0:7 offset1:8
	v_mul_f64 v[114:115], v[126:127], v[114:115]
	ds_read2_b64 v[144:147], v130 offset0:9 offset1:10
	s_waitcnt lgkmcnt(0)
	v_fma_f64 v[112:113], -v[114:115], v[136:137], v[112:113]
	v_fma_f64 v[110:111], -v[114:115], v[138:139], v[110:111]
	ds_read2_b64 v[136:139], v130 offset0:11 offset1:12
	v_fma_f64 v[108:109], -v[114:115], v[140:141], v[108:109]
	v_fma_f64 v[106:107], -v[114:115], v[142:143], v[106:107]
	;; [unrolled: 1-line block ×3, first 2 shown]
	ds_read2_b64 v[140:143], v130 offset0:13 offset1:14
	v_fma_f64 v[102:103], -v[114:115], v[146:147], v[102:103]
	ds_read2_b64 v[144:147], v130 offset0:15 offset1:16
	s_waitcnt lgkmcnt(0)
	v_fma_f64 v[100:101], -v[114:115], v[136:137], v[100:101]
	v_fma_f64 v[98:99], -v[114:115], v[138:139], v[98:99]
	ds_read2_b64 v[136:139], v130 offset0:17 offset1:18
	v_fma_f64 v[96:97], -v[114:115], v[140:141], v[96:97]
	v_fma_f64 v[94:95], -v[114:115], v[142:143], v[94:95]
	ds_read2_b64 v[140:143], v130 offset0:19 offset1:20
	v_fma_f64 v[92:93], -v[114:115], v[144:145], v[92:93]
	v_fma_f64 v[90:91], -v[114:115], v[146:147], v[90:91]
	s_waitcnt lgkmcnt(0)
	v_fma_f64 v[88:89], -v[114:115], v[136:137], v[88:89]
	ds_read2_b64 v[144:147], v130 offset0:21 offset1:22
	v_fma_f64 v[86:87], -v[114:115], v[138:139], v[86:87]
	ds_read2_b64 v[136:139], v130 offset0:23 offset1:24
	v_fma_f64 v[84:85], -v[114:115], v[140:141], v[84:85]
	v_fma_f64 v[82:83], -v[114:115], v[142:143], v[82:83]
	s_waitcnt lgkmcnt(0)
	v_fma_f64 v[80:81], -v[114:115], v[144:145], v[80:81]
	ds_read2_b64 v[140:143], v130 offset0:25 offset1:26
	v_fma_f64 v[78:79], -v[114:115], v[146:147], v[78:79]
	ds_read2_b64 v[144:147], v130 offset0:27 offset1:28
	v_fma_f64 v[76:77], -v[114:115], v[136:137], v[76:77]
	v_fma_f64 v[74:75], -v[114:115], v[138:139], v[74:75]
	ds_read2_b64 v[136:139], v130 offset0:29 offset1:30
	s_waitcnt lgkmcnt(0)
	v_fma_f64 v[72:73], -v[114:115], v[140:141], v[72:73]
	v_fma_f64 v[70:71], -v[114:115], v[142:143], v[70:71]
	ds_read2_b64 v[140:143], v130 offset0:31 offset1:32
	v_fma_f64 v[68:69], -v[114:115], v[144:145], v[68:69]
	v_fma_f64 v[66:67], -v[114:115], v[146:147], v[66:67]
	v_fma_f64 v[64:65], -v[114:115], v[136:137], v[64:65]
	ds_read2_b64 v[144:147], v130 offset0:33 offset1:34
	v_fma_f64 v[62:63], -v[114:115], v[138:139], v[62:63]
	ds_read2_b64 v[136:139], v130 offset0:35 offset1:36
	s_waitcnt lgkmcnt(0)
	v_fma_f64 v[60:61], -v[114:115], v[140:141], v[60:61]
	v_fma_f64 v[58:59], -v[114:115], v[142:143], v[58:59]
	v_fma_f64 v[56:57], -v[114:115], v[144:145], v[56:57]
	ds_read2_b64 v[140:143], v130 offset0:37 offset1:38
	v_fma_f64 v[54:55], -v[114:115], v[146:147], v[54:55]
	ds_read2_b64 v[144:147], v130 offset0:39 offset1:40
	v_fma_f64 v[52:53], -v[114:115], v[136:137], v[52:53]
	v_fma_f64 v[50:51], -v[114:115], v[138:139], v[50:51]
	ds_read2_b64 v[136:139], v130 offset0:41 offset1:42
	s_waitcnt lgkmcnt(0)
	v_fma_f64 v[48:49], -v[114:115], v[140:141], v[48:49]
	v_fma_f64 v[46:47], -v[114:115], v[142:143], v[46:47]
	ds_read2_b64 v[140:143], v130 offset0:43 offset1:44
	v_fma_f64 v[44:45], -v[114:115], v[144:145], v[44:45]
	v_fma_f64 v[42:43], -v[114:115], v[146:147], v[42:43]
	v_fma_f64 v[40:41], -v[114:115], v[136:137], v[40:41]
	ds_read2_b64 v[144:147], v130 offset0:45 offset1:46
	v_fma_f64 v[38:39], -v[114:115], v[138:139], v[38:39]
	ds_read2_b64 v[136:139], v130 offset0:47 offset1:48
	s_waitcnt lgkmcnt(0)
	v_fma_f64 v[36:37], -v[114:115], v[140:141], v[36:37]
	v_fma_f64 v[34:35], -v[114:115], v[142:143], v[34:35]
	;; [unrolled: 20-line block ×3, first 2 shown]
	v_fma_f64 v[8:9], -v[114:115], v[144:145], v[8:9]
	v_fma_f64 v[6:7], -v[114:115], v[146:147], v[6:7]
	;; [unrolled: 1-line block ×4, first 2 shown]
.LBB120_80:
	s_or_b64 exec, exec, s[0:1]
	v_lshl_add_u32 v126, v131, 3, v130
	s_barrier
	ds_write_b64 v126, v[112:113]
	s_waitcnt lgkmcnt(0)
	s_barrier
	ds_read_b64 v[126:127], v130 offset:40
	s_cmp_lt_i32 s18, 7
	v_mov_b32_e32 v128, 5
	s_cbranch_scc1 .LBB120_83
; %bb.81:
	v_add3_u32 v136, v135, 0, 48
	s_mov_b32 s0, 6
	v_mov_b32_e32 v128, 5
.LBB120_82:                             ; =>This Inner Loop Header: Depth=1
	ds_read_b64 v[138:139], v136
	v_mov_b32_e32 v137, s0
	s_add_i32 s0, s0, 1
	v_add_u32_e32 v136, 8, v136
	s_cmp_lg_u32 s18, s0
	s_waitcnt lgkmcnt(0)
	v_cmp_lt_f64_e64 vcc, |v[126:127]|, |v[138:139]|
	v_cndmask_b32_e32 v127, v127, v139, vcc
	v_cndmask_b32_e32 v126, v126, v138, vcc
	v_cndmask_b32_e32 v128, v128, v137, vcc
	s_cbranch_scc1 .LBB120_82
.LBB120_83:
	s_waitcnt lgkmcnt(0)
	v_cmp_eq_f64_e32 vcc, 0, v[126:127]
	s_and_saveexec_b64 s[0:1], vcc
	s_xor_b64 s[0:1], exec, s[0:1]
; %bb.84:
	v_cmp_ne_u32_e32 vcc, 0, v134
	v_cndmask_b32_e32 v134, 6, v134, vcc
; %bb.85:
	s_andn2_saveexec_b64 s[0:1], s[0:1]
; %bb.86:
	v_div_scale_f64 v[136:137], s[2:3], v[126:127], v[126:127], 1.0
	v_rcp_f64_e32 v[138:139], v[136:137]
	v_div_scale_f64 v[140:141], vcc, 1.0, v[126:127], 1.0
	v_fma_f64 v[142:143], -v[136:137], v[138:139], 1.0
	v_fmac_f64_e32 v[138:139], v[138:139], v[142:143]
	v_fma_f64 v[142:143], -v[136:137], v[138:139], 1.0
	v_fmac_f64_e32 v[138:139], v[138:139], v[142:143]
	v_mul_f64 v[142:143], v[140:141], v[138:139]
	v_fma_f64 v[136:137], -v[136:137], v[142:143], v[140:141]
	v_div_fmas_f64 v[136:137], v[136:137], v[138:139], v[142:143]
	v_div_fixup_f64 v[126:127], v[136:137], v[126:127], 1.0
; %bb.87:
	s_or_b64 exec, exec, s[0:1]
	v_cmp_ne_u32_e32 vcc, v131, v128
	s_and_saveexec_b64 s[0:1], vcc
	s_xor_b64 s[0:1], exec, s[0:1]
	s_cbranch_execz .LBB120_93
; %bb.88:
	v_cmp_eq_u32_e32 vcc, 5, v131
	s_and_saveexec_b64 s[2:3], vcc
	s_cbranch_execz .LBB120_92
; %bb.89:
	v_cmp_ne_u32_e32 vcc, 5, v128
	s_xor_b64 s[14:15], s[6:7], -1
	s_and_b64 s[16:17], s[14:15], vcc
	s_and_saveexec_b64 s[14:15], s[16:17]
	s_cbranch_execz .LBB120_91
; %bb.90:
	v_ashrrev_i32_e32 v129, 31, v128
	v_lshlrev_b64 v[136:137], 2, v[128:129]
	v_add_co_u32_e32 v136, vcc, v4, v136
	v_addc_co_u32_e32 v137, vcc, v5, v137, vcc
	flat_load_dword v129, v[136:137]
	flat_load_dword v131, v[4:5] offset:20
	s_waitcnt vmcnt(0) lgkmcnt(0)
	flat_store_dword v[4:5], v129 offset:20
	flat_store_dword v[136:137], v131
.LBB120_91:
	s_or_b64 exec, exec, s[14:15]
	v_mov_b32_e32 v129, v128
	v_mov_b32_e32 v131, v128
.LBB120_92:
	s_or_b64 exec, exec, s[2:3]
.LBB120_93:
	s_andn2_saveexec_b64 s[0:1], s[0:1]
	s_cbranch_execz .LBB120_95
; %bb.94:
	v_mov_b32_e32 v136, v110
	v_mov_b32_e32 v137, v111
	v_mov_b32_e32 v138, v108
	v_mov_b32_e32 v139, v109
	ds_write2_b64 v130, v[136:137], v[138:139] offset0:6 offset1:7
	v_mov_b32_e32 v136, v106
	v_mov_b32_e32 v137, v107
	v_mov_b32_e32 v138, v104
	v_mov_b32_e32 v139, v105
	ds_write2_b64 v130, v[136:137], v[138:139] offset0:8 offset1:9
	;; [unrolled: 5-line block ×26, first 2 shown]
	v_mov_b32_e32 v136, v6
	v_mov_b32_e32 v137, v7
	;; [unrolled: 1-line block ×5, first 2 shown]
	ds_write2_b64 v130, v[136:137], v[138:139] offset0:58 offset1:59
	ds_write_b64 v130, v[124:125] offset:480
.LBB120_95:
	s_or_b64 exec, exec, s[0:1]
	v_cmp_lt_i32_e32 vcc, 5, v131
	s_waitcnt lgkmcnt(0)
	s_barrier
	s_and_saveexec_b64 s[0:1], vcc
	s_cbranch_execz .LBB120_97
; %bb.96:
	ds_read2_b64 v[136:139], v130 offset0:6 offset1:7
	ds_read2_b64 v[140:143], v130 offset0:8 offset1:9
	ds_read2_b64 v[144:147], v130 offset0:10 offset1:11
	v_mul_f64 v[112:113], v[126:127], v[112:113]
	ds_read_b64 v[126:127], v130 offset:480
	s_waitcnt lgkmcnt(0)
	v_fma_f64 v[110:111], -v[112:113], v[136:137], v[110:111]
	v_fma_f64 v[108:109], -v[112:113], v[138:139], v[108:109]
	ds_read2_b64 v[136:139], v130 offset0:12 offset1:13
	v_fma_f64 v[106:107], -v[112:113], v[140:141], v[106:107]
	v_fma_f64 v[104:105], -v[112:113], v[142:143], v[104:105]
	v_fma_f64 v[102:103], -v[112:113], v[144:145], v[102:103]
	ds_read2_b64 v[140:143], v130 offset0:14 offset1:15
	v_fma_f64 v[100:101], -v[112:113], v[146:147], v[100:101]
	ds_read2_b64 v[144:147], v130 offset0:16 offset1:17
	s_waitcnt lgkmcnt(0)
	v_fma_f64 v[98:99], -v[112:113], v[136:137], v[98:99]
	v_fma_f64 v[96:97], -v[112:113], v[138:139], v[96:97]
	v_fma_f64 v[94:95], -v[112:113], v[140:141], v[94:95]
	ds_read2_b64 v[136:139], v130 offset0:18 offset1:19
	v_fma_f64 v[92:93], -v[112:113], v[142:143], v[92:93]
	ds_read2_b64 v[140:143], v130 offset0:20 offset1:21
	v_fma_f64 v[90:91], -v[112:113], v[144:145], v[90:91]
	v_fma_f64 v[88:89], -v[112:113], v[146:147], v[88:89]
	ds_read2_b64 v[144:147], v130 offset0:22 offset1:23
	s_waitcnt lgkmcnt(0)
	v_fma_f64 v[86:87], -v[112:113], v[136:137], v[86:87]
	v_fma_f64 v[84:85], -v[112:113], v[138:139], v[84:85]
	ds_read2_b64 v[136:139], v130 offset0:24 offset1:25
	v_fma_f64 v[82:83], -v[112:113], v[140:141], v[82:83]
	v_fma_f64 v[80:81], -v[112:113], v[142:143], v[80:81]
	v_fma_f64 v[78:79], -v[112:113], v[144:145], v[78:79]
	ds_read2_b64 v[140:143], v130 offset0:26 offset1:27
	v_fma_f64 v[76:77], -v[112:113], v[146:147], v[76:77]
	ds_read2_b64 v[144:147], v130 offset0:28 offset1:29
	s_waitcnt lgkmcnt(0)
	v_fma_f64 v[74:75], -v[112:113], v[136:137], v[74:75]
	v_fma_f64 v[72:73], -v[112:113], v[138:139], v[72:73]
	v_fma_f64 v[70:71], -v[112:113], v[140:141], v[70:71]
	ds_read2_b64 v[136:139], v130 offset0:30 offset1:31
	v_fma_f64 v[68:69], -v[112:113], v[142:143], v[68:69]
	ds_read2_b64 v[140:143], v130 offset0:32 offset1:33
	v_fma_f64 v[66:67], -v[112:113], v[144:145], v[66:67]
	v_fma_f64 v[64:65], -v[112:113], v[146:147], v[64:65]
	ds_read2_b64 v[144:147], v130 offset0:34 offset1:35
	s_waitcnt lgkmcnt(0)
	v_fma_f64 v[62:63], -v[112:113], v[136:137], v[62:63]
	v_fma_f64 v[60:61], -v[112:113], v[138:139], v[60:61]
	ds_read2_b64 v[136:139], v130 offset0:36 offset1:37
	v_fma_f64 v[58:59], -v[112:113], v[140:141], v[58:59]
	v_fma_f64 v[56:57], -v[112:113], v[142:143], v[56:57]
	v_fma_f64 v[54:55], -v[112:113], v[144:145], v[54:55]
	ds_read2_b64 v[140:143], v130 offset0:38 offset1:39
	v_fma_f64 v[52:53], -v[112:113], v[146:147], v[52:53]
	ds_read2_b64 v[144:147], v130 offset0:40 offset1:41
	s_waitcnt lgkmcnt(0)
	v_fma_f64 v[50:51], -v[112:113], v[136:137], v[50:51]
	v_fma_f64 v[48:49], -v[112:113], v[138:139], v[48:49]
	v_fma_f64 v[46:47], -v[112:113], v[140:141], v[46:47]
	ds_read2_b64 v[136:139], v130 offset0:42 offset1:43
	v_fma_f64 v[44:45], -v[112:113], v[142:143], v[44:45]
	ds_read2_b64 v[140:143], v130 offset0:44 offset1:45
	v_fma_f64 v[42:43], -v[112:113], v[144:145], v[42:43]
	v_fma_f64 v[40:41], -v[112:113], v[146:147], v[40:41]
	ds_read2_b64 v[144:147], v130 offset0:46 offset1:47
	s_waitcnt lgkmcnt(0)
	v_fma_f64 v[38:39], -v[112:113], v[136:137], v[38:39]
	v_fma_f64 v[36:37], -v[112:113], v[138:139], v[36:37]
	ds_read2_b64 v[136:139], v130 offset0:48 offset1:49
	v_fma_f64 v[34:35], -v[112:113], v[140:141], v[34:35]
	v_fma_f64 v[32:33], -v[112:113], v[142:143], v[32:33]
	v_fma_f64 v[30:31], -v[112:113], v[144:145], v[30:31]
	ds_read2_b64 v[140:143], v130 offset0:50 offset1:51
	v_fma_f64 v[28:29], -v[112:113], v[146:147], v[28:29]
	ds_read2_b64 v[144:147], v130 offset0:52 offset1:53
	s_waitcnt lgkmcnt(0)
	v_fma_f64 v[26:27], -v[112:113], v[136:137], v[26:27]
	v_fma_f64 v[24:25], -v[112:113], v[138:139], v[24:25]
	v_fma_f64 v[22:23], -v[112:113], v[140:141], v[22:23]
	ds_read2_b64 v[136:139], v130 offset0:54 offset1:55
	v_fma_f64 v[20:21], -v[112:113], v[142:143], v[20:21]
	ds_read2_b64 v[140:143], v130 offset0:56 offset1:57
	v_fma_f64 v[18:19], -v[112:113], v[144:145], v[18:19]
	v_fma_f64 v[16:17], -v[112:113], v[146:147], v[16:17]
	ds_read2_b64 v[144:147], v130 offset0:58 offset1:59
	s_waitcnt lgkmcnt(0)
	v_fma_f64 v[14:15], -v[112:113], v[136:137], v[14:15]
	v_fma_f64 v[12:13], -v[112:113], v[138:139], v[12:13]
	;; [unrolled: 1-line block ×7, first 2 shown]
.LBB120_97:
	s_or_b64 exec, exec, s[0:1]
	v_lshl_add_u32 v126, v131, 3, v130
	s_barrier
	ds_write_b64 v126, v[110:111]
	s_waitcnt lgkmcnt(0)
	s_barrier
	ds_read_b64 v[126:127], v130 offset:48
	s_cmp_lt_i32 s18, 8
	v_mov_b32_e32 v128, 6
	s_cbranch_scc1 .LBB120_100
; %bb.98:
	v_add3_u32 v136, v135, 0, 56
	s_mov_b32 s0, 7
	v_mov_b32_e32 v128, 6
.LBB120_99:                             ; =>This Inner Loop Header: Depth=1
	ds_read_b64 v[138:139], v136
	v_mov_b32_e32 v137, s0
	s_add_i32 s0, s0, 1
	v_add_u32_e32 v136, 8, v136
	s_cmp_lg_u32 s18, s0
	s_waitcnt lgkmcnt(0)
	v_cmp_lt_f64_e64 vcc, |v[126:127]|, |v[138:139]|
	v_cndmask_b32_e32 v127, v127, v139, vcc
	v_cndmask_b32_e32 v126, v126, v138, vcc
	;; [unrolled: 1-line block ×3, first 2 shown]
	s_cbranch_scc1 .LBB120_99
.LBB120_100:
	s_waitcnt lgkmcnt(0)
	v_cmp_eq_f64_e32 vcc, 0, v[126:127]
	s_and_saveexec_b64 s[0:1], vcc
	s_xor_b64 s[0:1], exec, s[0:1]
; %bb.101:
	v_cmp_ne_u32_e32 vcc, 0, v134
	v_cndmask_b32_e32 v134, 7, v134, vcc
; %bb.102:
	s_andn2_saveexec_b64 s[0:1], s[0:1]
; %bb.103:
	v_div_scale_f64 v[136:137], s[2:3], v[126:127], v[126:127], 1.0
	v_rcp_f64_e32 v[138:139], v[136:137]
	v_div_scale_f64 v[140:141], vcc, 1.0, v[126:127], 1.0
	v_fma_f64 v[142:143], -v[136:137], v[138:139], 1.0
	v_fmac_f64_e32 v[138:139], v[138:139], v[142:143]
	v_fma_f64 v[142:143], -v[136:137], v[138:139], 1.0
	v_fmac_f64_e32 v[138:139], v[138:139], v[142:143]
	v_mul_f64 v[142:143], v[140:141], v[138:139]
	v_fma_f64 v[136:137], -v[136:137], v[142:143], v[140:141]
	v_div_fmas_f64 v[136:137], v[136:137], v[138:139], v[142:143]
	v_div_fixup_f64 v[126:127], v[136:137], v[126:127], 1.0
; %bb.104:
	s_or_b64 exec, exec, s[0:1]
	v_cmp_ne_u32_e32 vcc, v131, v128
	s_and_saveexec_b64 s[0:1], vcc
	s_xor_b64 s[0:1], exec, s[0:1]
	s_cbranch_execz .LBB120_110
; %bb.105:
	v_cmp_eq_u32_e32 vcc, 6, v131
	s_and_saveexec_b64 s[2:3], vcc
	s_cbranch_execz .LBB120_109
; %bb.106:
	v_cmp_ne_u32_e32 vcc, 6, v128
	s_xor_b64 s[14:15], s[6:7], -1
	s_and_b64 s[16:17], s[14:15], vcc
	s_and_saveexec_b64 s[14:15], s[16:17]
	s_cbranch_execz .LBB120_108
; %bb.107:
	v_ashrrev_i32_e32 v129, 31, v128
	v_lshlrev_b64 v[136:137], 2, v[128:129]
	v_add_co_u32_e32 v136, vcc, v4, v136
	v_addc_co_u32_e32 v137, vcc, v5, v137, vcc
	flat_load_dword v129, v[136:137]
	flat_load_dword v131, v[4:5] offset:24
	s_waitcnt vmcnt(0) lgkmcnt(0)
	flat_store_dword v[4:5], v129 offset:24
	flat_store_dword v[136:137], v131
.LBB120_108:
	s_or_b64 exec, exec, s[14:15]
	v_mov_b32_e32 v129, v128
	v_mov_b32_e32 v131, v128
.LBB120_109:
	s_or_b64 exec, exec, s[2:3]
.LBB120_110:
	s_andn2_saveexec_b64 s[0:1], s[0:1]
	s_cbranch_execz .LBB120_112
; %bb.111:
	v_mov_b32_e32 v131, 6
	ds_write2_b64 v130, v[108:109], v[106:107] offset0:7 offset1:8
	ds_write2_b64 v130, v[104:105], v[102:103] offset0:9 offset1:10
	;; [unrolled: 1-line block ×27, first 2 shown]
.LBB120_112:
	s_or_b64 exec, exec, s[0:1]
	v_cmp_lt_i32_e32 vcc, 6, v131
	s_waitcnt lgkmcnt(0)
	s_barrier
	s_and_saveexec_b64 s[0:1], vcc
	s_cbranch_execz .LBB120_114
; %bb.113:
	ds_read2_b64 v[136:139], v130 offset0:7 offset1:8
	ds_read2_b64 v[140:143], v130 offset0:9 offset1:10
	;; [unrolled: 1-line block ×3, first 2 shown]
	v_mul_f64 v[110:111], v[126:127], v[110:111]
	s_waitcnt lgkmcnt(0)
	v_fma_f64 v[108:109], -v[110:111], v[136:137], v[108:109]
	v_fma_f64 v[106:107], -v[110:111], v[138:139], v[106:107]
	ds_read2_b64 v[136:139], v130 offset0:13 offset1:14
	v_fma_f64 v[104:105], -v[110:111], v[140:141], v[104:105]
	v_fma_f64 v[102:103], -v[110:111], v[142:143], v[102:103]
	v_fma_f64 v[100:101], -v[110:111], v[144:145], v[100:101]
	ds_read2_b64 v[140:143], v130 offset0:15 offset1:16
	v_fma_f64 v[98:99], -v[110:111], v[146:147], v[98:99]
	ds_read2_b64 v[144:147], v130 offset0:17 offset1:18
	s_waitcnt lgkmcnt(0)
	v_fma_f64 v[96:97], -v[110:111], v[136:137], v[96:97]
	v_fma_f64 v[94:95], -v[110:111], v[138:139], v[94:95]
	v_fma_f64 v[92:93], -v[110:111], v[140:141], v[92:93]
	ds_read2_b64 v[136:139], v130 offset0:19 offset1:20
	v_fma_f64 v[90:91], -v[110:111], v[142:143], v[90:91]
	ds_read2_b64 v[140:143], v130 offset0:21 offset1:22
	v_fma_f64 v[88:89], -v[110:111], v[144:145], v[88:89]
	v_fma_f64 v[86:87], -v[110:111], v[146:147], v[86:87]
	ds_read2_b64 v[144:147], v130 offset0:23 offset1:24
	s_waitcnt lgkmcnt(0)
	v_fma_f64 v[84:85], -v[110:111], v[136:137], v[84:85]
	v_fma_f64 v[82:83], -v[110:111], v[138:139], v[82:83]
	ds_read2_b64 v[136:139], v130 offset0:25 offset1:26
	v_fma_f64 v[80:81], -v[110:111], v[140:141], v[80:81]
	v_fma_f64 v[78:79], -v[110:111], v[142:143], v[78:79]
	v_fma_f64 v[76:77], -v[110:111], v[144:145], v[76:77]
	ds_read2_b64 v[140:143], v130 offset0:27 offset1:28
	v_fma_f64 v[74:75], -v[110:111], v[146:147], v[74:75]
	ds_read2_b64 v[144:147], v130 offset0:29 offset1:30
	s_waitcnt lgkmcnt(0)
	v_fma_f64 v[72:73], -v[110:111], v[136:137], v[72:73]
	v_fma_f64 v[70:71], -v[110:111], v[138:139], v[70:71]
	v_fma_f64 v[68:69], -v[110:111], v[140:141], v[68:69]
	ds_read2_b64 v[136:139], v130 offset0:31 offset1:32
	v_fma_f64 v[66:67], -v[110:111], v[142:143], v[66:67]
	ds_read2_b64 v[140:143], v130 offset0:33 offset1:34
	v_fma_f64 v[64:65], -v[110:111], v[144:145], v[64:65]
	v_fma_f64 v[62:63], -v[110:111], v[146:147], v[62:63]
	ds_read2_b64 v[144:147], v130 offset0:35 offset1:36
	;; [unrolled: 20-line block ×3, first 2 shown]
	s_waitcnt lgkmcnt(0)
	v_fma_f64 v[36:37], -v[110:111], v[136:137], v[36:37]
	v_fma_f64 v[34:35], -v[110:111], v[138:139], v[34:35]
	ds_read2_b64 v[136:139], v130 offset0:49 offset1:50
	v_fma_f64 v[32:33], -v[110:111], v[140:141], v[32:33]
	v_fma_f64 v[30:31], -v[110:111], v[142:143], v[30:31]
	;; [unrolled: 1-line block ×3, first 2 shown]
	ds_read2_b64 v[140:143], v130 offset0:51 offset1:52
	v_fma_f64 v[26:27], -v[110:111], v[146:147], v[26:27]
	ds_read2_b64 v[144:147], v130 offset0:53 offset1:54
	s_waitcnt lgkmcnt(0)
	v_fma_f64 v[24:25], -v[110:111], v[136:137], v[24:25]
	v_fma_f64 v[22:23], -v[110:111], v[138:139], v[22:23]
	;; [unrolled: 1-line block ×4, first 2 shown]
	ds_read2_b64 v[136:139], v130 offset0:55 offset1:56
	ds_read2_b64 v[140:143], v130 offset0:57 offset1:58
	v_fma_f64 v[16:17], -v[110:111], v[144:145], v[16:17]
	v_fma_f64 v[14:15], -v[110:111], v[146:147], v[14:15]
	ds_read2_b64 v[144:147], v130 offset0:59 offset1:60
	s_waitcnt lgkmcnt(0)
	v_fma_f64 v[12:13], -v[110:111], v[136:137], v[12:13]
	v_fma_f64 v[10:11], -v[110:111], v[138:139], v[10:11]
	;; [unrolled: 1-line block ×6, first 2 shown]
.LBB120_114:
	s_or_b64 exec, exec, s[0:1]
	v_lshl_add_u32 v126, v131, 3, v130
	s_barrier
	ds_write_b64 v126, v[108:109]
	s_waitcnt lgkmcnt(0)
	s_barrier
	ds_read_b64 v[126:127], v130 offset:56
	s_cmp_lt_i32 s18, 9
	v_mov_b32_e32 v128, 7
	s_cbranch_scc1 .LBB120_117
; %bb.115:
	v_add3_u32 v135, v135, 0, 64
	s_mov_b32 s0, 8
	v_mov_b32_e32 v128, 7
.LBB120_116:                            ; =>This Inner Loop Header: Depth=1
	ds_read_b64 v[136:137], v135
	v_mov_b32_e32 v138, s0
	s_add_i32 s0, s0, 1
	v_add_u32_e32 v135, 8, v135
	s_cmp_lg_u32 s18, s0
	s_waitcnt lgkmcnt(0)
	v_cmp_lt_f64_e64 vcc, |v[126:127]|, |v[136:137]|
	v_cndmask_b32_e32 v127, v127, v137, vcc
	v_cndmask_b32_e32 v126, v126, v136, vcc
	;; [unrolled: 1-line block ×3, first 2 shown]
	s_cbranch_scc1 .LBB120_116
.LBB120_117:
	s_waitcnt lgkmcnt(0)
	v_cmp_eq_f64_e32 vcc, 0, v[126:127]
	s_and_saveexec_b64 s[0:1], vcc
	s_xor_b64 s[0:1], exec, s[0:1]
; %bb.118:
	v_cmp_ne_u32_e32 vcc, 0, v134
	v_cndmask_b32_e32 v134, 8, v134, vcc
; %bb.119:
	s_andn2_saveexec_b64 s[0:1], s[0:1]
; %bb.120:
	v_div_scale_f64 v[136:137], s[2:3], v[126:127], v[126:127], 1.0
	v_rcp_f64_e32 v[138:139], v[136:137]
	v_div_scale_f64 v[140:141], vcc, 1.0, v[126:127], 1.0
	v_fma_f64 v[142:143], -v[136:137], v[138:139], 1.0
	v_fmac_f64_e32 v[138:139], v[138:139], v[142:143]
	v_fma_f64 v[142:143], -v[136:137], v[138:139], 1.0
	v_fmac_f64_e32 v[138:139], v[138:139], v[142:143]
	v_mul_f64 v[142:143], v[140:141], v[138:139]
	v_fma_f64 v[136:137], -v[136:137], v[142:143], v[140:141]
	v_div_fmas_f64 v[136:137], v[136:137], v[138:139], v[142:143]
	v_div_fixup_f64 v[126:127], v[136:137], v[126:127], 1.0
; %bb.121:
	s_or_b64 exec, exec, s[0:1]
	v_cmp_ne_u32_e32 vcc, v131, v128
	s_and_saveexec_b64 s[0:1], vcc
	s_xor_b64 s[0:1], exec, s[0:1]
	s_cbranch_execz .LBB120_127
; %bb.122:
	v_cmp_eq_u32_e32 vcc, 7, v131
	s_and_saveexec_b64 s[2:3], vcc
	s_cbranch_execz .LBB120_126
; %bb.123:
	v_cmp_ne_u32_e32 vcc, 7, v128
	s_xor_b64 s[14:15], s[6:7], -1
	s_and_b64 s[16:17], s[14:15], vcc
	s_and_saveexec_b64 s[14:15], s[16:17]
	s_cbranch_execz .LBB120_125
; %bb.124:
	v_ashrrev_i32_e32 v129, 31, v128
	v_lshlrev_b64 v[136:137], 2, v[128:129]
	v_add_co_u32_e32 v136, vcc, v4, v136
	v_addc_co_u32_e32 v137, vcc, v5, v137, vcc
	flat_load_dword v129, v[136:137]
	flat_load_dword v131, v[4:5] offset:28
	s_waitcnt vmcnt(0) lgkmcnt(0)
	flat_store_dword v[4:5], v129 offset:28
	flat_store_dword v[136:137], v131
.LBB120_125:
	s_or_b64 exec, exec, s[14:15]
	v_mov_b32_e32 v129, v128
	v_mov_b32_e32 v131, v128
.LBB120_126:
	s_or_b64 exec, exec, s[2:3]
.LBB120_127:
	s_andn2_saveexec_b64 s[0:1], s[0:1]
	s_cbranch_execz .LBB120_129
; %bb.128:
	v_mov_b32_e32 v136, v106
	v_mov_b32_e32 v137, v107
	v_mov_b32_e32 v138, v104
	v_mov_b32_e32 v139, v105
	ds_write2_b64 v130, v[136:137], v[138:139] offset0:8 offset1:9
	v_mov_b32_e32 v136, v102
	v_mov_b32_e32 v137, v103
	v_mov_b32_e32 v138, v100
	v_mov_b32_e32 v139, v101
	ds_write2_b64 v130, v[136:137], v[138:139] offset0:10 offset1:11
	;; [unrolled: 5-line block ×25, first 2 shown]
	v_mov_b32_e32 v136, v6
	v_mov_b32_e32 v137, v7
	;; [unrolled: 1-line block ×5, first 2 shown]
	ds_write2_b64 v130, v[136:137], v[138:139] offset0:58 offset1:59
	ds_write_b64 v130, v[124:125] offset:480
.LBB120_129:
	s_or_b64 exec, exec, s[0:1]
	v_cmp_lt_i32_e32 vcc, 7, v131
	s_waitcnt lgkmcnt(0)
	s_barrier
	s_and_saveexec_b64 s[0:1], vcc
	s_cbranch_execz .LBB120_131
; %bb.130:
	ds_read2_b64 v[136:139], v130 offset0:8 offset1:9
	ds_read2_b64 v[140:143], v130 offset0:10 offset1:11
	v_mul_f64 v[108:109], v[126:127], v[108:109]
	ds_read2_b64 v[144:147], v130 offset0:12 offset1:13
	ds_read_b64 v[126:127], v130 offset:480
	s_waitcnt lgkmcnt(0)
	v_fma_f64 v[106:107], -v[108:109], v[136:137], v[106:107]
	v_fma_f64 v[104:105], -v[108:109], v[138:139], v[104:105]
	ds_read2_b64 v[136:139], v130 offset0:14 offset1:15
	v_fma_f64 v[102:103], -v[108:109], v[140:141], v[102:103]
	v_fma_f64 v[100:101], -v[108:109], v[142:143], v[100:101]
	ds_read2_b64 v[140:143], v130 offset0:16 offset1:17
	;; [unrolled: 3-line block ×3, first 2 shown]
	s_waitcnt lgkmcnt(0)
	v_fma_f64 v[94:95], -v[108:109], v[136:137], v[94:95]
	v_fma_f64 v[92:93], -v[108:109], v[138:139], v[92:93]
	;; [unrolled: 1-line block ×3, first 2 shown]
	ds_read2_b64 v[136:139], v130 offset0:20 offset1:21
	v_fma_f64 v[88:89], -v[108:109], v[142:143], v[88:89]
	ds_read2_b64 v[140:143], v130 offset0:22 offset1:23
	v_fma_f64 v[86:87], -v[108:109], v[144:145], v[86:87]
	v_fma_f64 v[84:85], -v[108:109], v[146:147], v[84:85]
	s_waitcnt lgkmcnt(0)
	v_fma_f64 v[82:83], -v[108:109], v[136:137], v[82:83]
	ds_read2_b64 v[144:147], v130 offset0:24 offset1:25
	v_fma_f64 v[80:81], -v[108:109], v[138:139], v[80:81]
	ds_read2_b64 v[136:139], v130 offset0:26 offset1:27
	v_fma_f64 v[78:79], -v[108:109], v[140:141], v[78:79]
	v_fma_f64 v[76:77], -v[108:109], v[142:143], v[76:77]
	ds_read2_b64 v[140:143], v130 offset0:28 offset1:29
	s_waitcnt lgkmcnt(0)
	v_fma_f64 v[74:75], -v[108:109], v[144:145], v[74:75]
	v_fma_f64 v[72:73], -v[108:109], v[146:147], v[72:73]
	ds_read2_b64 v[144:147], v130 offset0:30 offset1:31
	v_fma_f64 v[70:71], -v[108:109], v[136:137], v[70:71]
	v_fma_f64 v[68:69], -v[108:109], v[138:139], v[68:69]
	;; [unrolled: 1-line block ×3, first 2 shown]
	ds_read2_b64 v[136:139], v130 offset0:32 offset1:33
	v_fma_f64 v[64:65], -v[108:109], v[142:143], v[64:65]
	ds_read2_b64 v[140:143], v130 offset0:34 offset1:35
	s_waitcnt lgkmcnt(0)
	v_fma_f64 v[62:63], -v[108:109], v[144:145], v[62:63]
	v_fma_f64 v[60:61], -v[108:109], v[146:147], v[60:61]
	;; [unrolled: 1-line block ×3, first 2 shown]
	ds_read2_b64 v[144:147], v130 offset0:36 offset1:37
	v_fma_f64 v[56:57], -v[108:109], v[138:139], v[56:57]
	ds_read2_b64 v[136:139], v130 offset0:38 offset1:39
	v_fma_f64 v[54:55], -v[108:109], v[140:141], v[54:55]
	v_fma_f64 v[52:53], -v[108:109], v[142:143], v[52:53]
	ds_read2_b64 v[140:143], v130 offset0:40 offset1:41
	s_waitcnt lgkmcnt(0)
	v_fma_f64 v[50:51], -v[108:109], v[144:145], v[50:51]
	v_fma_f64 v[48:49], -v[108:109], v[146:147], v[48:49]
	ds_read2_b64 v[144:147], v130 offset0:42 offset1:43
	v_fma_f64 v[46:47], -v[108:109], v[136:137], v[46:47]
	v_fma_f64 v[44:45], -v[108:109], v[138:139], v[44:45]
	;; [unrolled: 1-line block ×3, first 2 shown]
	ds_read2_b64 v[136:139], v130 offset0:44 offset1:45
	v_fma_f64 v[40:41], -v[108:109], v[142:143], v[40:41]
	ds_read2_b64 v[140:143], v130 offset0:46 offset1:47
	s_waitcnt lgkmcnt(0)
	v_fma_f64 v[38:39], -v[108:109], v[144:145], v[38:39]
	v_fma_f64 v[36:37], -v[108:109], v[146:147], v[36:37]
	;; [unrolled: 1-line block ×3, first 2 shown]
	ds_read2_b64 v[144:147], v130 offset0:48 offset1:49
	v_fma_f64 v[32:33], -v[108:109], v[138:139], v[32:33]
	ds_read2_b64 v[136:139], v130 offset0:50 offset1:51
	v_fma_f64 v[30:31], -v[108:109], v[140:141], v[30:31]
	v_fma_f64 v[28:29], -v[108:109], v[142:143], v[28:29]
	ds_read2_b64 v[140:143], v130 offset0:52 offset1:53
	s_waitcnt lgkmcnt(0)
	v_fma_f64 v[26:27], -v[108:109], v[144:145], v[26:27]
	v_fma_f64 v[24:25], -v[108:109], v[146:147], v[24:25]
	ds_read2_b64 v[144:147], v130 offset0:54 offset1:55
	v_fma_f64 v[22:23], -v[108:109], v[136:137], v[22:23]
	v_fma_f64 v[20:21], -v[108:109], v[138:139], v[20:21]
	;; [unrolled: 1-line block ×4, first 2 shown]
	ds_read2_b64 v[136:139], v130 offset0:56 offset1:57
	ds_read2_b64 v[140:143], v130 offset0:58 offset1:59
	s_waitcnt lgkmcnt(0)
	v_fma_f64 v[14:15], -v[108:109], v[144:145], v[14:15]
	v_fma_f64 v[12:13], -v[108:109], v[146:147], v[12:13]
	;; [unrolled: 1-line block ×7, first 2 shown]
.LBB120_131:
	s_or_b64 exec, exec, s[0:1]
	v_lshl_add_u32 v126, v131, 3, v130
	s_barrier
	ds_write_b64 v126, v[106:107]
	s_waitcnt lgkmcnt(0)
	s_barrier
	ds_read_b64 v[126:127], v130 offset:64
	s_cmp_lt_i32 s18, 10
	v_mov_b32_e32 v128, 8
	s_cbranch_scc1 .LBB120_134
; %bb.132:
	v_add_u32_e32 v135, 0x48, v130
	s_mov_b32 s0, 9
	v_mov_b32_e32 v128, 8
.LBB120_133:                            ; =>This Inner Loop Header: Depth=1
	ds_read_b64 v[136:137], v135
	v_mov_b32_e32 v138, s0
	s_add_i32 s0, s0, 1
	v_add_u32_e32 v135, 8, v135
	s_cmp_lg_u32 s18, s0
	s_waitcnt lgkmcnt(0)
	v_cmp_lt_f64_e64 vcc, |v[126:127]|, |v[136:137]|
	v_cndmask_b32_e32 v127, v127, v137, vcc
	v_cndmask_b32_e32 v126, v126, v136, vcc
	;; [unrolled: 1-line block ×3, first 2 shown]
	s_cbranch_scc1 .LBB120_133
.LBB120_134:
	s_waitcnt lgkmcnt(0)
	v_cmp_eq_f64_e32 vcc, 0, v[126:127]
	s_and_saveexec_b64 s[0:1], vcc
	s_xor_b64 s[0:1], exec, s[0:1]
; %bb.135:
	v_cmp_ne_u32_e32 vcc, 0, v134
	v_cndmask_b32_e32 v134, 9, v134, vcc
; %bb.136:
	s_andn2_saveexec_b64 s[0:1], s[0:1]
; %bb.137:
	v_div_scale_f64 v[136:137], s[2:3], v[126:127], v[126:127], 1.0
	v_rcp_f64_e32 v[138:139], v[136:137]
	v_div_scale_f64 v[140:141], vcc, 1.0, v[126:127], 1.0
	v_fma_f64 v[142:143], -v[136:137], v[138:139], 1.0
	v_fmac_f64_e32 v[138:139], v[138:139], v[142:143]
	v_fma_f64 v[142:143], -v[136:137], v[138:139], 1.0
	v_fmac_f64_e32 v[138:139], v[138:139], v[142:143]
	v_mul_f64 v[142:143], v[140:141], v[138:139]
	v_fma_f64 v[136:137], -v[136:137], v[142:143], v[140:141]
	v_div_fmas_f64 v[136:137], v[136:137], v[138:139], v[142:143]
	v_div_fixup_f64 v[126:127], v[136:137], v[126:127], 1.0
; %bb.138:
	s_or_b64 exec, exec, s[0:1]
	v_cmp_ne_u32_e32 vcc, v131, v128
	s_and_saveexec_b64 s[0:1], vcc
	s_xor_b64 s[0:1], exec, s[0:1]
	s_cbranch_execz .LBB120_144
; %bb.139:
	v_cmp_eq_u32_e32 vcc, 8, v131
	s_and_saveexec_b64 s[2:3], vcc
	s_cbranch_execz .LBB120_143
; %bb.140:
	v_cmp_ne_u32_e32 vcc, 8, v128
	s_xor_b64 s[14:15], s[6:7], -1
	s_and_b64 s[16:17], s[14:15], vcc
	s_and_saveexec_b64 s[14:15], s[16:17]
	s_cbranch_execz .LBB120_142
; %bb.141:
	v_ashrrev_i32_e32 v129, 31, v128
	v_lshlrev_b64 v[136:137], 2, v[128:129]
	v_add_co_u32_e32 v136, vcc, v4, v136
	v_addc_co_u32_e32 v137, vcc, v5, v137, vcc
	flat_load_dword v129, v[136:137]
	flat_load_dword v131, v[4:5] offset:32
	s_waitcnt vmcnt(0) lgkmcnt(0)
	flat_store_dword v[4:5], v129 offset:32
	flat_store_dword v[136:137], v131
.LBB120_142:
	s_or_b64 exec, exec, s[14:15]
	v_mov_b32_e32 v129, v128
	v_mov_b32_e32 v131, v128
.LBB120_143:
	s_or_b64 exec, exec, s[2:3]
.LBB120_144:
	s_andn2_saveexec_b64 s[0:1], s[0:1]
	s_cbranch_execz .LBB120_146
; %bb.145:
	v_mov_b32_e32 v131, 8
	ds_write2_b64 v130, v[104:105], v[102:103] offset0:9 offset1:10
	ds_write2_b64 v130, v[100:101], v[98:99] offset0:11 offset1:12
	;; [unrolled: 1-line block ×26, first 2 shown]
.LBB120_146:
	s_or_b64 exec, exec, s[0:1]
	v_cmp_lt_i32_e32 vcc, 8, v131
	s_waitcnt lgkmcnt(0)
	s_barrier
	s_and_saveexec_b64 s[0:1], vcc
	s_cbranch_execz .LBB120_148
; %bb.147:
	ds_read2_b64 v[136:139], v130 offset0:9 offset1:10
	ds_read2_b64 v[140:143], v130 offset0:11 offset1:12
	v_mul_f64 v[106:107], v[126:127], v[106:107]
	ds_read2_b64 v[144:147], v130 offset0:13 offset1:14
	s_waitcnt lgkmcnt(0)
	v_fma_f64 v[104:105], -v[106:107], v[136:137], v[104:105]
	v_fma_f64 v[102:103], -v[106:107], v[138:139], v[102:103]
	ds_read2_b64 v[136:139], v130 offset0:15 offset1:16
	v_fma_f64 v[100:101], -v[106:107], v[140:141], v[100:101]
	v_fma_f64 v[98:99], -v[106:107], v[142:143], v[98:99]
	ds_read2_b64 v[140:143], v130 offset0:17 offset1:18
	;; [unrolled: 3-line block ×3, first 2 shown]
	s_waitcnt lgkmcnt(0)
	v_fma_f64 v[92:93], -v[106:107], v[136:137], v[92:93]
	v_fma_f64 v[90:91], -v[106:107], v[138:139], v[90:91]
	;; [unrolled: 1-line block ×3, first 2 shown]
	ds_read2_b64 v[136:139], v130 offset0:21 offset1:22
	v_fma_f64 v[86:87], -v[106:107], v[142:143], v[86:87]
	ds_read2_b64 v[140:143], v130 offset0:23 offset1:24
	v_fma_f64 v[84:85], -v[106:107], v[144:145], v[84:85]
	v_fma_f64 v[82:83], -v[106:107], v[146:147], v[82:83]
	s_waitcnt lgkmcnt(0)
	v_fma_f64 v[80:81], -v[106:107], v[136:137], v[80:81]
	ds_read2_b64 v[144:147], v130 offset0:25 offset1:26
	v_fma_f64 v[78:79], -v[106:107], v[138:139], v[78:79]
	ds_read2_b64 v[136:139], v130 offset0:27 offset1:28
	v_fma_f64 v[76:77], -v[106:107], v[140:141], v[76:77]
	v_fma_f64 v[74:75], -v[106:107], v[142:143], v[74:75]
	ds_read2_b64 v[140:143], v130 offset0:29 offset1:30
	s_waitcnt lgkmcnt(0)
	v_fma_f64 v[72:73], -v[106:107], v[144:145], v[72:73]
	v_fma_f64 v[70:71], -v[106:107], v[146:147], v[70:71]
	ds_read2_b64 v[144:147], v130 offset0:31 offset1:32
	v_fma_f64 v[68:69], -v[106:107], v[136:137], v[68:69]
	v_fma_f64 v[66:67], -v[106:107], v[138:139], v[66:67]
	;; [unrolled: 1-line block ×3, first 2 shown]
	ds_read2_b64 v[136:139], v130 offset0:33 offset1:34
	v_fma_f64 v[62:63], -v[106:107], v[142:143], v[62:63]
	ds_read2_b64 v[140:143], v130 offset0:35 offset1:36
	s_waitcnt lgkmcnt(0)
	v_fma_f64 v[60:61], -v[106:107], v[144:145], v[60:61]
	v_fma_f64 v[58:59], -v[106:107], v[146:147], v[58:59]
	;; [unrolled: 1-line block ×3, first 2 shown]
	ds_read2_b64 v[144:147], v130 offset0:37 offset1:38
	v_fma_f64 v[54:55], -v[106:107], v[138:139], v[54:55]
	ds_read2_b64 v[136:139], v130 offset0:39 offset1:40
	v_fma_f64 v[52:53], -v[106:107], v[140:141], v[52:53]
	v_fma_f64 v[50:51], -v[106:107], v[142:143], v[50:51]
	ds_read2_b64 v[140:143], v130 offset0:41 offset1:42
	s_waitcnt lgkmcnt(0)
	v_fma_f64 v[48:49], -v[106:107], v[144:145], v[48:49]
	v_fma_f64 v[46:47], -v[106:107], v[146:147], v[46:47]
	ds_read2_b64 v[144:147], v130 offset0:43 offset1:44
	v_fma_f64 v[44:45], -v[106:107], v[136:137], v[44:45]
	v_fma_f64 v[42:43], -v[106:107], v[138:139], v[42:43]
	;; [unrolled: 1-line block ×3, first 2 shown]
	ds_read2_b64 v[136:139], v130 offset0:45 offset1:46
	v_fma_f64 v[38:39], -v[106:107], v[142:143], v[38:39]
	ds_read2_b64 v[140:143], v130 offset0:47 offset1:48
	s_waitcnt lgkmcnt(0)
	v_fma_f64 v[36:37], -v[106:107], v[144:145], v[36:37]
	v_fma_f64 v[34:35], -v[106:107], v[146:147], v[34:35]
	;; [unrolled: 1-line block ×3, first 2 shown]
	ds_read2_b64 v[144:147], v130 offset0:49 offset1:50
	v_fma_f64 v[30:31], -v[106:107], v[138:139], v[30:31]
	ds_read2_b64 v[136:139], v130 offset0:51 offset1:52
	v_fma_f64 v[28:29], -v[106:107], v[140:141], v[28:29]
	v_fma_f64 v[26:27], -v[106:107], v[142:143], v[26:27]
	ds_read2_b64 v[140:143], v130 offset0:53 offset1:54
	s_waitcnt lgkmcnt(0)
	v_fma_f64 v[24:25], -v[106:107], v[144:145], v[24:25]
	v_fma_f64 v[22:23], -v[106:107], v[146:147], v[22:23]
	;; [unrolled: 1-line block ×4, first 2 shown]
	ds_read2_b64 v[136:139], v130 offset0:55 offset1:56
	v_fma_f64 v[16:17], -v[106:107], v[140:141], v[16:17]
	ds_read2_b64 v[144:147], v130 offset0:57 offset1:58
	v_fma_f64 v[14:15], -v[106:107], v[142:143], v[14:15]
	ds_read2_b64 v[140:143], v130 offset0:59 offset1:60
	s_waitcnt lgkmcnt(0)
	v_fma_f64 v[12:13], -v[106:107], v[136:137], v[12:13]
	v_fma_f64 v[10:11], -v[106:107], v[138:139], v[10:11]
	;; [unrolled: 1-line block ×6, first 2 shown]
.LBB120_148:
	s_or_b64 exec, exec, s[0:1]
	v_lshl_add_u32 v126, v131, 3, v130
	s_barrier
	ds_write_b64 v126, v[104:105]
	s_waitcnt lgkmcnt(0)
	s_barrier
	ds_read_b64 v[126:127], v130 offset:72
	s_cmp_lt_i32 s18, 11
	v_mov_b32_e32 v128, 9
	s_cbranch_scc1 .LBB120_151
; %bb.149:
	v_add_u32_e32 v135, 0x50, v130
	s_mov_b32 s0, 10
	v_mov_b32_e32 v128, 9
.LBB120_150:                            ; =>This Inner Loop Header: Depth=1
	ds_read_b64 v[136:137], v135
	v_mov_b32_e32 v138, s0
	s_add_i32 s0, s0, 1
	v_add_u32_e32 v135, 8, v135
	s_cmp_lg_u32 s18, s0
	s_waitcnt lgkmcnt(0)
	v_cmp_lt_f64_e64 vcc, |v[126:127]|, |v[136:137]|
	v_cndmask_b32_e32 v127, v127, v137, vcc
	v_cndmask_b32_e32 v126, v126, v136, vcc
	;; [unrolled: 1-line block ×3, first 2 shown]
	s_cbranch_scc1 .LBB120_150
.LBB120_151:
	s_waitcnt lgkmcnt(0)
	v_cmp_eq_f64_e32 vcc, 0, v[126:127]
	s_and_saveexec_b64 s[0:1], vcc
	s_xor_b64 s[0:1], exec, s[0:1]
; %bb.152:
	v_cmp_ne_u32_e32 vcc, 0, v134
	v_cndmask_b32_e32 v134, 10, v134, vcc
; %bb.153:
	s_andn2_saveexec_b64 s[0:1], s[0:1]
; %bb.154:
	v_div_scale_f64 v[136:137], s[2:3], v[126:127], v[126:127], 1.0
	v_rcp_f64_e32 v[138:139], v[136:137]
	v_div_scale_f64 v[140:141], vcc, 1.0, v[126:127], 1.0
	v_fma_f64 v[142:143], -v[136:137], v[138:139], 1.0
	v_fmac_f64_e32 v[138:139], v[138:139], v[142:143]
	v_fma_f64 v[142:143], -v[136:137], v[138:139], 1.0
	v_fmac_f64_e32 v[138:139], v[138:139], v[142:143]
	v_mul_f64 v[142:143], v[140:141], v[138:139]
	v_fma_f64 v[136:137], -v[136:137], v[142:143], v[140:141]
	v_div_fmas_f64 v[136:137], v[136:137], v[138:139], v[142:143]
	v_div_fixup_f64 v[126:127], v[136:137], v[126:127], 1.0
; %bb.155:
	s_or_b64 exec, exec, s[0:1]
	v_cmp_ne_u32_e32 vcc, v131, v128
	s_and_saveexec_b64 s[0:1], vcc
	s_xor_b64 s[0:1], exec, s[0:1]
	s_cbranch_execz .LBB120_161
; %bb.156:
	v_cmp_eq_u32_e32 vcc, 9, v131
	s_and_saveexec_b64 s[2:3], vcc
	s_cbranch_execz .LBB120_160
; %bb.157:
	v_cmp_ne_u32_e32 vcc, 9, v128
	s_xor_b64 s[14:15], s[6:7], -1
	s_and_b64 s[16:17], s[14:15], vcc
	s_and_saveexec_b64 s[14:15], s[16:17]
	s_cbranch_execz .LBB120_159
; %bb.158:
	v_ashrrev_i32_e32 v129, 31, v128
	v_lshlrev_b64 v[136:137], 2, v[128:129]
	v_add_co_u32_e32 v136, vcc, v4, v136
	v_addc_co_u32_e32 v137, vcc, v5, v137, vcc
	flat_load_dword v129, v[136:137]
	flat_load_dword v131, v[4:5] offset:36
	s_waitcnt vmcnt(0) lgkmcnt(0)
	flat_store_dword v[4:5], v129 offset:36
	flat_store_dword v[136:137], v131
.LBB120_159:
	s_or_b64 exec, exec, s[14:15]
	v_mov_b32_e32 v129, v128
	v_mov_b32_e32 v131, v128
.LBB120_160:
	s_or_b64 exec, exec, s[2:3]
.LBB120_161:
	s_andn2_saveexec_b64 s[0:1], s[0:1]
	s_cbranch_execz .LBB120_163
; %bb.162:
	v_mov_b32_e32 v136, v102
	v_mov_b32_e32 v137, v103
	v_mov_b32_e32 v138, v100
	v_mov_b32_e32 v139, v101
	ds_write2_b64 v130, v[136:137], v[138:139] offset0:10 offset1:11
	v_mov_b32_e32 v136, v98
	v_mov_b32_e32 v137, v99
	v_mov_b32_e32 v138, v96
	v_mov_b32_e32 v139, v97
	ds_write2_b64 v130, v[136:137], v[138:139] offset0:12 offset1:13
	;; [unrolled: 5-line block ×24, first 2 shown]
	v_mov_b32_e32 v136, v6
	v_mov_b32_e32 v137, v7
	;; [unrolled: 1-line block ×5, first 2 shown]
	ds_write2_b64 v130, v[136:137], v[138:139] offset0:58 offset1:59
	ds_write_b64 v130, v[124:125] offset:480
.LBB120_163:
	s_or_b64 exec, exec, s[0:1]
	v_cmp_lt_i32_e32 vcc, 9, v131
	s_waitcnt lgkmcnt(0)
	s_barrier
	s_and_saveexec_b64 s[0:1], vcc
	s_cbranch_execz .LBB120_165
; %bb.164:
	ds_read2_b64 v[136:139], v130 offset0:10 offset1:11
	ds_read2_b64 v[140:143], v130 offset0:12 offset1:13
	v_mul_f64 v[104:105], v[126:127], v[104:105]
	ds_read2_b64 v[144:147], v130 offset0:14 offset1:15
	ds_read_b64 v[126:127], v130 offset:480
	s_waitcnt lgkmcnt(0)
	v_fma_f64 v[102:103], -v[104:105], v[136:137], v[102:103]
	v_fma_f64 v[100:101], -v[104:105], v[138:139], v[100:101]
	ds_read2_b64 v[136:139], v130 offset0:16 offset1:17
	v_fma_f64 v[98:99], -v[104:105], v[140:141], v[98:99]
	v_fma_f64 v[96:97], -v[104:105], v[142:143], v[96:97]
	;; [unrolled: 1-line block ×3, first 2 shown]
	ds_read2_b64 v[140:143], v130 offset0:18 offset1:19
	v_fma_f64 v[92:93], -v[104:105], v[146:147], v[92:93]
	ds_read2_b64 v[144:147], v130 offset0:20 offset1:21
	s_waitcnt lgkmcnt(0)
	v_fma_f64 v[90:91], -v[104:105], v[136:137], v[90:91]
	v_fma_f64 v[88:89], -v[104:105], v[138:139], v[88:89]
	ds_read2_b64 v[136:139], v130 offset0:22 offset1:23
	v_fma_f64 v[86:87], -v[104:105], v[140:141], v[86:87]
	v_fma_f64 v[84:85], -v[104:105], v[142:143], v[84:85]
	ds_read2_b64 v[140:143], v130 offset0:24 offset1:25
	v_fma_f64 v[82:83], -v[104:105], v[144:145], v[82:83]
	v_fma_f64 v[80:81], -v[104:105], v[146:147], v[80:81]
	s_waitcnt lgkmcnt(0)
	v_fma_f64 v[78:79], -v[104:105], v[136:137], v[78:79]
	ds_read2_b64 v[144:147], v130 offset0:26 offset1:27
	v_fma_f64 v[76:77], -v[104:105], v[138:139], v[76:77]
	ds_read2_b64 v[136:139], v130 offset0:28 offset1:29
	v_fma_f64 v[74:75], -v[104:105], v[140:141], v[74:75]
	v_fma_f64 v[72:73], -v[104:105], v[142:143], v[72:73]
	s_waitcnt lgkmcnt(0)
	v_fma_f64 v[70:71], -v[104:105], v[144:145], v[70:71]
	ds_read2_b64 v[140:143], v130 offset0:30 offset1:31
	v_fma_f64 v[68:69], -v[104:105], v[146:147], v[68:69]
	ds_read2_b64 v[144:147], v130 offset0:32 offset1:33
	v_fma_f64 v[66:67], -v[104:105], v[136:137], v[66:67]
	v_fma_f64 v[64:65], -v[104:105], v[138:139], v[64:65]
	ds_read2_b64 v[136:139], v130 offset0:34 offset1:35
	s_waitcnt lgkmcnt(0)
	v_fma_f64 v[62:63], -v[104:105], v[140:141], v[62:63]
	v_fma_f64 v[60:61], -v[104:105], v[142:143], v[60:61]
	ds_read2_b64 v[140:143], v130 offset0:36 offset1:37
	v_fma_f64 v[58:59], -v[104:105], v[144:145], v[58:59]
	v_fma_f64 v[56:57], -v[104:105], v[146:147], v[56:57]
	;; [unrolled: 1-line block ×3, first 2 shown]
	ds_read2_b64 v[144:147], v130 offset0:38 offset1:39
	v_fma_f64 v[52:53], -v[104:105], v[138:139], v[52:53]
	ds_read2_b64 v[136:139], v130 offset0:40 offset1:41
	s_waitcnt lgkmcnt(0)
	v_fma_f64 v[50:51], -v[104:105], v[140:141], v[50:51]
	v_fma_f64 v[48:49], -v[104:105], v[142:143], v[48:49]
	;; [unrolled: 1-line block ×3, first 2 shown]
	ds_read2_b64 v[140:143], v130 offset0:42 offset1:43
	v_fma_f64 v[44:45], -v[104:105], v[146:147], v[44:45]
	ds_read2_b64 v[144:147], v130 offset0:44 offset1:45
	v_fma_f64 v[42:43], -v[104:105], v[136:137], v[42:43]
	v_fma_f64 v[40:41], -v[104:105], v[138:139], v[40:41]
	ds_read2_b64 v[136:139], v130 offset0:46 offset1:47
	s_waitcnt lgkmcnt(0)
	v_fma_f64 v[38:39], -v[104:105], v[140:141], v[38:39]
	v_fma_f64 v[36:37], -v[104:105], v[142:143], v[36:37]
	ds_read2_b64 v[140:143], v130 offset0:48 offset1:49
	v_fma_f64 v[34:35], -v[104:105], v[144:145], v[34:35]
	v_fma_f64 v[32:33], -v[104:105], v[146:147], v[32:33]
	;; [unrolled: 1-line block ×3, first 2 shown]
	ds_read2_b64 v[144:147], v130 offset0:50 offset1:51
	v_fma_f64 v[28:29], -v[104:105], v[138:139], v[28:29]
	ds_read2_b64 v[136:139], v130 offset0:52 offset1:53
	s_waitcnt lgkmcnt(0)
	v_fma_f64 v[26:27], -v[104:105], v[140:141], v[26:27]
	v_fma_f64 v[24:25], -v[104:105], v[142:143], v[24:25]
	;; [unrolled: 1-line block ×3, first 2 shown]
	ds_read2_b64 v[140:143], v130 offset0:54 offset1:55
	v_fma_f64 v[20:21], -v[104:105], v[146:147], v[20:21]
	v_fma_f64 v[18:19], -v[104:105], v[136:137], v[18:19]
	;; [unrolled: 1-line block ×3, first 2 shown]
	ds_read2_b64 v[136:139], v130 offset0:56 offset1:57
	ds_read2_b64 v[144:147], v130 offset0:58 offset1:59
	s_waitcnt lgkmcnt(0)
	v_fma_f64 v[14:15], -v[104:105], v[140:141], v[14:15]
	v_fma_f64 v[12:13], -v[104:105], v[142:143], v[12:13]
	;; [unrolled: 1-line block ×7, first 2 shown]
.LBB120_165:
	s_or_b64 exec, exec, s[0:1]
	v_lshl_add_u32 v126, v131, 3, v130
	s_barrier
	ds_write_b64 v126, v[102:103]
	s_waitcnt lgkmcnt(0)
	s_barrier
	ds_read_b64 v[126:127], v130 offset:80
	s_cmp_lt_i32 s18, 12
	v_mov_b32_e32 v128, 10
	s_cbranch_scc1 .LBB120_168
; %bb.166:
	v_add_u32_e32 v135, 0x58, v130
	s_mov_b32 s0, 11
	v_mov_b32_e32 v128, 10
.LBB120_167:                            ; =>This Inner Loop Header: Depth=1
	ds_read_b64 v[136:137], v135
	v_mov_b32_e32 v138, s0
	s_add_i32 s0, s0, 1
	v_add_u32_e32 v135, 8, v135
	s_cmp_lg_u32 s18, s0
	s_waitcnt lgkmcnt(0)
	v_cmp_lt_f64_e64 vcc, |v[126:127]|, |v[136:137]|
	v_cndmask_b32_e32 v127, v127, v137, vcc
	v_cndmask_b32_e32 v126, v126, v136, vcc
	;; [unrolled: 1-line block ×3, first 2 shown]
	s_cbranch_scc1 .LBB120_167
.LBB120_168:
	s_waitcnt lgkmcnt(0)
	v_cmp_eq_f64_e32 vcc, 0, v[126:127]
	s_and_saveexec_b64 s[0:1], vcc
	s_xor_b64 s[0:1], exec, s[0:1]
; %bb.169:
	v_cmp_ne_u32_e32 vcc, 0, v134
	v_cndmask_b32_e32 v134, 11, v134, vcc
; %bb.170:
	s_andn2_saveexec_b64 s[0:1], s[0:1]
; %bb.171:
	v_div_scale_f64 v[136:137], s[2:3], v[126:127], v[126:127], 1.0
	v_rcp_f64_e32 v[138:139], v[136:137]
	v_div_scale_f64 v[140:141], vcc, 1.0, v[126:127], 1.0
	v_fma_f64 v[142:143], -v[136:137], v[138:139], 1.0
	v_fmac_f64_e32 v[138:139], v[138:139], v[142:143]
	v_fma_f64 v[142:143], -v[136:137], v[138:139], 1.0
	v_fmac_f64_e32 v[138:139], v[138:139], v[142:143]
	v_mul_f64 v[142:143], v[140:141], v[138:139]
	v_fma_f64 v[136:137], -v[136:137], v[142:143], v[140:141]
	v_div_fmas_f64 v[136:137], v[136:137], v[138:139], v[142:143]
	v_div_fixup_f64 v[126:127], v[136:137], v[126:127], 1.0
; %bb.172:
	s_or_b64 exec, exec, s[0:1]
	v_cmp_ne_u32_e32 vcc, v131, v128
	s_and_saveexec_b64 s[0:1], vcc
	s_xor_b64 s[0:1], exec, s[0:1]
	s_cbranch_execz .LBB120_178
; %bb.173:
	v_cmp_eq_u32_e32 vcc, 10, v131
	s_and_saveexec_b64 s[2:3], vcc
	s_cbranch_execz .LBB120_177
; %bb.174:
	v_cmp_ne_u32_e32 vcc, 10, v128
	s_xor_b64 s[14:15], s[6:7], -1
	s_and_b64 s[16:17], s[14:15], vcc
	s_and_saveexec_b64 s[14:15], s[16:17]
	s_cbranch_execz .LBB120_176
; %bb.175:
	v_ashrrev_i32_e32 v129, 31, v128
	v_lshlrev_b64 v[136:137], 2, v[128:129]
	v_add_co_u32_e32 v136, vcc, v4, v136
	v_addc_co_u32_e32 v137, vcc, v5, v137, vcc
	flat_load_dword v129, v[136:137]
	flat_load_dword v131, v[4:5] offset:40
	s_waitcnt vmcnt(0) lgkmcnt(0)
	flat_store_dword v[4:5], v129 offset:40
	flat_store_dword v[136:137], v131
.LBB120_176:
	s_or_b64 exec, exec, s[14:15]
	v_mov_b32_e32 v129, v128
	v_mov_b32_e32 v131, v128
.LBB120_177:
	s_or_b64 exec, exec, s[2:3]
.LBB120_178:
	s_andn2_saveexec_b64 s[0:1], s[0:1]
	s_cbranch_execz .LBB120_180
; %bb.179:
	v_mov_b32_e32 v131, 10
	ds_write2_b64 v130, v[100:101], v[98:99] offset0:11 offset1:12
	ds_write2_b64 v130, v[96:97], v[94:95] offset0:13 offset1:14
	;; [unrolled: 1-line block ×25, first 2 shown]
.LBB120_180:
	s_or_b64 exec, exec, s[0:1]
	v_cmp_lt_i32_e32 vcc, 10, v131
	s_waitcnt lgkmcnt(0)
	s_barrier
	s_and_saveexec_b64 s[0:1], vcc
	s_cbranch_execz .LBB120_182
; %bb.181:
	ds_read2_b64 v[136:139], v130 offset0:11 offset1:12
	ds_read2_b64 v[140:143], v130 offset0:13 offset1:14
	v_mul_f64 v[102:103], v[126:127], v[102:103]
	ds_read2_b64 v[144:147], v130 offset0:15 offset1:16
	s_waitcnt lgkmcnt(0)
	v_fma_f64 v[100:101], -v[102:103], v[136:137], v[100:101]
	v_fma_f64 v[98:99], -v[102:103], v[138:139], v[98:99]
	ds_read2_b64 v[136:139], v130 offset0:17 offset1:18
	v_fma_f64 v[96:97], -v[102:103], v[140:141], v[96:97]
	v_fma_f64 v[94:95], -v[102:103], v[142:143], v[94:95]
	;; [unrolled: 1-line block ×3, first 2 shown]
	ds_read2_b64 v[140:143], v130 offset0:19 offset1:20
	v_fma_f64 v[90:91], -v[102:103], v[146:147], v[90:91]
	ds_read2_b64 v[144:147], v130 offset0:21 offset1:22
	s_waitcnt lgkmcnt(0)
	v_fma_f64 v[88:89], -v[102:103], v[136:137], v[88:89]
	v_fma_f64 v[86:87], -v[102:103], v[138:139], v[86:87]
	ds_read2_b64 v[136:139], v130 offset0:23 offset1:24
	v_fma_f64 v[84:85], -v[102:103], v[140:141], v[84:85]
	v_fma_f64 v[82:83], -v[102:103], v[142:143], v[82:83]
	ds_read2_b64 v[140:143], v130 offset0:25 offset1:26
	v_fma_f64 v[80:81], -v[102:103], v[144:145], v[80:81]
	v_fma_f64 v[78:79], -v[102:103], v[146:147], v[78:79]
	s_waitcnt lgkmcnt(0)
	v_fma_f64 v[76:77], -v[102:103], v[136:137], v[76:77]
	ds_read2_b64 v[144:147], v130 offset0:27 offset1:28
	v_fma_f64 v[74:75], -v[102:103], v[138:139], v[74:75]
	ds_read2_b64 v[136:139], v130 offset0:29 offset1:30
	v_fma_f64 v[72:73], -v[102:103], v[140:141], v[72:73]
	v_fma_f64 v[70:71], -v[102:103], v[142:143], v[70:71]
	s_waitcnt lgkmcnt(0)
	v_fma_f64 v[68:69], -v[102:103], v[144:145], v[68:69]
	ds_read2_b64 v[140:143], v130 offset0:31 offset1:32
	v_fma_f64 v[66:67], -v[102:103], v[146:147], v[66:67]
	ds_read2_b64 v[144:147], v130 offset0:33 offset1:34
	v_fma_f64 v[64:65], -v[102:103], v[136:137], v[64:65]
	v_fma_f64 v[62:63], -v[102:103], v[138:139], v[62:63]
	ds_read2_b64 v[136:139], v130 offset0:35 offset1:36
	s_waitcnt lgkmcnt(0)
	v_fma_f64 v[60:61], -v[102:103], v[140:141], v[60:61]
	v_fma_f64 v[58:59], -v[102:103], v[142:143], v[58:59]
	ds_read2_b64 v[140:143], v130 offset0:37 offset1:38
	v_fma_f64 v[56:57], -v[102:103], v[144:145], v[56:57]
	v_fma_f64 v[54:55], -v[102:103], v[146:147], v[54:55]
	;; [unrolled: 1-line block ×3, first 2 shown]
	ds_read2_b64 v[144:147], v130 offset0:39 offset1:40
	v_fma_f64 v[50:51], -v[102:103], v[138:139], v[50:51]
	ds_read2_b64 v[136:139], v130 offset0:41 offset1:42
	s_waitcnt lgkmcnt(0)
	v_fma_f64 v[48:49], -v[102:103], v[140:141], v[48:49]
	v_fma_f64 v[46:47], -v[102:103], v[142:143], v[46:47]
	v_fma_f64 v[44:45], -v[102:103], v[144:145], v[44:45]
	ds_read2_b64 v[140:143], v130 offset0:43 offset1:44
	v_fma_f64 v[42:43], -v[102:103], v[146:147], v[42:43]
	ds_read2_b64 v[144:147], v130 offset0:45 offset1:46
	v_fma_f64 v[40:41], -v[102:103], v[136:137], v[40:41]
	v_fma_f64 v[38:39], -v[102:103], v[138:139], v[38:39]
	ds_read2_b64 v[136:139], v130 offset0:47 offset1:48
	s_waitcnt lgkmcnt(0)
	v_fma_f64 v[36:37], -v[102:103], v[140:141], v[36:37]
	v_fma_f64 v[34:35], -v[102:103], v[142:143], v[34:35]
	ds_read2_b64 v[140:143], v130 offset0:49 offset1:50
	v_fma_f64 v[32:33], -v[102:103], v[144:145], v[32:33]
	v_fma_f64 v[30:31], -v[102:103], v[146:147], v[30:31]
	v_fma_f64 v[28:29], -v[102:103], v[136:137], v[28:29]
	ds_read2_b64 v[144:147], v130 offset0:51 offset1:52
	v_fma_f64 v[26:27], -v[102:103], v[138:139], v[26:27]
	ds_read2_b64 v[136:139], v130 offset0:53 offset1:54
	s_waitcnt lgkmcnt(0)
	v_fma_f64 v[24:25], -v[102:103], v[140:141], v[24:25]
	v_fma_f64 v[22:23], -v[102:103], v[142:143], v[22:23]
	;; [unrolled: 1-line block ×4, first 2 shown]
	ds_read2_b64 v[140:143], v130 offset0:55 offset1:56
	ds_read2_b64 v[144:147], v130 offset0:57 offset1:58
	v_fma_f64 v[16:17], -v[102:103], v[136:137], v[16:17]
	v_fma_f64 v[14:15], -v[102:103], v[138:139], v[14:15]
	ds_read2_b64 v[136:139], v130 offset0:59 offset1:60
	s_waitcnt lgkmcnt(0)
	v_fma_f64 v[12:13], -v[102:103], v[140:141], v[12:13]
	v_fma_f64 v[10:11], -v[102:103], v[142:143], v[10:11]
	;; [unrolled: 1-line block ×6, first 2 shown]
.LBB120_182:
	s_or_b64 exec, exec, s[0:1]
	v_lshl_add_u32 v126, v131, 3, v130
	s_barrier
	ds_write_b64 v126, v[100:101]
	s_waitcnt lgkmcnt(0)
	s_barrier
	ds_read_b64 v[126:127], v130 offset:88
	s_cmp_lt_i32 s18, 13
	v_mov_b32_e32 v128, 11
	s_cbranch_scc1 .LBB120_185
; %bb.183:
	v_add_u32_e32 v135, 0x60, v130
	s_mov_b32 s0, 12
	v_mov_b32_e32 v128, 11
.LBB120_184:                            ; =>This Inner Loop Header: Depth=1
	ds_read_b64 v[136:137], v135
	v_mov_b32_e32 v138, s0
	s_add_i32 s0, s0, 1
	v_add_u32_e32 v135, 8, v135
	s_cmp_lg_u32 s18, s0
	s_waitcnt lgkmcnt(0)
	v_cmp_lt_f64_e64 vcc, |v[126:127]|, |v[136:137]|
	v_cndmask_b32_e32 v127, v127, v137, vcc
	v_cndmask_b32_e32 v126, v126, v136, vcc
	;; [unrolled: 1-line block ×3, first 2 shown]
	s_cbranch_scc1 .LBB120_184
.LBB120_185:
	s_waitcnt lgkmcnt(0)
	v_cmp_eq_f64_e32 vcc, 0, v[126:127]
	s_and_saveexec_b64 s[0:1], vcc
	s_xor_b64 s[0:1], exec, s[0:1]
; %bb.186:
	v_cmp_ne_u32_e32 vcc, 0, v134
	v_cndmask_b32_e32 v134, 12, v134, vcc
; %bb.187:
	s_andn2_saveexec_b64 s[0:1], s[0:1]
; %bb.188:
	v_div_scale_f64 v[136:137], s[2:3], v[126:127], v[126:127], 1.0
	v_rcp_f64_e32 v[138:139], v[136:137]
	v_div_scale_f64 v[140:141], vcc, 1.0, v[126:127], 1.0
	v_fma_f64 v[142:143], -v[136:137], v[138:139], 1.0
	v_fmac_f64_e32 v[138:139], v[138:139], v[142:143]
	v_fma_f64 v[142:143], -v[136:137], v[138:139], 1.0
	v_fmac_f64_e32 v[138:139], v[138:139], v[142:143]
	v_mul_f64 v[142:143], v[140:141], v[138:139]
	v_fma_f64 v[136:137], -v[136:137], v[142:143], v[140:141]
	v_div_fmas_f64 v[136:137], v[136:137], v[138:139], v[142:143]
	v_div_fixup_f64 v[126:127], v[136:137], v[126:127], 1.0
; %bb.189:
	s_or_b64 exec, exec, s[0:1]
	v_cmp_ne_u32_e32 vcc, v131, v128
	s_and_saveexec_b64 s[0:1], vcc
	s_xor_b64 s[0:1], exec, s[0:1]
	s_cbranch_execz .LBB120_195
; %bb.190:
	v_cmp_eq_u32_e32 vcc, 11, v131
	s_and_saveexec_b64 s[2:3], vcc
	s_cbranch_execz .LBB120_194
; %bb.191:
	v_cmp_ne_u32_e32 vcc, 11, v128
	s_xor_b64 s[14:15], s[6:7], -1
	s_and_b64 s[16:17], s[14:15], vcc
	s_and_saveexec_b64 s[14:15], s[16:17]
	s_cbranch_execz .LBB120_193
; %bb.192:
	v_ashrrev_i32_e32 v129, 31, v128
	v_lshlrev_b64 v[136:137], 2, v[128:129]
	v_add_co_u32_e32 v136, vcc, v4, v136
	v_addc_co_u32_e32 v137, vcc, v5, v137, vcc
	flat_load_dword v129, v[136:137]
	flat_load_dword v131, v[4:5] offset:44
	s_waitcnt vmcnt(0) lgkmcnt(0)
	flat_store_dword v[4:5], v129 offset:44
	flat_store_dword v[136:137], v131
.LBB120_193:
	s_or_b64 exec, exec, s[14:15]
	v_mov_b32_e32 v129, v128
	v_mov_b32_e32 v131, v128
.LBB120_194:
	s_or_b64 exec, exec, s[2:3]
.LBB120_195:
	s_andn2_saveexec_b64 s[0:1], s[0:1]
	s_cbranch_execz .LBB120_197
; %bb.196:
	v_mov_b32_e32 v136, v98
	v_mov_b32_e32 v137, v99
	v_mov_b32_e32 v138, v96
	v_mov_b32_e32 v139, v97
	ds_write2_b64 v130, v[136:137], v[138:139] offset0:12 offset1:13
	v_mov_b32_e32 v136, v94
	v_mov_b32_e32 v137, v95
	v_mov_b32_e32 v138, v92
	v_mov_b32_e32 v139, v93
	ds_write2_b64 v130, v[136:137], v[138:139] offset0:14 offset1:15
	;; [unrolled: 5-line block ×23, first 2 shown]
	v_mov_b32_e32 v136, v6
	v_mov_b32_e32 v137, v7
	;; [unrolled: 1-line block ×5, first 2 shown]
	ds_write2_b64 v130, v[136:137], v[138:139] offset0:58 offset1:59
	ds_write_b64 v130, v[124:125] offset:480
.LBB120_197:
	s_or_b64 exec, exec, s[0:1]
	v_cmp_lt_i32_e32 vcc, 11, v131
	s_waitcnt lgkmcnt(0)
	s_barrier
	s_and_saveexec_b64 s[0:1], vcc
	s_cbranch_execz .LBB120_199
; %bb.198:
	ds_read2_b64 v[136:139], v130 offset0:12 offset1:13
	ds_read2_b64 v[140:143], v130 offset0:14 offset1:15
	;; [unrolled: 1-line block ×3, first 2 shown]
	v_mul_f64 v[100:101], v[126:127], v[100:101]
	ds_read_b64 v[126:127], v130 offset:480
	s_waitcnt lgkmcnt(0)
	v_fma_f64 v[98:99], -v[100:101], v[136:137], v[98:99]
	v_fma_f64 v[96:97], -v[100:101], v[138:139], v[96:97]
	ds_read2_b64 v[136:139], v130 offset0:18 offset1:19
	v_fma_f64 v[94:95], -v[100:101], v[140:141], v[94:95]
	v_fma_f64 v[92:93], -v[100:101], v[142:143], v[92:93]
	v_fma_f64 v[90:91], -v[100:101], v[144:145], v[90:91]
	ds_read2_b64 v[140:143], v130 offset0:20 offset1:21
	v_fma_f64 v[88:89], -v[100:101], v[146:147], v[88:89]
	ds_read2_b64 v[144:147], v130 offset0:22 offset1:23
	s_waitcnt lgkmcnt(0)
	v_fma_f64 v[86:87], -v[100:101], v[136:137], v[86:87]
	v_fma_f64 v[84:85], -v[100:101], v[138:139], v[84:85]
	v_fma_f64 v[82:83], -v[100:101], v[140:141], v[82:83]
	ds_read2_b64 v[136:139], v130 offset0:24 offset1:25
	v_fma_f64 v[80:81], -v[100:101], v[142:143], v[80:81]
	ds_read2_b64 v[140:143], v130 offset0:26 offset1:27
	v_fma_f64 v[78:79], -v[100:101], v[144:145], v[78:79]
	v_fma_f64 v[76:77], -v[100:101], v[146:147], v[76:77]
	ds_read2_b64 v[144:147], v130 offset0:28 offset1:29
	s_waitcnt lgkmcnt(0)
	v_fma_f64 v[74:75], -v[100:101], v[136:137], v[74:75]
	v_fma_f64 v[72:73], -v[100:101], v[138:139], v[72:73]
	ds_read2_b64 v[136:139], v130 offset0:30 offset1:31
	v_fma_f64 v[70:71], -v[100:101], v[140:141], v[70:71]
	v_fma_f64 v[68:69], -v[100:101], v[142:143], v[68:69]
	v_fma_f64 v[66:67], -v[100:101], v[144:145], v[66:67]
	ds_read2_b64 v[140:143], v130 offset0:32 offset1:33
	v_fma_f64 v[64:65], -v[100:101], v[146:147], v[64:65]
	ds_read2_b64 v[144:147], v130 offset0:34 offset1:35
	s_waitcnt lgkmcnt(0)
	v_fma_f64 v[62:63], -v[100:101], v[136:137], v[62:63]
	v_fma_f64 v[60:61], -v[100:101], v[138:139], v[60:61]
	v_fma_f64 v[58:59], -v[100:101], v[140:141], v[58:59]
	ds_read2_b64 v[136:139], v130 offset0:36 offset1:37
	v_fma_f64 v[56:57], -v[100:101], v[142:143], v[56:57]
	ds_read2_b64 v[140:143], v130 offset0:38 offset1:39
	v_fma_f64 v[54:55], -v[100:101], v[144:145], v[54:55]
	v_fma_f64 v[52:53], -v[100:101], v[146:147], v[52:53]
	ds_read2_b64 v[144:147], v130 offset0:40 offset1:41
	;; [unrolled: 20-line block ×3, first 2 shown]
	s_waitcnt lgkmcnt(0)
	v_fma_f64 v[26:27], -v[100:101], v[136:137], v[26:27]
	v_fma_f64 v[24:25], -v[100:101], v[138:139], v[24:25]
	ds_read2_b64 v[136:139], v130 offset0:54 offset1:55
	v_fma_f64 v[22:23], -v[100:101], v[140:141], v[22:23]
	v_fma_f64 v[20:21], -v[100:101], v[142:143], v[20:21]
	;; [unrolled: 1-line block ×4, first 2 shown]
	ds_read2_b64 v[140:143], v130 offset0:56 offset1:57
	ds_read2_b64 v[144:147], v130 offset0:58 offset1:59
	s_waitcnt lgkmcnt(0)
	v_fma_f64 v[14:15], -v[100:101], v[136:137], v[14:15]
	v_fma_f64 v[12:13], -v[100:101], v[138:139], v[12:13]
	;; [unrolled: 1-line block ×7, first 2 shown]
.LBB120_199:
	s_or_b64 exec, exec, s[0:1]
	v_lshl_add_u32 v126, v131, 3, v130
	s_barrier
	ds_write_b64 v126, v[98:99]
	s_waitcnt lgkmcnt(0)
	s_barrier
	ds_read_b64 v[126:127], v130 offset:96
	s_cmp_lt_i32 s18, 14
	v_mov_b32_e32 v128, 12
	s_cbranch_scc1 .LBB120_202
; %bb.200:
	v_add_u32_e32 v135, 0x68, v130
	s_mov_b32 s0, 13
	v_mov_b32_e32 v128, 12
.LBB120_201:                            ; =>This Inner Loop Header: Depth=1
	ds_read_b64 v[136:137], v135
	v_mov_b32_e32 v138, s0
	s_add_i32 s0, s0, 1
	v_add_u32_e32 v135, 8, v135
	s_cmp_lg_u32 s18, s0
	s_waitcnt lgkmcnt(0)
	v_cmp_lt_f64_e64 vcc, |v[126:127]|, |v[136:137]|
	v_cndmask_b32_e32 v127, v127, v137, vcc
	v_cndmask_b32_e32 v126, v126, v136, vcc
	;; [unrolled: 1-line block ×3, first 2 shown]
	s_cbranch_scc1 .LBB120_201
.LBB120_202:
	s_waitcnt lgkmcnt(0)
	v_cmp_eq_f64_e32 vcc, 0, v[126:127]
	s_and_saveexec_b64 s[0:1], vcc
	s_xor_b64 s[0:1], exec, s[0:1]
; %bb.203:
	v_cmp_ne_u32_e32 vcc, 0, v134
	v_cndmask_b32_e32 v134, 13, v134, vcc
; %bb.204:
	s_andn2_saveexec_b64 s[0:1], s[0:1]
; %bb.205:
	v_div_scale_f64 v[136:137], s[2:3], v[126:127], v[126:127], 1.0
	v_rcp_f64_e32 v[138:139], v[136:137]
	v_div_scale_f64 v[140:141], vcc, 1.0, v[126:127], 1.0
	v_fma_f64 v[142:143], -v[136:137], v[138:139], 1.0
	v_fmac_f64_e32 v[138:139], v[138:139], v[142:143]
	v_fma_f64 v[142:143], -v[136:137], v[138:139], 1.0
	v_fmac_f64_e32 v[138:139], v[138:139], v[142:143]
	v_mul_f64 v[142:143], v[140:141], v[138:139]
	v_fma_f64 v[136:137], -v[136:137], v[142:143], v[140:141]
	v_div_fmas_f64 v[136:137], v[136:137], v[138:139], v[142:143]
	v_div_fixup_f64 v[126:127], v[136:137], v[126:127], 1.0
; %bb.206:
	s_or_b64 exec, exec, s[0:1]
	v_cmp_ne_u32_e32 vcc, v131, v128
	s_and_saveexec_b64 s[0:1], vcc
	s_xor_b64 s[0:1], exec, s[0:1]
	s_cbranch_execz .LBB120_212
; %bb.207:
	v_cmp_eq_u32_e32 vcc, 12, v131
	s_and_saveexec_b64 s[2:3], vcc
	s_cbranch_execz .LBB120_211
; %bb.208:
	v_cmp_ne_u32_e32 vcc, 12, v128
	s_xor_b64 s[14:15], s[6:7], -1
	s_and_b64 s[16:17], s[14:15], vcc
	s_and_saveexec_b64 s[14:15], s[16:17]
	s_cbranch_execz .LBB120_210
; %bb.209:
	v_ashrrev_i32_e32 v129, 31, v128
	v_lshlrev_b64 v[136:137], 2, v[128:129]
	v_add_co_u32_e32 v136, vcc, v4, v136
	v_addc_co_u32_e32 v137, vcc, v5, v137, vcc
	flat_load_dword v129, v[136:137]
	flat_load_dword v131, v[4:5] offset:48
	s_waitcnt vmcnt(0) lgkmcnt(0)
	flat_store_dword v[4:5], v129 offset:48
	flat_store_dword v[136:137], v131
.LBB120_210:
	s_or_b64 exec, exec, s[14:15]
	v_mov_b32_e32 v129, v128
	v_mov_b32_e32 v131, v128
.LBB120_211:
	s_or_b64 exec, exec, s[2:3]
.LBB120_212:
	s_andn2_saveexec_b64 s[0:1], s[0:1]
	s_cbranch_execz .LBB120_214
; %bb.213:
	v_mov_b32_e32 v131, 12
	ds_write2_b64 v130, v[96:97], v[94:95] offset0:13 offset1:14
	ds_write2_b64 v130, v[92:93], v[90:91] offset0:15 offset1:16
	;; [unrolled: 1-line block ×24, first 2 shown]
.LBB120_214:
	s_or_b64 exec, exec, s[0:1]
	v_cmp_lt_i32_e32 vcc, 12, v131
	s_waitcnt lgkmcnt(0)
	s_barrier
	s_and_saveexec_b64 s[0:1], vcc
	s_cbranch_execz .LBB120_216
; %bb.215:
	ds_read2_b64 v[136:139], v130 offset0:13 offset1:14
	ds_read2_b64 v[140:143], v130 offset0:15 offset1:16
	;; [unrolled: 1-line block ×3, first 2 shown]
	v_mul_f64 v[98:99], v[126:127], v[98:99]
	s_waitcnt lgkmcnt(0)
	v_fma_f64 v[96:97], -v[98:99], v[136:137], v[96:97]
	v_fma_f64 v[94:95], -v[98:99], v[138:139], v[94:95]
	ds_read2_b64 v[136:139], v130 offset0:19 offset1:20
	v_fma_f64 v[92:93], -v[98:99], v[140:141], v[92:93]
	v_fma_f64 v[90:91], -v[98:99], v[142:143], v[90:91]
	v_fma_f64 v[88:89], -v[98:99], v[144:145], v[88:89]
	ds_read2_b64 v[140:143], v130 offset0:21 offset1:22
	v_fma_f64 v[86:87], -v[98:99], v[146:147], v[86:87]
	ds_read2_b64 v[144:147], v130 offset0:23 offset1:24
	s_waitcnt lgkmcnt(0)
	v_fma_f64 v[84:85], -v[98:99], v[136:137], v[84:85]
	v_fma_f64 v[82:83], -v[98:99], v[138:139], v[82:83]
	v_fma_f64 v[80:81], -v[98:99], v[140:141], v[80:81]
	ds_read2_b64 v[136:139], v130 offset0:25 offset1:26
	v_fma_f64 v[78:79], -v[98:99], v[142:143], v[78:79]
	ds_read2_b64 v[140:143], v130 offset0:27 offset1:28
	v_fma_f64 v[76:77], -v[98:99], v[144:145], v[76:77]
	v_fma_f64 v[74:75], -v[98:99], v[146:147], v[74:75]
	ds_read2_b64 v[144:147], v130 offset0:29 offset1:30
	s_waitcnt lgkmcnt(0)
	v_fma_f64 v[72:73], -v[98:99], v[136:137], v[72:73]
	v_fma_f64 v[70:71], -v[98:99], v[138:139], v[70:71]
	ds_read2_b64 v[136:139], v130 offset0:31 offset1:32
	v_fma_f64 v[68:69], -v[98:99], v[140:141], v[68:69]
	v_fma_f64 v[66:67], -v[98:99], v[142:143], v[66:67]
	v_fma_f64 v[64:65], -v[98:99], v[144:145], v[64:65]
	ds_read2_b64 v[140:143], v130 offset0:33 offset1:34
	v_fma_f64 v[62:63], -v[98:99], v[146:147], v[62:63]
	ds_read2_b64 v[144:147], v130 offset0:35 offset1:36
	s_waitcnt lgkmcnt(0)
	v_fma_f64 v[60:61], -v[98:99], v[136:137], v[60:61]
	v_fma_f64 v[58:59], -v[98:99], v[138:139], v[58:59]
	v_fma_f64 v[56:57], -v[98:99], v[140:141], v[56:57]
	ds_read2_b64 v[136:139], v130 offset0:37 offset1:38
	v_fma_f64 v[54:55], -v[98:99], v[142:143], v[54:55]
	ds_read2_b64 v[140:143], v130 offset0:39 offset1:40
	v_fma_f64 v[52:53], -v[98:99], v[144:145], v[52:53]
	v_fma_f64 v[50:51], -v[98:99], v[146:147], v[50:51]
	ds_read2_b64 v[144:147], v130 offset0:41 offset1:42
	;; [unrolled: 20-line block ×3, first 2 shown]
	s_waitcnt lgkmcnt(0)
	v_fma_f64 v[24:25], -v[98:99], v[136:137], v[24:25]
	v_fma_f64 v[22:23], -v[98:99], v[138:139], v[22:23]
	ds_read2_b64 v[136:139], v130 offset0:55 offset1:56
	v_fma_f64 v[20:21], -v[98:99], v[140:141], v[20:21]
	v_fma_f64 v[18:19], -v[98:99], v[142:143], v[18:19]
	;; [unrolled: 1-line block ×3, first 2 shown]
	ds_read2_b64 v[140:143], v130 offset0:57 offset1:58
	v_fma_f64 v[14:15], -v[98:99], v[146:147], v[14:15]
	ds_read2_b64 v[144:147], v130 offset0:59 offset1:60
	s_waitcnt lgkmcnt(0)
	v_fma_f64 v[12:13], -v[98:99], v[136:137], v[12:13]
	v_fma_f64 v[10:11], -v[98:99], v[138:139], v[10:11]
	;; [unrolled: 1-line block ×6, first 2 shown]
.LBB120_216:
	s_or_b64 exec, exec, s[0:1]
	v_lshl_add_u32 v126, v131, 3, v130
	s_barrier
	ds_write_b64 v126, v[96:97]
	s_waitcnt lgkmcnt(0)
	s_barrier
	ds_read_b64 v[126:127], v130 offset:104
	s_cmp_lt_i32 s18, 15
	v_mov_b32_e32 v128, 13
	s_cbranch_scc1 .LBB120_219
; %bb.217:
	v_add_u32_e32 v135, 0x70, v130
	s_mov_b32 s0, 14
	v_mov_b32_e32 v128, 13
.LBB120_218:                            ; =>This Inner Loop Header: Depth=1
	ds_read_b64 v[136:137], v135
	v_mov_b32_e32 v138, s0
	s_add_i32 s0, s0, 1
	v_add_u32_e32 v135, 8, v135
	s_cmp_lg_u32 s18, s0
	s_waitcnt lgkmcnt(0)
	v_cmp_lt_f64_e64 vcc, |v[126:127]|, |v[136:137]|
	v_cndmask_b32_e32 v127, v127, v137, vcc
	v_cndmask_b32_e32 v126, v126, v136, vcc
	;; [unrolled: 1-line block ×3, first 2 shown]
	s_cbranch_scc1 .LBB120_218
.LBB120_219:
	s_waitcnt lgkmcnt(0)
	v_cmp_eq_f64_e32 vcc, 0, v[126:127]
	s_and_saveexec_b64 s[0:1], vcc
	s_xor_b64 s[0:1], exec, s[0:1]
; %bb.220:
	v_cmp_ne_u32_e32 vcc, 0, v134
	v_cndmask_b32_e32 v134, 14, v134, vcc
; %bb.221:
	s_andn2_saveexec_b64 s[0:1], s[0:1]
; %bb.222:
	v_div_scale_f64 v[136:137], s[2:3], v[126:127], v[126:127], 1.0
	v_rcp_f64_e32 v[138:139], v[136:137]
	v_div_scale_f64 v[140:141], vcc, 1.0, v[126:127], 1.0
	v_fma_f64 v[142:143], -v[136:137], v[138:139], 1.0
	v_fmac_f64_e32 v[138:139], v[138:139], v[142:143]
	v_fma_f64 v[142:143], -v[136:137], v[138:139], 1.0
	v_fmac_f64_e32 v[138:139], v[138:139], v[142:143]
	v_mul_f64 v[142:143], v[140:141], v[138:139]
	v_fma_f64 v[136:137], -v[136:137], v[142:143], v[140:141]
	v_div_fmas_f64 v[136:137], v[136:137], v[138:139], v[142:143]
	v_div_fixup_f64 v[126:127], v[136:137], v[126:127], 1.0
; %bb.223:
	s_or_b64 exec, exec, s[0:1]
	v_cmp_ne_u32_e32 vcc, v131, v128
	s_and_saveexec_b64 s[0:1], vcc
	s_xor_b64 s[0:1], exec, s[0:1]
	s_cbranch_execz .LBB120_229
; %bb.224:
	v_cmp_eq_u32_e32 vcc, 13, v131
	s_and_saveexec_b64 s[2:3], vcc
	s_cbranch_execz .LBB120_228
; %bb.225:
	v_cmp_ne_u32_e32 vcc, 13, v128
	s_xor_b64 s[14:15], s[6:7], -1
	s_and_b64 s[16:17], s[14:15], vcc
	s_and_saveexec_b64 s[14:15], s[16:17]
	s_cbranch_execz .LBB120_227
; %bb.226:
	v_ashrrev_i32_e32 v129, 31, v128
	v_lshlrev_b64 v[136:137], 2, v[128:129]
	v_add_co_u32_e32 v136, vcc, v4, v136
	v_addc_co_u32_e32 v137, vcc, v5, v137, vcc
	flat_load_dword v129, v[136:137]
	flat_load_dword v131, v[4:5] offset:52
	s_waitcnt vmcnt(0) lgkmcnt(0)
	flat_store_dword v[4:5], v129 offset:52
	flat_store_dword v[136:137], v131
.LBB120_227:
	s_or_b64 exec, exec, s[14:15]
	v_mov_b32_e32 v129, v128
	v_mov_b32_e32 v131, v128
.LBB120_228:
	s_or_b64 exec, exec, s[2:3]
.LBB120_229:
	s_andn2_saveexec_b64 s[0:1], s[0:1]
	s_cbranch_execz .LBB120_231
; %bb.230:
	v_mov_b32_e32 v136, v94
	v_mov_b32_e32 v137, v95
	v_mov_b32_e32 v138, v92
	v_mov_b32_e32 v139, v93
	ds_write2_b64 v130, v[136:137], v[138:139] offset0:14 offset1:15
	v_mov_b32_e32 v136, v90
	v_mov_b32_e32 v137, v91
	v_mov_b32_e32 v138, v88
	v_mov_b32_e32 v139, v89
	ds_write2_b64 v130, v[136:137], v[138:139] offset0:16 offset1:17
	;; [unrolled: 5-line block ×22, first 2 shown]
	v_mov_b32_e32 v136, v6
	v_mov_b32_e32 v137, v7
	;; [unrolled: 1-line block ×5, first 2 shown]
	ds_write2_b64 v130, v[136:137], v[138:139] offset0:58 offset1:59
	ds_write_b64 v130, v[124:125] offset:480
.LBB120_231:
	s_or_b64 exec, exec, s[0:1]
	v_cmp_lt_i32_e32 vcc, 13, v131
	s_waitcnt lgkmcnt(0)
	s_barrier
	s_and_saveexec_b64 s[0:1], vcc
	s_cbranch_execz .LBB120_233
; %bb.232:
	ds_read2_b64 v[136:139], v130 offset0:14 offset1:15
	ds_read2_b64 v[140:143], v130 offset0:16 offset1:17
	v_mul_f64 v[96:97], v[126:127], v[96:97]
	ds_read2_b64 v[144:147], v130 offset0:18 offset1:19
	ds_read_b64 v[126:127], v130 offset:480
	s_waitcnt lgkmcnt(0)
	v_fma_f64 v[94:95], -v[96:97], v[136:137], v[94:95]
	v_fma_f64 v[92:93], -v[96:97], v[138:139], v[92:93]
	ds_read2_b64 v[136:139], v130 offset0:20 offset1:21
	v_fma_f64 v[90:91], -v[96:97], v[140:141], v[90:91]
	v_fma_f64 v[88:89], -v[96:97], v[142:143], v[88:89]
	ds_read2_b64 v[140:143], v130 offset0:22 offset1:23
	v_fma_f64 v[86:87], -v[96:97], v[144:145], v[86:87]
	v_fma_f64 v[84:85], -v[96:97], v[146:147], v[84:85]
	ds_read2_b64 v[144:147], v130 offset0:24 offset1:25
	s_waitcnt lgkmcnt(0)
	v_fma_f64 v[82:83], -v[96:97], v[136:137], v[82:83]
	v_fma_f64 v[80:81], -v[96:97], v[138:139], v[80:81]
	;; [unrolled: 1-line block ×3, first 2 shown]
	ds_read2_b64 v[136:139], v130 offset0:26 offset1:27
	v_fma_f64 v[76:77], -v[96:97], v[142:143], v[76:77]
	ds_read2_b64 v[140:143], v130 offset0:28 offset1:29
	v_fma_f64 v[74:75], -v[96:97], v[144:145], v[74:75]
	v_fma_f64 v[72:73], -v[96:97], v[146:147], v[72:73]
	s_waitcnt lgkmcnt(0)
	v_fma_f64 v[70:71], -v[96:97], v[136:137], v[70:71]
	ds_read2_b64 v[144:147], v130 offset0:30 offset1:31
	v_fma_f64 v[68:69], -v[96:97], v[138:139], v[68:69]
	ds_read2_b64 v[136:139], v130 offset0:32 offset1:33
	v_fma_f64 v[66:67], -v[96:97], v[140:141], v[66:67]
	v_fma_f64 v[64:65], -v[96:97], v[142:143], v[64:65]
	ds_read2_b64 v[140:143], v130 offset0:34 offset1:35
	s_waitcnt lgkmcnt(0)
	v_fma_f64 v[62:63], -v[96:97], v[144:145], v[62:63]
	v_fma_f64 v[60:61], -v[96:97], v[146:147], v[60:61]
	ds_read2_b64 v[144:147], v130 offset0:36 offset1:37
	v_fma_f64 v[58:59], -v[96:97], v[136:137], v[58:59]
	v_fma_f64 v[56:57], -v[96:97], v[138:139], v[56:57]
	;; [unrolled: 1-line block ×3, first 2 shown]
	ds_read2_b64 v[136:139], v130 offset0:38 offset1:39
	v_fma_f64 v[52:53], -v[96:97], v[142:143], v[52:53]
	ds_read2_b64 v[140:143], v130 offset0:40 offset1:41
	s_waitcnt lgkmcnt(0)
	v_fma_f64 v[50:51], -v[96:97], v[144:145], v[50:51]
	v_fma_f64 v[48:49], -v[96:97], v[146:147], v[48:49]
	;; [unrolled: 1-line block ×3, first 2 shown]
	ds_read2_b64 v[144:147], v130 offset0:42 offset1:43
	v_fma_f64 v[44:45], -v[96:97], v[138:139], v[44:45]
	ds_read2_b64 v[136:139], v130 offset0:44 offset1:45
	v_fma_f64 v[42:43], -v[96:97], v[140:141], v[42:43]
	v_fma_f64 v[40:41], -v[96:97], v[142:143], v[40:41]
	ds_read2_b64 v[140:143], v130 offset0:46 offset1:47
	s_waitcnt lgkmcnt(0)
	v_fma_f64 v[38:39], -v[96:97], v[144:145], v[38:39]
	v_fma_f64 v[36:37], -v[96:97], v[146:147], v[36:37]
	ds_read2_b64 v[144:147], v130 offset0:48 offset1:49
	v_fma_f64 v[34:35], -v[96:97], v[136:137], v[34:35]
	v_fma_f64 v[32:33], -v[96:97], v[138:139], v[32:33]
	v_fma_f64 v[30:31], -v[96:97], v[140:141], v[30:31]
	ds_read2_b64 v[136:139], v130 offset0:50 offset1:51
	v_fma_f64 v[28:29], -v[96:97], v[142:143], v[28:29]
	ds_read2_b64 v[140:143], v130 offset0:52 offset1:53
	s_waitcnt lgkmcnt(0)
	v_fma_f64 v[26:27], -v[96:97], v[144:145], v[26:27]
	v_fma_f64 v[24:25], -v[96:97], v[146:147], v[24:25]
	;; [unrolled: 1-line block ×3, first 2 shown]
	ds_read2_b64 v[144:147], v130 offset0:54 offset1:55
	v_fma_f64 v[20:21], -v[96:97], v[138:139], v[20:21]
	ds_read2_b64 v[136:139], v130 offset0:56 offset1:57
	v_fma_f64 v[18:19], -v[96:97], v[140:141], v[18:19]
	v_fma_f64 v[16:17], -v[96:97], v[142:143], v[16:17]
	ds_read2_b64 v[140:143], v130 offset0:58 offset1:59
	s_waitcnt lgkmcnt(0)
	v_fma_f64 v[14:15], -v[96:97], v[144:145], v[14:15]
	v_fma_f64 v[12:13], -v[96:97], v[146:147], v[12:13]
	;; [unrolled: 1-line block ×7, first 2 shown]
.LBB120_233:
	s_or_b64 exec, exec, s[0:1]
	v_lshl_add_u32 v126, v131, 3, v130
	s_barrier
	ds_write_b64 v126, v[94:95]
	s_waitcnt lgkmcnt(0)
	s_barrier
	ds_read_b64 v[126:127], v130 offset:112
	s_cmp_lt_i32 s18, 16
	v_mov_b32_e32 v128, 14
	s_cbranch_scc1 .LBB120_236
; %bb.234:
	v_add_u32_e32 v135, 0x78, v130
	s_mov_b32 s0, 15
	v_mov_b32_e32 v128, 14
.LBB120_235:                            ; =>This Inner Loop Header: Depth=1
	ds_read_b64 v[136:137], v135
	v_mov_b32_e32 v138, s0
	s_add_i32 s0, s0, 1
	v_add_u32_e32 v135, 8, v135
	s_cmp_lg_u32 s18, s0
	s_waitcnt lgkmcnt(0)
	v_cmp_lt_f64_e64 vcc, |v[126:127]|, |v[136:137]|
	v_cndmask_b32_e32 v127, v127, v137, vcc
	v_cndmask_b32_e32 v126, v126, v136, vcc
	;; [unrolled: 1-line block ×3, first 2 shown]
	s_cbranch_scc1 .LBB120_235
.LBB120_236:
	s_waitcnt lgkmcnt(0)
	v_cmp_eq_f64_e32 vcc, 0, v[126:127]
	s_and_saveexec_b64 s[0:1], vcc
	s_xor_b64 s[0:1], exec, s[0:1]
; %bb.237:
	v_cmp_ne_u32_e32 vcc, 0, v134
	v_cndmask_b32_e32 v134, 15, v134, vcc
; %bb.238:
	s_andn2_saveexec_b64 s[0:1], s[0:1]
; %bb.239:
	v_div_scale_f64 v[136:137], s[2:3], v[126:127], v[126:127], 1.0
	v_rcp_f64_e32 v[138:139], v[136:137]
	v_div_scale_f64 v[140:141], vcc, 1.0, v[126:127], 1.0
	v_fma_f64 v[142:143], -v[136:137], v[138:139], 1.0
	v_fmac_f64_e32 v[138:139], v[138:139], v[142:143]
	v_fma_f64 v[142:143], -v[136:137], v[138:139], 1.0
	v_fmac_f64_e32 v[138:139], v[138:139], v[142:143]
	v_mul_f64 v[142:143], v[140:141], v[138:139]
	v_fma_f64 v[136:137], -v[136:137], v[142:143], v[140:141]
	v_div_fmas_f64 v[136:137], v[136:137], v[138:139], v[142:143]
	v_div_fixup_f64 v[126:127], v[136:137], v[126:127], 1.0
; %bb.240:
	s_or_b64 exec, exec, s[0:1]
	v_cmp_ne_u32_e32 vcc, v131, v128
	s_and_saveexec_b64 s[0:1], vcc
	s_xor_b64 s[0:1], exec, s[0:1]
	s_cbranch_execz .LBB120_246
; %bb.241:
	v_cmp_eq_u32_e32 vcc, 14, v131
	s_and_saveexec_b64 s[2:3], vcc
	s_cbranch_execz .LBB120_245
; %bb.242:
	v_cmp_ne_u32_e32 vcc, 14, v128
	s_xor_b64 s[14:15], s[6:7], -1
	s_and_b64 s[16:17], s[14:15], vcc
	s_and_saveexec_b64 s[14:15], s[16:17]
	s_cbranch_execz .LBB120_244
; %bb.243:
	v_ashrrev_i32_e32 v129, 31, v128
	v_lshlrev_b64 v[136:137], 2, v[128:129]
	v_add_co_u32_e32 v136, vcc, v4, v136
	v_addc_co_u32_e32 v137, vcc, v5, v137, vcc
	flat_load_dword v129, v[136:137]
	flat_load_dword v131, v[4:5] offset:56
	s_waitcnt vmcnt(0) lgkmcnt(0)
	flat_store_dword v[4:5], v129 offset:56
	flat_store_dword v[136:137], v131
.LBB120_244:
	s_or_b64 exec, exec, s[14:15]
	v_mov_b32_e32 v129, v128
	v_mov_b32_e32 v131, v128
.LBB120_245:
	s_or_b64 exec, exec, s[2:3]
.LBB120_246:
	s_andn2_saveexec_b64 s[0:1], s[0:1]
	s_cbranch_execz .LBB120_248
; %bb.247:
	v_mov_b32_e32 v131, 14
	ds_write2_b64 v130, v[92:93], v[90:91] offset0:15 offset1:16
	ds_write2_b64 v130, v[88:89], v[86:87] offset0:17 offset1:18
	;; [unrolled: 1-line block ×23, first 2 shown]
.LBB120_248:
	s_or_b64 exec, exec, s[0:1]
	v_cmp_lt_i32_e32 vcc, 14, v131
	s_waitcnt lgkmcnt(0)
	s_barrier
	s_and_saveexec_b64 s[0:1], vcc
	s_cbranch_execz .LBB120_250
; %bb.249:
	ds_read2_b64 v[136:139], v130 offset0:15 offset1:16
	ds_read2_b64 v[140:143], v130 offset0:17 offset1:18
	v_mul_f64 v[94:95], v[126:127], v[94:95]
	ds_read2_b64 v[144:147], v130 offset0:19 offset1:20
	s_waitcnt lgkmcnt(0)
	v_fma_f64 v[92:93], -v[94:95], v[136:137], v[92:93]
	v_fma_f64 v[90:91], -v[94:95], v[138:139], v[90:91]
	ds_read2_b64 v[136:139], v130 offset0:21 offset1:22
	v_fma_f64 v[88:89], -v[94:95], v[140:141], v[88:89]
	v_fma_f64 v[86:87], -v[94:95], v[142:143], v[86:87]
	ds_read2_b64 v[140:143], v130 offset0:23 offset1:24
	;; [unrolled: 3-line block ×3, first 2 shown]
	s_waitcnt lgkmcnt(0)
	v_fma_f64 v[80:81], -v[94:95], v[136:137], v[80:81]
	v_fma_f64 v[78:79], -v[94:95], v[138:139], v[78:79]
	;; [unrolled: 1-line block ×3, first 2 shown]
	ds_read2_b64 v[136:139], v130 offset0:27 offset1:28
	v_fma_f64 v[74:75], -v[94:95], v[142:143], v[74:75]
	ds_read2_b64 v[140:143], v130 offset0:29 offset1:30
	v_fma_f64 v[72:73], -v[94:95], v[144:145], v[72:73]
	v_fma_f64 v[70:71], -v[94:95], v[146:147], v[70:71]
	s_waitcnt lgkmcnt(0)
	v_fma_f64 v[68:69], -v[94:95], v[136:137], v[68:69]
	ds_read2_b64 v[144:147], v130 offset0:31 offset1:32
	v_fma_f64 v[66:67], -v[94:95], v[138:139], v[66:67]
	ds_read2_b64 v[136:139], v130 offset0:33 offset1:34
	v_fma_f64 v[64:65], -v[94:95], v[140:141], v[64:65]
	v_fma_f64 v[62:63], -v[94:95], v[142:143], v[62:63]
	ds_read2_b64 v[140:143], v130 offset0:35 offset1:36
	s_waitcnt lgkmcnt(0)
	v_fma_f64 v[60:61], -v[94:95], v[144:145], v[60:61]
	v_fma_f64 v[58:59], -v[94:95], v[146:147], v[58:59]
	ds_read2_b64 v[144:147], v130 offset0:37 offset1:38
	v_fma_f64 v[56:57], -v[94:95], v[136:137], v[56:57]
	v_fma_f64 v[54:55], -v[94:95], v[138:139], v[54:55]
	;; [unrolled: 1-line block ×3, first 2 shown]
	ds_read2_b64 v[136:139], v130 offset0:39 offset1:40
	v_fma_f64 v[50:51], -v[94:95], v[142:143], v[50:51]
	ds_read2_b64 v[140:143], v130 offset0:41 offset1:42
	s_waitcnt lgkmcnt(0)
	v_fma_f64 v[48:49], -v[94:95], v[144:145], v[48:49]
	v_fma_f64 v[46:47], -v[94:95], v[146:147], v[46:47]
	;; [unrolled: 1-line block ×3, first 2 shown]
	ds_read2_b64 v[144:147], v130 offset0:43 offset1:44
	v_fma_f64 v[42:43], -v[94:95], v[138:139], v[42:43]
	ds_read2_b64 v[136:139], v130 offset0:45 offset1:46
	v_fma_f64 v[40:41], -v[94:95], v[140:141], v[40:41]
	v_fma_f64 v[38:39], -v[94:95], v[142:143], v[38:39]
	ds_read2_b64 v[140:143], v130 offset0:47 offset1:48
	s_waitcnt lgkmcnt(0)
	v_fma_f64 v[36:37], -v[94:95], v[144:145], v[36:37]
	v_fma_f64 v[34:35], -v[94:95], v[146:147], v[34:35]
	ds_read2_b64 v[144:147], v130 offset0:49 offset1:50
	v_fma_f64 v[32:33], -v[94:95], v[136:137], v[32:33]
	v_fma_f64 v[30:31], -v[94:95], v[138:139], v[30:31]
	;; [unrolled: 1-line block ×3, first 2 shown]
	ds_read2_b64 v[136:139], v130 offset0:51 offset1:52
	v_fma_f64 v[26:27], -v[94:95], v[142:143], v[26:27]
	ds_read2_b64 v[140:143], v130 offset0:53 offset1:54
	s_waitcnt lgkmcnt(0)
	v_fma_f64 v[24:25], -v[94:95], v[144:145], v[24:25]
	v_fma_f64 v[22:23], -v[94:95], v[146:147], v[22:23]
	;; [unrolled: 1-line block ×4, first 2 shown]
	ds_read2_b64 v[136:139], v130 offset0:55 offset1:56
	ds_read2_b64 v[144:147], v130 offset0:57 offset1:58
	v_fma_f64 v[16:17], -v[94:95], v[140:141], v[16:17]
	v_fma_f64 v[14:15], -v[94:95], v[142:143], v[14:15]
	ds_read2_b64 v[140:143], v130 offset0:59 offset1:60
	s_waitcnt lgkmcnt(0)
	v_fma_f64 v[12:13], -v[94:95], v[136:137], v[12:13]
	v_fma_f64 v[10:11], -v[94:95], v[138:139], v[10:11]
	;; [unrolled: 1-line block ×6, first 2 shown]
.LBB120_250:
	s_or_b64 exec, exec, s[0:1]
	v_lshl_add_u32 v126, v131, 3, v130
	s_barrier
	ds_write_b64 v126, v[92:93]
	s_waitcnt lgkmcnt(0)
	s_barrier
	ds_read_b64 v[126:127], v130 offset:120
	s_cmp_lt_i32 s18, 17
	v_mov_b32_e32 v128, 15
	s_cbranch_scc1 .LBB120_253
; %bb.251:
	v_add_u32_e32 v135, 0x80, v130
	s_mov_b32 s0, 16
	v_mov_b32_e32 v128, 15
.LBB120_252:                            ; =>This Inner Loop Header: Depth=1
	ds_read_b64 v[136:137], v135
	v_mov_b32_e32 v138, s0
	s_add_i32 s0, s0, 1
	v_add_u32_e32 v135, 8, v135
	s_cmp_lg_u32 s18, s0
	s_waitcnt lgkmcnt(0)
	v_cmp_lt_f64_e64 vcc, |v[126:127]|, |v[136:137]|
	v_cndmask_b32_e32 v127, v127, v137, vcc
	v_cndmask_b32_e32 v126, v126, v136, vcc
	;; [unrolled: 1-line block ×3, first 2 shown]
	s_cbranch_scc1 .LBB120_252
.LBB120_253:
	s_waitcnt lgkmcnt(0)
	v_cmp_eq_f64_e32 vcc, 0, v[126:127]
	s_and_saveexec_b64 s[0:1], vcc
	s_xor_b64 s[0:1], exec, s[0:1]
; %bb.254:
	v_cmp_ne_u32_e32 vcc, 0, v134
	v_cndmask_b32_e32 v134, 16, v134, vcc
; %bb.255:
	s_andn2_saveexec_b64 s[0:1], s[0:1]
; %bb.256:
	v_div_scale_f64 v[136:137], s[2:3], v[126:127], v[126:127], 1.0
	v_rcp_f64_e32 v[138:139], v[136:137]
	v_div_scale_f64 v[140:141], vcc, 1.0, v[126:127], 1.0
	v_fma_f64 v[142:143], -v[136:137], v[138:139], 1.0
	v_fmac_f64_e32 v[138:139], v[138:139], v[142:143]
	v_fma_f64 v[142:143], -v[136:137], v[138:139], 1.0
	v_fmac_f64_e32 v[138:139], v[138:139], v[142:143]
	v_mul_f64 v[142:143], v[140:141], v[138:139]
	v_fma_f64 v[136:137], -v[136:137], v[142:143], v[140:141]
	v_div_fmas_f64 v[136:137], v[136:137], v[138:139], v[142:143]
	v_div_fixup_f64 v[126:127], v[136:137], v[126:127], 1.0
; %bb.257:
	s_or_b64 exec, exec, s[0:1]
	v_cmp_ne_u32_e32 vcc, v131, v128
	s_and_saveexec_b64 s[0:1], vcc
	s_xor_b64 s[0:1], exec, s[0:1]
	s_cbranch_execz .LBB120_263
; %bb.258:
	v_cmp_eq_u32_e32 vcc, 15, v131
	s_and_saveexec_b64 s[2:3], vcc
	s_cbranch_execz .LBB120_262
; %bb.259:
	v_cmp_ne_u32_e32 vcc, 15, v128
	s_xor_b64 s[14:15], s[6:7], -1
	s_and_b64 s[16:17], s[14:15], vcc
	s_and_saveexec_b64 s[14:15], s[16:17]
	s_cbranch_execz .LBB120_261
; %bb.260:
	v_ashrrev_i32_e32 v129, 31, v128
	v_lshlrev_b64 v[136:137], 2, v[128:129]
	v_add_co_u32_e32 v136, vcc, v4, v136
	v_addc_co_u32_e32 v137, vcc, v5, v137, vcc
	flat_load_dword v129, v[136:137]
	flat_load_dword v131, v[4:5] offset:60
	s_waitcnt vmcnt(0) lgkmcnt(0)
	flat_store_dword v[4:5], v129 offset:60
	flat_store_dword v[136:137], v131
.LBB120_261:
	s_or_b64 exec, exec, s[14:15]
	v_mov_b32_e32 v129, v128
	v_mov_b32_e32 v131, v128
.LBB120_262:
	s_or_b64 exec, exec, s[2:3]
.LBB120_263:
	s_andn2_saveexec_b64 s[0:1], s[0:1]
	s_cbranch_execz .LBB120_265
; %bb.264:
	v_mov_b32_e32 v136, v90
	v_mov_b32_e32 v137, v91
	v_mov_b32_e32 v138, v88
	v_mov_b32_e32 v139, v89
	ds_write2_b64 v130, v[136:137], v[138:139] offset0:16 offset1:17
	v_mov_b32_e32 v136, v86
	v_mov_b32_e32 v137, v87
	v_mov_b32_e32 v138, v84
	v_mov_b32_e32 v139, v85
	ds_write2_b64 v130, v[136:137], v[138:139] offset0:18 offset1:19
	;; [unrolled: 5-line block ×21, first 2 shown]
	v_mov_b32_e32 v136, v6
	v_mov_b32_e32 v137, v7
	;; [unrolled: 1-line block ×5, first 2 shown]
	ds_write2_b64 v130, v[136:137], v[138:139] offset0:58 offset1:59
	ds_write_b64 v130, v[124:125] offset:480
.LBB120_265:
	s_or_b64 exec, exec, s[0:1]
	v_cmp_lt_i32_e32 vcc, 15, v131
	s_waitcnt lgkmcnt(0)
	s_barrier
	s_and_saveexec_b64 s[0:1], vcc
	s_cbranch_execz .LBB120_267
; %bb.266:
	ds_read2_b64 v[136:139], v130 offset0:16 offset1:17
	ds_read2_b64 v[140:143], v130 offset0:18 offset1:19
	v_mul_f64 v[92:93], v[126:127], v[92:93]
	ds_read2_b64 v[144:147], v130 offset0:20 offset1:21
	ds_read_b64 v[126:127], v130 offset:480
	s_waitcnt lgkmcnt(0)
	v_fma_f64 v[90:91], -v[92:93], v[136:137], v[90:91]
	v_fma_f64 v[88:89], -v[92:93], v[138:139], v[88:89]
	ds_read2_b64 v[136:139], v130 offset0:22 offset1:23
	v_fma_f64 v[86:87], -v[92:93], v[140:141], v[86:87]
	v_fma_f64 v[84:85], -v[92:93], v[142:143], v[84:85]
	;; [unrolled: 1-line block ×3, first 2 shown]
	ds_read2_b64 v[140:143], v130 offset0:24 offset1:25
	v_fma_f64 v[80:81], -v[92:93], v[146:147], v[80:81]
	ds_read2_b64 v[144:147], v130 offset0:26 offset1:27
	s_waitcnt lgkmcnt(0)
	v_fma_f64 v[78:79], -v[92:93], v[136:137], v[78:79]
	v_fma_f64 v[76:77], -v[92:93], v[138:139], v[76:77]
	ds_read2_b64 v[136:139], v130 offset0:28 offset1:29
	v_fma_f64 v[74:75], -v[92:93], v[140:141], v[74:75]
	v_fma_f64 v[72:73], -v[92:93], v[142:143], v[72:73]
	ds_read2_b64 v[140:143], v130 offset0:30 offset1:31
	v_fma_f64 v[70:71], -v[92:93], v[144:145], v[70:71]
	v_fma_f64 v[68:69], -v[92:93], v[146:147], v[68:69]
	s_waitcnt lgkmcnt(0)
	v_fma_f64 v[66:67], -v[92:93], v[136:137], v[66:67]
	ds_read2_b64 v[144:147], v130 offset0:32 offset1:33
	v_fma_f64 v[64:65], -v[92:93], v[138:139], v[64:65]
	ds_read2_b64 v[136:139], v130 offset0:34 offset1:35
	v_fma_f64 v[62:63], -v[92:93], v[140:141], v[62:63]
	v_fma_f64 v[60:61], -v[92:93], v[142:143], v[60:61]
	s_waitcnt lgkmcnt(0)
	v_fma_f64 v[58:59], -v[92:93], v[144:145], v[58:59]
	ds_read2_b64 v[140:143], v130 offset0:36 offset1:37
	v_fma_f64 v[56:57], -v[92:93], v[146:147], v[56:57]
	ds_read2_b64 v[144:147], v130 offset0:38 offset1:39
	v_fma_f64 v[54:55], -v[92:93], v[136:137], v[54:55]
	v_fma_f64 v[52:53], -v[92:93], v[138:139], v[52:53]
	ds_read2_b64 v[136:139], v130 offset0:40 offset1:41
	s_waitcnt lgkmcnt(0)
	v_fma_f64 v[50:51], -v[92:93], v[140:141], v[50:51]
	v_fma_f64 v[48:49], -v[92:93], v[142:143], v[48:49]
	ds_read2_b64 v[140:143], v130 offset0:42 offset1:43
	v_fma_f64 v[46:47], -v[92:93], v[144:145], v[46:47]
	v_fma_f64 v[44:45], -v[92:93], v[146:147], v[44:45]
	v_fma_f64 v[42:43], -v[92:93], v[136:137], v[42:43]
	ds_read2_b64 v[144:147], v130 offset0:44 offset1:45
	v_fma_f64 v[40:41], -v[92:93], v[138:139], v[40:41]
	ds_read2_b64 v[136:139], v130 offset0:46 offset1:47
	s_waitcnt lgkmcnt(0)
	v_fma_f64 v[38:39], -v[92:93], v[140:141], v[38:39]
	v_fma_f64 v[36:37], -v[92:93], v[142:143], v[36:37]
	;; [unrolled: 1-line block ×3, first 2 shown]
	ds_read2_b64 v[140:143], v130 offset0:48 offset1:49
	v_fma_f64 v[32:33], -v[92:93], v[146:147], v[32:33]
	ds_read2_b64 v[144:147], v130 offset0:50 offset1:51
	v_fma_f64 v[30:31], -v[92:93], v[136:137], v[30:31]
	v_fma_f64 v[28:29], -v[92:93], v[138:139], v[28:29]
	ds_read2_b64 v[136:139], v130 offset0:52 offset1:53
	s_waitcnt lgkmcnt(0)
	v_fma_f64 v[26:27], -v[92:93], v[140:141], v[26:27]
	v_fma_f64 v[24:25], -v[92:93], v[142:143], v[24:25]
	ds_read2_b64 v[140:143], v130 offset0:54 offset1:55
	v_fma_f64 v[22:23], -v[92:93], v[144:145], v[22:23]
	v_fma_f64 v[20:21], -v[92:93], v[146:147], v[20:21]
	;; [unrolled: 1-line block ×4, first 2 shown]
	ds_read2_b64 v[136:139], v130 offset0:56 offset1:57
	ds_read2_b64 v[144:147], v130 offset0:58 offset1:59
	s_waitcnt lgkmcnt(0)
	v_fma_f64 v[14:15], -v[92:93], v[140:141], v[14:15]
	v_fma_f64 v[12:13], -v[92:93], v[142:143], v[12:13]
	;; [unrolled: 1-line block ×7, first 2 shown]
.LBB120_267:
	s_or_b64 exec, exec, s[0:1]
	v_lshl_add_u32 v126, v131, 3, v130
	s_barrier
	ds_write_b64 v126, v[90:91]
	s_waitcnt lgkmcnt(0)
	s_barrier
	ds_read_b64 v[126:127], v130 offset:128
	s_cmp_lt_i32 s18, 18
	v_mov_b32_e32 v128, 16
	s_cbranch_scc1 .LBB120_270
; %bb.268:
	v_add_u32_e32 v135, 0x88, v130
	s_mov_b32 s0, 17
	v_mov_b32_e32 v128, 16
.LBB120_269:                            ; =>This Inner Loop Header: Depth=1
	ds_read_b64 v[136:137], v135
	v_mov_b32_e32 v138, s0
	s_add_i32 s0, s0, 1
	v_add_u32_e32 v135, 8, v135
	s_cmp_lg_u32 s18, s0
	s_waitcnt lgkmcnt(0)
	v_cmp_lt_f64_e64 vcc, |v[126:127]|, |v[136:137]|
	v_cndmask_b32_e32 v127, v127, v137, vcc
	v_cndmask_b32_e32 v126, v126, v136, vcc
	;; [unrolled: 1-line block ×3, first 2 shown]
	s_cbranch_scc1 .LBB120_269
.LBB120_270:
	s_waitcnt lgkmcnt(0)
	v_cmp_eq_f64_e32 vcc, 0, v[126:127]
	s_and_saveexec_b64 s[0:1], vcc
	s_xor_b64 s[0:1], exec, s[0:1]
; %bb.271:
	v_cmp_ne_u32_e32 vcc, 0, v134
	v_cndmask_b32_e32 v134, 17, v134, vcc
; %bb.272:
	s_andn2_saveexec_b64 s[0:1], s[0:1]
; %bb.273:
	v_div_scale_f64 v[136:137], s[2:3], v[126:127], v[126:127], 1.0
	v_rcp_f64_e32 v[138:139], v[136:137]
	v_div_scale_f64 v[140:141], vcc, 1.0, v[126:127], 1.0
	v_fma_f64 v[142:143], -v[136:137], v[138:139], 1.0
	v_fmac_f64_e32 v[138:139], v[138:139], v[142:143]
	v_fma_f64 v[142:143], -v[136:137], v[138:139], 1.0
	v_fmac_f64_e32 v[138:139], v[138:139], v[142:143]
	v_mul_f64 v[142:143], v[140:141], v[138:139]
	v_fma_f64 v[136:137], -v[136:137], v[142:143], v[140:141]
	v_div_fmas_f64 v[136:137], v[136:137], v[138:139], v[142:143]
	v_div_fixup_f64 v[126:127], v[136:137], v[126:127], 1.0
; %bb.274:
	s_or_b64 exec, exec, s[0:1]
	v_cmp_ne_u32_e32 vcc, v131, v128
	s_and_saveexec_b64 s[0:1], vcc
	s_xor_b64 s[0:1], exec, s[0:1]
	s_cbranch_execz .LBB120_280
; %bb.275:
	v_cmp_eq_u32_e32 vcc, 16, v131
	s_and_saveexec_b64 s[2:3], vcc
	s_cbranch_execz .LBB120_279
; %bb.276:
	v_cmp_ne_u32_e32 vcc, 16, v128
	s_xor_b64 s[14:15], s[6:7], -1
	s_and_b64 s[16:17], s[14:15], vcc
	s_and_saveexec_b64 s[14:15], s[16:17]
	s_cbranch_execz .LBB120_278
; %bb.277:
	v_ashrrev_i32_e32 v129, 31, v128
	v_lshlrev_b64 v[136:137], 2, v[128:129]
	v_add_co_u32_e32 v136, vcc, v4, v136
	v_addc_co_u32_e32 v137, vcc, v5, v137, vcc
	flat_load_dword v129, v[136:137]
	flat_load_dword v131, v[4:5] offset:64
	s_waitcnt vmcnt(0) lgkmcnt(0)
	flat_store_dword v[4:5], v129 offset:64
	flat_store_dword v[136:137], v131
.LBB120_278:
	s_or_b64 exec, exec, s[14:15]
	v_mov_b32_e32 v129, v128
	v_mov_b32_e32 v131, v128
.LBB120_279:
	s_or_b64 exec, exec, s[2:3]
.LBB120_280:
	s_andn2_saveexec_b64 s[0:1], s[0:1]
	s_cbranch_execz .LBB120_282
; %bb.281:
	v_mov_b32_e32 v131, 16
	ds_write2_b64 v130, v[88:89], v[86:87] offset0:17 offset1:18
	ds_write2_b64 v130, v[84:85], v[82:83] offset0:19 offset1:20
	ds_write2_b64 v130, v[80:81], v[78:79] offset0:21 offset1:22
	ds_write2_b64 v130, v[76:77], v[74:75] offset0:23 offset1:24
	ds_write2_b64 v130, v[72:73], v[70:71] offset0:25 offset1:26
	ds_write2_b64 v130, v[68:69], v[66:67] offset0:27 offset1:28
	ds_write2_b64 v130, v[64:65], v[62:63] offset0:29 offset1:30
	ds_write2_b64 v130, v[60:61], v[58:59] offset0:31 offset1:32
	ds_write2_b64 v130, v[56:57], v[54:55] offset0:33 offset1:34
	ds_write2_b64 v130, v[52:53], v[50:51] offset0:35 offset1:36
	ds_write2_b64 v130, v[48:49], v[46:47] offset0:37 offset1:38
	ds_write2_b64 v130, v[44:45], v[42:43] offset0:39 offset1:40
	ds_write2_b64 v130, v[40:41], v[38:39] offset0:41 offset1:42
	ds_write2_b64 v130, v[36:37], v[34:35] offset0:43 offset1:44
	ds_write2_b64 v130, v[32:33], v[30:31] offset0:45 offset1:46
	ds_write2_b64 v130, v[28:29], v[26:27] offset0:47 offset1:48
	ds_write2_b64 v130, v[24:25], v[22:23] offset0:49 offset1:50
	ds_write2_b64 v130, v[20:21], v[18:19] offset0:51 offset1:52
	ds_write2_b64 v130, v[16:17], v[14:15] offset0:53 offset1:54
	ds_write2_b64 v130, v[12:13], v[10:11] offset0:55 offset1:56
	ds_write2_b64 v130, v[8:9], v[6:7] offset0:57 offset1:58
	ds_write2_b64 v130, v[0:1], v[124:125] offset0:59 offset1:60
.LBB120_282:
	s_or_b64 exec, exec, s[0:1]
	v_cmp_lt_i32_e32 vcc, 16, v131
	s_waitcnt lgkmcnt(0)
	s_barrier
	s_and_saveexec_b64 s[0:1], vcc
	s_cbranch_execz .LBB120_284
; %bb.283:
	ds_read2_b64 v[136:139], v130 offset0:17 offset1:18
	ds_read2_b64 v[140:143], v130 offset0:19 offset1:20
	v_mul_f64 v[90:91], v[126:127], v[90:91]
	ds_read2_b64 v[144:147], v130 offset0:21 offset1:22
	s_waitcnt lgkmcnt(0)
	v_fma_f64 v[88:89], -v[90:91], v[136:137], v[88:89]
	v_fma_f64 v[86:87], -v[90:91], v[138:139], v[86:87]
	ds_read2_b64 v[136:139], v130 offset0:23 offset1:24
	v_fma_f64 v[84:85], -v[90:91], v[140:141], v[84:85]
	v_fma_f64 v[82:83], -v[90:91], v[142:143], v[82:83]
	;; [unrolled: 1-line block ×3, first 2 shown]
	ds_read2_b64 v[140:143], v130 offset0:25 offset1:26
	v_fma_f64 v[78:79], -v[90:91], v[146:147], v[78:79]
	ds_read2_b64 v[144:147], v130 offset0:27 offset1:28
	s_waitcnt lgkmcnt(0)
	v_fma_f64 v[76:77], -v[90:91], v[136:137], v[76:77]
	v_fma_f64 v[74:75], -v[90:91], v[138:139], v[74:75]
	ds_read2_b64 v[136:139], v130 offset0:29 offset1:30
	v_fma_f64 v[72:73], -v[90:91], v[140:141], v[72:73]
	v_fma_f64 v[70:71], -v[90:91], v[142:143], v[70:71]
	ds_read2_b64 v[140:143], v130 offset0:31 offset1:32
	v_fma_f64 v[68:69], -v[90:91], v[144:145], v[68:69]
	v_fma_f64 v[66:67], -v[90:91], v[146:147], v[66:67]
	s_waitcnt lgkmcnt(0)
	v_fma_f64 v[64:65], -v[90:91], v[136:137], v[64:65]
	ds_read2_b64 v[144:147], v130 offset0:33 offset1:34
	v_fma_f64 v[62:63], -v[90:91], v[138:139], v[62:63]
	ds_read2_b64 v[136:139], v130 offset0:35 offset1:36
	v_fma_f64 v[60:61], -v[90:91], v[140:141], v[60:61]
	v_fma_f64 v[58:59], -v[90:91], v[142:143], v[58:59]
	s_waitcnt lgkmcnt(0)
	v_fma_f64 v[56:57], -v[90:91], v[144:145], v[56:57]
	ds_read2_b64 v[140:143], v130 offset0:37 offset1:38
	v_fma_f64 v[54:55], -v[90:91], v[146:147], v[54:55]
	ds_read2_b64 v[144:147], v130 offset0:39 offset1:40
	v_fma_f64 v[52:53], -v[90:91], v[136:137], v[52:53]
	v_fma_f64 v[50:51], -v[90:91], v[138:139], v[50:51]
	ds_read2_b64 v[136:139], v130 offset0:41 offset1:42
	s_waitcnt lgkmcnt(0)
	v_fma_f64 v[48:49], -v[90:91], v[140:141], v[48:49]
	v_fma_f64 v[46:47], -v[90:91], v[142:143], v[46:47]
	ds_read2_b64 v[140:143], v130 offset0:43 offset1:44
	v_fma_f64 v[44:45], -v[90:91], v[144:145], v[44:45]
	v_fma_f64 v[42:43], -v[90:91], v[146:147], v[42:43]
	v_fma_f64 v[40:41], -v[90:91], v[136:137], v[40:41]
	ds_read2_b64 v[144:147], v130 offset0:45 offset1:46
	v_fma_f64 v[38:39], -v[90:91], v[138:139], v[38:39]
	ds_read2_b64 v[136:139], v130 offset0:47 offset1:48
	s_waitcnt lgkmcnt(0)
	v_fma_f64 v[36:37], -v[90:91], v[140:141], v[36:37]
	v_fma_f64 v[34:35], -v[90:91], v[142:143], v[34:35]
	;; [unrolled: 1-line block ×3, first 2 shown]
	ds_read2_b64 v[140:143], v130 offset0:49 offset1:50
	v_fma_f64 v[30:31], -v[90:91], v[146:147], v[30:31]
	ds_read2_b64 v[144:147], v130 offset0:51 offset1:52
	v_fma_f64 v[28:29], -v[90:91], v[136:137], v[28:29]
	v_fma_f64 v[26:27], -v[90:91], v[138:139], v[26:27]
	ds_read2_b64 v[136:139], v130 offset0:53 offset1:54
	s_waitcnt lgkmcnt(0)
	v_fma_f64 v[24:25], -v[90:91], v[140:141], v[24:25]
	v_fma_f64 v[22:23], -v[90:91], v[142:143], v[22:23]
	ds_read2_b64 v[140:143], v130 offset0:55 offset1:56
	v_fma_f64 v[20:21], -v[90:91], v[144:145], v[20:21]
	v_fma_f64 v[18:19], -v[90:91], v[146:147], v[18:19]
	;; [unrolled: 1-line block ×3, first 2 shown]
	ds_read2_b64 v[144:147], v130 offset0:57 offset1:58
	v_fma_f64 v[14:15], -v[90:91], v[138:139], v[14:15]
	ds_read2_b64 v[136:139], v130 offset0:59 offset1:60
	s_waitcnt lgkmcnt(0)
	v_fma_f64 v[12:13], -v[90:91], v[140:141], v[12:13]
	v_fma_f64 v[10:11], -v[90:91], v[142:143], v[10:11]
	;; [unrolled: 1-line block ×6, first 2 shown]
.LBB120_284:
	s_or_b64 exec, exec, s[0:1]
	v_lshl_add_u32 v126, v131, 3, v130
	s_barrier
	ds_write_b64 v126, v[88:89]
	s_waitcnt lgkmcnt(0)
	s_barrier
	ds_read_b64 v[126:127], v130 offset:136
	s_cmp_lt_i32 s18, 19
	v_mov_b32_e32 v128, 17
	s_cbranch_scc1 .LBB120_287
; %bb.285:
	v_add_u32_e32 v135, 0x90, v130
	s_mov_b32 s0, 18
	v_mov_b32_e32 v128, 17
.LBB120_286:                            ; =>This Inner Loop Header: Depth=1
	ds_read_b64 v[136:137], v135
	v_mov_b32_e32 v138, s0
	s_add_i32 s0, s0, 1
	v_add_u32_e32 v135, 8, v135
	s_cmp_lg_u32 s18, s0
	s_waitcnt lgkmcnt(0)
	v_cmp_lt_f64_e64 vcc, |v[126:127]|, |v[136:137]|
	v_cndmask_b32_e32 v127, v127, v137, vcc
	v_cndmask_b32_e32 v126, v126, v136, vcc
	;; [unrolled: 1-line block ×3, first 2 shown]
	s_cbranch_scc1 .LBB120_286
.LBB120_287:
	s_waitcnt lgkmcnt(0)
	v_cmp_eq_f64_e32 vcc, 0, v[126:127]
	s_and_saveexec_b64 s[0:1], vcc
	s_xor_b64 s[0:1], exec, s[0:1]
; %bb.288:
	v_cmp_ne_u32_e32 vcc, 0, v134
	v_cndmask_b32_e32 v134, 18, v134, vcc
; %bb.289:
	s_andn2_saveexec_b64 s[0:1], s[0:1]
; %bb.290:
	v_div_scale_f64 v[136:137], s[2:3], v[126:127], v[126:127], 1.0
	v_rcp_f64_e32 v[138:139], v[136:137]
	v_div_scale_f64 v[140:141], vcc, 1.0, v[126:127], 1.0
	v_fma_f64 v[142:143], -v[136:137], v[138:139], 1.0
	v_fmac_f64_e32 v[138:139], v[138:139], v[142:143]
	v_fma_f64 v[142:143], -v[136:137], v[138:139], 1.0
	v_fmac_f64_e32 v[138:139], v[138:139], v[142:143]
	v_mul_f64 v[142:143], v[140:141], v[138:139]
	v_fma_f64 v[136:137], -v[136:137], v[142:143], v[140:141]
	v_div_fmas_f64 v[136:137], v[136:137], v[138:139], v[142:143]
	v_div_fixup_f64 v[126:127], v[136:137], v[126:127], 1.0
; %bb.291:
	s_or_b64 exec, exec, s[0:1]
	v_cmp_ne_u32_e32 vcc, v131, v128
	s_and_saveexec_b64 s[0:1], vcc
	s_xor_b64 s[0:1], exec, s[0:1]
	s_cbranch_execz .LBB120_297
; %bb.292:
	v_cmp_eq_u32_e32 vcc, 17, v131
	s_and_saveexec_b64 s[2:3], vcc
	s_cbranch_execz .LBB120_296
; %bb.293:
	v_cmp_ne_u32_e32 vcc, 17, v128
	s_xor_b64 s[14:15], s[6:7], -1
	s_and_b64 s[16:17], s[14:15], vcc
	s_and_saveexec_b64 s[14:15], s[16:17]
	s_cbranch_execz .LBB120_295
; %bb.294:
	v_ashrrev_i32_e32 v129, 31, v128
	v_lshlrev_b64 v[136:137], 2, v[128:129]
	v_add_co_u32_e32 v136, vcc, v4, v136
	v_addc_co_u32_e32 v137, vcc, v5, v137, vcc
	flat_load_dword v129, v[136:137]
	flat_load_dword v131, v[4:5] offset:68
	s_waitcnt vmcnt(0) lgkmcnt(0)
	flat_store_dword v[4:5], v129 offset:68
	flat_store_dword v[136:137], v131
.LBB120_295:
	s_or_b64 exec, exec, s[14:15]
	v_mov_b32_e32 v129, v128
	v_mov_b32_e32 v131, v128
.LBB120_296:
	s_or_b64 exec, exec, s[2:3]
.LBB120_297:
	s_andn2_saveexec_b64 s[0:1], s[0:1]
	s_cbranch_execz .LBB120_299
; %bb.298:
	v_mov_b32_e32 v136, v86
	v_mov_b32_e32 v137, v87
	v_mov_b32_e32 v138, v84
	v_mov_b32_e32 v139, v85
	ds_write2_b64 v130, v[136:137], v[138:139] offset0:18 offset1:19
	v_mov_b32_e32 v136, v82
	v_mov_b32_e32 v137, v83
	v_mov_b32_e32 v138, v80
	v_mov_b32_e32 v139, v81
	ds_write2_b64 v130, v[136:137], v[138:139] offset0:20 offset1:21
	;; [unrolled: 5-line block ×20, first 2 shown]
	v_mov_b32_e32 v136, v6
	v_mov_b32_e32 v137, v7
	;; [unrolled: 1-line block ×5, first 2 shown]
	ds_write2_b64 v130, v[136:137], v[138:139] offset0:58 offset1:59
	ds_write_b64 v130, v[124:125] offset:480
.LBB120_299:
	s_or_b64 exec, exec, s[0:1]
	v_cmp_lt_i32_e32 vcc, 17, v131
	s_waitcnt lgkmcnt(0)
	s_barrier
	s_and_saveexec_b64 s[0:1], vcc
	s_cbranch_execz .LBB120_301
; %bb.300:
	ds_read2_b64 v[136:139], v130 offset0:18 offset1:19
	ds_read2_b64 v[140:143], v130 offset0:20 offset1:21
	;; [unrolled: 1-line block ×3, first 2 shown]
	v_mul_f64 v[88:89], v[126:127], v[88:89]
	ds_read_b64 v[126:127], v130 offset:480
	s_waitcnt lgkmcnt(0)
	v_fma_f64 v[86:87], -v[88:89], v[136:137], v[86:87]
	v_fma_f64 v[84:85], -v[88:89], v[138:139], v[84:85]
	ds_read2_b64 v[136:139], v130 offset0:24 offset1:25
	v_fma_f64 v[82:83], -v[88:89], v[140:141], v[82:83]
	v_fma_f64 v[80:81], -v[88:89], v[142:143], v[80:81]
	v_fma_f64 v[78:79], -v[88:89], v[144:145], v[78:79]
	ds_read2_b64 v[140:143], v130 offset0:26 offset1:27
	v_fma_f64 v[76:77], -v[88:89], v[146:147], v[76:77]
	ds_read2_b64 v[144:147], v130 offset0:28 offset1:29
	s_waitcnt lgkmcnt(0)
	v_fma_f64 v[74:75], -v[88:89], v[136:137], v[74:75]
	v_fma_f64 v[72:73], -v[88:89], v[138:139], v[72:73]
	v_fma_f64 v[70:71], -v[88:89], v[140:141], v[70:71]
	ds_read2_b64 v[136:139], v130 offset0:30 offset1:31
	v_fma_f64 v[68:69], -v[88:89], v[142:143], v[68:69]
	ds_read2_b64 v[140:143], v130 offset0:32 offset1:33
	v_fma_f64 v[66:67], -v[88:89], v[144:145], v[66:67]
	v_fma_f64 v[64:65], -v[88:89], v[146:147], v[64:65]
	ds_read2_b64 v[144:147], v130 offset0:34 offset1:35
	s_waitcnt lgkmcnt(0)
	v_fma_f64 v[62:63], -v[88:89], v[136:137], v[62:63]
	v_fma_f64 v[60:61], -v[88:89], v[138:139], v[60:61]
	ds_read2_b64 v[136:139], v130 offset0:36 offset1:37
	v_fma_f64 v[58:59], -v[88:89], v[140:141], v[58:59]
	v_fma_f64 v[56:57], -v[88:89], v[142:143], v[56:57]
	v_fma_f64 v[54:55], -v[88:89], v[144:145], v[54:55]
	ds_read2_b64 v[140:143], v130 offset0:38 offset1:39
	v_fma_f64 v[52:53], -v[88:89], v[146:147], v[52:53]
	ds_read2_b64 v[144:147], v130 offset0:40 offset1:41
	s_waitcnt lgkmcnt(0)
	v_fma_f64 v[50:51], -v[88:89], v[136:137], v[50:51]
	v_fma_f64 v[48:49], -v[88:89], v[138:139], v[48:49]
	v_fma_f64 v[46:47], -v[88:89], v[140:141], v[46:47]
	ds_read2_b64 v[136:139], v130 offset0:42 offset1:43
	v_fma_f64 v[44:45], -v[88:89], v[142:143], v[44:45]
	ds_read2_b64 v[140:143], v130 offset0:44 offset1:45
	v_fma_f64 v[42:43], -v[88:89], v[144:145], v[42:43]
	v_fma_f64 v[40:41], -v[88:89], v[146:147], v[40:41]
	ds_read2_b64 v[144:147], v130 offset0:46 offset1:47
	s_waitcnt lgkmcnt(0)
	v_fma_f64 v[38:39], -v[88:89], v[136:137], v[38:39]
	v_fma_f64 v[36:37], -v[88:89], v[138:139], v[36:37]
	ds_read2_b64 v[136:139], v130 offset0:48 offset1:49
	v_fma_f64 v[34:35], -v[88:89], v[140:141], v[34:35]
	v_fma_f64 v[32:33], -v[88:89], v[142:143], v[32:33]
	v_fma_f64 v[30:31], -v[88:89], v[144:145], v[30:31]
	ds_read2_b64 v[140:143], v130 offset0:50 offset1:51
	v_fma_f64 v[28:29], -v[88:89], v[146:147], v[28:29]
	ds_read2_b64 v[144:147], v130 offset0:52 offset1:53
	s_waitcnt lgkmcnt(0)
	v_fma_f64 v[26:27], -v[88:89], v[136:137], v[26:27]
	v_fma_f64 v[24:25], -v[88:89], v[138:139], v[24:25]
	v_fma_f64 v[22:23], -v[88:89], v[140:141], v[22:23]
	ds_read2_b64 v[136:139], v130 offset0:54 offset1:55
	v_fma_f64 v[20:21], -v[88:89], v[142:143], v[20:21]
	ds_read2_b64 v[140:143], v130 offset0:56 offset1:57
	v_fma_f64 v[18:19], -v[88:89], v[144:145], v[18:19]
	v_fma_f64 v[16:17], -v[88:89], v[146:147], v[16:17]
	ds_read2_b64 v[144:147], v130 offset0:58 offset1:59
	s_waitcnt lgkmcnt(0)
	v_fma_f64 v[14:15], -v[88:89], v[136:137], v[14:15]
	v_fma_f64 v[12:13], -v[88:89], v[138:139], v[12:13]
	;; [unrolled: 1-line block ×7, first 2 shown]
.LBB120_301:
	s_or_b64 exec, exec, s[0:1]
	v_lshl_add_u32 v126, v131, 3, v130
	s_barrier
	ds_write_b64 v126, v[86:87]
	s_waitcnt lgkmcnt(0)
	s_barrier
	ds_read_b64 v[126:127], v130 offset:144
	s_cmp_lt_i32 s18, 20
	v_mov_b32_e32 v128, 18
	s_cbranch_scc1 .LBB120_304
; %bb.302:
	v_add_u32_e32 v135, 0x98, v130
	s_mov_b32 s0, 19
	v_mov_b32_e32 v128, 18
.LBB120_303:                            ; =>This Inner Loop Header: Depth=1
	ds_read_b64 v[136:137], v135
	v_mov_b32_e32 v138, s0
	s_add_i32 s0, s0, 1
	v_add_u32_e32 v135, 8, v135
	s_cmp_lg_u32 s18, s0
	s_waitcnt lgkmcnt(0)
	v_cmp_lt_f64_e64 vcc, |v[126:127]|, |v[136:137]|
	v_cndmask_b32_e32 v127, v127, v137, vcc
	v_cndmask_b32_e32 v126, v126, v136, vcc
	;; [unrolled: 1-line block ×3, first 2 shown]
	s_cbranch_scc1 .LBB120_303
.LBB120_304:
	s_waitcnt lgkmcnt(0)
	v_cmp_eq_f64_e32 vcc, 0, v[126:127]
	s_and_saveexec_b64 s[0:1], vcc
	s_xor_b64 s[0:1], exec, s[0:1]
; %bb.305:
	v_cmp_ne_u32_e32 vcc, 0, v134
	v_cndmask_b32_e32 v134, 19, v134, vcc
; %bb.306:
	s_andn2_saveexec_b64 s[0:1], s[0:1]
; %bb.307:
	v_div_scale_f64 v[136:137], s[2:3], v[126:127], v[126:127], 1.0
	v_rcp_f64_e32 v[138:139], v[136:137]
	v_div_scale_f64 v[140:141], vcc, 1.0, v[126:127], 1.0
	v_fma_f64 v[142:143], -v[136:137], v[138:139], 1.0
	v_fmac_f64_e32 v[138:139], v[138:139], v[142:143]
	v_fma_f64 v[142:143], -v[136:137], v[138:139], 1.0
	v_fmac_f64_e32 v[138:139], v[138:139], v[142:143]
	v_mul_f64 v[142:143], v[140:141], v[138:139]
	v_fma_f64 v[136:137], -v[136:137], v[142:143], v[140:141]
	v_div_fmas_f64 v[136:137], v[136:137], v[138:139], v[142:143]
	v_div_fixup_f64 v[126:127], v[136:137], v[126:127], 1.0
; %bb.308:
	s_or_b64 exec, exec, s[0:1]
	v_cmp_ne_u32_e32 vcc, v131, v128
	s_and_saveexec_b64 s[0:1], vcc
	s_xor_b64 s[0:1], exec, s[0:1]
	s_cbranch_execz .LBB120_314
; %bb.309:
	v_cmp_eq_u32_e32 vcc, 18, v131
	s_and_saveexec_b64 s[2:3], vcc
	s_cbranch_execz .LBB120_313
; %bb.310:
	v_cmp_ne_u32_e32 vcc, 18, v128
	s_xor_b64 s[14:15], s[6:7], -1
	s_and_b64 s[16:17], s[14:15], vcc
	s_and_saveexec_b64 s[14:15], s[16:17]
	s_cbranch_execz .LBB120_312
; %bb.311:
	v_ashrrev_i32_e32 v129, 31, v128
	v_lshlrev_b64 v[136:137], 2, v[128:129]
	v_add_co_u32_e32 v136, vcc, v4, v136
	v_addc_co_u32_e32 v137, vcc, v5, v137, vcc
	flat_load_dword v129, v[136:137]
	flat_load_dword v131, v[4:5] offset:72
	s_waitcnt vmcnt(0) lgkmcnt(0)
	flat_store_dword v[4:5], v129 offset:72
	flat_store_dword v[136:137], v131
.LBB120_312:
	s_or_b64 exec, exec, s[14:15]
	v_mov_b32_e32 v129, v128
	v_mov_b32_e32 v131, v128
.LBB120_313:
	s_or_b64 exec, exec, s[2:3]
.LBB120_314:
	s_andn2_saveexec_b64 s[0:1], s[0:1]
	s_cbranch_execz .LBB120_316
; %bb.315:
	v_mov_b32_e32 v131, 18
	ds_write2_b64 v130, v[84:85], v[82:83] offset0:19 offset1:20
	ds_write2_b64 v130, v[80:81], v[78:79] offset0:21 offset1:22
	;; [unrolled: 1-line block ×21, first 2 shown]
.LBB120_316:
	s_or_b64 exec, exec, s[0:1]
	v_cmp_lt_i32_e32 vcc, 18, v131
	s_waitcnt lgkmcnt(0)
	s_barrier
	s_and_saveexec_b64 s[0:1], vcc
	s_cbranch_execz .LBB120_318
; %bb.317:
	ds_read2_b64 v[136:139], v130 offset0:19 offset1:20
	ds_read2_b64 v[140:143], v130 offset0:21 offset1:22
	;; [unrolled: 1-line block ×3, first 2 shown]
	v_mul_f64 v[86:87], v[126:127], v[86:87]
	s_waitcnt lgkmcnt(0)
	v_fma_f64 v[84:85], -v[86:87], v[136:137], v[84:85]
	v_fma_f64 v[82:83], -v[86:87], v[138:139], v[82:83]
	ds_read2_b64 v[136:139], v130 offset0:25 offset1:26
	v_fma_f64 v[80:81], -v[86:87], v[140:141], v[80:81]
	v_fma_f64 v[78:79], -v[86:87], v[142:143], v[78:79]
	v_fma_f64 v[76:77], -v[86:87], v[144:145], v[76:77]
	ds_read2_b64 v[140:143], v130 offset0:27 offset1:28
	v_fma_f64 v[74:75], -v[86:87], v[146:147], v[74:75]
	ds_read2_b64 v[144:147], v130 offset0:29 offset1:30
	s_waitcnt lgkmcnt(0)
	v_fma_f64 v[72:73], -v[86:87], v[136:137], v[72:73]
	v_fma_f64 v[70:71], -v[86:87], v[138:139], v[70:71]
	;; [unrolled: 1-line block ×3, first 2 shown]
	ds_read2_b64 v[136:139], v130 offset0:31 offset1:32
	v_fma_f64 v[66:67], -v[86:87], v[142:143], v[66:67]
	ds_read2_b64 v[140:143], v130 offset0:33 offset1:34
	v_fma_f64 v[64:65], -v[86:87], v[144:145], v[64:65]
	v_fma_f64 v[62:63], -v[86:87], v[146:147], v[62:63]
	ds_read2_b64 v[144:147], v130 offset0:35 offset1:36
	s_waitcnt lgkmcnt(0)
	v_fma_f64 v[60:61], -v[86:87], v[136:137], v[60:61]
	v_fma_f64 v[58:59], -v[86:87], v[138:139], v[58:59]
	ds_read2_b64 v[136:139], v130 offset0:37 offset1:38
	v_fma_f64 v[56:57], -v[86:87], v[140:141], v[56:57]
	v_fma_f64 v[54:55], -v[86:87], v[142:143], v[54:55]
	;; [unrolled: 1-line block ×3, first 2 shown]
	ds_read2_b64 v[140:143], v130 offset0:39 offset1:40
	v_fma_f64 v[50:51], -v[86:87], v[146:147], v[50:51]
	ds_read2_b64 v[144:147], v130 offset0:41 offset1:42
	s_waitcnt lgkmcnt(0)
	v_fma_f64 v[48:49], -v[86:87], v[136:137], v[48:49]
	v_fma_f64 v[46:47], -v[86:87], v[138:139], v[46:47]
	;; [unrolled: 1-line block ×3, first 2 shown]
	ds_read2_b64 v[136:139], v130 offset0:43 offset1:44
	v_fma_f64 v[42:43], -v[86:87], v[142:143], v[42:43]
	ds_read2_b64 v[140:143], v130 offset0:45 offset1:46
	v_fma_f64 v[40:41], -v[86:87], v[144:145], v[40:41]
	v_fma_f64 v[38:39], -v[86:87], v[146:147], v[38:39]
	ds_read2_b64 v[144:147], v130 offset0:47 offset1:48
	s_waitcnt lgkmcnt(0)
	v_fma_f64 v[36:37], -v[86:87], v[136:137], v[36:37]
	v_fma_f64 v[34:35], -v[86:87], v[138:139], v[34:35]
	ds_read2_b64 v[136:139], v130 offset0:49 offset1:50
	v_fma_f64 v[32:33], -v[86:87], v[140:141], v[32:33]
	v_fma_f64 v[30:31], -v[86:87], v[142:143], v[30:31]
	;; [unrolled: 1-line block ×3, first 2 shown]
	ds_read2_b64 v[140:143], v130 offset0:51 offset1:52
	v_fma_f64 v[26:27], -v[86:87], v[146:147], v[26:27]
	ds_read2_b64 v[144:147], v130 offset0:53 offset1:54
	s_waitcnt lgkmcnt(0)
	v_fma_f64 v[24:25], -v[86:87], v[136:137], v[24:25]
	v_fma_f64 v[22:23], -v[86:87], v[138:139], v[22:23]
	;; [unrolled: 1-line block ×4, first 2 shown]
	ds_read2_b64 v[136:139], v130 offset0:55 offset1:56
	ds_read2_b64 v[140:143], v130 offset0:57 offset1:58
	v_fma_f64 v[16:17], -v[86:87], v[144:145], v[16:17]
	v_fma_f64 v[14:15], -v[86:87], v[146:147], v[14:15]
	ds_read2_b64 v[144:147], v130 offset0:59 offset1:60
	s_waitcnt lgkmcnt(0)
	v_fma_f64 v[12:13], -v[86:87], v[136:137], v[12:13]
	v_fma_f64 v[10:11], -v[86:87], v[138:139], v[10:11]
	;; [unrolled: 1-line block ×6, first 2 shown]
.LBB120_318:
	s_or_b64 exec, exec, s[0:1]
	v_lshl_add_u32 v126, v131, 3, v130
	s_barrier
	ds_write_b64 v126, v[84:85]
	s_waitcnt lgkmcnt(0)
	s_barrier
	ds_read_b64 v[126:127], v130 offset:152
	s_cmp_lt_i32 s18, 21
	v_mov_b32_e32 v128, 19
	s_cbranch_scc1 .LBB120_321
; %bb.319:
	v_add_u32_e32 v135, 0xa0, v130
	s_mov_b32 s0, 20
	v_mov_b32_e32 v128, 19
.LBB120_320:                            ; =>This Inner Loop Header: Depth=1
	ds_read_b64 v[136:137], v135
	v_mov_b32_e32 v138, s0
	s_add_i32 s0, s0, 1
	v_add_u32_e32 v135, 8, v135
	s_cmp_lg_u32 s18, s0
	s_waitcnt lgkmcnt(0)
	v_cmp_lt_f64_e64 vcc, |v[126:127]|, |v[136:137]|
	v_cndmask_b32_e32 v127, v127, v137, vcc
	v_cndmask_b32_e32 v126, v126, v136, vcc
	;; [unrolled: 1-line block ×3, first 2 shown]
	s_cbranch_scc1 .LBB120_320
.LBB120_321:
	s_waitcnt lgkmcnt(0)
	v_cmp_eq_f64_e32 vcc, 0, v[126:127]
	s_and_saveexec_b64 s[0:1], vcc
	s_xor_b64 s[0:1], exec, s[0:1]
; %bb.322:
	v_cmp_ne_u32_e32 vcc, 0, v134
	v_cndmask_b32_e32 v134, 20, v134, vcc
; %bb.323:
	s_andn2_saveexec_b64 s[0:1], s[0:1]
; %bb.324:
	v_div_scale_f64 v[136:137], s[2:3], v[126:127], v[126:127], 1.0
	v_rcp_f64_e32 v[138:139], v[136:137]
	v_div_scale_f64 v[140:141], vcc, 1.0, v[126:127], 1.0
	v_fma_f64 v[142:143], -v[136:137], v[138:139], 1.0
	v_fmac_f64_e32 v[138:139], v[138:139], v[142:143]
	v_fma_f64 v[142:143], -v[136:137], v[138:139], 1.0
	v_fmac_f64_e32 v[138:139], v[138:139], v[142:143]
	v_mul_f64 v[142:143], v[140:141], v[138:139]
	v_fma_f64 v[136:137], -v[136:137], v[142:143], v[140:141]
	v_div_fmas_f64 v[136:137], v[136:137], v[138:139], v[142:143]
	v_div_fixup_f64 v[126:127], v[136:137], v[126:127], 1.0
; %bb.325:
	s_or_b64 exec, exec, s[0:1]
	v_cmp_ne_u32_e32 vcc, v131, v128
	s_and_saveexec_b64 s[0:1], vcc
	s_xor_b64 s[0:1], exec, s[0:1]
	s_cbranch_execz .LBB120_331
; %bb.326:
	v_cmp_eq_u32_e32 vcc, 19, v131
	s_and_saveexec_b64 s[2:3], vcc
	s_cbranch_execz .LBB120_330
; %bb.327:
	v_cmp_ne_u32_e32 vcc, 19, v128
	s_xor_b64 s[14:15], s[6:7], -1
	s_and_b64 s[16:17], s[14:15], vcc
	s_and_saveexec_b64 s[14:15], s[16:17]
	s_cbranch_execz .LBB120_329
; %bb.328:
	v_ashrrev_i32_e32 v129, 31, v128
	v_lshlrev_b64 v[136:137], 2, v[128:129]
	v_add_co_u32_e32 v136, vcc, v4, v136
	v_addc_co_u32_e32 v137, vcc, v5, v137, vcc
	flat_load_dword v129, v[136:137]
	flat_load_dword v131, v[4:5] offset:76
	s_waitcnt vmcnt(0) lgkmcnt(0)
	flat_store_dword v[4:5], v129 offset:76
	flat_store_dword v[136:137], v131
.LBB120_329:
	s_or_b64 exec, exec, s[14:15]
	v_mov_b32_e32 v129, v128
	v_mov_b32_e32 v131, v128
.LBB120_330:
	s_or_b64 exec, exec, s[2:3]
.LBB120_331:
	s_andn2_saveexec_b64 s[0:1], s[0:1]
	s_cbranch_execz .LBB120_333
; %bb.332:
	v_mov_b32_e32 v136, v82
	v_mov_b32_e32 v137, v83
	v_mov_b32_e32 v138, v80
	v_mov_b32_e32 v139, v81
	ds_write2_b64 v130, v[136:137], v[138:139] offset0:20 offset1:21
	v_mov_b32_e32 v136, v78
	v_mov_b32_e32 v137, v79
	v_mov_b32_e32 v138, v76
	v_mov_b32_e32 v139, v77
	ds_write2_b64 v130, v[136:137], v[138:139] offset0:22 offset1:23
	;; [unrolled: 5-line block ×19, first 2 shown]
	v_mov_b32_e32 v136, v6
	v_mov_b32_e32 v137, v7
	;; [unrolled: 1-line block ×5, first 2 shown]
	ds_write2_b64 v130, v[136:137], v[138:139] offset0:58 offset1:59
	ds_write_b64 v130, v[124:125] offset:480
.LBB120_333:
	s_or_b64 exec, exec, s[0:1]
	v_cmp_lt_i32_e32 vcc, 19, v131
	s_waitcnt lgkmcnt(0)
	s_barrier
	s_and_saveexec_b64 s[0:1], vcc
	s_cbranch_execz .LBB120_335
; %bb.334:
	ds_read2_b64 v[136:139], v130 offset0:20 offset1:21
	ds_read2_b64 v[140:143], v130 offset0:22 offset1:23
	v_mul_f64 v[84:85], v[126:127], v[84:85]
	ds_read2_b64 v[144:147], v130 offset0:24 offset1:25
	ds_read_b64 v[126:127], v130 offset:480
	s_waitcnt lgkmcnt(0)
	v_fma_f64 v[82:83], -v[84:85], v[136:137], v[82:83]
	v_fma_f64 v[80:81], -v[84:85], v[138:139], v[80:81]
	ds_read2_b64 v[136:139], v130 offset0:26 offset1:27
	v_fma_f64 v[78:79], -v[84:85], v[140:141], v[78:79]
	v_fma_f64 v[76:77], -v[84:85], v[142:143], v[76:77]
	ds_read2_b64 v[140:143], v130 offset0:28 offset1:29
	;; [unrolled: 3-line block ×3, first 2 shown]
	s_waitcnt lgkmcnt(0)
	v_fma_f64 v[70:71], -v[84:85], v[136:137], v[70:71]
	v_fma_f64 v[68:69], -v[84:85], v[138:139], v[68:69]
	;; [unrolled: 1-line block ×3, first 2 shown]
	ds_read2_b64 v[136:139], v130 offset0:32 offset1:33
	v_fma_f64 v[64:65], -v[84:85], v[142:143], v[64:65]
	ds_read2_b64 v[140:143], v130 offset0:34 offset1:35
	v_fma_f64 v[62:63], -v[84:85], v[144:145], v[62:63]
	v_fma_f64 v[60:61], -v[84:85], v[146:147], v[60:61]
	s_waitcnt lgkmcnt(0)
	v_fma_f64 v[58:59], -v[84:85], v[136:137], v[58:59]
	ds_read2_b64 v[144:147], v130 offset0:36 offset1:37
	v_fma_f64 v[56:57], -v[84:85], v[138:139], v[56:57]
	ds_read2_b64 v[136:139], v130 offset0:38 offset1:39
	v_fma_f64 v[54:55], -v[84:85], v[140:141], v[54:55]
	v_fma_f64 v[52:53], -v[84:85], v[142:143], v[52:53]
	ds_read2_b64 v[140:143], v130 offset0:40 offset1:41
	s_waitcnt lgkmcnt(0)
	v_fma_f64 v[50:51], -v[84:85], v[144:145], v[50:51]
	v_fma_f64 v[48:49], -v[84:85], v[146:147], v[48:49]
	ds_read2_b64 v[144:147], v130 offset0:42 offset1:43
	v_fma_f64 v[46:47], -v[84:85], v[136:137], v[46:47]
	v_fma_f64 v[44:45], -v[84:85], v[138:139], v[44:45]
	;; [unrolled: 1-line block ×3, first 2 shown]
	ds_read2_b64 v[136:139], v130 offset0:44 offset1:45
	v_fma_f64 v[40:41], -v[84:85], v[142:143], v[40:41]
	ds_read2_b64 v[140:143], v130 offset0:46 offset1:47
	s_waitcnt lgkmcnt(0)
	v_fma_f64 v[38:39], -v[84:85], v[144:145], v[38:39]
	v_fma_f64 v[36:37], -v[84:85], v[146:147], v[36:37]
	;; [unrolled: 1-line block ×3, first 2 shown]
	ds_read2_b64 v[144:147], v130 offset0:48 offset1:49
	v_fma_f64 v[32:33], -v[84:85], v[138:139], v[32:33]
	ds_read2_b64 v[136:139], v130 offset0:50 offset1:51
	v_fma_f64 v[30:31], -v[84:85], v[140:141], v[30:31]
	v_fma_f64 v[28:29], -v[84:85], v[142:143], v[28:29]
	ds_read2_b64 v[140:143], v130 offset0:52 offset1:53
	s_waitcnt lgkmcnt(0)
	v_fma_f64 v[26:27], -v[84:85], v[144:145], v[26:27]
	v_fma_f64 v[24:25], -v[84:85], v[146:147], v[24:25]
	ds_read2_b64 v[144:147], v130 offset0:54 offset1:55
	v_fma_f64 v[22:23], -v[84:85], v[136:137], v[22:23]
	v_fma_f64 v[20:21], -v[84:85], v[138:139], v[20:21]
	;; [unrolled: 1-line block ×4, first 2 shown]
	ds_read2_b64 v[136:139], v130 offset0:56 offset1:57
	ds_read2_b64 v[140:143], v130 offset0:58 offset1:59
	s_waitcnt lgkmcnt(0)
	v_fma_f64 v[14:15], -v[84:85], v[144:145], v[14:15]
	v_fma_f64 v[12:13], -v[84:85], v[146:147], v[12:13]
	v_fma_f64 v[124:125], -v[84:85], v[126:127], v[124:125]
	v_fma_f64 v[10:11], -v[84:85], v[136:137], v[10:11]
	v_fma_f64 v[8:9], -v[84:85], v[138:139], v[8:9]
	v_fma_f64 v[6:7], -v[84:85], v[140:141], v[6:7]
	v_fma_f64 v[0:1], -v[84:85], v[142:143], v[0:1]
.LBB120_335:
	s_or_b64 exec, exec, s[0:1]
	v_lshl_add_u32 v126, v131, 3, v130
	s_barrier
	ds_write_b64 v126, v[82:83]
	s_waitcnt lgkmcnt(0)
	s_barrier
	ds_read_b64 v[126:127], v130 offset:160
	s_cmp_lt_i32 s18, 22
	v_mov_b32_e32 v128, 20
	s_cbranch_scc1 .LBB120_338
; %bb.336:
	v_add_u32_e32 v135, 0xa8, v130
	s_mov_b32 s0, 21
	v_mov_b32_e32 v128, 20
.LBB120_337:                            ; =>This Inner Loop Header: Depth=1
	ds_read_b64 v[136:137], v135
	v_mov_b32_e32 v138, s0
	s_add_i32 s0, s0, 1
	v_add_u32_e32 v135, 8, v135
	s_cmp_lg_u32 s18, s0
	s_waitcnt lgkmcnt(0)
	v_cmp_lt_f64_e64 vcc, |v[126:127]|, |v[136:137]|
	v_cndmask_b32_e32 v127, v127, v137, vcc
	v_cndmask_b32_e32 v126, v126, v136, vcc
	;; [unrolled: 1-line block ×3, first 2 shown]
	s_cbranch_scc1 .LBB120_337
.LBB120_338:
	s_waitcnt lgkmcnt(0)
	v_cmp_eq_f64_e32 vcc, 0, v[126:127]
	s_and_saveexec_b64 s[0:1], vcc
	s_xor_b64 s[0:1], exec, s[0:1]
; %bb.339:
	v_cmp_ne_u32_e32 vcc, 0, v134
	v_cndmask_b32_e32 v134, 21, v134, vcc
; %bb.340:
	s_andn2_saveexec_b64 s[0:1], s[0:1]
; %bb.341:
	v_div_scale_f64 v[136:137], s[2:3], v[126:127], v[126:127], 1.0
	v_rcp_f64_e32 v[138:139], v[136:137]
	v_div_scale_f64 v[140:141], vcc, 1.0, v[126:127], 1.0
	v_fma_f64 v[142:143], -v[136:137], v[138:139], 1.0
	v_fmac_f64_e32 v[138:139], v[138:139], v[142:143]
	v_fma_f64 v[142:143], -v[136:137], v[138:139], 1.0
	v_fmac_f64_e32 v[138:139], v[138:139], v[142:143]
	v_mul_f64 v[142:143], v[140:141], v[138:139]
	v_fma_f64 v[136:137], -v[136:137], v[142:143], v[140:141]
	v_div_fmas_f64 v[136:137], v[136:137], v[138:139], v[142:143]
	v_div_fixup_f64 v[126:127], v[136:137], v[126:127], 1.0
; %bb.342:
	s_or_b64 exec, exec, s[0:1]
	v_cmp_ne_u32_e32 vcc, v131, v128
	s_and_saveexec_b64 s[0:1], vcc
	s_xor_b64 s[0:1], exec, s[0:1]
	s_cbranch_execz .LBB120_348
; %bb.343:
	v_cmp_eq_u32_e32 vcc, 20, v131
	s_and_saveexec_b64 s[2:3], vcc
	s_cbranch_execz .LBB120_347
; %bb.344:
	v_cmp_ne_u32_e32 vcc, 20, v128
	s_xor_b64 s[14:15], s[6:7], -1
	s_and_b64 s[16:17], s[14:15], vcc
	s_and_saveexec_b64 s[14:15], s[16:17]
	s_cbranch_execz .LBB120_346
; %bb.345:
	v_ashrrev_i32_e32 v129, 31, v128
	v_lshlrev_b64 v[136:137], 2, v[128:129]
	v_add_co_u32_e32 v136, vcc, v4, v136
	v_addc_co_u32_e32 v137, vcc, v5, v137, vcc
	flat_load_dword v129, v[136:137]
	flat_load_dword v131, v[4:5] offset:80
	s_waitcnt vmcnt(0) lgkmcnt(0)
	flat_store_dword v[4:5], v129 offset:80
	flat_store_dword v[136:137], v131
.LBB120_346:
	s_or_b64 exec, exec, s[14:15]
	v_mov_b32_e32 v129, v128
	v_mov_b32_e32 v131, v128
.LBB120_347:
	s_or_b64 exec, exec, s[2:3]
.LBB120_348:
	s_andn2_saveexec_b64 s[0:1], s[0:1]
	s_cbranch_execz .LBB120_350
; %bb.349:
	v_mov_b32_e32 v131, 20
	ds_write2_b64 v130, v[80:81], v[78:79] offset0:21 offset1:22
	ds_write2_b64 v130, v[76:77], v[74:75] offset0:23 offset1:24
	ds_write2_b64 v130, v[72:73], v[70:71] offset0:25 offset1:26
	ds_write2_b64 v130, v[68:69], v[66:67] offset0:27 offset1:28
	ds_write2_b64 v130, v[64:65], v[62:63] offset0:29 offset1:30
	ds_write2_b64 v130, v[60:61], v[58:59] offset0:31 offset1:32
	ds_write2_b64 v130, v[56:57], v[54:55] offset0:33 offset1:34
	ds_write2_b64 v130, v[52:53], v[50:51] offset0:35 offset1:36
	ds_write2_b64 v130, v[48:49], v[46:47] offset0:37 offset1:38
	ds_write2_b64 v130, v[44:45], v[42:43] offset0:39 offset1:40
	ds_write2_b64 v130, v[40:41], v[38:39] offset0:41 offset1:42
	ds_write2_b64 v130, v[36:37], v[34:35] offset0:43 offset1:44
	ds_write2_b64 v130, v[32:33], v[30:31] offset0:45 offset1:46
	ds_write2_b64 v130, v[28:29], v[26:27] offset0:47 offset1:48
	ds_write2_b64 v130, v[24:25], v[22:23] offset0:49 offset1:50
	ds_write2_b64 v130, v[20:21], v[18:19] offset0:51 offset1:52
	ds_write2_b64 v130, v[16:17], v[14:15] offset0:53 offset1:54
	ds_write2_b64 v130, v[12:13], v[10:11] offset0:55 offset1:56
	ds_write2_b64 v130, v[8:9], v[6:7] offset0:57 offset1:58
	ds_write2_b64 v130, v[0:1], v[124:125] offset0:59 offset1:60
.LBB120_350:
	s_or_b64 exec, exec, s[0:1]
	v_cmp_lt_i32_e32 vcc, 20, v131
	s_waitcnt lgkmcnt(0)
	s_barrier
	s_and_saveexec_b64 s[0:1], vcc
	s_cbranch_execz .LBB120_352
; %bb.351:
	ds_read2_b64 v[136:139], v130 offset0:21 offset1:22
	ds_read2_b64 v[140:143], v130 offset0:23 offset1:24
	v_mul_f64 v[82:83], v[126:127], v[82:83]
	ds_read2_b64 v[144:147], v130 offset0:25 offset1:26
	s_waitcnt lgkmcnt(0)
	v_fma_f64 v[80:81], -v[82:83], v[136:137], v[80:81]
	v_fma_f64 v[78:79], -v[82:83], v[138:139], v[78:79]
	ds_read2_b64 v[136:139], v130 offset0:27 offset1:28
	v_fma_f64 v[76:77], -v[82:83], v[140:141], v[76:77]
	v_fma_f64 v[74:75], -v[82:83], v[142:143], v[74:75]
	ds_read2_b64 v[140:143], v130 offset0:29 offset1:30
	;; [unrolled: 3-line block ×3, first 2 shown]
	s_waitcnt lgkmcnt(0)
	v_fma_f64 v[68:69], -v[82:83], v[136:137], v[68:69]
	v_fma_f64 v[66:67], -v[82:83], v[138:139], v[66:67]
	;; [unrolled: 1-line block ×3, first 2 shown]
	ds_read2_b64 v[136:139], v130 offset0:33 offset1:34
	v_fma_f64 v[62:63], -v[82:83], v[142:143], v[62:63]
	ds_read2_b64 v[140:143], v130 offset0:35 offset1:36
	v_fma_f64 v[60:61], -v[82:83], v[144:145], v[60:61]
	v_fma_f64 v[58:59], -v[82:83], v[146:147], v[58:59]
	s_waitcnt lgkmcnt(0)
	v_fma_f64 v[56:57], -v[82:83], v[136:137], v[56:57]
	ds_read2_b64 v[144:147], v130 offset0:37 offset1:38
	v_fma_f64 v[54:55], -v[82:83], v[138:139], v[54:55]
	ds_read2_b64 v[136:139], v130 offset0:39 offset1:40
	v_fma_f64 v[52:53], -v[82:83], v[140:141], v[52:53]
	v_fma_f64 v[50:51], -v[82:83], v[142:143], v[50:51]
	ds_read2_b64 v[140:143], v130 offset0:41 offset1:42
	s_waitcnt lgkmcnt(0)
	v_fma_f64 v[48:49], -v[82:83], v[144:145], v[48:49]
	v_fma_f64 v[46:47], -v[82:83], v[146:147], v[46:47]
	ds_read2_b64 v[144:147], v130 offset0:43 offset1:44
	v_fma_f64 v[44:45], -v[82:83], v[136:137], v[44:45]
	v_fma_f64 v[42:43], -v[82:83], v[138:139], v[42:43]
	;; [unrolled: 1-line block ×3, first 2 shown]
	ds_read2_b64 v[136:139], v130 offset0:45 offset1:46
	v_fma_f64 v[38:39], -v[82:83], v[142:143], v[38:39]
	ds_read2_b64 v[140:143], v130 offset0:47 offset1:48
	s_waitcnt lgkmcnt(0)
	v_fma_f64 v[36:37], -v[82:83], v[144:145], v[36:37]
	v_fma_f64 v[34:35], -v[82:83], v[146:147], v[34:35]
	;; [unrolled: 1-line block ×3, first 2 shown]
	ds_read2_b64 v[144:147], v130 offset0:49 offset1:50
	v_fma_f64 v[30:31], -v[82:83], v[138:139], v[30:31]
	ds_read2_b64 v[136:139], v130 offset0:51 offset1:52
	v_fma_f64 v[28:29], -v[82:83], v[140:141], v[28:29]
	v_fma_f64 v[26:27], -v[82:83], v[142:143], v[26:27]
	ds_read2_b64 v[140:143], v130 offset0:53 offset1:54
	s_waitcnt lgkmcnt(0)
	v_fma_f64 v[24:25], -v[82:83], v[144:145], v[24:25]
	v_fma_f64 v[22:23], -v[82:83], v[146:147], v[22:23]
	;; [unrolled: 1-line block ×4, first 2 shown]
	ds_read2_b64 v[136:139], v130 offset0:55 offset1:56
	v_fma_f64 v[16:17], -v[82:83], v[140:141], v[16:17]
	ds_read2_b64 v[144:147], v130 offset0:57 offset1:58
	v_fma_f64 v[14:15], -v[82:83], v[142:143], v[14:15]
	ds_read2_b64 v[140:143], v130 offset0:59 offset1:60
	s_waitcnt lgkmcnt(0)
	v_fma_f64 v[12:13], -v[82:83], v[136:137], v[12:13]
	v_fma_f64 v[10:11], -v[82:83], v[138:139], v[10:11]
	;; [unrolled: 1-line block ×6, first 2 shown]
.LBB120_352:
	s_or_b64 exec, exec, s[0:1]
	v_lshl_add_u32 v126, v131, 3, v130
	s_barrier
	ds_write_b64 v126, v[80:81]
	s_waitcnt lgkmcnt(0)
	s_barrier
	ds_read_b64 v[126:127], v130 offset:168
	s_cmp_lt_i32 s18, 23
	v_mov_b32_e32 v128, 21
	s_cbranch_scc1 .LBB120_355
; %bb.353:
	v_add_u32_e32 v135, 0xb0, v130
	s_mov_b32 s0, 22
	v_mov_b32_e32 v128, 21
.LBB120_354:                            ; =>This Inner Loop Header: Depth=1
	ds_read_b64 v[136:137], v135
	v_mov_b32_e32 v138, s0
	s_add_i32 s0, s0, 1
	v_add_u32_e32 v135, 8, v135
	s_cmp_lg_u32 s18, s0
	s_waitcnt lgkmcnt(0)
	v_cmp_lt_f64_e64 vcc, |v[126:127]|, |v[136:137]|
	v_cndmask_b32_e32 v127, v127, v137, vcc
	v_cndmask_b32_e32 v126, v126, v136, vcc
	;; [unrolled: 1-line block ×3, first 2 shown]
	s_cbranch_scc1 .LBB120_354
.LBB120_355:
	s_waitcnt lgkmcnt(0)
	v_cmp_eq_f64_e32 vcc, 0, v[126:127]
	s_and_saveexec_b64 s[0:1], vcc
	s_xor_b64 s[0:1], exec, s[0:1]
; %bb.356:
	v_cmp_ne_u32_e32 vcc, 0, v134
	v_cndmask_b32_e32 v134, 22, v134, vcc
; %bb.357:
	s_andn2_saveexec_b64 s[0:1], s[0:1]
; %bb.358:
	v_div_scale_f64 v[136:137], s[2:3], v[126:127], v[126:127], 1.0
	v_rcp_f64_e32 v[138:139], v[136:137]
	v_div_scale_f64 v[140:141], vcc, 1.0, v[126:127], 1.0
	v_fma_f64 v[142:143], -v[136:137], v[138:139], 1.0
	v_fmac_f64_e32 v[138:139], v[138:139], v[142:143]
	v_fma_f64 v[142:143], -v[136:137], v[138:139], 1.0
	v_fmac_f64_e32 v[138:139], v[138:139], v[142:143]
	v_mul_f64 v[142:143], v[140:141], v[138:139]
	v_fma_f64 v[136:137], -v[136:137], v[142:143], v[140:141]
	v_div_fmas_f64 v[136:137], v[136:137], v[138:139], v[142:143]
	v_div_fixup_f64 v[126:127], v[136:137], v[126:127], 1.0
; %bb.359:
	s_or_b64 exec, exec, s[0:1]
	v_cmp_ne_u32_e32 vcc, v131, v128
	s_and_saveexec_b64 s[0:1], vcc
	s_xor_b64 s[0:1], exec, s[0:1]
	s_cbranch_execz .LBB120_365
; %bb.360:
	v_cmp_eq_u32_e32 vcc, 21, v131
	s_and_saveexec_b64 s[2:3], vcc
	s_cbranch_execz .LBB120_364
; %bb.361:
	v_cmp_ne_u32_e32 vcc, 21, v128
	s_xor_b64 s[14:15], s[6:7], -1
	s_and_b64 s[16:17], s[14:15], vcc
	s_and_saveexec_b64 s[14:15], s[16:17]
	s_cbranch_execz .LBB120_363
; %bb.362:
	v_ashrrev_i32_e32 v129, 31, v128
	v_lshlrev_b64 v[136:137], 2, v[128:129]
	v_add_co_u32_e32 v136, vcc, v4, v136
	v_addc_co_u32_e32 v137, vcc, v5, v137, vcc
	flat_load_dword v129, v[136:137]
	flat_load_dword v131, v[4:5] offset:84
	s_waitcnt vmcnt(0) lgkmcnt(0)
	flat_store_dword v[4:5], v129 offset:84
	flat_store_dword v[136:137], v131
.LBB120_363:
	s_or_b64 exec, exec, s[14:15]
	v_mov_b32_e32 v129, v128
	v_mov_b32_e32 v131, v128
.LBB120_364:
	s_or_b64 exec, exec, s[2:3]
.LBB120_365:
	s_andn2_saveexec_b64 s[0:1], s[0:1]
	s_cbranch_execz .LBB120_367
; %bb.366:
	v_mov_b32_e32 v136, v78
	v_mov_b32_e32 v137, v79
	v_mov_b32_e32 v138, v76
	v_mov_b32_e32 v139, v77
	ds_write2_b64 v130, v[136:137], v[138:139] offset0:22 offset1:23
	v_mov_b32_e32 v136, v74
	v_mov_b32_e32 v137, v75
	v_mov_b32_e32 v138, v72
	v_mov_b32_e32 v139, v73
	ds_write2_b64 v130, v[136:137], v[138:139] offset0:24 offset1:25
	;; [unrolled: 5-line block ×18, first 2 shown]
	v_mov_b32_e32 v136, v6
	v_mov_b32_e32 v137, v7
	;; [unrolled: 1-line block ×5, first 2 shown]
	ds_write2_b64 v130, v[136:137], v[138:139] offset0:58 offset1:59
	ds_write_b64 v130, v[124:125] offset:480
.LBB120_367:
	s_or_b64 exec, exec, s[0:1]
	v_cmp_lt_i32_e32 vcc, 21, v131
	s_waitcnt lgkmcnt(0)
	s_barrier
	s_and_saveexec_b64 s[0:1], vcc
	s_cbranch_execz .LBB120_369
; %bb.368:
	ds_read2_b64 v[136:139], v130 offset0:22 offset1:23
	ds_read2_b64 v[140:143], v130 offset0:24 offset1:25
	v_mul_f64 v[80:81], v[126:127], v[80:81]
	ds_read2_b64 v[144:147], v130 offset0:26 offset1:27
	ds_read_b64 v[126:127], v130 offset:480
	s_waitcnt lgkmcnt(0)
	v_fma_f64 v[78:79], -v[80:81], v[136:137], v[78:79]
	v_fma_f64 v[76:77], -v[80:81], v[138:139], v[76:77]
	ds_read2_b64 v[136:139], v130 offset0:28 offset1:29
	v_fma_f64 v[74:75], -v[80:81], v[140:141], v[74:75]
	v_fma_f64 v[72:73], -v[80:81], v[142:143], v[72:73]
	;; [unrolled: 1-line block ×3, first 2 shown]
	ds_read2_b64 v[140:143], v130 offset0:30 offset1:31
	v_fma_f64 v[68:69], -v[80:81], v[146:147], v[68:69]
	ds_read2_b64 v[144:147], v130 offset0:32 offset1:33
	s_waitcnt lgkmcnt(0)
	v_fma_f64 v[66:67], -v[80:81], v[136:137], v[66:67]
	v_fma_f64 v[64:65], -v[80:81], v[138:139], v[64:65]
	ds_read2_b64 v[136:139], v130 offset0:34 offset1:35
	v_fma_f64 v[62:63], -v[80:81], v[140:141], v[62:63]
	v_fma_f64 v[60:61], -v[80:81], v[142:143], v[60:61]
	ds_read2_b64 v[140:143], v130 offset0:36 offset1:37
	v_fma_f64 v[58:59], -v[80:81], v[144:145], v[58:59]
	v_fma_f64 v[56:57], -v[80:81], v[146:147], v[56:57]
	s_waitcnt lgkmcnt(0)
	v_fma_f64 v[54:55], -v[80:81], v[136:137], v[54:55]
	ds_read2_b64 v[144:147], v130 offset0:38 offset1:39
	v_fma_f64 v[52:53], -v[80:81], v[138:139], v[52:53]
	ds_read2_b64 v[136:139], v130 offset0:40 offset1:41
	v_fma_f64 v[50:51], -v[80:81], v[140:141], v[50:51]
	v_fma_f64 v[48:49], -v[80:81], v[142:143], v[48:49]
	s_waitcnt lgkmcnt(0)
	v_fma_f64 v[46:47], -v[80:81], v[144:145], v[46:47]
	ds_read2_b64 v[140:143], v130 offset0:42 offset1:43
	v_fma_f64 v[44:45], -v[80:81], v[146:147], v[44:45]
	ds_read2_b64 v[144:147], v130 offset0:44 offset1:45
	v_fma_f64 v[42:43], -v[80:81], v[136:137], v[42:43]
	v_fma_f64 v[40:41], -v[80:81], v[138:139], v[40:41]
	ds_read2_b64 v[136:139], v130 offset0:46 offset1:47
	s_waitcnt lgkmcnt(0)
	v_fma_f64 v[38:39], -v[80:81], v[140:141], v[38:39]
	v_fma_f64 v[36:37], -v[80:81], v[142:143], v[36:37]
	ds_read2_b64 v[140:143], v130 offset0:48 offset1:49
	v_fma_f64 v[34:35], -v[80:81], v[144:145], v[34:35]
	v_fma_f64 v[32:33], -v[80:81], v[146:147], v[32:33]
	;; [unrolled: 1-line block ×3, first 2 shown]
	ds_read2_b64 v[144:147], v130 offset0:50 offset1:51
	v_fma_f64 v[28:29], -v[80:81], v[138:139], v[28:29]
	ds_read2_b64 v[136:139], v130 offset0:52 offset1:53
	s_waitcnt lgkmcnt(0)
	v_fma_f64 v[26:27], -v[80:81], v[140:141], v[26:27]
	v_fma_f64 v[24:25], -v[80:81], v[142:143], v[24:25]
	v_fma_f64 v[22:23], -v[80:81], v[144:145], v[22:23]
	ds_read2_b64 v[140:143], v130 offset0:54 offset1:55
	v_fma_f64 v[20:21], -v[80:81], v[146:147], v[20:21]
	v_fma_f64 v[18:19], -v[80:81], v[136:137], v[18:19]
	;; [unrolled: 1-line block ×3, first 2 shown]
	ds_read2_b64 v[136:139], v130 offset0:56 offset1:57
	ds_read2_b64 v[144:147], v130 offset0:58 offset1:59
	s_waitcnt lgkmcnt(0)
	v_fma_f64 v[14:15], -v[80:81], v[140:141], v[14:15]
	v_fma_f64 v[12:13], -v[80:81], v[142:143], v[12:13]
	;; [unrolled: 1-line block ×7, first 2 shown]
.LBB120_369:
	s_or_b64 exec, exec, s[0:1]
	v_lshl_add_u32 v126, v131, 3, v130
	s_barrier
	ds_write_b64 v126, v[78:79]
	s_waitcnt lgkmcnt(0)
	s_barrier
	ds_read_b64 v[126:127], v130 offset:176
	s_cmp_lt_i32 s18, 24
	v_mov_b32_e32 v128, 22
	s_cbranch_scc1 .LBB120_372
; %bb.370:
	v_add_u32_e32 v135, 0xb8, v130
	s_mov_b32 s0, 23
	v_mov_b32_e32 v128, 22
.LBB120_371:                            ; =>This Inner Loop Header: Depth=1
	ds_read_b64 v[136:137], v135
	v_mov_b32_e32 v138, s0
	s_add_i32 s0, s0, 1
	v_add_u32_e32 v135, 8, v135
	s_cmp_lg_u32 s18, s0
	s_waitcnt lgkmcnt(0)
	v_cmp_lt_f64_e64 vcc, |v[126:127]|, |v[136:137]|
	v_cndmask_b32_e32 v127, v127, v137, vcc
	v_cndmask_b32_e32 v126, v126, v136, vcc
	;; [unrolled: 1-line block ×3, first 2 shown]
	s_cbranch_scc1 .LBB120_371
.LBB120_372:
	s_waitcnt lgkmcnt(0)
	v_cmp_eq_f64_e32 vcc, 0, v[126:127]
	s_and_saveexec_b64 s[0:1], vcc
	s_xor_b64 s[0:1], exec, s[0:1]
; %bb.373:
	v_cmp_ne_u32_e32 vcc, 0, v134
	v_cndmask_b32_e32 v134, 23, v134, vcc
; %bb.374:
	s_andn2_saveexec_b64 s[0:1], s[0:1]
; %bb.375:
	v_div_scale_f64 v[136:137], s[2:3], v[126:127], v[126:127], 1.0
	v_rcp_f64_e32 v[138:139], v[136:137]
	v_div_scale_f64 v[140:141], vcc, 1.0, v[126:127], 1.0
	v_fma_f64 v[142:143], -v[136:137], v[138:139], 1.0
	v_fmac_f64_e32 v[138:139], v[138:139], v[142:143]
	v_fma_f64 v[142:143], -v[136:137], v[138:139], 1.0
	v_fmac_f64_e32 v[138:139], v[138:139], v[142:143]
	v_mul_f64 v[142:143], v[140:141], v[138:139]
	v_fma_f64 v[136:137], -v[136:137], v[142:143], v[140:141]
	v_div_fmas_f64 v[136:137], v[136:137], v[138:139], v[142:143]
	v_div_fixup_f64 v[126:127], v[136:137], v[126:127], 1.0
; %bb.376:
	s_or_b64 exec, exec, s[0:1]
	v_cmp_ne_u32_e32 vcc, v131, v128
	s_and_saveexec_b64 s[0:1], vcc
	s_xor_b64 s[0:1], exec, s[0:1]
	s_cbranch_execz .LBB120_382
; %bb.377:
	v_cmp_eq_u32_e32 vcc, 22, v131
	s_and_saveexec_b64 s[2:3], vcc
	s_cbranch_execz .LBB120_381
; %bb.378:
	v_cmp_ne_u32_e32 vcc, 22, v128
	s_xor_b64 s[14:15], s[6:7], -1
	s_and_b64 s[16:17], s[14:15], vcc
	s_and_saveexec_b64 s[14:15], s[16:17]
	s_cbranch_execz .LBB120_380
; %bb.379:
	v_ashrrev_i32_e32 v129, 31, v128
	v_lshlrev_b64 v[136:137], 2, v[128:129]
	v_add_co_u32_e32 v136, vcc, v4, v136
	v_addc_co_u32_e32 v137, vcc, v5, v137, vcc
	flat_load_dword v129, v[136:137]
	flat_load_dword v131, v[4:5] offset:88
	s_waitcnt vmcnt(0) lgkmcnt(0)
	flat_store_dword v[4:5], v129 offset:88
	flat_store_dword v[136:137], v131
.LBB120_380:
	s_or_b64 exec, exec, s[14:15]
	v_mov_b32_e32 v129, v128
	v_mov_b32_e32 v131, v128
.LBB120_381:
	s_or_b64 exec, exec, s[2:3]
.LBB120_382:
	s_andn2_saveexec_b64 s[0:1], s[0:1]
	s_cbranch_execz .LBB120_384
; %bb.383:
	v_mov_b32_e32 v131, 22
	ds_write2_b64 v130, v[76:77], v[74:75] offset0:23 offset1:24
	ds_write2_b64 v130, v[72:73], v[70:71] offset0:25 offset1:26
	;; [unrolled: 1-line block ×19, first 2 shown]
.LBB120_384:
	s_or_b64 exec, exec, s[0:1]
	v_cmp_lt_i32_e32 vcc, 22, v131
	s_waitcnt lgkmcnt(0)
	s_barrier
	s_and_saveexec_b64 s[0:1], vcc
	s_cbranch_execz .LBB120_386
; %bb.385:
	ds_read2_b64 v[136:139], v130 offset0:23 offset1:24
	ds_read2_b64 v[140:143], v130 offset0:25 offset1:26
	v_mul_f64 v[78:79], v[126:127], v[78:79]
	ds_read2_b64 v[144:147], v130 offset0:27 offset1:28
	s_waitcnt lgkmcnt(0)
	v_fma_f64 v[76:77], -v[78:79], v[136:137], v[76:77]
	v_fma_f64 v[74:75], -v[78:79], v[138:139], v[74:75]
	ds_read2_b64 v[136:139], v130 offset0:29 offset1:30
	v_fma_f64 v[72:73], -v[78:79], v[140:141], v[72:73]
	v_fma_f64 v[70:71], -v[78:79], v[142:143], v[70:71]
	;; [unrolled: 1-line block ×3, first 2 shown]
	ds_read2_b64 v[140:143], v130 offset0:31 offset1:32
	v_fma_f64 v[66:67], -v[78:79], v[146:147], v[66:67]
	ds_read2_b64 v[144:147], v130 offset0:33 offset1:34
	s_waitcnt lgkmcnt(0)
	v_fma_f64 v[64:65], -v[78:79], v[136:137], v[64:65]
	v_fma_f64 v[62:63], -v[78:79], v[138:139], v[62:63]
	ds_read2_b64 v[136:139], v130 offset0:35 offset1:36
	v_fma_f64 v[60:61], -v[78:79], v[140:141], v[60:61]
	v_fma_f64 v[58:59], -v[78:79], v[142:143], v[58:59]
	ds_read2_b64 v[140:143], v130 offset0:37 offset1:38
	v_fma_f64 v[56:57], -v[78:79], v[144:145], v[56:57]
	v_fma_f64 v[54:55], -v[78:79], v[146:147], v[54:55]
	s_waitcnt lgkmcnt(0)
	v_fma_f64 v[52:53], -v[78:79], v[136:137], v[52:53]
	ds_read2_b64 v[144:147], v130 offset0:39 offset1:40
	v_fma_f64 v[50:51], -v[78:79], v[138:139], v[50:51]
	ds_read2_b64 v[136:139], v130 offset0:41 offset1:42
	v_fma_f64 v[48:49], -v[78:79], v[140:141], v[48:49]
	v_fma_f64 v[46:47], -v[78:79], v[142:143], v[46:47]
	s_waitcnt lgkmcnt(0)
	v_fma_f64 v[44:45], -v[78:79], v[144:145], v[44:45]
	ds_read2_b64 v[140:143], v130 offset0:43 offset1:44
	v_fma_f64 v[42:43], -v[78:79], v[146:147], v[42:43]
	ds_read2_b64 v[144:147], v130 offset0:45 offset1:46
	v_fma_f64 v[40:41], -v[78:79], v[136:137], v[40:41]
	v_fma_f64 v[38:39], -v[78:79], v[138:139], v[38:39]
	ds_read2_b64 v[136:139], v130 offset0:47 offset1:48
	s_waitcnt lgkmcnt(0)
	v_fma_f64 v[36:37], -v[78:79], v[140:141], v[36:37]
	v_fma_f64 v[34:35], -v[78:79], v[142:143], v[34:35]
	ds_read2_b64 v[140:143], v130 offset0:49 offset1:50
	v_fma_f64 v[32:33], -v[78:79], v[144:145], v[32:33]
	v_fma_f64 v[30:31], -v[78:79], v[146:147], v[30:31]
	;; [unrolled: 1-line block ×3, first 2 shown]
	ds_read2_b64 v[144:147], v130 offset0:51 offset1:52
	v_fma_f64 v[26:27], -v[78:79], v[138:139], v[26:27]
	ds_read2_b64 v[136:139], v130 offset0:53 offset1:54
	s_waitcnt lgkmcnt(0)
	v_fma_f64 v[24:25], -v[78:79], v[140:141], v[24:25]
	v_fma_f64 v[22:23], -v[78:79], v[142:143], v[22:23]
	;; [unrolled: 1-line block ×4, first 2 shown]
	ds_read2_b64 v[140:143], v130 offset0:55 offset1:56
	ds_read2_b64 v[144:147], v130 offset0:57 offset1:58
	v_fma_f64 v[16:17], -v[78:79], v[136:137], v[16:17]
	v_fma_f64 v[14:15], -v[78:79], v[138:139], v[14:15]
	ds_read2_b64 v[136:139], v130 offset0:59 offset1:60
	s_waitcnt lgkmcnt(0)
	v_fma_f64 v[12:13], -v[78:79], v[140:141], v[12:13]
	v_fma_f64 v[10:11], -v[78:79], v[142:143], v[10:11]
	;; [unrolled: 1-line block ×6, first 2 shown]
.LBB120_386:
	s_or_b64 exec, exec, s[0:1]
	v_lshl_add_u32 v126, v131, 3, v130
	s_barrier
	ds_write_b64 v126, v[76:77]
	s_waitcnt lgkmcnt(0)
	s_barrier
	ds_read_b64 v[126:127], v130 offset:184
	s_cmp_lt_i32 s18, 25
	v_mov_b32_e32 v128, 23
	s_cbranch_scc1 .LBB120_389
; %bb.387:
	v_add_u32_e32 v135, 0xc0, v130
	s_mov_b32 s0, 24
	v_mov_b32_e32 v128, 23
.LBB120_388:                            ; =>This Inner Loop Header: Depth=1
	ds_read_b64 v[136:137], v135
	v_mov_b32_e32 v138, s0
	s_add_i32 s0, s0, 1
	v_add_u32_e32 v135, 8, v135
	s_cmp_lg_u32 s18, s0
	s_waitcnt lgkmcnt(0)
	v_cmp_lt_f64_e64 vcc, |v[126:127]|, |v[136:137]|
	v_cndmask_b32_e32 v127, v127, v137, vcc
	v_cndmask_b32_e32 v126, v126, v136, vcc
	;; [unrolled: 1-line block ×3, first 2 shown]
	s_cbranch_scc1 .LBB120_388
.LBB120_389:
	s_waitcnt lgkmcnt(0)
	v_cmp_eq_f64_e32 vcc, 0, v[126:127]
	s_and_saveexec_b64 s[0:1], vcc
	s_xor_b64 s[0:1], exec, s[0:1]
; %bb.390:
	v_cmp_ne_u32_e32 vcc, 0, v134
	v_cndmask_b32_e32 v134, 24, v134, vcc
; %bb.391:
	s_andn2_saveexec_b64 s[0:1], s[0:1]
; %bb.392:
	v_div_scale_f64 v[136:137], s[2:3], v[126:127], v[126:127], 1.0
	v_rcp_f64_e32 v[138:139], v[136:137]
	v_div_scale_f64 v[140:141], vcc, 1.0, v[126:127], 1.0
	v_fma_f64 v[142:143], -v[136:137], v[138:139], 1.0
	v_fmac_f64_e32 v[138:139], v[138:139], v[142:143]
	v_fma_f64 v[142:143], -v[136:137], v[138:139], 1.0
	v_fmac_f64_e32 v[138:139], v[138:139], v[142:143]
	v_mul_f64 v[142:143], v[140:141], v[138:139]
	v_fma_f64 v[136:137], -v[136:137], v[142:143], v[140:141]
	v_div_fmas_f64 v[136:137], v[136:137], v[138:139], v[142:143]
	v_div_fixup_f64 v[126:127], v[136:137], v[126:127], 1.0
; %bb.393:
	s_or_b64 exec, exec, s[0:1]
	v_cmp_ne_u32_e32 vcc, v131, v128
	s_and_saveexec_b64 s[0:1], vcc
	s_xor_b64 s[0:1], exec, s[0:1]
	s_cbranch_execz .LBB120_399
; %bb.394:
	v_cmp_eq_u32_e32 vcc, 23, v131
	s_and_saveexec_b64 s[2:3], vcc
	s_cbranch_execz .LBB120_398
; %bb.395:
	v_cmp_ne_u32_e32 vcc, 23, v128
	s_xor_b64 s[14:15], s[6:7], -1
	s_and_b64 s[16:17], s[14:15], vcc
	s_and_saveexec_b64 s[14:15], s[16:17]
	s_cbranch_execz .LBB120_397
; %bb.396:
	v_ashrrev_i32_e32 v129, 31, v128
	v_lshlrev_b64 v[136:137], 2, v[128:129]
	v_add_co_u32_e32 v136, vcc, v4, v136
	v_addc_co_u32_e32 v137, vcc, v5, v137, vcc
	flat_load_dword v129, v[136:137]
	flat_load_dword v131, v[4:5] offset:92
	s_waitcnt vmcnt(0) lgkmcnt(0)
	flat_store_dword v[4:5], v129 offset:92
	flat_store_dword v[136:137], v131
.LBB120_397:
	s_or_b64 exec, exec, s[14:15]
	v_mov_b32_e32 v129, v128
	v_mov_b32_e32 v131, v128
.LBB120_398:
	s_or_b64 exec, exec, s[2:3]
.LBB120_399:
	s_andn2_saveexec_b64 s[0:1], s[0:1]
	s_cbranch_execz .LBB120_401
; %bb.400:
	v_mov_b32_e32 v136, v74
	v_mov_b32_e32 v137, v75
	v_mov_b32_e32 v138, v72
	v_mov_b32_e32 v139, v73
	ds_write2_b64 v130, v[136:137], v[138:139] offset0:24 offset1:25
	v_mov_b32_e32 v136, v70
	v_mov_b32_e32 v137, v71
	v_mov_b32_e32 v138, v68
	v_mov_b32_e32 v139, v69
	ds_write2_b64 v130, v[136:137], v[138:139] offset0:26 offset1:27
	;; [unrolled: 5-line block ×17, first 2 shown]
	v_mov_b32_e32 v136, v6
	v_mov_b32_e32 v137, v7
	;; [unrolled: 1-line block ×5, first 2 shown]
	ds_write2_b64 v130, v[136:137], v[138:139] offset0:58 offset1:59
	ds_write_b64 v130, v[124:125] offset:480
.LBB120_401:
	s_or_b64 exec, exec, s[0:1]
	v_cmp_lt_i32_e32 vcc, 23, v131
	s_waitcnt lgkmcnt(0)
	s_barrier
	s_and_saveexec_b64 s[0:1], vcc
	s_cbranch_execz .LBB120_403
; %bb.402:
	ds_read2_b64 v[136:139], v130 offset0:24 offset1:25
	ds_read2_b64 v[140:143], v130 offset0:26 offset1:27
	ds_read2_b64 v[144:147], v130 offset0:28 offset1:29
	v_mul_f64 v[76:77], v[126:127], v[76:77]
	ds_read_b64 v[126:127], v130 offset:480
	s_waitcnt lgkmcnt(0)
	v_fma_f64 v[74:75], -v[76:77], v[136:137], v[74:75]
	v_fma_f64 v[72:73], -v[76:77], v[138:139], v[72:73]
	ds_read2_b64 v[136:139], v130 offset0:30 offset1:31
	v_fma_f64 v[70:71], -v[76:77], v[140:141], v[70:71]
	v_fma_f64 v[68:69], -v[76:77], v[142:143], v[68:69]
	;; [unrolled: 1-line block ×3, first 2 shown]
	ds_read2_b64 v[140:143], v130 offset0:32 offset1:33
	v_fma_f64 v[64:65], -v[76:77], v[146:147], v[64:65]
	ds_read2_b64 v[144:147], v130 offset0:34 offset1:35
	s_waitcnt lgkmcnt(0)
	v_fma_f64 v[62:63], -v[76:77], v[136:137], v[62:63]
	v_fma_f64 v[60:61], -v[76:77], v[138:139], v[60:61]
	v_fma_f64 v[58:59], -v[76:77], v[140:141], v[58:59]
	ds_read2_b64 v[136:139], v130 offset0:36 offset1:37
	v_fma_f64 v[56:57], -v[76:77], v[142:143], v[56:57]
	ds_read2_b64 v[140:143], v130 offset0:38 offset1:39
	v_fma_f64 v[54:55], -v[76:77], v[144:145], v[54:55]
	v_fma_f64 v[52:53], -v[76:77], v[146:147], v[52:53]
	ds_read2_b64 v[144:147], v130 offset0:40 offset1:41
	s_waitcnt lgkmcnt(0)
	v_fma_f64 v[50:51], -v[76:77], v[136:137], v[50:51]
	v_fma_f64 v[48:49], -v[76:77], v[138:139], v[48:49]
	ds_read2_b64 v[136:139], v130 offset0:42 offset1:43
	v_fma_f64 v[46:47], -v[76:77], v[140:141], v[46:47]
	v_fma_f64 v[44:45], -v[76:77], v[142:143], v[44:45]
	;; [unrolled: 1-line block ×3, first 2 shown]
	ds_read2_b64 v[140:143], v130 offset0:44 offset1:45
	v_fma_f64 v[40:41], -v[76:77], v[146:147], v[40:41]
	ds_read2_b64 v[144:147], v130 offset0:46 offset1:47
	s_waitcnt lgkmcnt(0)
	v_fma_f64 v[38:39], -v[76:77], v[136:137], v[38:39]
	v_fma_f64 v[36:37], -v[76:77], v[138:139], v[36:37]
	;; [unrolled: 1-line block ×3, first 2 shown]
	ds_read2_b64 v[136:139], v130 offset0:48 offset1:49
	v_fma_f64 v[32:33], -v[76:77], v[142:143], v[32:33]
	ds_read2_b64 v[140:143], v130 offset0:50 offset1:51
	v_fma_f64 v[30:31], -v[76:77], v[144:145], v[30:31]
	v_fma_f64 v[28:29], -v[76:77], v[146:147], v[28:29]
	ds_read2_b64 v[144:147], v130 offset0:52 offset1:53
	s_waitcnt lgkmcnt(0)
	v_fma_f64 v[26:27], -v[76:77], v[136:137], v[26:27]
	v_fma_f64 v[24:25], -v[76:77], v[138:139], v[24:25]
	ds_read2_b64 v[136:139], v130 offset0:54 offset1:55
	v_fma_f64 v[22:23], -v[76:77], v[140:141], v[22:23]
	v_fma_f64 v[20:21], -v[76:77], v[142:143], v[20:21]
	;; [unrolled: 1-line block ×4, first 2 shown]
	ds_read2_b64 v[140:143], v130 offset0:56 offset1:57
	ds_read2_b64 v[144:147], v130 offset0:58 offset1:59
	s_waitcnt lgkmcnt(0)
	v_fma_f64 v[14:15], -v[76:77], v[136:137], v[14:15]
	v_fma_f64 v[12:13], -v[76:77], v[138:139], v[12:13]
	v_fma_f64 v[124:125], -v[76:77], v[126:127], v[124:125]
	v_fma_f64 v[10:11], -v[76:77], v[140:141], v[10:11]
	v_fma_f64 v[8:9], -v[76:77], v[142:143], v[8:9]
	v_fma_f64 v[6:7], -v[76:77], v[144:145], v[6:7]
	v_fma_f64 v[0:1], -v[76:77], v[146:147], v[0:1]
.LBB120_403:
	s_or_b64 exec, exec, s[0:1]
	v_lshl_add_u32 v126, v131, 3, v130
	s_barrier
	ds_write_b64 v126, v[74:75]
	s_waitcnt lgkmcnt(0)
	s_barrier
	ds_read_b64 v[126:127], v130 offset:192
	s_cmp_lt_i32 s18, 26
	v_mov_b32_e32 v128, 24
	s_cbranch_scc1 .LBB120_406
; %bb.404:
	v_add_u32_e32 v135, 0xc8, v130
	s_mov_b32 s0, 25
	v_mov_b32_e32 v128, 24
.LBB120_405:                            ; =>This Inner Loop Header: Depth=1
	ds_read_b64 v[136:137], v135
	v_mov_b32_e32 v138, s0
	s_add_i32 s0, s0, 1
	v_add_u32_e32 v135, 8, v135
	s_cmp_lg_u32 s18, s0
	s_waitcnt lgkmcnt(0)
	v_cmp_lt_f64_e64 vcc, |v[126:127]|, |v[136:137]|
	v_cndmask_b32_e32 v127, v127, v137, vcc
	v_cndmask_b32_e32 v126, v126, v136, vcc
	;; [unrolled: 1-line block ×3, first 2 shown]
	s_cbranch_scc1 .LBB120_405
.LBB120_406:
	s_waitcnt lgkmcnt(0)
	v_cmp_eq_f64_e32 vcc, 0, v[126:127]
	s_and_saveexec_b64 s[0:1], vcc
	s_xor_b64 s[0:1], exec, s[0:1]
; %bb.407:
	v_cmp_ne_u32_e32 vcc, 0, v134
	v_cndmask_b32_e32 v134, 25, v134, vcc
; %bb.408:
	s_andn2_saveexec_b64 s[0:1], s[0:1]
; %bb.409:
	v_div_scale_f64 v[136:137], s[2:3], v[126:127], v[126:127], 1.0
	v_rcp_f64_e32 v[138:139], v[136:137]
	v_div_scale_f64 v[140:141], vcc, 1.0, v[126:127], 1.0
	v_fma_f64 v[142:143], -v[136:137], v[138:139], 1.0
	v_fmac_f64_e32 v[138:139], v[138:139], v[142:143]
	v_fma_f64 v[142:143], -v[136:137], v[138:139], 1.0
	v_fmac_f64_e32 v[138:139], v[138:139], v[142:143]
	v_mul_f64 v[142:143], v[140:141], v[138:139]
	v_fma_f64 v[136:137], -v[136:137], v[142:143], v[140:141]
	v_div_fmas_f64 v[136:137], v[136:137], v[138:139], v[142:143]
	v_div_fixup_f64 v[126:127], v[136:137], v[126:127], 1.0
; %bb.410:
	s_or_b64 exec, exec, s[0:1]
	v_cmp_ne_u32_e32 vcc, v131, v128
	s_and_saveexec_b64 s[0:1], vcc
	s_xor_b64 s[0:1], exec, s[0:1]
	s_cbranch_execz .LBB120_416
; %bb.411:
	v_cmp_eq_u32_e32 vcc, 24, v131
	s_and_saveexec_b64 s[2:3], vcc
	s_cbranch_execz .LBB120_415
; %bb.412:
	v_cmp_ne_u32_e32 vcc, 24, v128
	s_xor_b64 s[14:15], s[6:7], -1
	s_and_b64 s[16:17], s[14:15], vcc
	s_and_saveexec_b64 s[14:15], s[16:17]
	s_cbranch_execz .LBB120_414
; %bb.413:
	v_ashrrev_i32_e32 v129, 31, v128
	v_lshlrev_b64 v[136:137], 2, v[128:129]
	v_add_co_u32_e32 v136, vcc, v4, v136
	v_addc_co_u32_e32 v137, vcc, v5, v137, vcc
	flat_load_dword v129, v[136:137]
	flat_load_dword v131, v[4:5] offset:96
	s_waitcnt vmcnt(0) lgkmcnt(0)
	flat_store_dword v[4:5], v129 offset:96
	flat_store_dword v[136:137], v131
.LBB120_414:
	s_or_b64 exec, exec, s[14:15]
	v_mov_b32_e32 v129, v128
	v_mov_b32_e32 v131, v128
.LBB120_415:
	s_or_b64 exec, exec, s[2:3]
.LBB120_416:
	s_andn2_saveexec_b64 s[0:1], s[0:1]
	s_cbranch_execz .LBB120_418
; %bb.417:
	v_mov_b32_e32 v131, 24
	ds_write2_b64 v130, v[72:73], v[70:71] offset0:25 offset1:26
	ds_write2_b64 v130, v[68:69], v[66:67] offset0:27 offset1:28
	;; [unrolled: 1-line block ×18, first 2 shown]
.LBB120_418:
	s_or_b64 exec, exec, s[0:1]
	v_cmp_lt_i32_e32 vcc, 24, v131
	s_waitcnt lgkmcnt(0)
	s_barrier
	s_and_saveexec_b64 s[0:1], vcc
	s_cbranch_execz .LBB120_420
; %bb.419:
	ds_read2_b64 v[136:139], v130 offset0:25 offset1:26
	ds_read2_b64 v[140:143], v130 offset0:27 offset1:28
	;; [unrolled: 1-line block ×3, first 2 shown]
	v_mul_f64 v[74:75], v[126:127], v[74:75]
	s_waitcnt lgkmcnt(0)
	v_fma_f64 v[72:73], -v[74:75], v[136:137], v[72:73]
	v_fma_f64 v[70:71], -v[74:75], v[138:139], v[70:71]
	ds_read2_b64 v[136:139], v130 offset0:31 offset1:32
	v_fma_f64 v[68:69], -v[74:75], v[140:141], v[68:69]
	v_fma_f64 v[66:67], -v[74:75], v[142:143], v[66:67]
	;; [unrolled: 1-line block ×3, first 2 shown]
	ds_read2_b64 v[140:143], v130 offset0:33 offset1:34
	v_fma_f64 v[62:63], -v[74:75], v[146:147], v[62:63]
	ds_read2_b64 v[144:147], v130 offset0:35 offset1:36
	s_waitcnt lgkmcnt(0)
	v_fma_f64 v[60:61], -v[74:75], v[136:137], v[60:61]
	v_fma_f64 v[58:59], -v[74:75], v[138:139], v[58:59]
	;; [unrolled: 1-line block ×3, first 2 shown]
	ds_read2_b64 v[136:139], v130 offset0:37 offset1:38
	v_fma_f64 v[54:55], -v[74:75], v[142:143], v[54:55]
	ds_read2_b64 v[140:143], v130 offset0:39 offset1:40
	v_fma_f64 v[52:53], -v[74:75], v[144:145], v[52:53]
	v_fma_f64 v[50:51], -v[74:75], v[146:147], v[50:51]
	ds_read2_b64 v[144:147], v130 offset0:41 offset1:42
	s_waitcnt lgkmcnt(0)
	v_fma_f64 v[48:49], -v[74:75], v[136:137], v[48:49]
	v_fma_f64 v[46:47], -v[74:75], v[138:139], v[46:47]
	ds_read2_b64 v[136:139], v130 offset0:43 offset1:44
	v_fma_f64 v[44:45], -v[74:75], v[140:141], v[44:45]
	v_fma_f64 v[42:43], -v[74:75], v[142:143], v[42:43]
	;; [unrolled: 1-line block ×3, first 2 shown]
	ds_read2_b64 v[140:143], v130 offset0:45 offset1:46
	v_fma_f64 v[38:39], -v[74:75], v[146:147], v[38:39]
	ds_read2_b64 v[144:147], v130 offset0:47 offset1:48
	s_waitcnt lgkmcnt(0)
	v_fma_f64 v[36:37], -v[74:75], v[136:137], v[36:37]
	v_fma_f64 v[34:35], -v[74:75], v[138:139], v[34:35]
	v_fma_f64 v[32:33], -v[74:75], v[140:141], v[32:33]
	ds_read2_b64 v[136:139], v130 offset0:49 offset1:50
	v_fma_f64 v[30:31], -v[74:75], v[142:143], v[30:31]
	ds_read2_b64 v[140:143], v130 offset0:51 offset1:52
	v_fma_f64 v[28:29], -v[74:75], v[144:145], v[28:29]
	v_fma_f64 v[26:27], -v[74:75], v[146:147], v[26:27]
	ds_read2_b64 v[144:147], v130 offset0:53 offset1:54
	s_waitcnt lgkmcnt(0)
	v_fma_f64 v[24:25], -v[74:75], v[136:137], v[24:25]
	v_fma_f64 v[22:23], -v[74:75], v[138:139], v[22:23]
	ds_read2_b64 v[136:139], v130 offset0:55 offset1:56
	v_fma_f64 v[20:21], -v[74:75], v[140:141], v[20:21]
	v_fma_f64 v[18:19], -v[74:75], v[142:143], v[18:19]
	;; [unrolled: 1-line block ×3, first 2 shown]
	ds_read2_b64 v[140:143], v130 offset0:57 offset1:58
	v_fma_f64 v[14:15], -v[74:75], v[146:147], v[14:15]
	ds_read2_b64 v[144:147], v130 offset0:59 offset1:60
	s_waitcnt lgkmcnt(0)
	v_fma_f64 v[12:13], -v[74:75], v[136:137], v[12:13]
	v_fma_f64 v[10:11], -v[74:75], v[138:139], v[10:11]
	v_fma_f64 v[8:9], -v[74:75], v[140:141], v[8:9]
	v_fma_f64 v[6:7], -v[74:75], v[142:143], v[6:7]
	v_fma_f64 v[0:1], -v[74:75], v[144:145], v[0:1]
	v_fma_f64 v[124:125], -v[74:75], v[146:147], v[124:125]
.LBB120_420:
	s_or_b64 exec, exec, s[0:1]
	v_lshl_add_u32 v126, v131, 3, v130
	s_barrier
	ds_write_b64 v126, v[72:73]
	s_waitcnt lgkmcnt(0)
	s_barrier
	ds_read_b64 v[126:127], v130 offset:200
	s_cmp_lt_i32 s18, 27
	v_mov_b32_e32 v128, 25
	s_cbranch_scc1 .LBB120_423
; %bb.421:
	v_add_u32_e32 v135, 0xd0, v130
	s_mov_b32 s0, 26
	v_mov_b32_e32 v128, 25
.LBB120_422:                            ; =>This Inner Loop Header: Depth=1
	ds_read_b64 v[136:137], v135
	v_mov_b32_e32 v138, s0
	s_add_i32 s0, s0, 1
	v_add_u32_e32 v135, 8, v135
	s_cmp_lg_u32 s18, s0
	s_waitcnt lgkmcnt(0)
	v_cmp_lt_f64_e64 vcc, |v[126:127]|, |v[136:137]|
	v_cndmask_b32_e32 v127, v127, v137, vcc
	v_cndmask_b32_e32 v126, v126, v136, vcc
	;; [unrolled: 1-line block ×3, first 2 shown]
	s_cbranch_scc1 .LBB120_422
.LBB120_423:
	s_waitcnt lgkmcnt(0)
	v_cmp_eq_f64_e32 vcc, 0, v[126:127]
	s_and_saveexec_b64 s[0:1], vcc
	s_xor_b64 s[0:1], exec, s[0:1]
; %bb.424:
	v_cmp_ne_u32_e32 vcc, 0, v134
	v_cndmask_b32_e32 v134, 26, v134, vcc
; %bb.425:
	s_andn2_saveexec_b64 s[0:1], s[0:1]
; %bb.426:
	v_div_scale_f64 v[136:137], s[2:3], v[126:127], v[126:127], 1.0
	v_rcp_f64_e32 v[138:139], v[136:137]
	v_div_scale_f64 v[140:141], vcc, 1.0, v[126:127], 1.0
	v_fma_f64 v[142:143], -v[136:137], v[138:139], 1.0
	v_fmac_f64_e32 v[138:139], v[138:139], v[142:143]
	v_fma_f64 v[142:143], -v[136:137], v[138:139], 1.0
	v_fmac_f64_e32 v[138:139], v[138:139], v[142:143]
	v_mul_f64 v[142:143], v[140:141], v[138:139]
	v_fma_f64 v[136:137], -v[136:137], v[142:143], v[140:141]
	v_div_fmas_f64 v[136:137], v[136:137], v[138:139], v[142:143]
	v_div_fixup_f64 v[126:127], v[136:137], v[126:127], 1.0
; %bb.427:
	s_or_b64 exec, exec, s[0:1]
	v_cmp_ne_u32_e32 vcc, v131, v128
	s_and_saveexec_b64 s[0:1], vcc
	s_xor_b64 s[0:1], exec, s[0:1]
	s_cbranch_execz .LBB120_433
; %bb.428:
	v_cmp_eq_u32_e32 vcc, 25, v131
	s_and_saveexec_b64 s[2:3], vcc
	s_cbranch_execz .LBB120_432
; %bb.429:
	v_cmp_ne_u32_e32 vcc, 25, v128
	s_xor_b64 s[14:15], s[6:7], -1
	s_and_b64 s[16:17], s[14:15], vcc
	s_and_saveexec_b64 s[14:15], s[16:17]
	s_cbranch_execz .LBB120_431
; %bb.430:
	v_ashrrev_i32_e32 v129, 31, v128
	v_lshlrev_b64 v[136:137], 2, v[128:129]
	v_add_co_u32_e32 v136, vcc, v4, v136
	v_addc_co_u32_e32 v137, vcc, v5, v137, vcc
	flat_load_dword v129, v[136:137]
	flat_load_dword v131, v[4:5] offset:100
	s_waitcnt vmcnt(0) lgkmcnt(0)
	flat_store_dword v[4:5], v129 offset:100
	flat_store_dword v[136:137], v131
.LBB120_431:
	s_or_b64 exec, exec, s[14:15]
	v_mov_b32_e32 v129, v128
	v_mov_b32_e32 v131, v128
.LBB120_432:
	s_or_b64 exec, exec, s[2:3]
.LBB120_433:
	s_andn2_saveexec_b64 s[0:1], s[0:1]
	s_cbranch_execz .LBB120_435
; %bb.434:
	v_mov_b32_e32 v136, v70
	v_mov_b32_e32 v137, v71
	v_mov_b32_e32 v138, v68
	v_mov_b32_e32 v139, v69
	ds_write2_b64 v130, v[136:137], v[138:139] offset0:26 offset1:27
	v_mov_b32_e32 v136, v66
	v_mov_b32_e32 v137, v67
	v_mov_b32_e32 v138, v64
	v_mov_b32_e32 v139, v65
	ds_write2_b64 v130, v[136:137], v[138:139] offset0:28 offset1:29
	;; [unrolled: 5-line block ×16, first 2 shown]
	v_mov_b32_e32 v136, v6
	v_mov_b32_e32 v137, v7
	;; [unrolled: 1-line block ×5, first 2 shown]
	ds_write2_b64 v130, v[136:137], v[138:139] offset0:58 offset1:59
	ds_write_b64 v130, v[124:125] offset:480
.LBB120_435:
	s_or_b64 exec, exec, s[0:1]
	v_cmp_lt_i32_e32 vcc, 25, v131
	s_waitcnt lgkmcnt(0)
	s_barrier
	s_and_saveexec_b64 s[0:1], vcc
	s_cbranch_execz .LBB120_437
; %bb.436:
	ds_read2_b64 v[136:139], v130 offset0:26 offset1:27
	ds_read2_b64 v[140:143], v130 offset0:28 offset1:29
	v_mul_f64 v[72:73], v[126:127], v[72:73]
	ds_read2_b64 v[144:147], v130 offset0:30 offset1:31
	ds_read_b64 v[126:127], v130 offset:480
	s_waitcnt lgkmcnt(0)
	v_fma_f64 v[70:71], -v[72:73], v[136:137], v[70:71]
	v_fma_f64 v[68:69], -v[72:73], v[138:139], v[68:69]
	ds_read2_b64 v[136:139], v130 offset0:32 offset1:33
	v_fma_f64 v[66:67], -v[72:73], v[140:141], v[66:67]
	v_fma_f64 v[64:65], -v[72:73], v[142:143], v[64:65]
	ds_read2_b64 v[140:143], v130 offset0:34 offset1:35
	;; [unrolled: 3-line block ×3, first 2 shown]
	s_waitcnt lgkmcnt(0)
	v_fma_f64 v[58:59], -v[72:73], v[136:137], v[58:59]
	v_fma_f64 v[56:57], -v[72:73], v[138:139], v[56:57]
	;; [unrolled: 1-line block ×3, first 2 shown]
	ds_read2_b64 v[136:139], v130 offset0:38 offset1:39
	v_fma_f64 v[52:53], -v[72:73], v[142:143], v[52:53]
	ds_read2_b64 v[140:143], v130 offset0:40 offset1:41
	v_fma_f64 v[50:51], -v[72:73], v[144:145], v[50:51]
	v_fma_f64 v[48:49], -v[72:73], v[146:147], v[48:49]
	s_waitcnt lgkmcnt(0)
	v_fma_f64 v[46:47], -v[72:73], v[136:137], v[46:47]
	ds_read2_b64 v[144:147], v130 offset0:42 offset1:43
	v_fma_f64 v[44:45], -v[72:73], v[138:139], v[44:45]
	ds_read2_b64 v[136:139], v130 offset0:44 offset1:45
	v_fma_f64 v[42:43], -v[72:73], v[140:141], v[42:43]
	v_fma_f64 v[40:41], -v[72:73], v[142:143], v[40:41]
	ds_read2_b64 v[140:143], v130 offset0:46 offset1:47
	s_waitcnt lgkmcnt(0)
	v_fma_f64 v[38:39], -v[72:73], v[144:145], v[38:39]
	v_fma_f64 v[36:37], -v[72:73], v[146:147], v[36:37]
	ds_read2_b64 v[144:147], v130 offset0:48 offset1:49
	v_fma_f64 v[34:35], -v[72:73], v[136:137], v[34:35]
	v_fma_f64 v[32:33], -v[72:73], v[138:139], v[32:33]
	;; [unrolled: 1-line block ×3, first 2 shown]
	ds_read2_b64 v[136:139], v130 offset0:50 offset1:51
	v_fma_f64 v[28:29], -v[72:73], v[142:143], v[28:29]
	ds_read2_b64 v[140:143], v130 offset0:52 offset1:53
	s_waitcnt lgkmcnt(0)
	v_fma_f64 v[26:27], -v[72:73], v[144:145], v[26:27]
	v_fma_f64 v[24:25], -v[72:73], v[146:147], v[24:25]
	v_fma_f64 v[22:23], -v[72:73], v[136:137], v[22:23]
	ds_read2_b64 v[144:147], v130 offset0:54 offset1:55
	v_fma_f64 v[20:21], -v[72:73], v[138:139], v[20:21]
	ds_read2_b64 v[136:139], v130 offset0:56 offset1:57
	v_fma_f64 v[18:19], -v[72:73], v[140:141], v[18:19]
	v_fma_f64 v[16:17], -v[72:73], v[142:143], v[16:17]
	ds_read2_b64 v[140:143], v130 offset0:58 offset1:59
	s_waitcnt lgkmcnt(0)
	v_fma_f64 v[14:15], -v[72:73], v[144:145], v[14:15]
	v_fma_f64 v[12:13], -v[72:73], v[146:147], v[12:13]
	;; [unrolled: 1-line block ×7, first 2 shown]
.LBB120_437:
	s_or_b64 exec, exec, s[0:1]
	v_lshl_add_u32 v126, v131, 3, v130
	s_barrier
	ds_write_b64 v126, v[70:71]
	s_waitcnt lgkmcnt(0)
	s_barrier
	ds_read_b64 v[126:127], v130 offset:208
	s_cmp_lt_i32 s18, 28
	v_mov_b32_e32 v128, 26
	s_cbranch_scc1 .LBB120_440
; %bb.438:
	v_add_u32_e32 v135, 0xd8, v130
	s_mov_b32 s0, 27
	v_mov_b32_e32 v128, 26
.LBB120_439:                            ; =>This Inner Loop Header: Depth=1
	ds_read_b64 v[136:137], v135
	v_mov_b32_e32 v138, s0
	s_add_i32 s0, s0, 1
	v_add_u32_e32 v135, 8, v135
	s_cmp_lg_u32 s18, s0
	s_waitcnt lgkmcnt(0)
	v_cmp_lt_f64_e64 vcc, |v[126:127]|, |v[136:137]|
	v_cndmask_b32_e32 v127, v127, v137, vcc
	v_cndmask_b32_e32 v126, v126, v136, vcc
	;; [unrolled: 1-line block ×3, first 2 shown]
	s_cbranch_scc1 .LBB120_439
.LBB120_440:
	s_waitcnt lgkmcnt(0)
	v_cmp_eq_f64_e32 vcc, 0, v[126:127]
	s_and_saveexec_b64 s[0:1], vcc
	s_xor_b64 s[0:1], exec, s[0:1]
; %bb.441:
	v_cmp_ne_u32_e32 vcc, 0, v134
	v_cndmask_b32_e32 v134, 27, v134, vcc
; %bb.442:
	s_andn2_saveexec_b64 s[0:1], s[0:1]
; %bb.443:
	v_div_scale_f64 v[136:137], s[2:3], v[126:127], v[126:127], 1.0
	v_rcp_f64_e32 v[138:139], v[136:137]
	v_div_scale_f64 v[140:141], vcc, 1.0, v[126:127], 1.0
	v_fma_f64 v[142:143], -v[136:137], v[138:139], 1.0
	v_fmac_f64_e32 v[138:139], v[138:139], v[142:143]
	v_fma_f64 v[142:143], -v[136:137], v[138:139], 1.0
	v_fmac_f64_e32 v[138:139], v[138:139], v[142:143]
	v_mul_f64 v[142:143], v[140:141], v[138:139]
	v_fma_f64 v[136:137], -v[136:137], v[142:143], v[140:141]
	v_div_fmas_f64 v[136:137], v[136:137], v[138:139], v[142:143]
	v_div_fixup_f64 v[126:127], v[136:137], v[126:127], 1.0
; %bb.444:
	s_or_b64 exec, exec, s[0:1]
	v_cmp_ne_u32_e32 vcc, v131, v128
	s_and_saveexec_b64 s[0:1], vcc
	s_xor_b64 s[0:1], exec, s[0:1]
	s_cbranch_execz .LBB120_450
; %bb.445:
	v_cmp_eq_u32_e32 vcc, 26, v131
	s_and_saveexec_b64 s[2:3], vcc
	s_cbranch_execz .LBB120_449
; %bb.446:
	v_cmp_ne_u32_e32 vcc, 26, v128
	s_xor_b64 s[14:15], s[6:7], -1
	s_and_b64 s[16:17], s[14:15], vcc
	s_and_saveexec_b64 s[14:15], s[16:17]
	s_cbranch_execz .LBB120_448
; %bb.447:
	v_ashrrev_i32_e32 v129, 31, v128
	v_lshlrev_b64 v[136:137], 2, v[128:129]
	v_add_co_u32_e32 v136, vcc, v4, v136
	v_addc_co_u32_e32 v137, vcc, v5, v137, vcc
	flat_load_dword v129, v[136:137]
	flat_load_dword v131, v[4:5] offset:104
	s_waitcnt vmcnt(0) lgkmcnt(0)
	flat_store_dword v[4:5], v129 offset:104
	flat_store_dword v[136:137], v131
.LBB120_448:
	s_or_b64 exec, exec, s[14:15]
	v_mov_b32_e32 v129, v128
	v_mov_b32_e32 v131, v128
.LBB120_449:
	s_or_b64 exec, exec, s[2:3]
.LBB120_450:
	s_andn2_saveexec_b64 s[0:1], s[0:1]
	s_cbranch_execz .LBB120_452
; %bb.451:
	v_mov_b32_e32 v131, 26
	ds_write2_b64 v130, v[68:69], v[66:67] offset0:27 offset1:28
	ds_write2_b64 v130, v[64:65], v[62:63] offset0:29 offset1:30
	;; [unrolled: 1-line block ×17, first 2 shown]
.LBB120_452:
	s_or_b64 exec, exec, s[0:1]
	v_cmp_lt_i32_e32 vcc, 26, v131
	s_waitcnt lgkmcnt(0)
	s_barrier
	s_and_saveexec_b64 s[0:1], vcc
	s_cbranch_execz .LBB120_454
; %bb.453:
	ds_read2_b64 v[136:139], v130 offset0:27 offset1:28
	ds_read2_b64 v[140:143], v130 offset0:29 offset1:30
	v_mul_f64 v[70:71], v[126:127], v[70:71]
	ds_read2_b64 v[144:147], v130 offset0:31 offset1:32
	s_waitcnt lgkmcnt(0)
	v_fma_f64 v[68:69], -v[70:71], v[136:137], v[68:69]
	v_fma_f64 v[66:67], -v[70:71], v[138:139], v[66:67]
	ds_read2_b64 v[136:139], v130 offset0:33 offset1:34
	v_fma_f64 v[64:65], -v[70:71], v[140:141], v[64:65]
	v_fma_f64 v[62:63], -v[70:71], v[142:143], v[62:63]
	ds_read2_b64 v[140:143], v130 offset0:35 offset1:36
	;; [unrolled: 3-line block ×3, first 2 shown]
	s_waitcnt lgkmcnt(0)
	v_fma_f64 v[56:57], -v[70:71], v[136:137], v[56:57]
	v_fma_f64 v[54:55], -v[70:71], v[138:139], v[54:55]
	v_fma_f64 v[52:53], -v[70:71], v[140:141], v[52:53]
	ds_read2_b64 v[136:139], v130 offset0:39 offset1:40
	v_fma_f64 v[50:51], -v[70:71], v[142:143], v[50:51]
	ds_read2_b64 v[140:143], v130 offset0:41 offset1:42
	v_fma_f64 v[48:49], -v[70:71], v[144:145], v[48:49]
	v_fma_f64 v[46:47], -v[70:71], v[146:147], v[46:47]
	s_waitcnt lgkmcnt(0)
	v_fma_f64 v[44:45], -v[70:71], v[136:137], v[44:45]
	ds_read2_b64 v[144:147], v130 offset0:43 offset1:44
	v_fma_f64 v[42:43], -v[70:71], v[138:139], v[42:43]
	ds_read2_b64 v[136:139], v130 offset0:45 offset1:46
	v_fma_f64 v[40:41], -v[70:71], v[140:141], v[40:41]
	v_fma_f64 v[38:39], -v[70:71], v[142:143], v[38:39]
	ds_read2_b64 v[140:143], v130 offset0:47 offset1:48
	s_waitcnt lgkmcnt(0)
	v_fma_f64 v[36:37], -v[70:71], v[144:145], v[36:37]
	v_fma_f64 v[34:35], -v[70:71], v[146:147], v[34:35]
	ds_read2_b64 v[144:147], v130 offset0:49 offset1:50
	v_fma_f64 v[32:33], -v[70:71], v[136:137], v[32:33]
	v_fma_f64 v[30:31], -v[70:71], v[138:139], v[30:31]
	;; [unrolled: 1-line block ×3, first 2 shown]
	ds_read2_b64 v[136:139], v130 offset0:51 offset1:52
	v_fma_f64 v[26:27], -v[70:71], v[142:143], v[26:27]
	ds_read2_b64 v[140:143], v130 offset0:53 offset1:54
	s_waitcnt lgkmcnt(0)
	v_fma_f64 v[24:25], -v[70:71], v[144:145], v[24:25]
	v_fma_f64 v[22:23], -v[70:71], v[146:147], v[22:23]
	;; [unrolled: 1-line block ×4, first 2 shown]
	ds_read2_b64 v[136:139], v130 offset0:55 offset1:56
	ds_read2_b64 v[144:147], v130 offset0:57 offset1:58
	v_fma_f64 v[16:17], -v[70:71], v[140:141], v[16:17]
	v_fma_f64 v[14:15], -v[70:71], v[142:143], v[14:15]
	ds_read2_b64 v[140:143], v130 offset0:59 offset1:60
	s_waitcnt lgkmcnt(0)
	v_fma_f64 v[12:13], -v[70:71], v[136:137], v[12:13]
	v_fma_f64 v[10:11], -v[70:71], v[138:139], v[10:11]
	;; [unrolled: 1-line block ×6, first 2 shown]
.LBB120_454:
	s_or_b64 exec, exec, s[0:1]
	v_lshl_add_u32 v126, v131, 3, v130
	s_barrier
	ds_write_b64 v126, v[68:69]
	s_waitcnt lgkmcnt(0)
	s_barrier
	ds_read_b64 v[126:127], v130 offset:216
	s_cmp_lt_i32 s18, 29
	v_mov_b32_e32 v128, 27
	s_cbranch_scc1 .LBB120_457
; %bb.455:
	v_add_u32_e32 v135, 0xe0, v130
	s_mov_b32 s0, 28
	v_mov_b32_e32 v128, 27
.LBB120_456:                            ; =>This Inner Loop Header: Depth=1
	ds_read_b64 v[136:137], v135
	v_mov_b32_e32 v138, s0
	s_add_i32 s0, s0, 1
	v_add_u32_e32 v135, 8, v135
	s_cmp_lg_u32 s18, s0
	s_waitcnt lgkmcnt(0)
	v_cmp_lt_f64_e64 vcc, |v[126:127]|, |v[136:137]|
	v_cndmask_b32_e32 v127, v127, v137, vcc
	v_cndmask_b32_e32 v126, v126, v136, vcc
	;; [unrolled: 1-line block ×3, first 2 shown]
	s_cbranch_scc1 .LBB120_456
.LBB120_457:
	s_waitcnt lgkmcnt(0)
	v_cmp_eq_f64_e32 vcc, 0, v[126:127]
	s_and_saveexec_b64 s[0:1], vcc
	s_xor_b64 s[0:1], exec, s[0:1]
; %bb.458:
	v_cmp_ne_u32_e32 vcc, 0, v134
	v_cndmask_b32_e32 v134, 28, v134, vcc
; %bb.459:
	s_andn2_saveexec_b64 s[0:1], s[0:1]
; %bb.460:
	v_div_scale_f64 v[136:137], s[2:3], v[126:127], v[126:127], 1.0
	v_rcp_f64_e32 v[138:139], v[136:137]
	v_div_scale_f64 v[140:141], vcc, 1.0, v[126:127], 1.0
	v_fma_f64 v[142:143], -v[136:137], v[138:139], 1.0
	v_fmac_f64_e32 v[138:139], v[138:139], v[142:143]
	v_fma_f64 v[142:143], -v[136:137], v[138:139], 1.0
	v_fmac_f64_e32 v[138:139], v[138:139], v[142:143]
	v_mul_f64 v[142:143], v[140:141], v[138:139]
	v_fma_f64 v[136:137], -v[136:137], v[142:143], v[140:141]
	v_div_fmas_f64 v[136:137], v[136:137], v[138:139], v[142:143]
	v_div_fixup_f64 v[126:127], v[136:137], v[126:127], 1.0
; %bb.461:
	s_or_b64 exec, exec, s[0:1]
	v_cmp_ne_u32_e32 vcc, v131, v128
	s_and_saveexec_b64 s[0:1], vcc
	s_xor_b64 s[0:1], exec, s[0:1]
	s_cbranch_execz .LBB120_467
; %bb.462:
	v_cmp_eq_u32_e32 vcc, 27, v131
	s_and_saveexec_b64 s[2:3], vcc
	s_cbranch_execz .LBB120_466
; %bb.463:
	v_cmp_ne_u32_e32 vcc, 27, v128
	s_xor_b64 s[14:15], s[6:7], -1
	s_and_b64 s[16:17], s[14:15], vcc
	s_and_saveexec_b64 s[14:15], s[16:17]
	s_cbranch_execz .LBB120_465
; %bb.464:
	v_ashrrev_i32_e32 v129, 31, v128
	v_lshlrev_b64 v[136:137], 2, v[128:129]
	v_add_co_u32_e32 v136, vcc, v4, v136
	v_addc_co_u32_e32 v137, vcc, v5, v137, vcc
	flat_load_dword v129, v[136:137]
	flat_load_dword v131, v[4:5] offset:108
	s_waitcnt vmcnt(0) lgkmcnt(0)
	flat_store_dword v[4:5], v129 offset:108
	flat_store_dword v[136:137], v131
.LBB120_465:
	s_or_b64 exec, exec, s[14:15]
	v_mov_b32_e32 v129, v128
	v_mov_b32_e32 v131, v128
.LBB120_466:
	s_or_b64 exec, exec, s[2:3]
.LBB120_467:
	s_andn2_saveexec_b64 s[0:1], s[0:1]
	s_cbranch_execz .LBB120_469
; %bb.468:
	v_mov_b32_e32 v136, v66
	v_mov_b32_e32 v137, v67
	v_mov_b32_e32 v138, v64
	v_mov_b32_e32 v139, v65
	ds_write2_b64 v130, v[136:137], v[138:139] offset0:28 offset1:29
	v_mov_b32_e32 v136, v62
	v_mov_b32_e32 v137, v63
	v_mov_b32_e32 v138, v60
	v_mov_b32_e32 v139, v61
	ds_write2_b64 v130, v[136:137], v[138:139] offset0:30 offset1:31
	;; [unrolled: 5-line block ×15, first 2 shown]
	v_mov_b32_e32 v136, v6
	v_mov_b32_e32 v137, v7
	;; [unrolled: 1-line block ×5, first 2 shown]
	ds_write2_b64 v130, v[136:137], v[138:139] offset0:58 offset1:59
	ds_write_b64 v130, v[124:125] offset:480
.LBB120_469:
	s_or_b64 exec, exec, s[0:1]
	v_cmp_lt_i32_e32 vcc, 27, v131
	s_waitcnt lgkmcnt(0)
	s_barrier
	s_and_saveexec_b64 s[0:1], vcc
	s_cbranch_execz .LBB120_471
; %bb.470:
	ds_read2_b64 v[136:139], v130 offset0:28 offset1:29
	ds_read2_b64 v[140:143], v130 offset0:30 offset1:31
	v_mul_f64 v[68:69], v[126:127], v[68:69]
	ds_read2_b64 v[144:147], v130 offset0:32 offset1:33
	ds_read_b64 v[126:127], v130 offset:480
	s_waitcnt lgkmcnt(0)
	v_fma_f64 v[66:67], -v[68:69], v[136:137], v[66:67]
	v_fma_f64 v[64:65], -v[68:69], v[138:139], v[64:65]
	ds_read2_b64 v[136:139], v130 offset0:34 offset1:35
	v_fma_f64 v[62:63], -v[68:69], v[140:141], v[62:63]
	v_fma_f64 v[60:61], -v[68:69], v[142:143], v[60:61]
	;; [unrolled: 1-line block ×3, first 2 shown]
	ds_read2_b64 v[140:143], v130 offset0:36 offset1:37
	v_fma_f64 v[56:57], -v[68:69], v[146:147], v[56:57]
	ds_read2_b64 v[144:147], v130 offset0:38 offset1:39
	s_waitcnt lgkmcnt(0)
	v_fma_f64 v[54:55], -v[68:69], v[136:137], v[54:55]
	v_fma_f64 v[52:53], -v[68:69], v[138:139], v[52:53]
	ds_read2_b64 v[136:139], v130 offset0:40 offset1:41
	v_fma_f64 v[50:51], -v[68:69], v[140:141], v[50:51]
	v_fma_f64 v[48:49], -v[68:69], v[142:143], v[48:49]
	ds_read2_b64 v[140:143], v130 offset0:42 offset1:43
	v_fma_f64 v[46:47], -v[68:69], v[144:145], v[46:47]
	v_fma_f64 v[44:45], -v[68:69], v[146:147], v[44:45]
	s_waitcnt lgkmcnt(0)
	v_fma_f64 v[42:43], -v[68:69], v[136:137], v[42:43]
	ds_read2_b64 v[144:147], v130 offset0:44 offset1:45
	v_fma_f64 v[40:41], -v[68:69], v[138:139], v[40:41]
	ds_read2_b64 v[136:139], v130 offset0:46 offset1:47
	v_fma_f64 v[38:39], -v[68:69], v[140:141], v[38:39]
	v_fma_f64 v[36:37], -v[68:69], v[142:143], v[36:37]
	s_waitcnt lgkmcnt(0)
	v_fma_f64 v[34:35], -v[68:69], v[144:145], v[34:35]
	ds_read2_b64 v[140:143], v130 offset0:48 offset1:49
	v_fma_f64 v[32:33], -v[68:69], v[146:147], v[32:33]
	ds_read2_b64 v[144:147], v130 offset0:50 offset1:51
	v_fma_f64 v[30:31], -v[68:69], v[136:137], v[30:31]
	v_fma_f64 v[28:29], -v[68:69], v[138:139], v[28:29]
	ds_read2_b64 v[136:139], v130 offset0:52 offset1:53
	s_waitcnt lgkmcnt(0)
	v_fma_f64 v[26:27], -v[68:69], v[140:141], v[26:27]
	v_fma_f64 v[24:25], -v[68:69], v[142:143], v[24:25]
	ds_read2_b64 v[140:143], v130 offset0:54 offset1:55
	v_fma_f64 v[22:23], -v[68:69], v[144:145], v[22:23]
	v_fma_f64 v[20:21], -v[68:69], v[146:147], v[20:21]
	;; [unrolled: 1-line block ×4, first 2 shown]
	ds_read2_b64 v[136:139], v130 offset0:56 offset1:57
	ds_read2_b64 v[144:147], v130 offset0:58 offset1:59
	s_waitcnt lgkmcnt(0)
	v_fma_f64 v[14:15], -v[68:69], v[140:141], v[14:15]
	v_fma_f64 v[12:13], -v[68:69], v[142:143], v[12:13]
	;; [unrolled: 1-line block ×7, first 2 shown]
.LBB120_471:
	s_or_b64 exec, exec, s[0:1]
	v_lshl_add_u32 v126, v131, 3, v130
	s_barrier
	ds_write_b64 v126, v[66:67]
	s_waitcnt lgkmcnt(0)
	s_barrier
	ds_read_b64 v[126:127], v130 offset:224
	s_cmp_lt_i32 s18, 30
	v_mov_b32_e32 v128, 28
	s_cbranch_scc1 .LBB120_474
; %bb.472:
	v_add_u32_e32 v135, 0xe8, v130
	s_mov_b32 s0, 29
	v_mov_b32_e32 v128, 28
.LBB120_473:                            ; =>This Inner Loop Header: Depth=1
	ds_read_b64 v[136:137], v135
	v_mov_b32_e32 v138, s0
	s_add_i32 s0, s0, 1
	v_add_u32_e32 v135, 8, v135
	s_cmp_lg_u32 s18, s0
	s_waitcnt lgkmcnt(0)
	v_cmp_lt_f64_e64 vcc, |v[126:127]|, |v[136:137]|
	v_cndmask_b32_e32 v127, v127, v137, vcc
	v_cndmask_b32_e32 v126, v126, v136, vcc
	;; [unrolled: 1-line block ×3, first 2 shown]
	s_cbranch_scc1 .LBB120_473
.LBB120_474:
	s_waitcnt lgkmcnt(0)
	v_cmp_eq_f64_e32 vcc, 0, v[126:127]
	s_and_saveexec_b64 s[0:1], vcc
	s_xor_b64 s[0:1], exec, s[0:1]
; %bb.475:
	v_cmp_ne_u32_e32 vcc, 0, v134
	v_cndmask_b32_e32 v134, 29, v134, vcc
; %bb.476:
	s_andn2_saveexec_b64 s[0:1], s[0:1]
; %bb.477:
	v_div_scale_f64 v[136:137], s[2:3], v[126:127], v[126:127], 1.0
	v_rcp_f64_e32 v[138:139], v[136:137]
	v_div_scale_f64 v[140:141], vcc, 1.0, v[126:127], 1.0
	v_fma_f64 v[142:143], -v[136:137], v[138:139], 1.0
	v_fmac_f64_e32 v[138:139], v[138:139], v[142:143]
	v_fma_f64 v[142:143], -v[136:137], v[138:139], 1.0
	v_fmac_f64_e32 v[138:139], v[138:139], v[142:143]
	v_mul_f64 v[142:143], v[140:141], v[138:139]
	v_fma_f64 v[136:137], -v[136:137], v[142:143], v[140:141]
	v_div_fmas_f64 v[136:137], v[136:137], v[138:139], v[142:143]
	v_div_fixup_f64 v[126:127], v[136:137], v[126:127], 1.0
; %bb.478:
	s_or_b64 exec, exec, s[0:1]
	v_cmp_ne_u32_e32 vcc, v131, v128
	s_and_saveexec_b64 s[0:1], vcc
	s_xor_b64 s[0:1], exec, s[0:1]
	s_cbranch_execz .LBB120_484
; %bb.479:
	v_cmp_eq_u32_e32 vcc, 28, v131
	s_and_saveexec_b64 s[2:3], vcc
	s_cbranch_execz .LBB120_483
; %bb.480:
	v_cmp_ne_u32_e32 vcc, 28, v128
	s_xor_b64 s[14:15], s[6:7], -1
	s_and_b64 s[16:17], s[14:15], vcc
	s_and_saveexec_b64 s[14:15], s[16:17]
	s_cbranch_execz .LBB120_482
; %bb.481:
	v_ashrrev_i32_e32 v129, 31, v128
	v_lshlrev_b64 v[136:137], 2, v[128:129]
	v_add_co_u32_e32 v136, vcc, v4, v136
	v_addc_co_u32_e32 v137, vcc, v5, v137, vcc
	flat_load_dword v129, v[136:137]
	flat_load_dword v131, v[4:5] offset:112
	s_waitcnt vmcnt(0) lgkmcnt(0)
	flat_store_dword v[4:5], v129 offset:112
	flat_store_dword v[136:137], v131
.LBB120_482:
	s_or_b64 exec, exec, s[14:15]
	v_mov_b32_e32 v129, v128
	v_mov_b32_e32 v131, v128
.LBB120_483:
	s_or_b64 exec, exec, s[2:3]
.LBB120_484:
	s_andn2_saveexec_b64 s[0:1], s[0:1]
	s_cbranch_execz .LBB120_486
; %bb.485:
	v_mov_b32_e32 v131, 28
	ds_write2_b64 v130, v[64:65], v[62:63] offset0:29 offset1:30
	ds_write2_b64 v130, v[60:61], v[58:59] offset0:31 offset1:32
	;; [unrolled: 1-line block ×16, first 2 shown]
.LBB120_486:
	s_or_b64 exec, exec, s[0:1]
	v_cmp_lt_i32_e32 vcc, 28, v131
	s_waitcnt lgkmcnt(0)
	s_barrier
	s_and_saveexec_b64 s[0:1], vcc
	s_cbranch_execz .LBB120_488
; %bb.487:
	ds_read2_b64 v[136:139], v130 offset0:29 offset1:30
	ds_read2_b64 v[140:143], v130 offset0:31 offset1:32
	v_mul_f64 v[66:67], v[126:127], v[66:67]
	ds_read2_b64 v[144:147], v130 offset0:33 offset1:34
	s_waitcnt lgkmcnt(0)
	v_fma_f64 v[64:65], -v[66:67], v[136:137], v[64:65]
	v_fma_f64 v[62:63], -v[66:67], v[138:139], v[62:63]
	ds_read2_b64 v[136:139], v130 offset0:35 offset1:36
	v_fma_f64 v[60:61], -v[66:67], v[140:141], v[60:61]
	v_fma_f64 v[58:59], -v[66:67], v[142:143], v[58:59]
	;; [unrolled: 1-line block ×3, first 2 shown]
	ds_read2_b64 v[140:143], v130 offset0:37 offset1:38
	v_fma_f64 v[54:55], -v[66:67], v[146:147], v[54:55]
	ds_read2_b64 v[144:147], v130 offset0:39 offset1:40
	s_waitcnt lgkmcnt(0)
	v_fma_f64 v[52:53], -v[66:67], v[136:137], v[52:53]
	v_fma_f64 v[50:51], -v[66:67], v[138:139], v[50:51]
	ds_read2_b64 v[136:139], v130 offset0:41 offset1:42
	v_fma_f64 v[48:49], -v[66:67], v[140:141], v[48:49]
	v_fma_f64 v[46:47], -v[66:67], v[142:143], v[46:47]
	ds_read2_b64 v[140:143], v130 offset0:43 offset1:44
	v_fma_f64 v[44:45], -v[66:67], v[144:145], v[44:45]
	v_fma_f64 v[42:43], -v[66:67], v[146:147], v[42:43]
	s_waitcnt lgkmcnt(0)
	v_fma_f64 v[40:41], -v[66:67], v[136:137], v[40:41]
	ds_read2_b64 v[144:147], v130 offset0:45 offset1:46
	v_fma_f64 v[38:39], -v[66:67], v[138:139], v[38:39]
	ds_read2_b64 v[136:139], v130 offset0:47 offset1:48
	v_fma_f64 v[36:37], -v[66:67], v[140:141], v[36:37]
	v_fma_f64 v[34:35], -v[66:67], v[142:143], v[34:35]
	s_waitcnt lgkmcnt(0)
	v_fma_f64 v[32:33], -v[66:67], v[144:145], v[32:33]
	ds_read2_b64 v[140:143], v130 offset0:49 offset1:50
	v_fma_f64 v[30:31], -v[66:67], v[146:147], v[30:31]
	ds_read2_b64 v[144:147], v130 offset0:51 offset1:52
	v_fma_f64 v[28:29], -v[66:67], v[136:137], v[28:29]
	v_fma_f64 v[26:27], -v[66:67], v[138:139], v[26:27]
	ds_read2_b64 v[136:139], v130 offset0:53 offset1:54
	s_waitcnt lgkmcnt(0)
	v_fma_f64 v[24:25], -v[66:67], v[140:141], v[24:25]
	v_fma_f64 v[22:23], -v[66:67], v[142:143], v[22:23]
	ds_read2_b64 v[140:143], v130 offset0:55 offset1:56
	v_fma_f64 v[20:21], -v[66:67], v[144:145], v[20:21]
	v_fma_f64 v[18:19], -v[66:67], v[146:147], v[18:19]
	;; [unrolled: 1-line block ×3, first 2 shown]
	ds_read2_b64 v[144:147], v130 offset0:57 offset1:58
	v_fma_f64 v[14:15], -v[66:67], v[138:139], v[14:15]
	ds_read2_b64 v[136:139], v130 offset0:59 offset1:60
	s_waitcnt lgkmcnt(0)
	v_fma_f64 v[12:13], -v[66:67], v[140:141], v[12:13]
	v_fma_f64 v[10:11], -v[66:67], v[142:143], v[10:11]
	;; [unrolled: 1-line block ×6, first 2 shown]
.LBB120_488:
	s_or_b64 exec, exec, s[0:1]
	v_lshl_add_u32 v126, v131, 3, v130
	s_barrier
	ds_write_b64 v126, v[64:65]
	s_waitcnt lgkmcnt(0)
	s_barrier
	ds_read_b64 v[126:127], v130 offset:232
	s_cmp_lt_i32 s18, 31
	v_mov_b32_e32 v128, 29
	s_cbranch_scc1 .LBB120_491
; %bb.489:
	v_add_u32_e32 v135, 0xf0, v130
	s_mov_b32 s0, 30
	v_mov_b32_e32 v128, 29
.LBB120_490:                            ; =>This Inner Loop Header: Depth=1
	ds_read_b64 v[136:137], v135
	v_mov_b32_e32 v138, s0
	s_add_i32 s0, s0, 1
	v_add_u32_e32 v135, 8, v135
	s_cmp_lg_u32 s18, s0
	s_waitcnt lgkmcnt(0)
	v_cmp_lt_f64_e64 vcc, |v[126:127]|, |v[136:137]|
	v_cndmask_b32_e32 v127, v127, v137, vcc
	v_cndmask_b32_e32 v126, v126, v136, vcc
	;; [unrolled: 1-line block ×3, first 2 shown]
	s_cbranch_scc1 .LBB120_490
.LBB120_491:
	s_waitcnt lgkmcnt(0)
	v_cmp_eq_f64_e32 vcc, 0, v[126:127]
	s_and_saveexec_b64 s[0:1], vcc
	s_xor_b64 s[0:1], exec, s[0:1]
; %bb.492:
	v_cmp_ne_u32_e32 vcc, 0, v134
	v_cndmask_b32_e32 v134, 30, v134, vcc
; %bb.493:
	s_andn2_saveexec_b64 s[0:1], s[0:1]
; %bb.494:
	v_div_scale_f64 v[136:137], s[2:3], v[126:127], v[126:127], 1.0
	v_rcp_f64_e32 v[138:139], v[136:137]
	v_div_scale_f64 v[140:141], vcc, 1.0, v[126:127], 1.0
	v_fma_f64 v[142:143], -v[136:137], v[138:139], 1.0
	v_fmac_f64_e32 v[138:139], v[138:139], v[142:143]
	v_fma_f64 v[142:143], -v[136:137], v[138:139], 1.0
	v_fmac_f64_e32 v[138:139], v[138:139], v[142:143]
	v_mul_f64 v[142:143], v[140:141], v[138:139]
	v_fma_f64 v[136:137], -v[136:137], v[142:143], v[140:141]
	v_div_fmas_f64 v[136:137], v[136:137], v[138:139], v[142:143]
	v_div_fixup_f64 v[126:127], v[136:137], v[126:127], 1.0
; %bb.495:
	s_or_b64 exec, exec, s[0:1]
	v_cmp_ne_u32_e32 vcc, v131, v128
	s_and_saveexec_b64 s[0:1], vcc
	s_xor_b64 s[0:1], exec, s[0:1]
	s_cbranch_execz .LBB120_501
; %bb.496:
	v_cmp_eq_u32_e32 vcc, 29, v131
	s_and_saveexec_b64 s[2:3], vcc
	s_cbranch_execz .LBB120_500
; %bb.497:
	v_cmp_ne_u32_e32 vcc, 29, v128
	s_xor_b64 s[14:15], s[6:7], -1
	s_and_b64 s[16:17], s[14:15], vcc
	s_and_saveexec_b64 s[14:15], s[16:17]
	s_cbranch_execz .LBB120_499
; %bb.498:
	v_ashrrev_i32_e32 v129, 31, v128
	v_lshlrev_b64 v[136:137], 2, v[128:129]
	v_add_co_u32_e32 v136, vcc, v4, v136
	v_addc_co_u32_e32 v137, vcc, v5, v137, vcc
	flat_load_dword v129, v[136:137]
	flat_load_dword v131, v[4:5] offset:116
	s_waitcnt vmcnt(0) lgkmcnt(0)
	flat_store_dword v[4:5], v129 offset:116
	flat_store_dword v[136:137], v131
.LBB120_499:
	s_or_b64 exec, exec, s[14:15]
	v_mov_b32_e32 v129, v128
	v_mov_b32_e32 v131, v128
.LBB120_500:
	s_or_b64 exec, exec, s[2:3]
.LBB120_501:
	s_andn2_saveexec_b64 s[0:1], s[0:1]
	s_cbranch_execz .LBB120_503
; %bb.502:
	v_mov_b32_e32 v136, v62
	v_mov_b32_e32 v137, v63
	v_mov_b32_e32 v138, v60
	v_mov_b32_e32 v139, v61
	ds_write2_b64 v130, v[136:137], v[138:139] offset0:30 offset1:31
	v_mov_b32_e32 v136, v58
	v_mov_b32_e32 v137, v59
	v_mov_b32_e32 v138, v56
	v_mov_b32_e32 v139, v57
	ds_write2_b64 v130, v[136:137], v[138:139] offset0:32 offset1:33
	;; [unrolled: 5-line block ×14, first 2 shown]
	v_mov_b32_e32 v136, v6
	v_mov_b32_e32 v137, v7
	;; [unrolled: 1-line block ×5, first 2 shown]
	ds_write2_b64 v130, v[136:137], v[138:139] offset0:58 offset1:59
	ds_write_b64 v130, v[124:125] offset:480
.LBB120_503:
	s_or_b64 exec, exec, s[0:1]
	v_cmp_lt_i32_e32 vcc, 29, v131
	s_waitcnt lgkmcnt(0)
	s_barrier
	s_and_saveexec_b64 s[0:1], vcc
	s_cbranch_execz .LBB120_505
; %bb.504:
	ds_read2_b64 v[136:139], v130 offset0:30 offset1:31
	ds_read2_b64 v[140:143], v130 offset0:32 offset1:33
	;; [unrolled: 1-line block ×3, first 2 shown]
	v_mul_f64 v[64:65], v[126:127], v[64:65]
	ds_read_b64 v[126:127], v130 offset:480
	s_waitcnt lgkmcnt(0)
	v_fma_f64 v[62:63], -v[64:65], v[136:137], v[62:63]
	v_fma_f64 v[60:61], -v[64:65], v[138:139], v[60:61]
	ds_read2_b64 v[136:139], v130 offset0:36 offset1:37
	v_fma_f64 v[58:59], -v[64:65], v[140:141], v[58:59]
	v_fma_f64 v[56:57], -v[64:65], v[142:143], v[56:57]
	v_fma_f64 v[54:55], -v[64:65], v[144:145], v[54:55]
	ds_read2_b64 v[140:143], v130 offset0:38 offset1:39
	v_fma_f64 v[52:53], -v[64:65], v[146:147], v[52:53]
	ds_read2_b64 v[144:147], v130 offset0:40 offset1:41
	s_waitcnt lgkmcnt(0)
	v_fma_f64 v[50:51], -v[64:65], v[136:137], v[50:51]
	v_fma_f64 v[48:49], -v[64:65], v[138:139], v[48:49]
	;; [unrolled: 1-line block ×3, first 2 shown]
	ds_read2_b64 v[136:139], v130 offset0:42 offset1:43
	v_fma_f64 v[44:45], -v[64:65], v[142:143], v[44:45]
	ds_read2_b64 v[140:143], v130 offset0:44 offset1:45
	v_fma_f64 v[42:43], -v[64:65], v[144:145], v[42:43]
	v_fma_f64 v[40:41], -v[64:65], v[146:147], v[40:41]
	ds_read2_b64 v[144:147], v130 offset0:46 offset1:47
	s_waitcnt lgkmcnt(0)
	v_fma_f64 v[38:39], -v[64:65], v[136:137], v[38:39]
	v_fma_f64 v[36:37], -v[64:65], v[138:139], v[36:37]
	ds_read2_b64 v[136:139], v130 offset0:48 offset1:49
	v_fma_f64 v[34:35], -v[64:65], v[140:141], v[34:35]
	v_fma_f64 v[32:33], -v[64:65], v[142:143], v[32:33]
	;; [unrolled: 1-line block ×3, first 2 shown]
	ds_read2_b64 v[140:143], v130 offset0:50 offset1:51
	v_fma_f64 v[28:29], -v[64:65], v[146:147], v[28:29]
	ds_read2_b64 v[144:147], v130 offset0:52 offset1:53
	s_waitcnt lgkmcnt(0)
	v_fma_f64 v[26:27], -v[64:65], v[136:137], v[26:27]
	v_fma_f64 v[24:25], -v[64:65], v[138:139], v[24:25]
	v_fma_f64 v[22:23], -v[64:65], v[140:141], v[22:23]
	ds_read2_b64 v[136:139], v130 offset0:54 offset1:55
	v_fma_f64 v[20:21], -v[64:65], v[142:143], v[20:21]
	ds_read2_b64 v[140:143], v130 offset0:56 offset1:57
	v_fma_f64 v[18:19], -v[64:65], v[144:145], v[18:19]
	v_fma_f64 v[16:17], -v[64:65], v[146:147], v[16:17]
	ds_read2_b64 v[144:147], v130 offset0:58 offset1:59
	s_waitcnt lgkmcnt(0)
	v_fma_f64 v[14:15], -v[64:65], v[136:137], v[14:15]
	v_fma_f64 v[12:13], -v[64:65], v[138:139], v[12:13]
	;; [unrolled: 1-line block ×7, first 2 shown]
.LBB120_505:
	s_or_b64 exec, exec, s[0:1]
	v_lshl_add_u32 v126, v131, 3, v130
	s_barrier
	ds_write_b64 v126, v[62:63]
	s_waitcnt lgkmcnt(0)
	s_barrier
	ds_read_b64 v[126:127], v130 offset:240
	s_cmp_lt_i32 s18, 32
	v_mov_b32_e32 v128, 30
	s_cbranch_scc1 .LBB120_508
; %bb.506:
	v_add_u32_e32 v135, 0xf8, v130
	s_mov_b32 s0, 31
	v_mov_b32_e32 v128, 30
.LBB120_507:                            ; =>This Inner Loop Header: Depth=1
	ds_read_b64 v[136:137], v135
	v_mov_b32_e32 v138, s0
	s_add_i32 s0, s0, 1
	v_add_u32_e32 v135, 8, v135
	s_cmp_lg_u32 s18, s0
	s_waitcnt lgkmcnt(0)
	v_cmp_lt_f64_e64 vcc, |v[126:127]|, |v[136:137]|
	v_cndmask_b32_e32 v127, v127, v137, vcc
	v_cndmask_b32_e32 v126, v126, v136, vcc
	v_cndmask_b32_e32 v128, v128, v138, vcc
	s_cbranch_scc1 .LBB120_507
.LBB120_508:
	s_waitcnt lgkmcnt(0)
	v_cmp_eq_f64_e32 vcc, 0, v[126:127]
	s_and_saveexec_b64 s[0:1], vcc
	s_xor_b64 s[0:1], exec, s[0:1]
; %bb.509:
	v_cmp_ne_u32_e32 vcc, 0, v134
	v_cndmask_b32_e32 v134, 31, v134, vcc
; %bb.510:
	s_andn2_saveexec_b64 s[0:1], s[0:1]
; %bb.511:
	v_div_scale_f64 v[136:137], s[2:3], v[126:127], v[126:127], 1.0
	v_rcp_f64_e32 v[138:139], v[136:137]
	v_div_scale_f64 v[140:141], vcc, 1.0, v[126:127], 1.0
	v_fma_f64 v[142:143], -v[136:137], v[138:139], 1.0
	v_fmac_f64_e32 v[138:139], v[138:139], v[142:143]
	v_fma_f64 v[142:143], -v[136:137], v[138:139], 1.0
	v_fmac_f64_e32 v[138:139], v[138:139], v[142:143]
	v_mul_f64 v[142:143], v[140:141], v[138:139]
	v_fma_f64 v[136:137], -v[136:137], v[142:143], v[140:141]
	v_div_fmas_f64 v[136:137], v[136:137], v[138:139], v[142:143]
	v_div_fixup_f64 v[126:127], v[136:137], v[126:127], 1.0
; %bb.512:
	s_or_b64 exec, exec, s[0:1]
	v_cmp_ne_u32_e32 vcc, v131, v128
	s_and_saveexec_b64 s[0:1], vcc
	s_xor_b64 s[0:1], exec, s[0:1]
	s_cbranch_execz .LBB120_518
; %bb.513:
	v_cmp_eq_u32_e32 vcc, 30, v131
	s_and_saveexec_b64 s[2:3], vcc
	s_cbranch_execz .LBB120_517
; %bb.514:
	v_cmp_ne_u32_e32 vcc, 30, v128
	s_xor_b64 s[14:15], s[6:7], -1
	s_and_b64 s[16:17], s[14:15], vcc
	s_and_saveexec_b64 s[14:15], s[16:17]
	s_cbranch_execz .LBB120_516
; %bb.515:
	v_ashrrev_i32_e32 v129, 31, v128
	v_lshlrev_b64 v[136:137], 2, v[128:129]
	v_add_co_u32_e32 v136, vcc, v4, v136
	v_addc_co_u32_e32 v137, vcc, v5, v137, vcc
	flat_load_dword v129, v[136:137]
	flat_load_dword v131, v[4:5] offset:120
	s_waitcnt vmcnt(0) lgkmcnt(0)
	flat_store_dword v[4:5], v129 offset:120
	flat_store_dword v[136:137], v131
.LBB120_516:
	s_or_b64 exec, exec, s[14:15]
	v_mov_b32_e32 v129, v128
	v_mov_b32_e32 v131, v128
.LBB120_517:
	s_or_b64 exec, exec, s[2:3]
.LBB120_518:
	s_andn2_saveexec_b64 s[0:1], s[0:1]
	s_cbranch_execz .LBB120_520
; %bb.519:
	v_mov_b32_e32 v131, 30
	ds_write2_b64 v130, v[60:61], v[58:59] offset0:31 offset1:32
	ds_write2_b64 v130, v[56:57], v[54:55] offset0:33 offset1:34
	ds_write2_b64 v130, v[52:53], v[50:51] offset0:35 offset1:36
	ds_write2_b64 v130, v[48:49], v[46:47] offset0:37 offset1:38
	ds_write2_b64 v130, v[44:45], v[42:43] offset0:39 offset1:40
	ds_write2_b64 v130, v[40:41], v[38:39] offset0:41 offset1:42
	ds_write2_b64 v130, v[36:37], v[34:35] offset0:43 offset1:44
	ds_write2_b64 v130, v[32:33], v[30:31] offset0:45 offset1:46
	ds_write2_b64 v130, v[28:29], v[26:27] offset0:47 offset1:48
	ds_write2_b64 v130, v[24:25], v[22:23] offset0:49 offset1:50
	ds_write2_b64 v130, v[20:21], v[18:19] offset0:51 offset1:52
	ds_write2_b64 v130, v[16:17], v[14:15] offset0:53 offset1:54
	ds_write2_b64 v130, v[12:13], v[10:11] offset0:55 offset1:56
	ds_write2_b64 v130, v[8:9], v[6:7] offset0:57 offset1:58
	ds_write2_b64 v130, v[0:1], v[124:125] offset0:59 offset1:60
.LBB120_520:
	s_or_b64 exec, exec, s[0:1]
	v_cmp_lt_i32_e32 vcc, 30, v131
	s_waitcnt lgkmcnt(0)
	s_barrier
	s_and_saveexec_b64 s[0:1], vcc
	s_cbranch_execz .LBB120_522
; %bb.521:
	ds_read2_b64 v[136:139], v130 offset0:31 offset1:32
	ds_read2_b64 v[140:143], v130 offset0:33 offset1:34
	;; [unrolled: 1-line block ×3, first 2 shown]
	v_mul_f64 v[62:63], v[126:127], v[62:63]
	s_waitcnt lgkmcnt(0)
	v_fma_f64 v[60:61], -v[62:63], v[136:137], v[60:61]
	v_fma_f64 v[58:59], -v[62:63], v[138:139], v[58:59]
	ds_read2_b64 v[136:139], v130 offset0:37 offset1:38
	v_fma_f64 v[56:57], -v[62:63], v[140:141], v[56:57]
	v_fma_f64 v[54:55], -v[62:63], v[142:143], v[54:55]
	;; [unrolled: 1-line block ×3, first 2 shown]
	ds_read2_b64 v[140:143], v130 offset0:39 offset1:40
	v_fma_f64 v[50:51], -v[62:63], v[146:147], v[50:51]
	ds_read2_b64 v[144:147], v130 offset0:41 offset1:42
	s_waitcnt lgkmcnt(0)
	v_fma_f64 v[48:49], -v[62:63], v[136:137], v[48:49]
	v_fma_f64 v[46:47], -v[62:63], v[138:139], v[46:47]
	;; [unrolled: 1-line block ×3, first 2 shown]
	ds_read2_b64 v[136:139], v130 offset0:43 offset1:44
	v_fma_f64 v[42:43], -v[62:63], v[142:143], v[42:43]
	ds_read2_b64 v[140:143], v130 offset0:45 offset1:46
	v_fma_f64 v[40:41], -v[62:63], v[144:145], v[40:41]
	v_fma_f64 v[38:39], -v[62:63], v[146:147], v[38:39]
	ds_read2_b64 v[144:147], v130 offset0:47 offset1:48
	s_waitcnt lgkmcnt(0)
	v_fma_f64 v[36:37], -v[62:63], v[136:137], v[36:37]
	v_fma_f64 v[34:35], -v[62:63], v[138:139], v[34:35]
	ds_read2_b64 v[136:139], v130 offset0:49 offset1:50
	v_fma_f64 v[32:33], -v[62:63], v[140:141], v[32:33]
	v_fma_f64 v[30:31], -v[62:63], v[142:143], v[30:31]
	;; [unrolled: 1-line block ×3, first 2 shown]
	ds_read2_b64 v[140:143], v130 offset0:51 offset1:52
	v_fma_f64 v[26:27], -v[62:63], v[146:147], v[26:27]
	ds_read2_b64 v[144:147], v130 offset0:53 offset1:54
	s_waitcnt lgkmcnt(0)
	v_fma_f64 v[24:25], -v[62:63], v[136:137], v[24:25]
	v_fma_f64 v[22:23], -v[62:63], v[138:139], v[22:23]
	;; [unrolled: 1-line block ×4, first 2 shown]
	ds_read2_b64 v[136:139], v130 offset0:55 offset1:56
	ds_read2_b64 v[140:143], v130 offset0:57 offset1:58
	v_fma_f64 v[16:17], -v[62:63], v[144:145], v[16:17]
	v_fma_f64 v[14:15], -v[62:63], v[146:147], v[14:15]
	ds_read2_b64 v[144:147], v130 offset0:59 offset1:60
	s_waitcnt lgkmcnt(0)
	v_fma_f64 v[12:13], -v[62:63], v[136:137], v[12:13]
	v_fma_f64 v[10:11], -v[62:63], v[138:139], v[10:11]
	;; [unrolled: 1-line block ×6, first 2 shown]
.LBB120_522:
	s_or_b64 exec, exec, s[0:1]
	v_lshl_add_u32 v126, v131, 3, v130
	s_barrier
	ds_write_b64 v126, v[60:61]
	s_waitcnt lgkmcnt(0)
	s_barrier
	ds_read_b64 v[126:127], v130 offset:248
	s_cmp_lt_i32 s18, 33
	v_mov_b32_e32 v128, 31
	s_cbranch_scc1 .LBB120_525
; %bb.523:
	v_add_u32_e32 v135, 0x100, v130
	s_mov_b32 s0, 32
	v_mov_b32_e32 v128, 31
.LBB120_524:                            ; =>This Inner Loop Header: Depth=1
	ds_read_b64 v[136:137], v135
	v_mov_b32_e32 v138, s0
	s_add_i32 s0, s0, 1
	v_add_u32_e32 v135, 8, v135
	s_cmp_lg_u32 s18, s0
	s_waitcnt lgkmcnt(0)
	v_cmp_lt_f64_e64 vcc, |v[126:127]|, |v[136:137]|
	v_cndmask_b32_e32 v127, v127, v137, vcc
	v_cndmask_b32_e32 v126, v126, v136, vcc
	;; [unrolled: 1-line block ×3, first 2 shown]
	s_cbranch_scc1 .LBB120_524
.LBB120_525:
	s_waitcnt lgkmcnt(0)
	v_cmp_eq_f64_e32 vcc, 0, v[126:127]
	s_and_saveexec_b64 s[0:1], vcc
	s_xor_b64 s[0:1], exec, s[0:1]
; %bb.526:
	v_cmp_ne_u32_e32 vcc, 0, v134
	v_cndmask_b32_e32 v134, 32, v134, vcc
; %bb.527:
	s_andn2_saveexec_b64 s[0:1], s[0:1]
; %bb.528:
	v_div_scale_f64 v[136:137], s[2:3], v[126:127], v[126:127], 1.0
	v_rcp_f64_e32 v[138:139], v[136:137]
	v_div_scale_f64 v[140:141], vcc, 1.0, v[126:127], 1.0
	v_fma_f64 v[142:143], -v[136:137], v[138:139], 1.0
	v_fmac_f64_e32 v[138:139], v[138:139], v[142:143]
	v_fma_f64 v[142:143], -v[136:137], v[138:139], 1.0
	v_fmac_f64_e32 v[138:139], v[138:139], v[142:143]
	v_mul_f64 v[142:143], v[140:141], v[138:139]
	v_fma_f64 v[136:137], -v[136:137], v[142:143], v[140:141]
	v_div_fmas_f64 v[136:137], v[136:137], v[138:139], v[142:143]
	v_div_fixup_f64 v[126:127], v[136:137], v[126:127], 1.0
; %bb.529:
	s_or_b64 exec, exec, s[0:1]
	v_cmp_ne_u32_e32 vcc, v131, v128
	s_and_saveexec_b64 s[0:1], vcc
	s_xor_b64 s[0:1], exec, s[0:1]
	s_cbranch_execz .LBB120_535
; %bb.530:
	v_cmp_eq_u32_e32 vcc, 31, v131
	s_and_saveexec_b64 s[2:3], vcc
	s_cbranch_execz .LBB120_534
; %bb.531:
	v_cmp_ne_u32_e32 vcc, 31, v128
	s_xor_b64 s[14:15], s[6:7], -1
	s_and_b64 s[16:17], s[14:15], vcc
	s_and_saveexec_b64 s[14:15], s[16:17]
	s_cbranch_execz .LBB120_533
; %bb.532:
	v_ashrrev_i32_e32 v129, 31, v128
	v_lshlrev_b64 v[136:137], 2, v[128:129]
	v_add_co_u32_e32 v136, vcc, v4, v136
	v_addc_co_u32_e32 v137, vcc, v5, v137, vcc
	flat_load_dword v129, v[136:137]
	flat_load_dword v131, v[4:5] offset:124
	s_waitcnt vmcnt(0) lgkmcnt(0)
	flat_store_dword v[4:5], v129 offset:124
	flat_store_dword v[136:137], v131
.LBB120_533:
	s_or_b64 exec, exec, s[14:15]
	v_mov_b32_e32 v129, v128
	v_mov_b32_e32 v131, v128
.LBB120_534:
	s_or_b64 exec, exec, s[2:3]
.LBB120_535:
	s_andn2_saveexec_b64 s[0:1], s[0:1]
	s_cbranch_execz .LBB120_537
; %bb.536:
	v_mov_b32_e32 v136, v58
	v_mov_b32_e32 v137, v59
	v_mov_b32_e32 v138, v56
	v_mov_b32_e32 v139, v57
	ds_write2_b64 v130, v[136:137], v[138:139] offset0:32 offset1:33
	v_mov_b32_e32 v136, v54
	v_mov_b32_e32 v137, v55
	v_mov_b32_e32 v138, v52
	v_mov_b32_e32 v139, v53
	ds_write2_b64 v130, v[136:137], v[138:139] offset0:34 offset1:35
	;; [unrolled: 5-line block ×13, first 2 shown]
	v_mov_b32_e32 v136, v6
	v_mov_b32_e32 v137, v7
	;; [unrolled: 1-line block ×5, first 2 shown]
	ds_write2_b64 v130, v[136:137], v[138:139] offset0:58 offset1:59
	ds_write_b64 v130, v[124:125] offset:480
.LBB120_537:
	s_or_b64 exec, exec, s[0:1]
	v_cmp_lt_i32_e32 vcc, 31, v131
	s_waitcnt lgkmcnt(0)
	s_barrier
	s_and_saveexec_b64 s[0:1], vcc
	s_cbranch_execz .LBB120_539
; %bb.538:
	ds_read2_b64 v[136:139], v130 offset0:32 offset1:33
	ds_read2_b64 v[140:143], v130 offset0:34 offset1:35
	v_mul_f64 v[60:61], v[126:127], v[60:61]
	ds_read2_b64 v[144:147], v130 offset0:36 offset1:37
	ds_read_b64 v[126:127], v130 offset:480
	s_waitcnt lgkmcnt(0)
	v_fma_f64 v[58:59], -v[60:61], v[136:137], v[58:59]
	v_fma_f64 v[56:57], -v[60:61], v[138:139], v[56:57]
	ds_read2_b64 v[136:139], v130 offset0:38 offset1:39
	v_fma_f64 v[54:55], -v[60:61], v[140:141], v[54:55]
	v_fma_f64 v[52:53], -v[60:61], v[142:143], v[52:53]
	ds_read2_b64 v[140:143], v130 offset0:40 offset1:41
	;; [unrolled: 3-line block ×3, first 2 shown]
	s_waitcnt lgkmcnt(0)
	v_fma_f64 v[46:47], -v[60:61], v[136:137], v[46:47]
	v_fma_f64 v[44:45], -v[60:61], v[138:139], v[44:45]
	;; [unrolled: 1-line block ×3, first 2 shown]
	ds_read2_b64 v[136:139], v130 offset0:44 offset1:45
	v_fma_f64 v[40:41], -v[60:61], v[142:143], v[40:41]
	ds_read2_b64 v[140:143], v130 offset0:46 offset1:47
	v_fma_f64 v[38:39], -v[60:61], v[144:145], v[38:39]
	v_fma_f64 v[36:37], -v[60:61], v[146:147], v[36:37]
	s_waitcnt lgkmcnt(0)
	v_fma_f64 v[34:35], -v[60:61], v[136:137], v[34:35]
	ds_read2_b64 v[144:147], v130 offset0:48 offset1:49
	v_fma_f64 v[32:33], -v[60:61], v[138:139], v[32:33]
	ds_read2_b64 v[136:139], v130 offset0:50 offset1:51
	v_fma_f64 v[30:31], -v[60:61], v[140:141], v[30:31]
	v_fma_f64 v[28:29], -v[60:61], v[142:143], v[28:29]
	ds_read2_b64 v[140:143], v130 offset0:52 offset1:53
	s_waitcnt lgkmcnt(0)
	v_fma_f64 v[26:27], -v[60:61], v[144:145], v[26:27]
	v_fma_f64 v[24:25], -v[60:61], v[146:147], v[24:25]
	ds_read2_b64 v[144:147], v130 offset0:54 offset1:55
	v_fma_f64 v[22:23], -v[60:61], v[136:137], v[22:23]
	v_fma_f64 v[20:21], -v[60:61], v[138:139], v[20:21]
	;; [unrolled: 1-line block ×4, first 2 shown]
	ds_read2_b64 v[136:139], v130 offset0:56 offset1:57
	ds_read2_b64 v[140:143], v130 offset0:58 offset1:59
	s_waitcnt lgkmcnt(0)
	v_fma_f64 v[14:15], -v[60:61], v[144:145], v[14:15]
	v_fma_f64 v[12:13], -v[60:61], v[146:147], v[12:13]
	;; [unrolled: 1-line block ×7, first 2 shown]
.LBB120_539:
	s_or_b64 exec, exec, s[0:1]
	v_lshl_add_u32 v126, v131, 3, v130
	s_barrier
	ds_write_b64 v126, v[58:59]
	s_waitcnt lgkmcnt(0)
	s_barrier
	ds_read_b64 v[126:127], v130 offset:256
	s_cmp_lt_i32 s18, 34
	v_mov_b32_e32 v128, 32
	s_cbranch_scc1 .LBB120_542
; %bb.540:
	v_add_u32_e32 v135, 0x108, v130
	s_mov_b32 s0, 33
	v_mov_b32_e32 v128, 32
.LBB120_541:                            ; =>This Inner Loop Header: Depth=1
	ds_read_b64 v[136:137], v135
	v_mov_b32_e32 v138, s0
	s_add_i32 s0, s0, 1
	v_add_u32_e32 v135, 8, v135
	s_cmp_lg_u32 s18, s0
	s_waitcnt lgkmcnt(0)
	v_cmp_lt_f64_e64 vcc, |v[126:127]|, |v[136:137]|
	v_cndmask_b32_e32 v127, v127, v137, vcc
	v_cndmask_b32_e32 v126, v126, v136, vcc
	;; [unrolled: 1-line block ×3, first 2 shown]
	s_cbranch_scc1 .LBB120_541
.LBB120_542:
	s_waitcnt lgkmcnt(0)
	v_cmp_eq_f64_e32 vcc, 0, v[126:127]
	s_and_saveexec_b64 s[0:1], vcc
	s_xor_b64 s[0:1], exec, s[0:1]
; %bb.543:
	v_cmp_ne_u32_e32 vcc, 0, v134
	v_cndmask_b32_e32 v134, 33, v134, vcc
; %bb.544:
	s_andn2_saveexec_b64 s[0:1], s[0:1]
; %bb.545:
	v_div_scale_f64 v[136:137], s[2:3], v[126:127], v[126:127], 1.0
	v_rcp_f64_e32 v[138:139], v[136:137]
	v_div_scale_f64 v[140:141], vcc, 1.0, v[126:127], 1.0
	v_fma_f64 v[142:143], -v[136:137], v[138:139], 1.0
	v_fmac_f64_e32 v[138:139], v[138:139], v[142:143]
	v_fma_f64 v[142:143], -v[136:137], v[138:139], 1.0
	v_fmac_f64_e32 v[138:139], v[138:139], v[142:143]
	v_mul_f64 v[142:143], v[140:141], v[138:139]
	v_fma_f64 v[136:137], -v[136:137], v[142:143], v[140:141]
	v_div_fmas_f64 v[136:137], v[136:137], v[138:139], v[142:143]
	v_div_fixup_f64 v[126:127], v[136:137], v[126:127], 1.0
; %bb.546:
	s_or_b64 exec, exec, s[0:1]
	v_cmp_ne_u32_e32 vcc, v131, v128
	s_and_saveexec_b64 s[0:1], vcc
	s_xor_b64 s[0:1], exec, s[0:1]
	s_cbranch_execz .LBB120_552
; %bb.547:
	v_cmp_eq_u32_e32 vcc, 32, v131
	s_and_saveexec_b64 s[2:3], vcc
	s_cbranch_execz .LBB120_551
; %bb.548:
	v_cmp_ne_u32_e32 vcc, 32, v128
	s_xor_b64 s[14:15], s[6:7], -1
	s_and_b64 s[16:17], s[14:15], vcc
	s_and_saveexec_b64 s[14:15], s[16:17]
	s_cbranch_execz .LBB120_550
; %bb.549:
	v_ashrrev_i32_e32 v129, 31, v128
	v_lshlrev_b64 v[136:137], 2, v[128:129]
	v_add_co_u32_e32 v136, vcc, v4, v136
	v_addc_co_u32_e32 v137, vcc, v5, v137, vcc
	flat_load_dword v129, v[136:137]
	flat_load_dword v131, v[4:5] offset:128
	s_waitcnt vmcnt(0) lgkmcnt(0)
	flat_store_dword v[4:5], v129 offset:128
	flat_store_dword v[136:137], v131
.LBB120_550:
	s_or_b64 exec, exec, s[14:15]
	v_mov_b32_e32 v129, v128
	v_mov_b32_e32 v131, v128
.LBB120_551:
	s_or_b64 exec, exec, s[2:3]
.LBB120_552:
	s_andn2_saveexec_b64 s[0:1], s[0:1]
	s_cbranch_execz .LBB120_554
; %bb.553:
	v_mov_b32_e32 v131, 32
	ds_write2_b64 v130, v[56:57], v[54:55] offset0:33 offset1:34
	ds_write2_b64 v130, v[52:53], v[50:51] offset0:35 offset1:36
	;; [unrolled: 1-line block ×14, first 2 shown]
.LBB120_554:
	s_or_b64 exec, exec, s[0:1]
	v_cmp_lt_i32_e32 vcc, 32, v131
	s_waitcnt lgkmcnt(0)
	s_barrier
	s_and_saveexec_b64 s[0:1], vcc
	s_cbranch_execz .LBB120_556
; %bb.555:
	ds_read2_b64 v[136:139], v130 offset0:33 offset1:34
	ds_read2_b64 v[140:143], v130 offset0:35 offset1:36
	v_mul_f64 v[58:59], v[126:127], v[58:59]
	ds_read2_b64 v[144:147], v130 offset0:37 offset1:38
	s_waitcnt lgkmcnt(0)
	v_fma_f64 v[56:57], -v[58:59], v[136:137], v[56:57]
	v_fma_f64 v[54:55], -v[58:59], v[138:139], v[54:55]
	ds_read2_b64 v[136:139], v130 offset0:39 offset1:40
	v_fma_f64 v[52:53], -v[58:59], v[140:141], v[52:53]
	v_fma_f64 v[50:51], -v[58:59], v[142:143], v[50:51]
	ds_read2_b64 v[140:143], v130 offset0:41 offset1:42
	;; [unrolled: 3-line block ×3, first 2 shown]
	s_waitcnt lgkmcnt(0)
	v_fma_f64 v[44:45], -v[58:59], v[136:137], v[44:45]
	v_fma_f64 v[42:43], -v[58:59], v[138:139], v[42:43]
	;; [unrolled: 1-line block ×3, first 2 shown]
	ds_read2_b64 v[136:139], v130 offset0:45 offset1:46
	v_fma_f64 v[38:39], -v[58:59], v[142:143], v[38:39]
	ds_read2_b64 v[140:143], v130 offset0:47 offset1:48
	v_fma_f64 v[36:37], -v[58:59], v[144:145], v[36:37]
	v_fma_f64 v[34:35], -v[58:59], v[146:147], v[34:35]
	s_waitcnt lgkmcnt(0)
	v_fma_f64 v[32:33], -v[58:59], v[136:137], v[32:33]
	ds_read2_b64 v[144:147], v130 offset0:49 offset1:50
	v_fma_f64 v[30:31], -v[58:59], v[138:139], v[30:31]
	ds_read2_b64 v[136:139], v130 offset0:51 offset1:52
	v_fma_f64 v[28:29], -v[58:59], v[140:141], v[28:29]
	v_fma_f64 v[26:27], -v[58:59], v[142:143], v[26:27]
	ds_read2_b64 v[140:143], v130 offset0:53 offset1:54
	s_waitcnt lgkmcnt(0)
	v_fma_f64 v[24:25], -v[58:59], v[144:145], v[24:25]
	v_fma_f64 v[22:23], -v[58:59], v[146:147], v[22:23]
	;; [unrolled: 1-line block ×4, first 2 shown]
	ds_read2_b64 v[136:139], v130 offset0:55 offset1:56
	v_fma_f64 v[16:17], -v[58:59], v[140:141], v[16:17]
	ds_read2_b64 v[144:147], v130 offset0:57 offset1:58
	v_fma_f64 v[14:15], -v[58:59], v[142:143], v[14:15]
	ds_read2_b64 v[140:143], v130 offset0:59 offset1:60
	s_waitcnt lgkmcnt(0)
	v_fma_f64 v[12:13], -v[58:59], v[136:137], v[12:13]
	v_fma_f64 v[10:11], -v[58:59], v[138:139], v[10:11]
	;; [unrolled: 1-line block ×6, first 2 shown]
.LBB120_556:
	s_or_b64 exec, exec, s[0:1]
	v_lshl_add_u32 v126, v131, 3, v130
	s_barrier
	ds_write_b64 v126, v[56:57]
	s_waitcnt lgkmcnt(0)
	s_barrier
	ds_read_b64 v[126:127], v130 offset:264
	s_cmp_lt_i32 s18, 35
	v_mov_b32_e32 v128, 33
	s_cbranch_scc1 .LBB120_559
; %bb.557:
	v_add_u32_e32 v135, 0x110, v130
	s_mov_b32 s0, 34
	v_mov_b32_e32 v128, 33
.LBB120_558:                            ; =>This Inner Loop Header: Depth=1
	ds_read_b64 v[136:137], v135
	v_mov_b32_e32 v138, s0
	s_add_i32 s0, s0, 1
	v_add_u32_e32 v135, 8, v135
	s_cmp_lg_u32 s18, s0
	s_waitcnt lgkmcnt(0)
	v_cmp_lt_f64_e64 vcc, |v[126:127]|, |v[136:137]|
	v_cndmask_b32_e32 v127, v127, v137, vcc
	v_cndmask_b32_e32 v126, v126, v136, vcc
	;; [unrolled: 1-line block ×3, first 2 shown]
	s_cbranch_scc1 .LBB120_558
.LBB120_559:
	s_waitcnt lgkmcnt(0)
	v_cmp_eq_f64_e32 vcc, 0, v[126:127]
	s_and_saveexec_b64 s[0:1], vcc
	s_xor_b64 s[0:1], exec, s[0:1]
; %bb.560:
	v_cmp_ne_u32_e32 vcc, 0, v134
	v_cndmask_b32_e32 v134, 34, v134, vcc
; %bb.561:
	s_andn2_saveexec_b64 s[0:1], s[0:1]
; %bb.562:
	v_div_scale_f64 v[136:137], s[2:3], v[126:127], v[126:127], 1.0
	v_rcp_f64_e32 v[138:139], v[136:137]
	v_div_scale_f64 v[140:141], vcc, 1.0, v[126:127], 1.0
	v_fma_f64 v[142:143], -v[136:137], v[138:139], 1.0
	v_fmac_f64_e32 v[138:139], v[138:139], v[142:143]
	v_fma_f64 v[142:143], -v[136:137], v[138:139], 1.0
	v_fmac_f64_e32 v[138:139], v[138:139], v[142:143]
	v_mul_f64 v[142:143], v[140:141], v[138:139]
	v_fma_f64 v[136:137], -v[136:137], v[142:143], v[140:141]
	v_div_fmas_f64 v[136:137], v[136:137], v[138:139], v[142:143]
	v_div_fixup_f64 v[126:127], v[136:137], v[126:127], 1.0
; %bb.563:
	s_or_b64 exec, exec, s[0:1]
	v_cmp_ne_u32_e32 vcc, v131, v128
	s_and_saveexec_b64 s[0:1], vcc
	s_xor_b64 s[0:1], exec, s[0:1]
	s_cbranch_execz .LBB120_569
; %bb.564:
	v_cmp_eq_u32_e32 vcc, 33, v131
	s_and_saveexec_b64 s[2:3], vcc
	s_cbranch_execz .LBB120_568
; %bb.565:
	v_cmp_ne_u32_e32 vcc, 33, v128
	s_xor_b64 s[14:15], s[6:7], -1
	s_and_b64 s[16:17], s[14:15], vcc
	s_and_saveexec_b64 s[14:15], s[16:17]
	s_cbranch_execz .LBB120_567
; %bb.566:
	v_ashrrev_i32_e32 v129, 31, v128
	v_lshlrev_b64 v[136:137], 2, v[128:129]
	v_add_co_u32_e32 v136, vcc, v4, v136
	v_addc_co_u32_e32 v137, vcc, v5, v137, vcc
	flat_load_dword v129, v[136:137]
	flat_load_dword v131, v[4:5] offset:132
	s_waitcnt vmcnt(0) lgkmcnt(0)
	flat_store_dword v[4:5], v129 offset:132
	flat_store_dword v[136:137], v131
.LBB120_567:
	s_or_b64 exec, exec, s[14:15]
	v_mov_b32_e32 v129, v128
	v_mov_b32_e32 v131, v128
.LBB120_568:
	s_or_b64 exec, exec, s[2:3]
.LBB120_569:
	s_andn2_saveexec_b64 s[0:1], s[0:1]
	s_cbranch_execz .LBB120_571
; %bb.570:
	v_mov_b32_e32 v136, v54
	v_mov_b32_e32 v137, v55
	v_mov_b32_e32 v138, v52
	v_mov_b32_e32 v139, v53
	ds_write2_b64 v130, v[136:137], v[138:139] offset0:34 offset1:35
	v_mov_b32_e32 v136, v50
	v_mov_b32_e32 v137, v51
	v_mov_b32_e32 v138, v48
	v_mov_b32_e32 v139, v49
	ds_write2_b64 v130, v[136:137], v[138:139] offset0:36 offset1:37
	;; [unrolled: 5-line block ×12, first 2 shown]
	v_mov_b32_e32 v136, v6
	v_mov_b32_e32 v137, v7
	;; [unrolled: 1-line block ×5, first 2 shown]
	ds_write2_b64 v130, v[136:137], v[138:139] offset0:58 offset1:59
	ds_write_b64 v130, v[124:125] offset:480
.LBB120_571:
	s_or_b64 exec, exec, s[0:1]
	v_cmp_lt_i32_e32 vcc, 33, v131
	s_waitcnt lgkmcnt(0)
	s_barrier
	s_and_saveexec_b64 s[0:1], vcc
	s_cbranch_execz .LBB120_573
; %bb.572:
	ds_read2_b64 v[136:139], v130 offset0:34 offset1:35
	ds_read2_b64 v[140:143], v130 offset0:36 offset1:37
	v_mul_f64 v[56:57], v[126:127], v[56:57]
	ds_read2_b64 v[144:147], v130 offset0:38 offset1:39
	ds_read_b64 v[126:127], v130 offset:480
	s_waitcnt lgkmcnt(0)
	v_fma_f64 v[54:55], -v[56:57], v[136:137], v[54:55]
	v_fma_f64 v[52:53], -v[56:57], v[138:139], v[52:53]
	ds_read2_b64 v[136:139], v130 offset0:40 offset1:41
	v_fma_f64 v[50:51], -v[56:57], v[140:141], v[50:51]
	v_fma_f64 v[48:49], -v[56:57], v[142:143], v[48:49]
	;; [unrolled: 1-line block ×3, first 2 shown]
	ds_read2_b64 v[140:143], v130 offset0:42 offset1:43
	v_fma_f64 v[44:45], -v[56:57], v[146:147], v[44:45]
	ds_read2_b64 v[144:147], v130 offset0:44 offset1:45
	s_waitcnt lgkmcnt(0)
	v_fma_f64 v[42:43], -v[56:57], v[136:137], v[42:43]
	v_fma_f64 v[40:41], -v[56:57], v[138:139], v[40:41]
	ds_read2_b64 v[136:139], v130 offset0:46 offset1:47
	v_fma_f64 v[38:39], -v[56:57], v[140:141], v[38:39]
	v_fma_f64 v[36:37], -v[56:57], v[142:143], v[36:37]
	ds_read2_b64 v[140:143], v130 offset0:48 offset1:49
	v_fma_f64 v[34:35], -v[56:57], v[144:145], v[34:35]
	v_fma_f64 v[32:33], -v[56:57], v[146:147], v[32:33]
	s_waitcnt lgkmcnt(0)
	v_fma_f64 v[30:31], -v[56:57], v[136:137], v[30:31]
	ds_read2_b64 v[144:147], v130 offset0:50 offset1:51
	v_fma_f64 v[28:29], -v[56:57], v[138:139], v[28:29]
	ds_read2_b64 v[136:139], v130 offset0:52 offset1:53
	v_fma_f64 v[26:27], -v[56:57], v[140:141], v[26:27]
	v_fma_f64 v[24:25], -v[56:57], v[142:143], v[24:25]
	s_waitcnt lgkmcnt(0)
	v_fma_f64 v[22:23], -v[56:57], v[144:145], v[22:23]
	ds_read2_b64 v[140:143], v130 offset0:54 offset1:55
	v_fma_f64 v[20:21], -v[56:57], v[146:147], v[20:21]
	v_fma_f64 v[18:19], -v[56:57], v[136:137], v[18:19]
	;; [unrolled: 1-line block ×3, first 2 shown]
	ds_read2_b64 v[136:139], v130 offset0:56 offset1:57
	ds_read2_b64 v[144:147], v130 offset0:58 offset1:59
	s_waitcnt lgkmcnt(0)
	v_fma_f64 v[14:15], -v[56:57], v[140:141], v[14:15]
	v_fma_f64 v[12:13], -v[56:57], v[142:143], v[12:13]
	;; [unrolled: 1-line block ×7, first 2 shown]
.LBB120_573:
	s_or_b64 exec, exec, s[0:1]
	v_lshl_add_u32 v126, v131, 3, v130
	s_barrier
	ds_write_b64 v126, v[54:55]
	s_waitcnt lgkmcnt(0)
	s_barrier
	ds_read_b64 v[126:127], v130 offset:272
	s_cmp_lt_i32 s18, 36
	v_mov_b32_e32 v128, 34
	s_cbranch_scc1 .LBB120_576
; %bb.574:
	v_add_u32_e32 v135, 0x118, v130
	s_mov_b32 s0, 35
	v_mov_b32_e32 v128, 34
.LBB120_575:                            ; =>This Inner Loop Header: Depth=1
	ds_read_b64 v[136:137], v135
	v_mov_b32_e32 v138, s0
	s_add_i32 s0, s0, 1
	v_add_u32_e32 v135, 8, v135
	s_cmp_lg_u32 s18, s0
	s_waitcnt lgkmcnt(0)
	v_cmp_lt_f64_e64 vcc, |v[126:127]|, |v[136:137]|
	v_cndmask_b32_e32 v127, v127, v137, vcc
	v_cndmask_b32_e32 v126, v126, v136, vcc
	;; [unrolled: 1-line block ×3, first 2 shown]
	s_cbranch_scc1 .LBB120_575
.LBB120_576:
	s_waitcnt lgkmcnt(0)
	v_cmp_eq_f64_e32 vcc, 0, v[126:127]
	s_and_saveexec_b64 s[0:1], vcc
	s_xor_b64 s[0:1], exec, s[0:1]
; %bb.577:
	v_cmp_ne_u32_e32 vcc, 0, v134
	v_cndmask_b32_e32 v134, 35, v134, vcc
; %bb.578:
	s_andn2_saveexec_b64 s[0:1], s[0:1]
; %bb.579:
	v_div_scale_f64 v[136:137], s[2:3], v[126:127], v[126:127], 1.0
	v_rcp_f64_e32 v[138:139], v[136:137]
	v_div_scale_f64 v[140:141], vcc, 1.0, v[126:127], 1.0
	v_fma_f64 v[142:143], -v[136:137], v[138:139], 1.0
	v_fmac_f64_e32 v[138:139], v[138:139], v[142:143]
	v_fma_f64 v[142:143], -v[136:137], v[138:139], 1.0
	v_fmac_f64_e32 v[138:139], v[138:139], v[142:143]
	v_mul_f64 v[142:143], v[140:141], v[138:139]
	v_fma_f64 v[136:137], -v[136:137], v[142:143], v[140:141]
	v_div_fmas_f64 v[136:137], v[136:137], v[138:139], v[142:143]
	v_div_fixup_f64 v[126:127], v[136:137], v[126:127], 1.0
; %bb.580:
	s_or_b64 exec, exec, s[0:1]
	v_cmp_ne_u32_e32 vcc, v131, v128
	s_and_saveexec_b64 s[0:1], vcc
	s_xor_b64 s[0:1], exec, s[0:1]
	s_cbranch_execz .LBB120_586
; %bb.581:
	v_cmp_eq_u32_e32 vcc, 34, v131
	s_and_saveexec_b64 s[2:3], vcc
	s_cbranch_execz .LBB120_585
; %bb.582:
	v_cmp_ne_u32_e32 vcc, 34, v128
	s_xor_b64 s[14:15], s[6:7], -1
	s_and_b64 s[16:17], s[14:15], vcc
	s_and_saveexec_b64 s[14:15], s[16:17]
	s_cbranch_execz .LBB120_584
; %bb.583:
	v_ashrrev_i32_e32 v129, 31, v128
	v_lshlrev_b64 v[136:137], 2, v[128:129]
	v_add_co_u32_e32 v136, vcc, v4, v136
	v_addc_co_u32_e32 v137, vcc, v5, v137, vcc
	flat_load_dword v129, v[136:137]
	flat_load_dword v131, v[4:5] offset:136
	s_waitcnt vmcnt(0) lgkmcnt(0)
	flat_store_dword v[4:5], v129 offset:136
	flat_store_dword v[136:137], v131
.LBB120_584:
	s_or_b64 exec, exec, s[14:15]
	v_mov_b32_e32 v129, v128
	v_mov_b32_e32 v131, v128
.LBB120_585:
	s_or_b64 exec, exec, s[2:3]
.LBB120_586:
	s_andn2_saveexec_b64 s[0:1], s[0:1]
	s_cbranch_execz .LBB120_588
; %bb.587:
	v_mov_b32_e32 v131, 34
	ds_write2_b64 v130, v[52:53], v[50:51] offset0:35 offset1:36
	ds_write2_b64 v130, v[48:49], v[46:47] offset0:37 offset1:38
	;; [unrolled: 1-line block ×13, first 2 shown]
.LBB120_588:
	s_or_b64 exec, exec, s[0:1]
	v_cmp_lt_i32_e32 vcc, 34, v131
	s_waitcnt lgkmcnt(0)
	s_barrier
	s_and_saveexec_b64 s[0:1], vcc
	s_cbranch_execz .LBB120_590
; %bb.589:
	ds_read2_b64 v[136:139], v130 offset0:35 offset1:36
	ds_read2_b64 v[140:143], v130 offset0:37 offset1:38
	v_mul_f64 v[54:55], v[126:127], v[54:55]
	ds_read2_b64 v[144:147], v130 offset0:39 offset1:40
	s_waitcnt lgkmcnt(0)
	v_fma_f64 v[52:53], -v[54:55], v[136:137], v[52:53]
	v_fma_f64 v[50:51], -v[54:55], v[138:139], v[50:51]
	ds_read2_b64 v[136:139], v130 offset0:41 offset1:42
	v_fma_f64 v[48:49], -v[54:55], v[140:141], v[48:49]
	v_fma_f64 v[46:47], -v[54:55], v[142:143], v[46:47]
	;; [unrolled: 1-line block ×3, first 2 shown]
	ds_read2_b64 v[140:143], v130 offset0:43 offset1:44
	v_fma_f64 v[42:43], -v[54:55], v[146:147], v[42:43]
	ds_read2_b64 v[144:147], v130 offset0:45 offset1:46
	s_waitcnt lgkmcnt(0)
	v_fma_f64 v[40:41], -v[54:55], v[136:137], v[40:41]
	v_fma_f64 v[38:39], -v[54:55], v[138:139], v[38:39]
	ds_read2_b64 v[136:139], v130 offset0:47 offset1:48
	v_fma_f64 v[36:37], -v[54:55], v[140:141], v[36:37]
	v_fma_f64 v[34:35], -v[54:55], v[142:143], v[34:35]
	ds_read2_b64 v[140:143], v130 offset0:49 offset1:50
	v_fma_f64 v[32:33], -v[54:55], v[144:145], v[32:33]
	v_fma_f64 v[30:31], -v[54:55], v[146:147], v[30:31]
	s_waitcnt lgkmcnt(0)
	v_fma_f64 v[28:29], -v[54:55], v[136:137], v[28:29]
	ds_read2_b64 v[144:147], v130 offset0:51 offset1:52
	v_fma_f64 v[26:27], -v[54:55], v[138:139], v[26:27]
	ds_read2_b64 v[136:139], v130 offset0:53 offset1:54
	v_fma_f64 v[24:25], -v[54:55], v[140:141], v[24:25]
	v_fma_f64 v[22:23], -v[54:55], v[142:143], v[22:23]
	s_waitcnt lgkmcnt(0)
	v_fma_f64 v[20:21], -v[54:55], v[144:145], v[20:21]
	v_fma_f64 v[18:19], -v[54:55], v[146:147], v[18:19]
	ds_read2_b64 v[140:143], v130 offset0:55 offset1:56
	ds_read2_b64 v[144:147], v130 offset0:57 offset1:58
	v_fma_f64 v[16:17], -v[54:55], v[136:137], v[16:17]
	v_fma_f64 v[14:15], -v[54:55], v[138:139], v[14:15]
	ds_read2_b64 v[136:139], v130 offset0:59 offset1:60
	s_waitcnt lgkmcnt(0)
	v_fma_f64 v[12:13], -v[54:55], v[140:141], v[12:13]
	v_fma_f64 v[10:11], -v[54:55], v[142:143], v[10:11]
	;; [unrolled: 1-line block ×6, first 2 shown]
.LBB120_590:
	s_or_b64 exec, exec, s[0:1]
	v_lshl_add_u32 v126, v131, 3, v130
	s_barrier
	ds_write_b64 v126, v[52:53]
	s_waitcnt lgkmcnt(0)
	s_barrier
	ds_read_b64 v[126:127], v130 offset:280
	s_cmp_lt_i32 s18, 37
	v_mov_b32_e32 v128, 35
	s_cbranch_scc1 .LBB120_593
; %bb.591:
	v_add_u32_e32 v135, 0x120, v130
	s_mov_b32 s0, 36
	v_mov_b32_e32 v128, 35
.LBB120_592:                            ; =>This Inner Loop Header: Depth=1
	ds_read_b64 v[136:137], v135
	v_mov_b32_e32 v138, s0
	s_add_i32 s0, s0, 1
	v_add_u32_e32 v135, 8, v135
	s_cmp_lg_u32 s18, s0
	s_waitcnt lgkmcnt(0)
	v_cmp_lt_f64_e64 vcc, |v[126:127]|, |v[136:137]|
	v_cndmask_b32_e32 v127, v127, v137, vcc
	v_cndmask_b32_e32 v126, v126, v136, vcc
	;; [unrolled: 1-line block ×3, first 2 shown]
	s_cbranch_scc1 .LBB120_592
.LBB120_593:
	s_waitcnt lgkmcnt(0)
	v_cmp_eq_f64_e32 vcc, 0, v[126:127]
	s_and_saveexec_b64 s[0:1], vcc
	s_xor_b64 s[0:1], exec, s[0:1]
; %bb.594:
	v_cmp_ne_u32_e32 vcc, 0, v134
	v_cndmask_b32_e32 v134, 36, v134, vcc
; %bb.595:
	s_andn2_saveexec_b64 s[0:1], s[0:1]
; %bb.596:
	v_div_scale_f64 v[136:137], s[2:3], v[126:127], v[126:127], 1.0
	v_rcp_f64_e32 v[138:139], v[136:137]
	v_div_scale_f64 v[140:141], vcc, 1.0, v[126:127], 1.0
	v_fma_f64 v[142:143], -v[136:137], v[138:139], 1.0
	v_fmac_f64_e32 v[138:139], v[138:139], v[142:143]
	v_fma_f64 v[142:143], -v[136:137], v[138:139], 1.0
	v_fmac_f64_e32 v[138:139], v[138:139], v[142:143]
	v_mul_f64 v[142:143], v[140:141], v[138:139]
	v_fma_f64 v[136:137], -v[136:137], v[142:143], v[140:141]
	v_div_fmas_f64 v[136:137], v[136:137], v[138:139], v[142:143]
	v_div_fixup_f64 v[126:127], v[136:137], v[126:127], 1.0
; %bb.597:
	s_or_b64 exec, exec, s[0:1]
	v_cmp_ne_u32_e32 vcc, v131, v128
	s_and_saveexec_b64 s[0:1], vcc
	s_xor_b64 s[0:1], exec, s[0:1]
	s_cbranch_execz .LBB120_603
; %bb.598:
	v_cmp_eq_u32_e32 vcc, 35, v131
	s_and_saveexec_b64 s[2:3], vcc
	s_cbranch_execz .LBB120_602
; %bb.599:
	v_cmp_ne_u32_e32 vcc, 35, v128
	s_xor_b64 s[14:15], s[6:7], -1
	s_and_b64 s[16:17], s[14:15], vcc
	s_and_saveexec_b64 s[14:15], s[16:17]
	s_cbranch_execz .LBB120_601
; %bb.600:
	v_ashrrev_i32_e32 v129, 31, v128
	v_lshlrev_b64 v[136:137], 2, v[128:129]
	v_add_co_u32_e32 v136, vcc, v4, v136
	v_addc_co_u32_e32 v137, vcc, v5, v137, vcc
	flat_load_dword v129, v[136:137]
	flat_load_dword v131, v[4:5] offset:140
	s_waitcnt vmcnt(0) lgkmcnt(0)
	flat_store_dword v[4:5], v129 offset:140
	flat_store_dword v[136:137], v131
.LBB120_601:
	s_or_b64 exec, exec, s[14:15]
	v_mov_b32_e32 v129, v128
	v_mov_b32_e32 v131, v128
.LBB120_602:
	s_or_b64 exec, exec, s[2:3]
.LBB120_603:
	s_andn2_saveexec_b64 s[0:1], s[0:1]
	s_cbranch_execz .LBB120_605
; %bb.604:
	v_mov_b32_e32 v136, v50
	v_mov_b32_e32 v137, v51
	v_mov_b32_e32 v138, v48
	v_mov_b32_e32 v139, v49
	ds_write2_b64 v130, v[136:137], v[138:139] offset0:36 offset1:37
	v_mov_b32_e32 v136, v46
	v_mov_b32_e32 v137, v47
	v_mov_b32_e32 v138, v44
	v_mov_b32_e32 v139, v45
	ds_write2_b64 v130, v[136:137], v[138:139] offset0:38 offset1:39
	;; [unrolled: 5-line block ×11, first 2 shown]
	v_mov_b32_e32 v136, v6
	v_mov_b32_e32 v137, v7
	v_mov_b32_e32 v138, v0
	v_mov_b32_e32 v139, v1
	v_mov_b32_e32 v131, 35
	ds_write2_b64 v130, v[136:137], v[138:139] offset0:58 offset1:59
	ds_write_b64 v130, v[124:125] offset:480
.LBB120_605:
	s_or_b64 exec, exec, s[0:1]
	v_cmp_lt_i32_e32 vcc, 35, v131
	s_waitcnt lgkmcnt(0)
	s_barrier
	s_and_saveexec_b64 s[0:1], vcc
	s_cbranch_execz .LBB120_607
; %bb.606:
	ds_read2_b64 v[136:139], v130 offset0:36 offset1:37
	ds_read2_b64 v[140:143], v130 offset0:38 offset1:39
	;; [unrolled: 1-line block ×3, first 2 shown]
	v_mul_f64 v[52:53], v[126:127], v[52:53]
	ds_read_b64 v[126:127], v130 offset:480
	s_waitcnt lgkmcnt(0)
	v_fma_f64 v[50:51], -v[52:53], v[136:137], v[50:51]
	v_fma_f64 v[48:49], -v[52:53], v[138:139], v[48:49]
	ds_read2_b64 v[136:139], v130 offset0:42 offset1:43
	v_fma_f64 v[46:47], -v[52:53], v[140:141], v[46:47]
	v_fma_f64 v[44:45], -v[52:53], v[142:143], v[44:45]
	v_fma_f64 v[42:43], -v[52:53], v[144:145], v[42:43]
	ds_read2_b64 v[140:143], v130 offset0:44 offset1:45
	v_fma_f64 v[40:41], -v[52:53], v[146:147], v[40:41]
	ds_read2_b64 v[144:147], v130 offset0:46 offset1:47
	s_waitcnt lgkmcnt(0)
	v_fma_f64 v[38:39], -v[52:53], v[136:137], v[38:39]
	v_fma_f64 v[36:37], -v[52:53], v[138:139], v[36:37]
	;; [unrolled: 1-line block ×3, first 2 shown]
	ds_read2_b64 v[136:139], v130 offset0:48 offset1:49
	v_fma_f64 v[32:33], -v[52:53], v[142:143], v[32:33]
	ds_read2_b64 v[140:143], v130 offset0:50 offset1:51
	v_fma_f64 v[30:31], -v[52:53], v[144:145], v[30:31]
	v_fma_f64 v[28:29], -v[52:53], v[146:147], v[28:29]
	ds_read2_b64 v[144:147], v130 offset0:52 offset1:53
	s_waitcnt lgkmcnt(0)
	v_fma_f64 v[26:27], -v[52:53], v[136:137], v[26:27]
	v_fma_f64 v[24:25], -v[52:53], v[138:139], v[24:25]
	ds_read2_b64 v[136:139], v130 offset0:54 offset1:55
	v_fma_f64 v[22:23], -v[52:53], v[140:141], v[22:23]
	v_fma_f64 v[20:21], -v[52:53], v[142:143], v[20:21]
	;; [unrolled: 1-line block ×4, first 2 shown]
	ds_read2_b64 v[140:143], v130 offset0:56 offset1:57
	ds_read2_b64 v[144:147], v130 offset0:58 offset1:59
	s_waitcnt lgkmcnt(0)
	v_fma_f64 v[14:15], -v[52:53], v[136:137], v[14:15]
	v_fma_f64 v[12:13], -v[52:53], v[138:139], v[12:13]
	v_fma_f64 v[124:125], -v[52:53], v[126:127], v[124:125]
	v_fma_f64 v[10:11], -v[52:53], v[140:141], v[10:11]
	v_fma_f64 v[8:9], -v[52:53], v[142:143], v[8:9]
	v_fma_f64 v[6:7], -v[52:53], v[144:145], v[6:7]
	v_fma_f64 v[0:1], -v[52:53], v[146:147], v[0:1]
.LBB120_607:
	s_or_b64 exec, exec, s[0:1]
	v_lshl_add_u32 v126, v131, 3, v130
	s_barrier
	ds_write_b64 v126, v[50:51]
	s_waitcnt lgkmcnt(0)
	s_barrier
	ds_read_b64 v[126:127], v130 offset:288
	s_cmp_lt_i32 s18, 38
	v_mov_b32_e32 v128, 36
	s_cbranch_scc1 .LBB120_610
; %bb.608:
	v_add_u32_e32 v135, 0x128, v130
	s_mov_b32 s0, 37
	v_mov_b32_e32 v128, 36
.LBB120_609:                            ; =>This Inner Loop Header: Depth=1
	ds_read_b64 v[136:137], v135
	v_mov_b32_e32 v138, s0
	s_add_i32 s0, s0, 1
	v_add_u32_e32 v135, 8, v135
	s_cmp_lg_u32 s18, s0
	s_waitcnt lgkmcnt(0)
	v_cmp_lt_f64_e64 vcc, |v[126:127]|, |v[136:137]|
	v_cndmask_b32_e32 v127, v127, v137, vcc
	v_cndmask_b32_e32 v126, v126, v136, vcc
	;; [unrolled: 1-line block ×3, first 2 shown]
	s_cbranch_scc1 .LBB120_609
.LBB120_610:
	s_waitcnt lgkmcnt(0)
	v_cmp_eq_f64_e32 vcc, 0, v[126:127]
	s_and_saveexec_b64 s[0:1], vcc
	s_xor_b64 s[0:1], exec, s[0:1]
; %bb.611:
	v_cmp_ne_u32_e32 vcc, 0, v134
	v_cndmask_b32_e32 v134, 37, v134, vcc
; %bb.612:
	s_andn2_saveexec_b64 s[0:1], s[0:1]
; %bb.613:
	v_div_scale_f64 v[136:137], s[2:3], v[126:127], v[126:127], 1.0
	v_rcp_f64_e32 v[138:139], v[136:137]
	v_div_scale_f64 v[140:141], vcc, 1.0, v[126:127], 1.0
	v_fma_f64 v[142:143], -v[136:137], v[138:139], 1.0
	v_fmac_f64_e32 v[138:139], v[138:139], v[142:143]
	v_fma_f64 v[142:143], -v[136:137], v[138:139], 1.0
	v_fmac_f64_e32 v[138:139], v[138:139], v[142:143]
	v_mul_f64 v[142:143], v[140:141], v[138:139]
	v_fma_f64 v[136:137], -v[136:137], v[142:143], v[140:141]
	v_div_fmas_f64 v[136:137], v[136:137], v[138:139], v[142:143]
	v_div_fixup_f64 v[126:127], v[136:137], v[126:127], 1.0
; %bb.614:
	s_or_b64 exec, exec, s[0:1]
	v_cmp_ne_u32_e32 vcc, v131, v128
	s_and_saveexec_b64 s[0:1], vcc
	s_xor_b64 s[0:1], exec, s[0:1]
	s_cbranch_execz .LBB120_620
; %bb.615:
	v_cmp_eq_u32_e32 vcc, 36, v131
	s_and_saveexec_b64 s[2:3], vcc
	s_cbranch_execz .LBB120_619
; %bb.616:
	v_cmp_ne_u32_e32 vcc, 36, v128
	s_xor_b64 s[14:15], s[6:7], -1
	s_and_b64 s[16:17], s[14:15], vcc
	s_and_saveexec_b64 s[14:15], s[16:17]
	s_cbranch_execz .LBB120_618
; %bb.617:
	v_ashrrev_i32_e32 v129, 31, v128
	v_lshlrev_b64 v[136:137], 2, v[128:129]
	v_add_co_u32_e32 v136, vcc, v4, v136
	v_addc_co_u32_e32 v137, vcc, v5, v137, vcc
	flat_load_dword v129, v[136:137]
	flat_load_dword v131, v[4:5] offset:144
	s_waitcnt vmcnt(0) lgkmcnt(0)
	flat_store_dword v[4:5], v129 offset:144
	flat_store_dword v[136:137], v131
.LBB120_618:
	s_or_b64 exec, exec, s[14:15]
	v_mov_b32_e32 v129, v128
	v_mov_b32_e32 v131, v128
.LBB120_619:
	s_or_b64 exec, exec, s[2:3]
.LBB120_620:
	s_andn2_saveexec_b64 s[0:1], s[0:1]
	s_cbranch_execz .LBB120_622
; %bb.621:
	v_mov_b32_e32 v131, 36
	ds_write2_b64 v130, v[48:49], v[46:47] offset0:37 offset1:38
	ds_write2_b64 v130, v[44:45], v[42:43] offset0:39 offset1:40
	;; [unrolled: 1-line block ×12, first 2 shown]
.LBB120_622:
	s_or_b64 exec, exec, s[0:1]
	v_cmp_lt_i32_e32 vcc, 36, v131
	s_waitcnt lgkmcnt(0)
	s_barrier
	s_and_saveexec_b64 s[0:1], vcc
	s_cbranch_execz .LBB120_624
; %bb.623:
	ds_read2_b64 v[136:139], v130 offset0:37 offset1:38
	ds_read2_b64 v[140:143], v130 offset0:39 offset1:40
	;; [unrolled: 1-line block ×3, first 2 shown]
	v_mul_f64 v[50:51], v[126:127], v[50:51]
	s_waitcnt lgkmcnt(0)
	v_fma_f64 v[48:49], -v[50:51], v[136:137], v[48:49]
	v_fma_f64 v[46:47], -v[50:51], v[138:139], v[46:47]
	ds_read2_b64 v[136:139], v130 offset0:43 offset1:44
	v_fma_f64 v[44:45], -v[50:51], v[140:141], v[44:45]
	v_fma_f64 v[42:43], -v[50:51], v[142:143], v[42:43]
	;; [unrolled: 1-line block ×3, first 2 shown]
	ds_read2_b64 v[140:143], v130 offset0:45 offset1:46
	v_fma_f64 v[38:39], -v[50:51], v[146:147], v[38:39]
	ds_read2_b64 v[144:147], v130 offset0:47 offset1:48
	s_waitcnt lgkmcnt(0)
	v_fma_f64 v[36:37], -v[50:51], v[136:137], v[36:37]
	v_fma_f64 v[34:35], -v[50:51], v[138:139], v[34:35]
	;; [unrolled: 1-line block ×3, first 2 shown]
	ds_read2_b64 v[136:139], v130 offset0:49 offset1:50
	v_fma_f64 v[30:31], -v[50:51], v[142:143], v[30:31]
	ds_read2_b64 v[140:143], v130 offset0:51 offset1:52
	v_fma_f64 v[28:29], -v[50:51], v[144:145], v[28:29]
	v_fma_f64 v[26:27], -v[50:51], v[146:147], v[26:27]
	ds_read2_b64 v[144:147], v130 offset0:53 offset1:54
	s_waitcnt lgkmcnt(0)
	v_fma_f64 v[24:25], -v[50:51], v[136:137], v[24:25]
	v_fma_f64 v[22:23], -v[50:51], v[138:139], v[22:23]
	ds_read2_b64 v[136:139], v130 offset0:55 offset1:56
	v_fma_f64 v[20:21], -v[50:51], v[140:141], v[20:21]
	v_fma_f64 v[18:19], -v[50:51], v[142:143], v[18:19]
	;; [unrolled: 1-line block ×3, first 2 shown]
	ds_read2_b64 v[140:143], v130 offset0:57 offset1:58
	v_fma_f64 v[14:15], -v[50:51], v[146:147], v[14:15]
	ds_read2_b64 v[144:147], v130 offset0:59 offset1:60
	s_waitcnt lgkmcnt(0)
	v_fma_f64 v[12:13], -v[50:51], v[136:137], v[12:13]
	v_fma_f64 v[10:11], -v[50:51], v[138:139], v[10:11]
	;; [unrolled: 1-line block ×6, first 2 shown]
.LBB120_624:
	s_or_b64 exec, exec, s[0:1]
	v_lshl_add_u32 v126, v131, 3, v130
	s_barrier
	ds_write_b64 v126, v[48:49]
	s_waitcnt lgkmcnt(0)
	s_barrier
	ds_read_b64 v[126:127], v130 offset:296
	s_cmp_lt_i32 s18, 39
	v_mov_b32_e32 v128, 37
	s_cbranch_scc1 .LBB120_627
; %bb.625:
	v_add_u32_e32 v135, 0x130, v130
	s_mov_b32 s0, 38
	v_mov_b32_e32 v128, 37
.LBB120_626:                            ; =>This Inner Loop Header: Depth=1
	ds_read_b64 v[136:137], v135
	v_mov_b32_e32 v138, s0
	s_add_i32 s0, s0, 1
	v_add_u32_e32 v135, 8, v135
	s_cmp_lg_u32 s18, s0
	s_waitcnt lgkmcnt(0)
	v_cmp_lt_f64_e64 vcc, |v[126:127]|, |v[136:137]|
	v_cndmask_b32_e32 v127, v127, v137, vcc
	v_cndmask_b32_e32 v126, v126, v136, vcc
	v_cndmask_b32_e32 v128, v128, v138, vcc
	s_cbranch_scc1 .LBB120_626
.LBB120_627:
	s_waitcnt lgkmcnt(0)
	v_cmp_eq_f64_e32 vcc, 0, v[126:127]
	s_and_saveexec_b64 s[0:1], vcc
	s_xor_b64 s[0:1], exec, s[0:1]
; %bb.628:
	v_cmp_ne_u32_e32 vcc, 0, v134
	v_cndmask_b32_e32 v134, 38, v134, vcc
; %bb.629:
	s_andn2_saveexec_b64 s[0:1], s[0:1]
; %bb.630:
	v_div_scale_f64 v[136:137], s[2:3], v[126:127], v[126:127], 1.0
	v_rcp_f64_e32 v[138:139], v[136:137]
	v_div_scale_f64 v[140:141], vcc, 1.0, v[126:127], 1.0
	v_fma_f64 v[142:143], -v[136:137], v[138:139], 1.0
	v_fmac_f64_e32 v[138:139], v[138:139], v[142:143]
	v_fma_f64 v[142:143], -v[136:137], v[138:139], 1.0
	v_fmac_f64_e32 v[138:139], v[138:139], v[142:143]
	v_mul_f64 v[142:143], v[140:141], v[138:139]
	v_fma_f64 v[136:137], -v[136:137], v[142:143], v[140:141]
	v_div_fmas_f64 v[136:137], v[136:137], v[138:139], v[142:143]
	v_div_fixup_f64 v[126:127], v[136:137], v[126:127], 1.0
; %bb.631:
	s_or_b64 exec, exec, s[0:1]
	v_cmp_ne_u32_e32 vcc, v131, v128
	s_and_saveexec_b64 s[0:1], vcc
	s_xor_b64 s[0:1], exec, s[0:1]
	s_cbranch_execz .LBB120_637
; %bb.632:
	v_cmp_eq_u32_e32 vcc, 37, v131
	s_and_saveexec_b64 s[2:3], vcc
	s_cbranch_execz .LBB120_636
; %bb.633:
	v_cmp_ne_u32_e32 vcc, 37, v128
	s_xor_b64 s[14:15], s[6:7], -1
	s_and_b64 s[16:17], s[14:15], vcc
	s_and_saveexec_b64 s[14:15], s[16:17]
	s_cbranch_execz .LBB120_635
; %bb.634:
	v_ashrrev_i32_e32 v129, 31, v128
	v_lshlrev_b64 v[136:137], 2, v[128:129]
	v_add_co_u32_e32 v136, vcc, v4, v136
	v_addc_co_u32_e32 v137, vcc, v5, v137, vcc
	flat_load_dword v129, v[136:137]
	flat_load_dword v131, v[4:5] offset:148
	s_waitcnt vmcnt(0) lgkmcnt(0)
	flat_store_dword v[4:5], v129 offset:148
	flat_store_dword v[136:137], v131
.LBB120_635:
	s_or_b64 exec, exec, s[14:15]
	v_mov_b32_e32 v129, v128
	v_mov_b32_e32 v131, v128
.LBB120_636:
	s_or_b64 exec, exec, s[2:3]
.LBB120_637:
	s_andn2_saveexec_b64 s[0:1], s[0:1]
	s_cbranch_execz .LBB120_639
; %bb.638:
	v_mov_b32_e32 v136, v46
	v_mov_b32_e32 v137, v47
	v_mov_b32_e32 v138, v44
	v_mov_b32_e32 v139, v45
	ds_write2_b64 v130, v[136:137], v[138:139] offset0:38 offset1:39
	v_mov_b32_e32 v136, v42
	v_mov_b32_e32 v137, v43
	v_mov_b32_e32 v138, v40
	v_mov_b32_e32 v139, v41
	ds_write2_b64 v130, v[136:137], v[138:139] offset0:40 offset1:41
	;; [unrolled: 5-line block ×10, first 2 shown]
	v_mov_b32_e32 v136, v6
	v_mov_b32_e32 v137, v7
	;; [unrolled: 1-line block ×5, first 2 shown]
	ds_write2_b64 v130, v[136:137], v[138:139] offset0:58 offset1:59
	ds_write_b64 v130, v[124:125] offset:480
.LBB120_639:
	s_or_b64 exec, exec, s[0:1]
	v_cmp_lt_i32_e32 vcc, 37, v131
	s_waitcnt lgkmcnt(0)
	s_barrier
	s_and_saveexec_b64 s[0:1], vcc
	s_cbranch_execz .LBB120_641
; %bb.640:
	ds_read2_b64 v[136:139], v130 offset0:38 offset1:39
	ds_read2_b64 v[140:143], v130 offset0:40 offset1:41
	v_mul_f64 v[48:49], v[126:127], v[48:49]
	ds_read2_b64 v[144:147], v130 offset0:42 offset1:43
	ds_read_b64 v[126:127], v130 offset:480
	s_waitcnt lgkmcnt(0)
	v_fma_f64 v[46:47], -v[48:49], v[136:137], v[46:47]
	v_fma_f64 v[44:45], -v[48:49], v[138:139], v[44:45]
	ds_read2_b64 v[136:139], v130 offset0:44 offset1:45
	v_fma_f64 v[42:43], -v[48:49], v[140:141], v[42:43]
	v_fma_f64 v[40:41], -v[48:49], v[142:143], v[40:41]
	ds_read2_b64 v[140:143], v130 offset0:46 offset1:47
	;; [unrolled: 3-line block ×3, first 2 shown]
	s_waitcnt lgkmcnt(0)
	v_fma_f64 v[34:35], -v[48:49], v[136:137], v[34:35]
	v_fma_f64 v[32:33], -v[48:49], v[138:139], v[32:33]
	;; [unrolled: 1-line block ×3, first 2 shown]
	ds_read2_b64 v[136:139], v130 offset0:50 offset1:51
	v_fma_f64 v[28:29], -v[48:49], v[142:143], v[28:29]
	ds_read2_b64 v[140:143], v130 offset0:52 offset1:53
	v_fma_f64 v[26:27], -v[48:49], v[144:145], v[26:27]
	v_fma_f64 v[24:25], -v[48:49], v[146:147], v[24:25]
	s_waitcnt lgkmcnt(0)
	v_fma_f64 v[22:23], -v[48:49], v[136:137], v[22:23]
	ds_read2_b64 v[144:147], v130 offset0:54 offset1:55
	v_fma_f64 v[20:21], -v[48:49], v[138:139], v[20:21]
	ds_read2_b64 v[136:139], v130 offset0:56 offset1:57
	v_fma_f64 v[18:19], -v[48:49], v[140:141], v[18:19]
	v_fma_f64 v[16:17], -v[48:49], v[142:143], v[16:17]
	ds_read2_b64 v[140:143], v130 offset0:58 offset1:59
	s_waitcnt lgkmcnt(0)
	v_fma_f64 v[14:15], -v[48:49], v[144:145], v[14:15]
	v_fma_f64 v[12:13], -v[48:49], v[146:147], v[12:13]
	;; [unrolled: 1-line block ×7, first 2 shown]
.LBB120_641:
	s_or_b64 exec, exec, s[0:1]
	v_lshl_add_u32 v126, v131, 3, v130
	s_barrier
	ds_write_b64 v126, v[46:47]
	s_waitcnt lgkmcnt(0)
	s_barrier
	ds_read_b64 v[126:127], v130 offset:304
	s_cmp_lt_i32 s18, 40
	v_mov_b32_e32 v128, 38
	s_cbranch_scc1 .LBB120_644
; %bb.642:
	v_add_u32_e32 v135, 0x138, v130
	s_mov_b32 s0, 39
	v_mov_b32_e32 v128, 38
.LBB120_643:                            ; =>This Inner Loop Header: Depth=1
	ds_read_b64 v[136:137], v135
	v_mov_b32_e32 v138, s0
	s_add_i32 s0, s0, 1
	v_add_u32_e32 v135, 8, v135
	s_cmp_lg_u32 s18, s0
	s_waitcnt lgkmcnt(0)
	v_cmp_lt_f64_e64 vcc, |v[126:127]|, |v[136:137]|
	v_cndmask_b32_e32 v127, v127, v137, vcc
	v_cndmask_b32_e32 v126, v126, v136, vcc
	v_cndmask_b32_e32 v128, v128, v138, vcc
	s_cbranch_scc1 .LBB120_643
.LBB120_644:
	s_waitcnt lgkmcnt(0)
	v_cmp_eq_f64_e32 vcc, 0, v[126:127]
	s_and_saveexec_b64 s[0:1], vcc
	s_xor_b64 s[0:1], exec, s[0:1]
; %bb.645:
	v_cmp_ne_u32_e32 vcc, 0, v134
	v_cndmask_b32_e32 v134, 39, v134, vcc
; %bb.646:
	s_andn2_saveexec_b64 s[0:1], s[0:1]
; %bb.647:
	v_div_scale_f64 v[136:137], s[2:3], v[126:127], v[126:127], 1.0
	v_rcp_f64_e32 v[138:139], v[136:137]
	v_div_scale_f64 v[140:141], vcc, 1.0, v[126:127], 1.0
	v_fma_f64 v[142:143], -v[136:137], v[138:139], 1.0
	v_fmac_f64_e32 v[138:139], v[138:139], v[142:143]
	v_fma_f64 v[142:143], -v[136:137], v[138:139], 1.0
	v_fmac_f64_e32 v[138:139], v[138:139], v[142:143]
	v_mul_f64 v[142:143], v[140:141], v[138:139]
	v_fma_f64 v[136:137], -v[136:137], v[142:143], v[140:141]
	v_div_fmas_f64 v[136:137], v[136:137], v[138:139], v[142:143]
	v_div_fixup_f64 v[126:127], v[136:137], v[126:127], 1.0
; %bb.648:
	s_or_b64 exec, exec, s[0:1]
	v_cmp_ne_u32_e32 vcc, v131, v128
	s_and_saveexec_b64 s[0:1], vcc
	s_xor_b64 s[0:1], exec, s[0:1]
	s_cbranch_execz .LBB120_654
; %bb.649:
	v_cmp_eq_u32_e32 vcc, 38, v131
	s_and_saveexec_b64 s[2:3], vcc
	s_cbranch_execz .LBB120_653
; %bb.650:
	v_cmp_ne_u32_e32 vcc, 38, v128
	s_xor_b64 s[14:15], s[6:7], -1
	s_and_b64 s[16:17], s[14:15], vcc
	s_and_saveexec_b64 s[14:15], s[16:17]
	s_cbranch_execz .LBB120_652
; %bb.651:
	v_ashrrev_i32_e32 v129, 31, v128
	v_lshlrev_b64 v[136:137], 2, v[128:129]
	v_add_co_u32_e32 v136, vcc, v4, v136
	v_addc_co_u32_e32 v137, vcc, v5, v137, vcc
	flat_load_dword v129, v[136:137]
	flat_load_dword v131, v[4:5] offset:152
	s_waitcnt vmcnt(0) lgkmcnt(0)
	flat_store_dword v[4:5], v129 offset:152
	flat_store_dword v[136:137], v131
.LBB120_652:
	s_or_b64 exec, exec, s[14:15]
	v_mov_b32_e32 v129, v128
	v_mov_b32_e32 v131, v128
.LBB120_653:
	s_or_b64 exec, exec, s[2:3]
.LBB120_654:
	s_andn2_saveexec_b64 s[0:1], s[0:1]
	s_cbranch_execz .LBB120_656
; %bb.655:
	v_mov_b32_e32 v131, 38
	ds_write2_b64 v130, v[44:45], v[42:43] offset0:39 offset1:40
	ds_write2_b64 v130, v[40:41], v[38:39] offset0:41 offset1:42
	;; [unrolled: 1-line block ×11, first 2 shown]
.LBB120_656:
	s_or_b64 exec, exec, s[0:1]
	v_cmp_lt_i32_e32 vcc, 38, v131
	s_waitcnt lgkmcnt(0)
	s_barrier
	s_and_saveexec_b64 s[0:1], vcc
	s_cbranch_execz .LBB120_658
; %bb.657:
	ds_read2_b64 v[136:139], v130 offset0:39 offset1:40
	ds_read2_b64 v[140:143], v130 offset0:41 offset1:42
	v_mul_f64 v[46:47], v[126:127], v[46:47]
	ds_read2_b64 v[144:147], v130 offset0:43 offset1:44
	s_waitcnt lgkmcnt(0)
	v_fma_f64 v[44:45], -v[46:47], v[136:137], v[44:45]
	v_fma_f64 v[42:43], -v[46:47], v[138:139], v[42:43]
	ds_read2_b64 v[136:139], v130 offset0:45 offset1:46
	v_fma_f64 v[40:41], -v[46:47], v[140:141], v[40:41]
	v_fma_f64 v[38:39], -v[46:47], v[142:143], v[38:39]
	ds_read2_b64 v[140:143], v130 offset0:47 offset1:48
	;; [unrolled: 3-line block ×3, first 2 shown]
	s_waitcnt lgkmcnt(0)
	v_fma_f64 v[32:33], -v[46:47], v[136:137], v[32:33]
	v_fma_f64 v[30:31], -v[46:47], v[138:139], v[30:31]
	;; [unrolled: 1-line block ×3, first 2 shown]
	ds_read2_b64 v[136:139], v130 offset0:51 offset1:52
	v_fma_f64 v[26:27], -v[46:47], v[142:143], v[26:27]
	ds_read2_b64 v[140:143], v130 offset0:53 offset1:54
	v_fma_f64 v[24:25], -v[46:47], v[144:145], v[24:25]
	v_fma_f64 v[22:23], -v[46:47], v[146:147], v[22:23]
	s_waitcnt lgkmcnt(0)
	v_fma_f64 v[20:21], -v[46:47], v[136:137], v[20:21]
	v_fma_f64 v[18:19], -v[46:47], v[138:139], v[18:19]
	ds_read2_b64 v[136:139], v130 offset0:55 offset1:56
	ds_read2_b64 v[144:147], v130 offset0:57 offset1:58
	v_fma_f64 v[16:17], -v[46:47], v[140:141], v[16:17]
	v_fma_f64 v[14:15], -v[46:47], v[142:143], v[14:15]
	ds_read2_b64 v[140:143], v130 offset0:59 offset1:60
	s_waitcnt lgkmcnt(0)
	v_fma_f64 v[12:13], -v[46:47], v[136:137], v[12:13]
	v_fma_f64 v[10:11], -v[46:47], v[138:139], v[10:11]
	v_fma_f64 v[8:9], -v[46:47], v[144:145], v[8:9]
	v_fma_f64 v[6:7], -v[46:47], v[146:147], v[6:7]
	v_fma_f64 v[0:1], -v[46:47], v[140:141], v[0:1]
	v_fma_f64 v[124:125], -v[46:47], v[142:143], v[124:125]
.LBB120_658:
	s_or_b64 exec, exec, s[0:1]
	v_lshl_add_u32 v126, v131, 3, v130
	s_barrier
	ds_write_b64 v126, v[44:45]
	s_waitcnt lgkmcnt(0)
	s_barrier
	ds_read_b64 v[126:127], v130 offset:312
	s_cmp_lt_i32 s18, 41
	v_mov_b32_e32 v128, 39
	s_cbranch_scc1 .LBB120_661
; %bb.659:
	v_add_u32_e32 v135, 0x140, v130
	s_mov_b32 s0, 40
	v_mov_b32_e32 v128, 39
.LBB120_660:                            ; =>This Inner Loop Header: Depth=1
	ds_read_b64 v[136:137], v135
	v_mov_b32_e32 v138, s0
	s_add_i32 s0, s0, 1
	v_add_u32_e32 v135, 8, v135
	s_cmp_lg_u32 s18, s0
	s_waitcnt lgkmcnt(0)
	v_cmp_lt_f64_e64 vcc, |v[126:127]|, |v[136:137]|
	v_cndmask_b32_e32 v127, v127, v137, vcc
	v_cndmask_b32_e32 v126, v126, v136, vcc
	;; [unrolled: 1-line block ×3, first 2 shown]
	s_cbranch_scc1 .LBB120_660
.LBB120_661:
	s_waitcnt lgkmcnt(0)
	v_cmp_eq_f64_e32 vcc, 0, v[126:127]
	s_and_saveexec_b64 s[0:1], vcc
	s_xor_b64 s[0:1], exec, s[0:1]
; %bb.662:
	v_cmp_ne_u32_e32 vcc, 0, v134
	v_cndmask_b32_e32 v134, 40, v134, vcc
; %bb.663:
	s_andn2_saveexec_b64 s[0:1], s[0:1]
; %bb.664:
	v_div_scale_f64 v[136:137], s[2:3], v[126:127], v[126:127], 1.0
	v_rcp_f64_e32 v[138:139], v[136:137]
	v_div_scale_f64 v[140:141], vcc, 1.0, v[126:127], 1.0
	v_fma_f64 v[142:143], -v[136:137], v[138:139], 1.0
	v_fmac_f64_e32 v[138:139], v[138:139], v[142:143]
	v_fma_f64 v[142:143], -v[136:137], v[138:139], 1.0
	v_fmac_f64_e32 v[138:139], v[138:139], v[142:143]
	v_mul_f64 v[142:143], v[140:141], v[138:139]
	v_fma_f64 v[136:137], -v[136:137], v[142:143], v[140:141]
	v_div_fmas_f64 v[136:137], v[136:137], v[138:139], v[142:143]
	v_div_fixup_f64 v[126:127], v[136:137], v[126:127], 1.0
; %bb.665:
	s_or_b64 exec, exec, s[0:1]
	v_cmp_ne_u32_e32 vcc, v131, v128
	s_and_saveexec_b64 s[0:1], vcc
	s_xor_b64 s[0:1], exec, s[0:1]
	s_cbranch_execz .LBB120_671
; %bb.666:
	v_cmp_eq_u32_e32 vcc, 39, v131
	s_and_saveexec_b64 s[2:3], vcc
	s_cbranch_execz .LBB120_670
; %bb.667:
	v_cmp_ne_u32_e32 vcc, 39, v128
	s_xor_b64 s[14:15], s[6:7], -1
	s_and_b64 s[16:17], s[14:15], vcc
	s_and_saveexec_b64 s[14:15], s[16:17]
	s_cbranch_execz .LBB120_669
; %bb.668:
	v_ashrrev_i32_e32 v129, 31, v128
	v_lshlrev_b64 v[136:137], 2, v[128:129]
	v_add_co_u32_e32 v136, vcc, v4, v136
	v_addc_co_u32_e32 v137, vcc, v5, v137, vcc
	flat_load_dword v129, v[136:137]
	flat_load_dword v131, v[4:5] offset:156
	s_waitcnt vmcnt(0) lgkmcnt(0)
	flat_store_dword v[4:5], v129 offset:156
	flat_store_dword v[136:137], v131
.LBB120_669:
	s_or_b64 exec, exec, s[14:15]
	v_mov_b32_e32 v129, v128
	v_mov_b32_e32 v131, v128
.LBB120_670:
	s_or_b64 exec, exec, s[2:3]
.LBB120_671:
	s_andn2_saveexec_b64 s[0:1], s[0:1]
	s_cbranch_execz .LBB120_673
; %bb.672:
	v_mov_b32_e32 v136, v42
	v_mov_b32_e32 v137, v43
	v_mov_b32_e32 v138, v40
	v_mov_b32_e32 v139, v41
	ds_write2_b64 v130, v[136:137], v[138:139] offset0:40 offset1:41
	v_mov_b32_e32 v136, v38
	v_mov_b32_e32 v137, v39
	v_mov_b32_e32 v138, v36
	v_mov_b32_e32 v139, v37
	ds_write2_b64 v130, v[136:137], v[138:139] offset0:42 offset1:43
	v_mov_b32_e32 v136, v34
	v_mov_b32_e32 v137, v35
	v_mov_b32_e32 v138, v32
	v_mov_b32_e32 v139, v33
	ds_write2_b64 v130, v[136:137], v[138:139] offset0:44 offset1:45
	v_mov_b32_e32 v136, v30
	v_mov_b32_e32 v137, v31
	v_mov_b32_e32 v138, v28
	v_mov_b32_e32 v139, v29
	ds_write2_b64 v130, v[136:137], v[138:139] offset0:46 offset1:47
	v_mov_b32_e32 v136, v26
	v_mov_b32_e32 v137, v27
	v_mov_b32_e32 v138, v24
	v_mov_b32_e32 v139, v25
	ds_write2_b64 v130, v[136:137], v[138:139] offset0:48 offset1:49
	v_mov_b32_e32 v136, v22
	v_mov_b32_e32 v137, v23
	v_mov_b32_e32 v138, v20
	v_mov_b32_e32 v139, v21
	ds_write2_b64 v130, v[136:137], v[138:139] offset0:50 offset1:51
	v_mov_b32_e32 v136, v18
	v_mov_b32_e32 v137, v19
	v_mov_b32_e32 v138, v16
	v_mov_b32_e32 v139, v17
	ds_write2_b64 v130, v[136:137], v[138:139] offset0:52 offset1:53
	v_mov_b32_e32 v136, v14
	v_mov_b32_e32 v137, v15
	v_mov_b32_e32 v138, v12
	v_mov_b32_e32 v139, v13
	ds_write2_b64 v130, v[136:137], v[138:139] offset0:54 offset1:55
	v_mov_b32_e32 v136, v10
	v_mov_b32_e32 v137, v11
	v_mov_b32_e32 v138, v8
	v_mov_b32_e32 v139, v9
	ds_write2_b64 v130, v[136:137], v[138:139] offset0:56 offset1:57
	v_mov_b32_e32 v136, v6
	v_mov_b32_e32 v137, v7
	;; [unrolled: 1-line block ×5, first 2 shown]
	ds_write2_b64 v130, v[136:137], v[138:139] offset0:58 offset1:59
	ds_write_b64 v130, v[124:125] offset:480
.LBB120_673:
	s_or_b64 exec, exec, s[0:1]
	v_cmp_lt_i32_e32 vcc, 39, v131
	s_waitcnt lgkmcnt(0)
	s_barrier
	s_and_saveexec_b64 s[0:1], vcc
	s_cbranch_execz .LBB120_675
; %bb.674:
	ds_read2_b64 v[136:139], v130 offset0:40 offset1:41
	ds_read2_b64 v[140:143], v130 offset0:42 offset1:43
	v_mul_f64 v[44:45], v[126:127], v[44:45]
	ds_read2_b64 v[144:147], v130 offset0:44 offset1:45
	ds_read_b64 v[126:127], v130 offset:480
	s_waitcnt lgkmcnt(0)
	v_fma_f64 v[42:43], -v[44:45], v[136:137], v[42:43]
	v_fma_f64 v[40:41], -v[44:45], v[138:139], v[40:41]
	ds_read2_b64 v[136:139], v130 offset0:46 offset1:47
	v_fma_f64 v[38:39], -v[44:45], v[140:141], v[38:39]
	v_fma_f64 v[36:37], -v[44:45], v[142:143], v[36:37]
	;; [unrolled: 1-line block ×3, first 2 shown]
	ds_read2_b64 v[140:143], v130 offset0:48 offset1:49
	v_fma_f64 v[32:33], -v[44:45], v[146:147], v[32:33]
	ds_read2_b64 v[144:147], v130 offset0:50 offset1:51
	s_waitcnt lgkmcnt(0)
	v_fma_f64 v[30:31], -v[44:45], v[136:137], v[30:31]
	v_fma_f64 v[28:29], -v[44:45], v[138:139], v[28:29]
	ds_read2_b64 v[136:139], v130 offset0:52 offset1:53
	v_fma_f64 v[26:27], -v[44:45], v[140:141], v[26:27]
	v_fma_f64 v[24:25], -v[44:45], v[142:143], v[24:25]
	ds_read2_b64 v[140:143], v130 offset0:54 offset1:55
	v_fma_f64 v[22:23], -v[44:45], v[144:145], v[22:23]
	v_fma_f64 v[20:21], -v[44:45], v[146:147], v[20:21]
	s_waitcnt lgkmcnt(0)
	v_fma_f64 v[18:19], -v[44:45], v[136:137], v[18:19]
	v_fma_f64 v[16:17], -v[44:45], v[138:139], v[16:17]
	ds_read2_b64 v[136:139], v130 offset0:56 offset1:57
	ds_read2_b64 v[144:147], v130 offset0:58 offset1:59
	v_fma_f64 v[14:15], -v[44:45], v[140:141], v[14:15]
	v_fma_f64 v[12:13], -v[44:45], v[142:143], v[12:13]
	;; [unrolled: 1-line block ×3, first 2 shown]
	s_waitcnt lgkmcnt(0)
	v_fma_f64 v[10:11], -v[44:45], v[136:137], v[10:11]
	v_fma_f64 v[8:9], -v[44:45], v[138:139], v[8:9]
	;; [unrolled: 1-line block ×4, first 2 shown]
.LBB120_675:
	s_or_b64 exec, exec, s[0:1]
	v_lshl_add_u32 v126, v131, 3, v130
	s_barrier
	ds_write_b64 v126, v[42:43]
	s_waitcnt lgkmcnt(0)
	s_barrier
	ds_read_b64 v[126:127], v130 offset:320
	s_cmp_lt_i32 s18, 42
	v_mov_b32_e32 v128, 40
	s_cbranch_scc1 .LBB120_678
; %bb.676:
	v_add_u32_e32 v135, 0x148, v130
	s_mov_b32 s0, 41
	v_mov_b32_e32 v128, 40
.LBB120_677:                            ; =>This Inner Loop Header: Depth=1
	ds_read_b64 v[136:137], v135
	v_mov_b32_e32 v138, s0
	s_add_i32 s0, s0, 1
	v_add_u32_e32 v135, 8, v135
	s_cmp_lg_u32 s18, s0
	s_waitcnt lgkmcnt(0)
	v_cmp_lt_f64_e64 vcc, |v[126:127]|, |v[136:137]|
	v_cndmask_b32_e32 v127, v127, v137, vcc
	v_cndmask_b32_e32 v126, v126, v136, vcc
	;; [unrolled: 1-line block ×3, first 2 shown]
	s_cbranch_scc1 .LBB120_677
.LBB120_678:
	s_waitcnt lgkmcnt(0)
	v_cmp_eq_f64_e32 vcc, 0, v[126:127]
	s_and_saveexec_b64 s[0:1], vcc
	s_xor_b64 s[0:1], exec, s[0:1]
; %bb.679:
	v_cmp_ne_u32_e32 vcc, 0, v134
	v_cndmask_b32_e32 v134, 41, v134, vcc
; %bb.680:
	s_andn2_saveexec_b64 s[0:1], s[0:1]
; %bb.681:
	v_div_scale_f64 v[136:137], s[2:3], v[126:127], v[126:127], 1.0
	v_rcp_f64_e32 v[138:139], v[136:137]
	v_div_scale_f64 v[140:141], vcc, 1.0, v[126:127], 1.0
	v_fma_f64 v[142:143], -v[136:137], v[138:139], 1.0
	v_fmac_f64_e32 v[138:139], v[138:139], v[142:143]
	v_fma_f64 v[142:143], -v[136:137], v[138:139], 1.0
	v_fmac_f64_e32 v[138:139], v[138:139], v[142:143]
	v_mul_f64 v[142:143], v[140:141], v[138:139]
	v_fma_f64 v[136:137], -v[136:137], v[142:143], v[140:141]
	v_div_fmas_f64 v[136:137], v[136:137], v[138:139], v[142:143]
	v_div_fixup_f64 v[126:127], v[136:137], v[126:127], 1.0
; %bb.682:
	s_or_b64 exec, exec, s[0:1]
	v_cmp_ne_u32_e32 vcc, v131, v128
	s_and_saveexec_b64 s[0:1], vcc
	s_xor_b64 s[0:1], exec, s[0:1]
	s_cbranch_execz .LBB120_688
; %bb.683:
	v_cmp_eq_u32_e32 vcc, 40, v131
	s_and_saveexec_b64 s[2:3], vcc
	s_cbranch_execz .LBB120_687
; %bb.684:
	v_cmp_ne_u32_e32 vcc, 40, v128
	s_xor_b64 s[14:15], s[6:7], -1
	s_and_b64 s[16:17], s[14:15], vcc
	s_and_saveexec_b64 s[14:15], s[16:17]
	s_cbranch_execz .LBB120_686
; %bb.685:
	v_ashrrev_i32_e32 v129, 31, v128
	v_lshlrev_b64 v[136:137], 2, v[128:129]
	v_add_co_u32_e32 v136, vcc, v4, v136
	v_addc_co_u32_e32 v137, vcc, v5, v137, vcc
	flat_load_dword v129, v[136:137]
	flat_load_dword v131, v[4:5] offset:160
	s_waitcnt vmcnt(0) lgkmcnt(0)
	flat_store_dword v[4:5], v129 offset:160
	flat_store_dword v[136:137], v131
.LBB120_686:
	s_or_b64 exec, exec, s[14:15]
	v_mov_b32_e32 v129, v128
	v_mov_b32_e32 v131, v128
.LBB120_687:
	s_or_b64 exec, exec, s[2:3]
.LBB120_688:
	s_andn2_saveexec_b64 s[0:1], s[0:1]
	s_cbranch_execz .LBB120_690
; %bb.689:
	v_mov_b32_e32 v131, 40
	ds_write2_b64 v130, v[40:41], v[38:39] offset0:41 offset1:42
	ds_write2_b64 v130, v[36:37], v[34:35] offset0:43 offset1:44
	;; [unrolled: 1-line block ×10, first 2 shown]
.LBB120_690:
	s_or_b64 exec, exec, s[0:1]
	v_cmp_lt_i32_e32 vcc, 40, v131
	s_waitcnt lgkmcnt(0)
	s_barrier
	s_and_saveexec_b64 s[0:1], vcc
	s_cbranch_execz .LBB120_692
; %bb.691:
	ds_read2_b64 v[136:139], v130 offset0:41 offset1:42
	ds_read2_b64 v[140:143], v130 offset0:43 offset1:44
	v_mul_f64 v[42:43], v[126:127], v[42:43]
	ds_read2_b64 v[144:147], v130 offset0:45 offset1:46
	s_waitcnt lgkmcnt(0)
	v_fma_f64 v[40:41], -v[42:43], v[136:137], v[40:41]
	v_fma_f64 v[38:39], -v[42:43], v[138:139], v[38:39]
	ds_read2_b64 v[136:139], v130 offset0:47 offset1:48
	v_fma_f64 v[36:37], -v[42:43], v[140:141], v[36:37]
	v_fma_f64 v[34:35], -v[42:43], v[142:143], v[34:35]
	;; [unrolled: 1-line block ×3, first 2 shown]
	ds_read2_b64 v[140:143], v130 offset0:49 offset1:50
	v_fma_f64 v[30:31], -v[42:43], v[146:147], v[30:31]
	ds_read2_b64 v[144:147], v130 offset0:51 offset1:52
	s_waitcnt lgkmcnt(0)
	v_fma_f64 v[28:29], -v[42:43], v[136:137], v[28:29]
	v_fma_f64 v[26:27], -v[42:43], v[138:139], v[26:27]
	ds_read2_b64 v[136:139], v130 offset0:53 offset1:54
	v_fma_f64 v[24:25], -v[42:43], v[140:141], v[24:25]
	v_fma_f64 v[22:23], -v[42:43], v[142:143], v[22:23]
	ds_read2_b64 v[140:143], v130 offset0:55 offset1:56
	v_fma_f64 v[20:21], -v[42:43], v[144:145], v[20:21]
	v_fma_f64 v[18:19], -v[42:43], v[146:147], v[18:19]
	s_waitcnt lgkmcnt(0)
	v_fma_f64 v[16:17], -v[42:43], v[136:137], v[16:17]
	ds_read2_b64 v[144:147], v130 offset0:57 offset1:58
	v_fma_f64 v[14:15], -v[42:43], v[138:139], v[14:15]
	ds_read2_b64 v[136:139], v130 offset0:59 offset1:60
	v_fma_f64 v[12:13], -v[42:43], v[140:141], v[12:13]
	v_fma_f64 v[10:11], -v[42:43], v[142:143], v[10:11]
	s_waitcnt lgkmcnt(0)
	v_fma_f64 v[8:9], -v[42:43], v[144:145], v[8:9]
	v_fma_f64 v[6:7], -v[42:43], v[146:147], v[6:7]
	;; [unrolled: 1-line block ×4, first 2 shown]
.LBB120_692:
	s_or_b64 exec, exec, s[0:1]
	v_lshl_add_u32 v126, v131, 3, v130
	s_barrier
	ds_write_b64 v126, v[40:41]
	s_waitcnt lgkmcnt(0)
	s_barrier
	ds_read_b64 v[126:127], v130 offset:328
	s_cmp_lt_i32 s18, 43
	v_mov_b32_e32 v128, 41
	s_cbranch_scc1 .LBB120_695
; %bb.693:
	v_add_u32_e32 v135, 0x150, v130
	s_mov_b32 s0, 42
	v_mov_b32_e32 v128, 41
.LBB120_694:                            ; =>This Inner Loop Header: Depth=1
	ds_read_b64 v[136:137], v135
	v_mov_b32_e32 v138, s0
	s_add_i32 s0, s0, 1
	v_add_u32_e32 v135, 8, v135
	s_cmp_lg_u32 s18, s0
	s_waitcnt lgkmcnt(0)
	v_cmp_lt_f64_e64 vcc, |v[126:127]|, |v[136:137]|
	v_cndmask_b32_e32 v127, v127, v137, vcc
	v_cndmask_b32_e32 v126, v126, v136, vcc
	;; [unrolled: 1-line block ×3, first 2 shown]
	s_cbranch_scc1 .LBB120_694
.LBB120_695:
	s_waitcnt lgkmcnt(0)
	v_cmp_eq_f64_e32 vcc, 0, v[126:127]
	s_and_saveexec_b64 s[0:1], vcc
	s_xor_b64 s[0:1], exec, s[0:1]
; %bb.696:
	v_cmp_ne_u32_e32 vcc, 0, v134
	v_cndmask_b32_e32 v134, 42, v134, vcc
; %bb.697:
	s_andn2_saveexec_b64 s[0:1], s[0:1]
; %bb.698:
	v_div_scale_f64 v[136:137], s[2:3], v[126:127], v[126:127], 1.0
	v_rcp_f64_e32 v[138:139], v[136:137]
	v_div_scale_f64 v[140:141], vcc, 1.0, v[126:127], 1.0
	v_fma_f64 v[142:143], -v[136:137], v[138:139], 1.0
	v_fmac_f64_e32 v[138:139], v[138:139], v[142:143]
	v_fma_f64 v[142:143], -v[136:137], v[138:139], 1.0
	v_fmac_f64_e32 v[138:139], v[138:139], v[142:143]
	v_mul_f64 v[142:143], v[140:141], v[138:139]
	v_fma_f64 v[136:137], -v[136:137], v[142:143], v[140:141]
	v_div_fmas_f64 v[136:137], v[136:137], v[138:139], v[142:143]
	v_div_fixup_f64 v[126:127], v[136:137], v[126:127], 1.0
; %bb.699:
	s_or_b64 exec, exec, s[0:1]
	v_cmp_ne_u32_e32 vcc, v131, v128
	s_and_saveexec_b64 s[0:1], vcc
	s_xor_b64 s[0:1], exec, s[0:1]
	s_cbranch_execz .LBB120_705
; %bb.700:
	v_cmp_eq_u32_e32 vcc, 41, v131
	s_and_saveexec_b64 s[2:3], vcc
	s_cbranch_execz .LBB120_704
; %bb.701:
	v_cmp_ne_u32_e32 vcc, 41, v128
	s_xor_b64 s[14:15], s[6:7], -1
	s_and_b64 s[16:17], s[14:15], vcc
	s_and_saveexec_b64 s[14:15], s[16:17]
	s_cbranch_execz .LBB120_703
; %bb.702:
	v_ashrrev_i32_e32 v129, 31, v128
	v_lshlrev_b64 v[136:137], 2, v[128:129]
	v_add_co_u32_e32 v136, vcc, v4, v136
	v_addc_co_u32_e32 v137, vcc, v5, v137, vcc
	flat_load_dword v129, v[136:137]
	flat_load_dword v131, v[4:5] offset:164
	s_waitcnt vmcnt(0) lgkmcnt(0)
	flat_store_dword v[4:5], v129 offset:164
	flat_store_dword v[136:137], v131
.LBB120_703:
	s_or_b64 exec, exec, s[14:15]
	v_mov_b32_e32 v129, v128
	v_mov_b32_e32 v131, v128
.LBB120_704:
	s_or_b64 exec, exec, s[2:3]
.LBB120_705:
	s_andn2_saveexec_b64 s[0:1], s[0:1]
	s_cbranch_execz .LBB120_707
; %bb.706:
	v_mov_b32_e32 v136, v38
	v_mov_b32_e32 v137, v39
	v_mov_b32_e32 v138, v36
	v_mov_b32_e32 v139, v37
	ds_write2_b64 v130, v[136:137], v[138:139] offset0:42 offset1:43
	v_mov_b32_e32 v136, v34
	v_mov_b32_e32 v137, v35
	v_mov_b32_e32 v138, v32
	v_mov_b32_e32 v139, v33
	ds_write2_b64 v130, v[136:137], v[138:139] offset0:44 offset1:45
	;; [unrolled: 5-line block ×8, first 2 shown]
	v_mov_b32_e32 v136, v6
	v_mov_b32_e32 v137, v7
	;; [unrolled: 1-line block ×5, first 2 shown]
	ds_write2_b64 v130, v[136:137], v[138:139] offset0:58 offset1:59
	ds_write_b64 v130, v[124:125] offset:480
.LBB120_707:
	s_or_b64 exec, exec, s[0:1]
	v_cmp_lt_i32_e32 vcc, 41, v131
	s_waitcnt lgkmcnt(0)
	s_barrier
	s_and_saveexec_b64 s[0:1], vcc
	s_cbranch_execz .LBB120_709
; %bb.708:
	ds_read2_b64 v[136:139], v130 offset0:42 offset1:43
	ds_read2_b64 v[140:143], v130 offset0:44 offset1:45
	;; [unrolled: 1-line block ×3, first 2 shown]
	v_mul_f64 v[40:41], v[126:127], v[40:41]
	ds_read_b64 v[126:127], v130 offset:480
	s_waitcnt lgkmcnt(0)
	v_fma_f64 v[38:39], -v[40:41], v[136:137], v[38:39]
	v_fma_f64 v[36:37], -v[40:41], v[138:139], v[36:37]
	ds_read2_b64 v[136:139], v130 offset0:48 offset1:49
	v_fma_f64 v[34:35], -v[40:41], v[140:141], v[34:35]
	v_fma_f64 v[32:33], -v[40:41], v[142:143], v[32:33]
	;; [unrolled: 1-line block ×3, first 2 shown]
	ds_read2_b64 v[140:143], v130 offset0:50 offset1:51
	v_fma_f64 v[28:29], -v[40:41], v[146:147], v[28:29]
	ds_read2_b64 v[144:147], v130 offset0:52 offset1:53
	s_waitcnt lgkmcnt(0)
	v_fma_f64 v[26:27], -v[40:41], v[136:137], v[26:27]
	v_fma_f64 v[24:25], -v[40:41], v[138:139], v[24:25]
	;; [unrolled: 1-line block ×3, first 2 shown]
	ds_read2_b64 v[136:139], v130 offset0:54 offset1:55
	v_fma_f64 v[20:21], -v[40:41], v[142:143], v[20:21]
	ds_read2_b64 v[140:143], v130 offset0:56 offset1:57
	v_fma_f64 v[18:19], -v[40:41], v[144:145], v[18:19]
	v_fma_f64 v[16:17], -v[40:41], v[146:147], v[16:17]
	ds_read2_b64 v[144:147], v130 offset0:58 offset1:59
	s_waitcnt lgkmcnt(0)
	v_fma_f64 v[14:15], -v[40:41], v[136:137], v[14:15]
	v_fma_f64 v[12:13], -v[40:41], v[138:139], v[12:13]
	;; [unrolled: 1-line block ×7, first 2 shown]
.LBB120_709:
	s_or_b64 exec, exec, s[0:1]
	v_lshl_add_u32 v126, v131, 3, v130
	s_barrier
	ds_write_b64 v126, v[38:39]
	s_waitcnt lgkmcnt(0)
	s_barrier
	ds_read_b64 v[126:127], v130 offset:336
	s_cmp_lt_i32 s18, 44
	v_mov_b32_e32 v128, 42
	s_cbranch_scc1 .LBB120_712
; %bb.710:
	v_add_u32_e32 v135, 0x158, v130
	s_mov_b32 s0, 43
	v_mov_b32_e32 v128, 42
.LBB120_711:                            ; =>This Inner Loop Header: Depth=1
	ds_read_b64 v[136:137], v135
	v_mov_b32_e32 v138, s0
	s_add_i32 s0, s0, 1
	v_add_u32_e32 v135, 8, v135
	s_cmp_lg_u32 s18, s0
	s_waitcnt lgkmcnt(0)
	v_cmp_lt_f64_e64 vcc, |v[126:127]|, |v[136:137]|
	v_cndmask_b32_e32 v127, v127, v137, vcc
	v_cndmask_b32_e32 v126, v126, v136, vcc
	;; [unrolled: 1-line block ×3, first 2 shown]
	s_cbranch_scc1 .LBB120_711
.LBB120_712:
	s_waitcnt lgkmcnt(0)
	v_cmp_eq_f64_e32 vcc, 0, v[126:127]
	s_and_saveexec_b64 s[0:1], vcc
	s_xor_b64 s[0:1], exec, s[0:1]
; %bb.713:
	v_cmp_ne_u32_e32 vcc, 0, v134
	v_cndmask_b32_e32 v134, 43, v134, vcc
; %bb.714:
	s_andn2_saveexec_b64 s[0:1], s[0:1]
; %bb.715:
	v_div_scale_f64 v[136:137], s[2:3], v[126:127], v[126:127], 1.0
	v_rcp_f64_e32 v[138:139], v[136:137]
	v_div_scale_f64 v[140:141], vcc, 1.0, v[126:127], 1.0
	v_fma_f64 v[142:143], -v[136:137], v[138:139], 1.0
	v_fmac_f64_e32 v[138:139], v[138:139], v[142:143]
	v_fma_f64 v[142:143], -v[136:137], v[138:139], 1.0
	v_fmac_f64_e32 v[138:139], v[138:139], v[142:143]
	v_mul_f64 v[142:143], v[140:141], v[138:139]
	v_fma_f64 v[136:137], -v[136:137], v[142:143], v[140:141]
	v_div_fmas_f64 v[136:137], v[136:137], v[138:139], v[142:143]
	v_div_fixup_f64 v[126:127], v[136:137], v[126:127], 1.0
; %bb.716:
	s_or_b64 exec, exec, s[0:1]
	v_cmp_ne_u32_e32 vcc, v131, v128
	s_and_saveexec_b64 s[0:1], vcc
	s_xor_b64 s[0:1], exec, s[0:1]
	s_cbranch_execz .LBB120_722
; %bb.717:
	v_cmp_eq_u32_e32 vcc, 42, v131
	s_and_saveexec_b64 s[2:3], vcc
	s_cbranch_execz .LBB120_721
; %bb.718:
	v_cmp_ne_u32_e32 vcc, 42, v128
	s_xor_b64 s[14:15], s[6:7], -1
	s_and_b64 s[16:17], s[14:15], vcc
	s_and_saveexec_b64 s[14:15], s[16:17]
	s_cbranch_execz .LBB120_720
; %bb.719:
	v_ashrrev_i32_e32 v129, 31, v128
	v_lshlrev_b64 v[136:137], 2, v[128:129]
	v_add_co_u32_e32 v136, vcc, v4, v136
	v_addc_co_u32_e32 v137, vcc, v5, v137, vcc
	flat_load_dword v129, v[136:137]
	flat_load_dword v131, v[4:5] offset:168
	s_waitcnt vmcnt(0) lgkmcnt(0)
	flat_store_dword v[4:5], v129 offset:168
	flat_store_dword v[136:137], v131
.LBB120_720:
	s_or_b64 exec, exec, s[14:15]
	v_mov_b32_e32 v129, v128
	v_mov_b32_e32 v131, v128
.LBB120_721:
	s_or_b64 exec, exec, s[2:3]
.LBB120_722:
	s_andn2_saveexec_b64 s[0:1], s[0:1]
	s_cbranch_execz .LBB120_724
; %bb.723:
	v_mov_b32_e32 v131, 42
	ds_write2_b64 v130, v[36:37], v[34:35] offset0:43 offset1:44
	ds_write2_b64 v130, v[32:33], v[30:31] offset0:45 offset1:46
	;; [unrolled: 1-line block ×9, first 2 shown]
.LBB120_724:
	s_or_b64 exec, exec, s[0:1]
	v_cmp_lt_i32_e32 vcc, 42, v131
	s_waitcnt lgkmcnt(0)
	s_barrier
	s_and_saveexec_b64 s[0:1], vcc
	s_cbranch_execz .LBB120_726
; %bb.725:
	ds_read2_b64 v[136:139], v130 offset0:43 offset1:44
	ds_read2_b64 v[140:143], v130 offset0:45 offset1:46
	;; [unrolled: 1-line block ×3, first 2 shown]
	v_mul_f64 v[38:39], v[126:127], v[38:39]
	s_waitcnt lgkmcnt(0)
	v_fma_f64 v[36:37], -v[38:39], v[136:137], v[36:37]
	v_fma_f64 v[34:35], -v[38:39], v[138:139], v[34:35]
	ds_read2_b64 v[136:139], v130 offset0:49 offset1:50
	v_fma_f64 v[32:33], -v[38:39], v[140:141], v[32:33]
	v_fma_f64 v[30:31], -v[38:39], v[142:143], v[30:31]
	;; [unrolled: 1-line block ×3, first 2 shown]
	ds_read2_b64 v[140:143], v130 offset0:51 offset1:52
	v_fma_f64 v[26:27], -v[38:39], v[146:147], v[26:27]
	ds_read2_b64 v[144:147], v130 offset0:53 offset1:54
	s_waitcnt lgkmcnt(0)
	v_fma_f64 v[24:25], -v[38:39], v[136:137], v[24:25]
	v_fma_f64 v[22:23], -v[38:39], v[138:139], v[22:23]
	v_fma_f64 v[20:21], -v[38:39], v[140:141], v[20:21]
	v_fma_f64 v[18:19], -v[38:39], v[142:143], v[18:19]
	ds_read2_b64 v[136:139], v130 offset0:55 offset1:56
	ds_read2_b64 v[140:143], v130 offset0:57 offset1:58
	v_fma_f64 v[16:17], -v[38:39], v[144:145], v[16:17]
	v_fma_f64 v[14:15], -v[38:39], v[146:147], v[14:15]
	ds_read2_b64 v[144:147], v130 offset0:59 offset1:60
	s_waitcnt lgkmcnt(0)
	v_fma_f64 v[12:13], -v[38:39], v[136:137], v[12:13]
	v_fma_f64 v[10:11], -v[38:39], v[138:139], v[10:11]
	;; [unrolled: 1-line block ×6, first 2 shown]
.LBB120_726:
	s_or_b64 exec, exec, s[0:1]
	v_lshl_add_u32 v126, v131, 3, v130
	s_barrier
	ds_write_b64 v126, v[36:37]
	s_waitcnt lgkmcnt(0)
	s_barrier
	ds_read_b64 v[126:127], v130 offset:344
	s_cmp_lt_i32 s18, 45
	v_mov_b32_e32 v128, 43
	s_cbranch_scc1 .LBB120_729
; %bb.727:
	v_add_u32_e32 v135, 0x160, v130
	s_mov_b32 s0, 44
	v_mov_b32_e32 v128, 43
.LBB120_728:                            ; =>This Inner Loop Header: Depth=1
	ds_read_b64 v[136:137], v135
	v_mov_b32_e32 v138, s0
	s_add_i32 s0, s0, 1
	v_add_u32_e32 v135, 8, v135
	s_cmp_lg_u32 s18, s0
	s_waitcnt lgkmcnt(0)
	v_cmp_lt_f64_e64 vcc, |v[126:127]|, |v[136:137]|
	v_cndmask_b32_e32 v127, v127, v137, vcc
	v_cndmask_b32_e32 v126, v126, v136, vcc
	v_cndmask_b32_e32 v128, v128, v138, vcc
	s_cbranch_scc1 .LBB120_728
.LBB120_729:
	s_waitcnt lgkmcnt(0)
	v_cmp_eq_f64_e32 vcc, 0, v[126:127]
	s_and_saveexec_b64 s[0:1], vcc
	s_xor_b64 s[0:1], exec, s[0:1]
; %bb.730:
	v_cmp_ne_u32_e32 vcc, 0, v134
	v_cndmask_b32_e32 v134, 44, v134, vcc
; %bb.731:
	s_andn2_saveexec_b64 s[0:1], s[0:1]
; %bb.732:
	v_div_scale_f64 v[136:137], s[2:3], v[126:127], v[126:127], 1.0
	v_rcp_f64_e32 v[138:139], v[136:137]
	v_div_scale_f64 v[140:141], vcc, 1.0, v[126:127], 1.0
	v_fma_f64 v[142:143], -v[136:137], v[138:139], 1.0
	v_fmac_f64_e32 v[138:139], v[138:139], v[142:143]
	v_fma_f64 v[142:143], -v[136:137], v[138:139], 1.0
	v_fmac_f64_e32 v[138:139], v[138:139], v[142:143]
	v_mul_f64 v[142:143], v[140:141], v[138:139]
	v_fma_f64 v[136:137], -v[136:137], v[142:143], v[140:141]
	v_div_fmas_f64 v[136:137], v[136:137], v[138:139], v[142:143]
	v_div_fixup_f64 v[126:127], v[136:137], v[126:127], 1.0
; %bb.733:
	s_or_b64 exec, exec, s[0:1]
	v_cmp_ne_u32_e32 vcc, v131, v128
	s_and_saveexec_b64 s[0:1], vcc
	s_xor_b64 s[0:1], exec, s[0:1]
	s_cbranch_execz .LBB120_739
; %bb.734:
	v_cmp_eq_u32_e32 vcc, 43, v131
	s_and_saveexec_b64 s[2:3], vcc
	s_cbranch_execz .LBB120_738
; %bb.735:
	v_cmp_ne_u32_e32 vcc, 43, v128
	s_xor_b64 s[14:15], s[6:7], -1
	s_and_b64 s[16:17], s[14:15], vcc
	s_and_saveexec_b64 s[14:15], s[16:17]
	s_cbranch_execz .LBB120_737
; %bb.736:
	v_ashrrev_i32_e32 v129, 31, v128
	v_lshlrev_b64 v[136:137], 2, v[128:129]
	v_add_co_u32_e32 v136, vcc, v4, v136
	v_addc_co_u32_e32 v137, vcc, v5, v137, vcc
	flat_load_dword v129, v[136:137]
	flat_load_dword v131, v[4:5] offset:172
	s_waitcnt vmcnt(0) lgkmcnt(0)
	flat_store_dword v[4:5], v129 offset:172
	flat_store_dword v[136:137], v131
.LBB120_737:
	s_or_b64 exec, exec, s[14:15]
	v_mov_b32_e32 v129, v128
	v_mov_b32_e32 v131, v128
.LBB120_738:
	s_or_b64 exec, exec, s[2:3]
.LBB120_739:
	s_andn2_saveexec_b64 s[0:1], s[0:1]
	s_cbranch_execz .LBB120_741
; %bb.740:
	v_mov_b32_e32 v136, v34
	v_mov_b32_e32 v137, v35
	v_mov_b32_e32 v138, v32
	v_mov_b32_e32 v139, v33
	ds_write2_b64 v130, v[136:137], v[138:139] offset0:44 offset1:45
	v_mov_b32_e32 v136, v30
	v_mov_b32_e32 v137, v31
	v_mov_b32_e32 v138, v28
	v_mov_b32_e32 v139, v29
	ds_write2_b64 v130, v[136:137], v[138:139] offset0:46 offset1:47
	;; [unrolled: 5-line block ×7, first 2 shown]
	v_mov_b32_e32 v136, v6
	v_mov_b32_e32 v137, v7
	;; [unrolled: 1-line block ×5, first 2 shown]
	ds_write2_b64 v130, v[136:137], v[138:139] offset0:58 offset1:59
	ds_write_b64 v130, v[124:125] offset:480
.LBB120_741:
	s_or_b64 exec, exec, s[0:1]
	v_cmp_lt_i32_e32 vcc, 43, v131
	s_waitcnt lgkmcnt(0)
	s_barrier
	s_and_saveexec_b64 s[0:1], vcc
	s_cbranch_execz .LBB120_743
; %bb.742:
	ds_read2_b64 v[136:139], v130 offset0:44 offset1:45
	ds_read2_b64 v[140:143], v130 offset0:46 offset1:47
	v_mul_f64 v[36:37], v[126:127], v[36:37]
	ds_read2_b64 v[144:147], v130 offset0:48 offset1:49
	ds_read_b64 v[126:127], v130 offset:480
	s_waitcnt lgkmcnt(0)
	v_fma_f64 v[34:35], -v[36:37], v[136:137], v[34:35]
	v_fma_f64 v[32:33], -v[36:37], v[138:139], v[32:33]
	ds_read2_b64 v[136:139], v130 offset0:50 offset1:51
	v_fma_f64 v[30:31], -v[36:37], v[140:141], v[30:31]
	v_fma_f64 v[28:29], -v[36:37], v[142:143], v[28:29]
	ds_read2_b64 v[140:143], v130 offset0:52 offset1:53
	;; [unrolled: 3-line block ×3, first 2 shown]
	s_waitcnt lgkmcnt(0)
	v_fma_f64 v[22:23], -v[36:37], v[136:137], v[22:23]
	v_fma_f64 v[20:21], -v[36:37], v[138:139], v[20:21]
	;; [unrolled: 1-line block ×4, first 2 shown]
	ds_read2_b64 v[136:139], v130 offset0:56 offset1:57
	ds_read2_b64 v[140:143], v130 offset0:58 offset1:59
	v_fma_f64 v[14:15], -v[36:37], v[144:145], v[14:15]
	v_fma_f64 v[12:13], -v[36:37], v[146:147], v[12:13]
	;; [unrolled: 1-line block ×3, first 2 shown]
	s_waitcnt lgkmcnt(0)
	v_fma_f64 v[10:11], -v[36:37], v[136:137], v[10:11]
	v_fma_f64 v[8:9], -v[36:37], v[138:139], v[8:9]
	;; [unrolled: 1-line block ×4, first 2 shown]
.LBB120_743:
	s_or_b64 exec, exec, s[0:1]
	v_lshl_add_u32 v126, v131, 3, v130
	s_barrier
	ds_write_b64 v126, v[34:35]
	s_waitcnt lgkmcnt(0)
	s_barrier
	ds_read_b64 v[126:127], v130 offset:352
	s_cmp_lt_i32 s18, 46
	v_mov_b32_e32 v128, 44
	s_cbranch_scc1 .LBB120_746
; %bb.744:
	v_add_u32_e32 v135, 0x168, v130
	s_mov_b32 s0, 45
	v_mov_b32_e32 v128, 44
.LBB120_745:                            ; =>This Inner Loop Header: Depth=1
	ds_read_b64 v[136:137], v135
	v_mov_b32_e32 v138, s0
	s_add_i32 s0, s0, 1
	v_add_u32_e32 v135, 8, v135
	s_cmp_lg_u32 s18, s0
	s_waitcnt lgkmcnt(0)
	v_cmp_lt_f64_e64 vcc, |v[126:127]|, |v[136:137]|
	v_cndmask_b32_e32 v127, v127, v137, vcc
	v_cndmask_b32_e32 v126, v126, v136, vcc
	;; [unrolled: 1-line block ×3, first 2 shown]
	s_cbranch_scc1 .LBB120_745
.LBB120_746:
	s_waitcnt lgkmcnt(0)
	v_cmp_eq_f64_e32 vcc, 0, v[126:127]
	s_and_saveexec_b64 s[0:1], vcc
	s_xor_b64 s[0:1], exec, s[0:1]
; %bb.747:
	v_cmp_ne_u32_e32 vcc, 0, v134
	v_cndmask_b32_e32 v134, 45, v134, vcc
; %bb.748:
	s_andn2_saveexec_b64 s[0:1], s[0:1]
; %bb.749:
	v_div_scale_f64 v[136:137], s[2:3], v[126:127], v[126:127], 1.0
	v_rcp_f64_e32 v[138:139], v[136:137]
	v_div_scale_f64 v[140:141], vcc, 1.0, v[126:127], 1.0
	v_fma_f64 v[142:143], -v[136:137], v[138:139], 1.0
	v_fmac_f64_e32 v[138:139], v[138:139], v[142:143]
	v_fma_f64 v[142:143], -v[136:137], v[138:139], 1.0
	v_fmac_f64_e32 v[138:139], v[138:139], v[142:143]
	v_mul_f64 v[142:143], v[140:141], v[138:139]
	v_fma_f64 v[136:137], -v[136:137], v[142:143], v[140:141]
	v_div_fmas_f64 v[136:137], v[136:137], v[138:139], v[142:143]
	v_div_fixup_f64 v[126:127], v[136:137], v[126:127], 1.0
; %bb.750:
	s_or_b64 exec, exec, s[0:1]
	v_cmp_ne_u32_e32 vcc, v131, v128
	s_and_saveexec_b64 s[0:1], vcc
	s_xor_b64 s[0:1], exec, s[0:1]
	s_cbranch_execz .LBB120_756
; %bb.751:
	v_cmp_eq_u32_e32 vcc, 44, v131
	s_and_saveexec_b64 s[2:3], vcc
	s_cbranch_execz .LBB120_755
; %bb.752:
	v_cmp_ne_u32_e32 vcc, 44, v128
	s_xor_b64 s[14:15], s[6:7], -1
	s_and_b64 s[16:17], s[14:15], vcc
	s_and_saveexec_b64 s[14:15], s[16:17]
	s_cbranch_execz .LBB120_754
; %bb.753:
	v_ashrrev_i32_e32 v129, 31, v128
	v_lshlrev_b64 v[136:137], 2, v[128:129]
	v_add_co_u32_e32 v136, vcc, v4, v136
	v_addc_co_u32_e32 v137, vcc, v5, v137, vcc
	flat_load_dword v129, v[136:137]
	flat_load_dword v131, v[4:5] offset:176
	s_waitcnt vmcnt(0) lgkmcnt(0)
	flat_store_dword v[4:5], v129 offset:176
	flat_store_dword v[136:137], v131
.LBB120_754:
	s_or_b64 exec, exec, s[14:15]
	v_mov_b32_e32 v129, v128
	v_mov_b32_e32 v131, v128
.LBB120_755:
	s_or_b64 exec, exec, s[2:3]
.LBB120_756:
	s_andn2_saveexec_b64 s[0:1], s[0:1]
	s_cbranch_execz .LBB120_758
; %bb.757:
	v_mov_b32_e32 v131, 44
	ds_write2_b64 v130, v[32:33], v[30:31] offset0:45 offset1:46
	ds_write2_b64 v130, v[28:29], v[26:27] offset0:47 offset1:48
	;; [unrolled: 1-line block ×8, first 2 shown]
.LBB120_758:
	s_or_b64 exec, exec, s[0:1]
	v_cmp_lt_i32_e32 vcc, 44, v131
	s_waitcnt lgkmcnt(0)
	s_barrier
	s_and_saveexec_b64 s[0:1], vcc
	s_cbranch_execz .LBB120_760
; %bb.759:
	ds_read2_b64 v[136:139], v130 offset0:45 offset1:46
	ds_read2_b64 v[140:143], v130 offset0:47 offset1:48
	v_mul_f64 v[34:35], v[126:127], v[34:35]
	ds_read2_b64 v[144:147], v130 offset0:49 offset1:50
	s_waitcnt lgkmcnt(0)
	v_fma_f64 v[32:33], -v[34:35], v[136:137], v[32:33]
	v_fma_f64 v[30:31], -v[34:35], v[138:139], v[30:31]
	ds_read2_b64 v[136:139], v130 offset0:51 offset1:52
	v_fma_f64 v[28:29], -v[34:35], v[140:141], v[28:29]
	v_fma_f64 v[26:27], -v[34:35], v[142:143], v[26:27]
	ds_read2_b64 v[140:143], v130 offset0:53 offset1:54
	v_fma_f64 v[24:25], -v[34:35], v[144:145], v[24:25]
	v_fma_f64 v[22:23], -v[34:35], v[146:147], v[22:23]
	s_waitcnt lgkmcnt(0)
	v_fma_f64 v[20:21], -v[34:35], v[136:137], v[20:21]
	v_fma_f64 v[18:19], -v[34:35], v[138:139], v[18:19]
	ds_read2_b64 v[136:139], v130 offset0:55 offset1:56
	v_fma_f64 v[16:17], -v[34:35], v[140:141], v[16:17]
	ds_read2_b64 v[144:147], v130 offset0:57 offset1:58
	;; [unrolled: 2-line block ×3, first 2 shown]
	s_waitcnt lgkmcnt(0)
	v_fma_f64 v[12:13], -v[34:35], v[136:137], v[12:13]
	v_fma_f64 v[10:11], -v[34:35], v[138:139], v[10:11]
	;; [unrolled: 1-line block ×6, first 2 shown]
.LBB120_760:
	s_or_b64 exec, exec, s[0:1]
	v_lshl_add_u32 v126, v131, 3, v130
	s_barrier
	ds_write_b64 v126, v[32:33]
	s_waitcnt lgkmcnt(0)
	s_barrier
	ds_read_b64 v[126:127], v130 offset:360
	s_cmp_lt_i32 s18, 47
	v_mov_b32_e32 v128, 45
	s_cbranch_scc1 .LBB120_763
; %bb.761:
	v_add_u32_e32 v135, 0x170, v130
	s_mov_b32 s0, 46
	v_mov_b32_e32 v128, 45
.LBB120_762:                            ; =>This Inner Loop Header: Depth=1
	ds_read_b64 v[136:137], v135
	v_mov_b32_e32 v138, s0
	s_add_i32 s0, s0, 1
	v_add_u32_e32 v135, 8, v135
	s_cmp_lg_u32 s18, s0
	s_waitcnt lgkmcnt(0)
	v_cmp_lt_f64_e64 vcc, |v[126:127]|, |v[136:137]|
	v_cndmask_b32_e32 v127, v127, v137, vcc
	v_cndmask_b32_e32 v126, v126, v136, vcc
	;; [unrolled: 1-line block ×3, first 2 shown]
	s_cbranch_scc1 .LBB120_762
.LBB120_763:
	s_waitcnt lgkmcnt(0)
	v_cmp_eq_f64_e32 vcc, 0, v[126:127]
	s_and_saveexec_b64 s[0:1], vcc
	s_xor_b64 s[0:1], exec, s[0:1]
; %bb.764:
	v_cmp_ne_u32_e32 vcc, 0, v134
	v_cndmask_b32_e32 v134, 46, v134, vcc
; %bb.765:
	s_andn2_saveexec_b64 s[0:1], s[0:1]
; %bb.766:
	v_div_scale_f64 v[136:137], s[2:3], v[126:127], v[126:127], 1.0
	v_rcp_f64_e32 v[138:139], v[136:137]
	v_div_scale_f64 v[140:141], vcc, 1.0, v[126:127], 1.0
	v_fma_f64 v[142:143], -v[136:137], v[138:139], 1.0
	v_fmac_f64_e32 v[138:139], v[138:139], v[142:143]
	v_fma_f64 v[142:143], -v[136:137], v[138:139], 1.0
	v_fmac_f64_e32 v[138:139], v[138:139], v[142:143]
	v_mul_f64 v[142:143], v[140:141], v[138:139]
	v_fma_f64 v[136:137], -v[136:137], v[142:143], v[140:141]
	v_div_fmas_f64 v[136:137], v[136:137], v[138:139], v[142:143]
	v_div_fixup_f64 v[126:127], v[136:137], v[126:127], 1.0
; %bb.767:
	s_or_b64 exec, exec, s[0:1]
	v_cmp_ne_u32_e32 vcc, v131, v128
	s_and_saveexec_b64 s[0:1], vcc
	s_xor_b64 s[0:1], exec, s[0:1]
	s_cbranch_execz .LBB120_773
; %bb.768:
	v_cmp_eq_u32_e32 vcc, 45, v131
	s_and_saveexec_b64 s[2:3], vcc
	s_cbranch_execz .LBB120_772
; %bb.769:
	v_cmp_ne_u32_e32 vcc, 45, v128
	s_xor_b64 s[14:15], s[6:7], -1
	s_and_b64 s[16:17], s[14:15], vcc
	s_and_saveexec_b64 s[14:15], s[16:17]
	s_cbranch_execz .LBB120_771
; %bb.770:
	v_ashrrev_i32_e32 v129, 31, v128
	v_lshlrev_b64 v[136:137], 2, v[128:129]
	v_add_co_u32_e32 v136, vcc, v4, v136
	v_addc_co_u32_e32 v137, vcc, v5, v137, vcc
	flat_load_dword v129, v[136:137]
	flat_load_dword v131, v[4:5] offset:180
	s_waitcnt vmcnt(0) lgkmcnt(0)
	flat_store_dword v[4:5], v129 offset:180
	flat_store_dword v[136:137], v131
.LBB120_771:
	s_or_b64 exec, exec, s[14:15]
	v_mov_b32_e32 v129, v128
	v_mov_b32_e32 v131, v128
.LBB120_772:
	s_or_b64 exec, exec, s[2:3]
.LBB120_773:
	s_andn2_saveexec_b64 s[0:1], s[0:1]
	s_cbranch_execz .LBB120_775
; %bb.774:
	v_mov_b32_e32 v136, v30
	v_mov_b32_e32 v137, v31
	v_mov_b32_e32 v138, v28
	v_mov_b32_e32 v139, v29
	ds_write2_b64 v130, v[136:137], v[138:139] offset0:46 offset1:47
	v_mov_b32_e32 v136, v26
	v_mov_b32_e32 v137, v27
	v_mov_b32_e32 v138, v24
	v_mov_b32_e32 v139, v25
	ds_write2_b64 v130, v[136:137], v[138:139] offset0:48 offset1:49
	;; [unrolled: 5-line block ×6, first 2 shown]
	v_mov_b32_e32 v136, v6
	v_mov_b32_e32 v137, v7
	;; [unrolled: 1-line block ×5, first 2 shown]
	ds_write2_b64 v130, v[136:137], v[138:139] offset0:58 offset1:59
	ds_write_b64 v130, v[124:125] offset:480
.LBB120_775:
	s_or_b64 exec, exec, s[0:1]
	v_cmp_lt_i32_e32 vcc, 45, v131
	s_waitcnt lgkmcnt(0)
	s_barrier
	s_and_saveexec_b64 s[0:1], vcc
	s_cbranch_execz .LBB120_777
; %bb.776:
	ds_read2_b64 v[136:139], v130 offset0:46 offset1:47
	ds_read2_b64 v[140:143], v130 offset0:48 offset1:49
	v_mul_f64 v[32:33], v[126:127], v[32:33]
	ds_read2_b64 v[144:147], v130 offset0:50 offset1:51
	ds_read_b64 v[126:127], v130 offset:480
	s_waitcnt lgkmcnt(0)
	v_fma_f64 v[30:31], -v[32:33], v[136:137], v[30:31]
	v_fma_f64 v[28:29], -v[32:33], v[138:139], v[28:29]
	ds_read2_b64 v[136:139], v130 offset0:52 offset1:53
	v_fma_f64 v[26:27], -v[32:33], v[140:141], v[26:27]
	v_fma_f64 v[24:25], -v[32:33], v[142:143], v[24:25]
	;; [unrolled: 1-line block ×3, first 2 shown]
	ds_read2_b64 v[140:143], v130 offset0:54 offset1:55
	v_fma_f64 v[20:21], -v[32:33], v[146:147], v[20:21]
	s_waitcnt lgkmcnt(0)
	v_fma_f64 v[18:19], -v[32:33], v[136:137], v[18:19]
	v_fma_f64 v[16:17], -v[32:33], v[138:139], v[16:17]
	ds_read2_b64 v[136:139], v130 offset0:56 offset1:57
	ds_read2_b64 v[144:147], v130 offset0:58 offset1:59
	v_fma_f64 v[14:15], -v[32:33], v[140:141], v[14:15]
	v_fma_f64 v[12:13], -v[32:33], v[142:143], v[12:13]
	v_fma_f64 v[124:125], -v[32:33], v[126:127], v[124:125]
	s_waitcnt lgkmcnt(0)
	v_fma_f64 v[10:11], -v[32:33], v[136:137], v[10:11]
	v_fma_f64 v[8:9], -v[32:33], v[138:139], v[8:9]
	;; [unrolled: 1-line block ×4, first 2 shown]
.LBB120_777:
	s_or_b64 exec, exec, s[0:1]
	v_lshl_add_u32 v126, v131, 3, v130
	s_barrier
	ds_write_b64 v126, v[30:31]
	s_waitcnt lgkmcnt(0)
	s_barrier
	ds_read_b64 v[126:127], v130 offset:368
	s_cmp_lt_i32 s18, 48
	v_mov_b32_e32 v128, 46
	s_cbranch_scc1 .LBB120_780
; %bb.778:
	v_add_u32_e32 v135, 0x178, v130
	s_mov_b32 s0, 47
	v_mov_b32_e32 v128, 46
.LBB120_779:                            ; =>This Inner Loop Header: Depth=1
	ds_read_b64 v[136:137], v135
	v_mov_b32_e32 v138, s0
	s_add_i32 s0, s0, 1
	v_add_u32_e32 v135, 8, v135
	s_cmp_lg_u32 s18, s0
	s_waitcnt lgkmcnt(0)
	v_cmp_lt_f64_e64 vcc, |v[126:127]|, |v[136:137]|
	v_cndmask_b32_e32 v127, v127, v137, vcc
	v_cndmask_b32_e32 v126, v126, v136, vcc
	v_cndmask_b32_e32 v128, v128, v138, vcc
	s_cbranch_scc1 .LBB120_779
.LBB120_780:
	s_waitcnt lgkmcnt(0)
	v_cmp_eq_f64_e32 vcc, 0, v[126:127]
	s_and_saveexec_b64 s[0:1], vcc
	s_xor_b64 s[0:1], exec, s[0:1]
; %bb.781:
	v_cmp_ne_u32_e32 vcc, 0, v134
	v_cndmask_b32_e32 v134, 47, v134, vcc
; %bb.782:
	s_andn2_saveexec_b64 s[0:1], s[0:1]
; %bb.783:
	v_div_scale_f64 v[136:137], s[2:3], v[126:127], v[126:127], 1.0
	v_rcp_f64_e32 v[138:139], v[136:137]
	v_div_scale_f64 v[140:141], vcc, 1.0, v[126:127], 1.0
	v_fma_f64 v[142:143], -v[136:137], v[138:139], 1.0
	v_fmac_f64_e32 v[138:139], v[138:139], v[142:143]
	v_fma_f64 v[142:143], -v[136:137], v[138:139], 1.0
	v_fmac_f64_e32 v[138:139], v[138:139], v[142:143]
	v_mul_f64 v[142:143], v[140:141], v[138:139]
	v_fma_f64 v[136:137], -v[136:137], v[142:143], v[140:141]
	v_div_fmas_f64 v[136:137], v[136:137], v[138:139], v[142:143]
	v_div_fixup_f64 v[126:127], v[136:137], v[126:127], 1.0
; %bb.784:
	s_or_b64 exec, exec, s[0:1]
	v_cmp_ne_u32_e32 vcc, v131, v128
	s_and_saveexec_b64 s[0:1], vcc
	s_xor_b64 s[0:1], exec, s[0:1]
	s_cbranch_execz .LBB120_790
; %bb.785:
	v_cmp_eq_u32_e32 vcc, 46, v131
	s_and_saveexec_b64 s[2:3], vcc
	s_cbranch_execz .LBB120_789
; %bb.786:
	v_cmp_ne_u32_e32 vcc, 46, v128
	s_xor_b64 s[14:15], s[6:7], -1
	s_and_b64 s[16:17], s[14:15], vcc
	s_and_saveexec_b64 s[14:15], s[16:17]
	s_cbranch_execz .LBB120_788
; %bb.787:
	v_ashrrev_i32_e32 v129, 31, v128
	v_lshlrev_b64 v[136:137], 2, v[128:129]
	v_add_co_u32_e32 v136, vcc, v4, v136
	v_addc_co_u32_e32 v137, vcc, v5, v137, vcc
	flat_load_dword v129, v[136:137]
	flat_load_dword v131, v[4:5] offset:184
	s_waitcnt vmcnt(0) lgkmcnt(0)
	flat_store_dword v[4:5], v129 offset:184
	flat_store_dword v[136:137], v131
.LBB120_788:
	s_or_b64 exec, exec, s[14:15]
	v_mov_b32_e32 v129, v128
	v_mov_b32_e32 v131, v128
.LBB120_789:
	s_or_b64 exec, exec, s[2:3]
.LBB120_790:
	s_andn2_saveexec_b64 s[0:1], s[0:1]
	s_cbranch_execz .LBB120_792
; %bb.791:
	v_mov_b32_e32 v131, 46
	ds_write2_b64 v130, v[28:29], v[26:27] offset0:47 offset1:48
	ds_write2_b64 v130, v[24:25], v[22:23] offset0:49 offset1:50
	;; [unrolled: 1-line block ×7, first 2 shown]
.LBB120_792:
	s_or_b64 exec, exec, s[0:1]
	v_cmp_lt_i32_e32 vcc, 46, v131
	s_waitcnt lgkmcnt(0)
	s_barrier
	s_and_saveexec_b64 s[0:1], vcc
	s_cbranch_execz .LBB120_794
; %bb.793:
	ds_read2_b64 v[136:139], v130 offset0:47 offset1:48
	ds_read2_b64 v[140:143], v130 offset0:49 offset1:50
	v_mul_f64 v[30:31], v[126:127], v[30:31]
	ds_read2_b64 v[144:147], v130 offset0:51 offset1:52
	s_waitcnt lgkmcnt(0)
	v_fma_f64 v[28:29], -v[30:31], v[136:137], v[28:29]
	v_fma_f64 v[26:27], -v[30:31], v[138:139], v[26:27]
	ds_read2_b64 v[136:139], v130 offset0:53 offset1:54
	v_fma_f64 v[24:25], -v[30:31], v[140:141], v[24:25]
	v_fma_f64 v[22:23], -v[30:31], v[142:143], v[22:23]
	;; [unrolled: 1-line block ×4, first 2 shown]
	ds_read2_b64 v[140:143], v130 offset0:55 offset1:56
	ds_read2_b64 v[144:147], v130 offset0:57 offset1:58
	s_waitcnt lgkmcnt(0)
	v_fma_f64 v[16:17], -v[30:31], v[136:137], v[16:17]
	v_fma_f64 v[14:15], -v[30:31], v[138:139], v[14:15]
	ds_read2_b64 v[136:139], v130 offset0:59 offset1:60
	v_fma_f64 v[12:13], -v[30:31], v[140:141], v[12:13]
	v_fma_f64 v[10:11], -v[30:31], v[142:143], v[10:11]
	;; [unrolled: 1-line block ×4, first 2 shown]
	s_waitcnt lgkmcnt(0)
	v_fma_f64 v[0:1], -v[30:31], v[136:137], v[0:1]
	v_fma_f64 v[124:125], -v[30:31], v[138:139], v[124:125]
.LBB120_794:
	s_or_b64 exec, exec, s[0:1]
	v_lshl_add_u32 v126, v131, 3, v130
	s_barrier
	ds_write_b64 v126, v[28:29]
	s_waitcnt lgkmcnt(0)
	s_barrier
	ds_read_b64 v[126:127], v130 offset:376
	s_cmp_lt_i32 s18, 49
	v_mov_b32_e32 v128, 47
	s_cbranch_scc1 .LBB120_797
; %bb.795:
	v_add_u32_e32 v135, 0x180, v130
	s_mov_b32 s0, 48
	v_mov_b32_e32 v128, 47
.LBB120_796:                            ; =>This Inner Loop Header: Depth=1
	ds_read_b64 v[136:137], v135
	v_mov_b32_e32 v138, s0
	s_add_i32 s0, s0, 1
	v_add_u32_e32 v135, 8, v135
	s_cmp_lg_u32 s18, s0
	s_waitcnt lgkmcnt(0)
	v_cmp_lt_f64_e64 vcc, |v[126:127]|, |v[136:137]|
	v_cndmask_b32_e32 v127, v127, v137, vcc
	v_cndmask_b32_e32 v126, v126, v136, vcc
	;; [unrolled: 1-line block ×3, first 2 shown]
	s_cbranch_scc1 .LBB120_796
.LBB120_797:
	s_waitcnt lgkmcnt(0)
	v_cmp_eq_f64_e32 vcc, 0, v[126:127]
	s_and_saveexec_b64 s[0:1], vcc
	s_xor_b64 s[0:1], exec, s[0:1]
; %bb.798:
	v_cmp_ne_u32_e32 vcc, 0, v134
	v_cndmask_b32_e32 v134, 48, v134, vcc
; %bb.799:
	s_andn2_saveexec_b64 s[0:1], s[0:1]
; %bb.800:
	v_div_scale_f64 v[136:137], s[2:3], v[126:127], v[126:127], 1.0
	v_rcp_f64_e32 v[138:139], v[136:137]
	v_div_scale_f64 v[140:141], vcc, 1.0, v[126:127], 1.0
	v_fma_f64 v[142:143], -v[136:137], v[138:139], 1.0
	v_fmac_f64_e32 v[138:139], v[138:139], v[142:143]
	v_fma_f64 v[142:143], -v[136:137], v[138:139], 1.0
	v_fmac_f64_e32 v[138:139], v[138:139], v[142:143]
	v_mul_f64 v[142:143], v[140:141], v[138:139]
	v_fma_f64 v[136:137], -v[136:137], v[142:143], v[140:141]
	v_div_fmas_f64 v[136:137], v[136:137], v[138:139], v[142:143]
	v_div_fixup_f64 v[126:127], v[136:137], v[126:127], 1.0
; %bb.801:
	s_or_b64 exec, exec, s[0:1]
	v_cmp_ne_u32_e32 vcc, v131, v128
	s_and_saveexec_b64 s[0:1], vcc
	s_xor_b64 s[0:1], exec, s[0:1]
	s_cbranch_execz .LBB120_807
; %bb.802:
	v_cmp_eq_u32_e32 vcc, 47, v131
	s_and_saveexec_b64 s[2:3], vcc
	s_cbranch_execz .LBB120_806
; %bb.803:
	v_cmp_ne_u32_e32 vcc, 47, v128
	s_xor_b64 s[14:15], s[6:7], -1
	s_and_b64 s[16:17], s[14:15], vcc
	s_and_saveexec_b64 s[14:15], s[16:17]
	s_cbranch_execz .LBB120_805
; %bb.804:
	v_ashrrev_i32_e32 v129, 31, v128
	v_lshlrev_b64 v[136:137], 2, v[128:129]
	v_add_co_u32_e32 v136, vcc, v4, v136
	v_addc_co_u32_e32 v137, vcc, v5, v137, vcc
	flat_load_dword v129, v[136:137]
	flat_load_dword v131, v[4:5] offset:188
	s_waitcnt vmcnt(0) lgkmcnt(0)
	flat_store_dword v[4:5], v129 offset:188
	flat_store_dword v[136:137], v131
.LBB120_805:
	s_or_b64 exec, exec, s[14:15]
	v_mov_b32_e32 v129, v128
	v_mov_b32_e32 v131, v128
.LBB120_806:
	s_or_b64 exec, exec, s[2:3]
.LBB120_807:
	s_andn2_saveexec_b64 s[0:1], s[0:1]
	s_cbranch_execz .LBB120_809
; %bb.808:
	v_mov_b32_e32 v136, v26
	v_mov_b32_e32 v137, v27
	v_mov_b32_e32 v138, v24
	v_mov_b32_e32 v139, v25
	ds_write2_b64 v130, v[136:137], v[138:139] offset0:48 offset1:49
	v_mov_b32_e32 v136, v22
	v_mov_b32_e32 v137, v23
	v_mov_b32_e32 v138, v20
	v_mov_b32_e32 v139, v21
	ds_write2_b64 v130, v[136:137], v[138:139] offset0:50 offset1:51
	;; [unrolled: 5-line block ×5, first 2 shown]
	v_mov_b32_e32 v136, v6
	v_mov_b32_e32 v137, v7
	;; [unrolled: 1-line block ×5, first 2 shown]
	ds_write2_b64 v130, v[136:137], v[138:139] offset0:58 offset1:59
	ds_write_b64 v130, v[124:125] offset:480
.LBB120_809:
	s_or_b64 exec, exec, s[0:1]
	v_cmp_lt_i32_e32 vcc, 47, v131
	s_waitcnt lgkmcnt(0)
	s_barrier
	s_and_saveexec_b64 s[0:1], vcc
	s_cbranch_execz .LBB120_811
; %bb.810:
	ds_read2_b64 v[136:139], v130 offset0:48 offset1:49
	ds_read2_b64 v[140:143], v130 offset0:50 offset1:51
	;; [unrolled: 1-line block ×3, first 2 shown]
	v_mul_f64 v[28:29], v[126:127], v[28:29]
	ds_read_b64 v[126:127], v130 offset:480
	s_waitcnt lgkmcnt(0)
	v_fma_f64 v[26:27], -v[28:29], v[136:137], v[26:27]
	v_fma_f64 v[24:25], -v[28:29], v[138:139], v[24:25]
	ds_read2_b64 v[136:139], v130 offset0:54 offset1:55
	v_fma_f64 v[22:23], -v[28:29], v[140:141], v[22:23]
	v_fma_f64 v[20:21], -v[28:29], v[142:143], v[20:21]
	;; [unrolled: 1-line block ×4, first 2 shown]
	ds_read2_b64 v[140:143], v130 offset0:56 offset1:57
	ds_read2_b64 v[144:147], v130 offset0:58 offset1:59
	s_waitcnt lgkmcnt(0)
	v_fma_f64 v[14:15], -v[28:29], v[136:137], v[14:15]
	v_fma_f64 v[12:13], -v[28:29], v[138:139], v[12:13]
	;; [unrolled: 1-line block ×7, first 2 shown]
.LBB120_811:
	s_or_b64 exec, exec, s[0:1]
	v_lshl_add_u32 v126, v131, 3, v130
	s_barrier
	ds_write_b64 v126, v[26:27]
	s_waitcnt lgkmcnt(0)
	s_barrier
	ds_read_b64 v[126:127], v130 offset:384
	s_cmp_lt_i32 s18, 50
	v_mov_b32_e32 v128, 48
	s_cbranch_scc1 .LBB120_814
; %bb.812:
	v_add_u32_e32 v135, 0x188, v130
	s_mov_b32 s0, 49
	v_mov_b32_e32 v128, 48
.LBB120_813:                            ; =>This Inner Loop Header: Depth=1
	ds_read_b64 v[136:137], v135
	v_mov_b32_e32 v138, s0
	s_add_i32 s0, s0, 1
	v_add_u32_e32 v135, 8, v135
	s_cmp_lg_u32 s18, s0
	s_waitcnt lgkmcnt(0)
	v_cmp_lt_f64_e64 vcc, |v[126:127]|, |v[136:137]|
	v_cndmask_b32_e32 v127, v127, v137, vcc
	v_cndmask_b32_e32 v126, v126, v136, vcc
	;; [unrolled: 1-line block ×3, first 2 shown]
	s_cbranch_scc1 .LBB120_813
.LBB120_814:
	s_waitcnt lgkmcnt(0)
	v_cmp_eq_f64_e32 vcc, 0, v[126:127]
	s_and_saveexec_b64 s[0:1], vcc
	s_xor_b64 s[0:1], exec, s[0:1]
; %bb.815:
	v_cmp_ne_u32_e32 vcc, 0, v134
	v_cndmask_b32_e32 v134, 49, v134, vcc
; %bb.816:
	s_andn2_saveexec_b64 s[0:1], s[0:1]
; %bb.817:
	v_div_scale_f64 v[136:137], s[2:3], v[126:127], v[126:127], 1.0
	v_rcp_f64_e32 v[138:139], v[136:137]
	v_div_scale_f64 v[140:141], vcc, 1.0, v[126:127], 1.0
	v_fma_f64 v[142:143], -v[136:137], v[138:139], 1.0
	v_fmac_f64_e32 v[138:139], v[138:139], v[142:143]
	v_fma_f64 v[142:143], -v[136:137], v[138:139], 1.0
	v_fmac_f64_e32 v[138:139], v[138:139], v[142:143]
	v_mul_f64 v[142:143], v[140:141], v[138:139]
	v_fma_f64 v[136:137], -v[136:137], v[142:143], v[140:141]
	v_div_fmas_f64 v[136:137], v[136:137], v[138:139], v[142:143]
	v_div_fixup_f64 v[126:127], v[136:137], v[126:127], 1.0
; %bb.818:
	s_or_b64 exec, exec, s[0:1]
	v_cmp_ne_u32_e32 vcc, v131, v128
	s_and_saveexec_b64 s[0:1], vcc
	s_xor_b64 s[0:1], exec, s[0:1]
	s_cbranch_execz .LBB120_824
; %bb.819:
	v_cmp_eq_u32_e32 vcc, 48, v131
	s_and_saveexec_b64 s[2:3], vcc
	s_cbranch_execz .LBB120_823
; %bb.820:
	v_cmp_ne_u32_e32 vcc, 48, v128
	s_xor_b64 s[14:15], s[6:7], -1
	s_and_b64 s[16:17], s[14:15], vcc
	s_and_saveexec_b64 s[14:15], s[16:17]
	s_cbranch_execz .LBB120_822
; %bb.821:
	v_ashrrev_i32_e32 v129, 31, v128
	v_lshlrev_b64 v[136:137], 2, v[128:129]
	v_add_co_u32_e32 v136, vcc, v4, v136
	v_addc_co_u32_e32 v137, vcc, v5, v137, vcc
	flat_load_dword v129, v[136:137]
	flat_load_dword v131, v[4:5] offset:192
	s_waitcnt vmcnt(0) lgkmcnt(0)
	flat_store_dword v[4:5], v129 offset:192
	flat_store_dword v[136:137], v131
.LBB120_822:
	s_or_b64 exec, exec, s[14:15]
	v_mov_b32_e32 v129, v128
	v_mov_b32_e32 v131, v128
.LBB120_823:
	s_or_b64 exec, exec, s[2:3]
.LBB120_824:
	s_andn2_saveexec_b64 s[0:1], s[0:1]
	s_cbranch_execz .LBB120_826
; %bb.825:
	v_mov_b32_e32 v131, 48
	ds_write2_b64 v130, v[24:25], v[22:23] offset0:49 offset1:50
	ds_write2_b64 v130, v[20:21], v[18:19] offset0:51 offset1:52
	;; [unrolled: 1-line block ×6, first 2 shown]
.LBB120_826:
	s_or_b64 exec, exec, s[0:1]
	v_cmp_lt_i32_e32 vcc, 48, v131
	s_waitcnt lgkmcnt(0)
	s_barrier
	s_and_saveexec_b64 s[0:1], vcc
	s_cbranch_execz .LBB120_828
; %bb.827:
	ds_read2_b64 v[136:139], v130 offset0:49 offset1:50
	ds_read2_b64 v[140:143], v130 offset0:51 offset1:52
	;; [unrolled: 1-line block ×3, first 2 shown]
	v_mul_f64 v[26:27], v[126:127], v[26:27]
	s_waitcnt lgkmcnt(0)
	v_fma_f64 v[24:25], -v[26:27], v[136:137], v[24:25]
	v_fma_f64 v[22:23], -v[26:27], v[138:139], v[22:23]
	ds_read2_b64 v[136:139], v130 offset0:55 offset1:56
	v_fma_f64 v[20:21], -v[26:27], v[140:141], v[20:21]
	v_fma_f64 v[18:19], -v[26:27], v[142:143], v[18:19]
	;; [unrolled: 1-line block ×3, first 2 shown]
	ds_read2_b64 v[140:143], v130 offset0:57 offset1:58
	v_fma_f64 v[14:15], -v[26:27], v[146:147], v[14:15]
	ds_read2_b64 v[144:147], v130 offset0:59 offset1:60
	s_waitcnt lgkmcnt(0)
	v_fma_f64 v[12:13], -v[26:27], v[136:137], v[12:13]
	v_fma_f64 v[10:11], -v[26:27], v[138:139], v[10:11]
	;; [unrolled: 1-line block ×6, first 2 shown]
.LBB120_828:
	s_or_b64 exec, exec, s[0:1]
	v_lshl_add_u32 v126, v131, 3, v130
	s_barrier
	ds_write_b64 v126, v[24:25]
	s_waitcnt lgkmcnt(0)
	s_barrier
	ds_read_b64 v[126:127], v130 offset:392
	s_cmp_lt_i32 s18, 51
	v_mov_b32_e32 v128, 49
	s_cbranch_scc1 .LBB120_831
; %bb.829:
	v_add_u32_e32 v135, 0x190, v130
	s_mov_b32 s0, 50
	v_mov_b32_e32 v128, 49
.LBB120_830:                            ; =>This Inner Loop Header: Depth=1
	ds_read_b64 v[136:137], v135
	v_mov_b32_e32 v138, s0
	s_add_i32 s0, s0, 1
	v_add_u32_e32 v135, 8, v135
	s_cmp_lg_u32 s18, s0
	s_waitcnt lgkmcnt(0)
	v_cmp_lt_f64_e64 vcc, |v[126:127]|, |v[136:137]|
	v_cndmask_b32_e32 v127, v127, v137, vcc
	v_cndmask_b32_e32 v126, v126, v136, vcc
	;; [unrolled: 1-line block ×3, first 2 shown]
	s_cbranch_scc1 .LBB120_830
.LBB120_831:
	s_waitcnt lgkmcnt(0)
	v_cmp_eq_f64_e32 vcc, 0, v[126:127]
	s_and_saveexec_b64 s[0:1], vcc
	s_xor_b64 s[0:1], exec, s[0:1]
; %bb.832:
	v_cmp_ne_u32_e32 vcc, 0, v134
	v_cndmask_b32_e32 v134, 50, v134, vcc
; %bb.833:
	s_andn2_saveexec_b64 s[0:1], s[0:1]
; %bb.834:
	v_div_scale_f64 v[136:137], s[2:3], v[126:127], v[126:127], 1.0
	v_rcp_f64_e32 v[138:139], v[136:137]
	v_div_scale_f64 v[140:141], vcc, 1.0, v[126:127], 1.0
	v_fma_f64 v[142:143], -v[136:137], v[138:139], 1.0
	v_fmac_f64_e32 v[138:139], v[138:139], v[142:143]
	v_fma_f64 v[142:143], -v[136:137], v[138:139], 1.0
	v_fmac_f64_e32 v[138:139], v[138:139], v[142:143]
	v_mul_f64 v[142:143], v[140:141], v[138:139]
	v_fma_f64 v[136:137], -v[136:137], v[142:143], v[140:141]
	v_div_fmas_f64 v[136:137], v[136:137], v[138:139], v[142:143]
	v_div_fixup_f64 v[126:127], v[136:137], v[126:127], 1.0
; %bb.835:
	s_or_b64 exec, exec, s[0:1]
	v_cmp_ne_u32_e32 vcc, v131, v128
	s_and_saveexec_b64 s[0:1], vcc
	s_xor_b64 s[0:1], exec, s[0:1]
	s_cbranch_execz .LBB120_841
; %bb.836:
	v_cmp_eq_u32_e32 vcc, 49, v131
	s_and_saveexec_b64 s[2:3], vcc
	s_cbranch_execz .LBB120_840
; %bb.837:
	v_cmp_ne_u32_e32 vcc, 49, v128
	s_xor_b64 s[14:15], s[6:7], -1
	s_and_b64 s[16:17], s[14:15], vcc
	s_and_saveexec_b64 s[14:15], s[16:17]
	s_cbranch_execz .LBB120_839
; %bb.838:
	v_ashrrev_i32_e32 v129, 31, v128
	v_lshlrev_b64 v[136:137], 2, v[128:129]
	v_add_co_u32_e32 v136, vcc, v4, v136
	v_addc_co_u32_e32 v137, vcc, v5, v137, vcc
	flat_load_dword v129, v[136:137]
	flat_load_dword v131, v[4:5] offset:196
	s_waitcnt vmcnt(0) lgkmcnt(0)
	flat_store_dword v[4:5], v129 offset:196
	flat_store_dword v[136:137], v131
.LBB120_839:
	s_or_b64 exec, exec, s[14:15]
	v_mov_b32_e32 v129, v128
	v_mov_b32_e32 v131, v128
.LBB120_840:
	s_or_b64 exec, exec, s[2:3]
.LBB120_841:
	s_andn2_saveexec_b64 s[0:1], s[0:1]
	s_cbranch_execz .LBB120_843
; %bb.842:
	v_mov_b32_e32 v136, v22
	v_mov_b32_e32 v137, v23
	v_mov_b32_e32 v138, v20
	v_mov_b32_e32 v139, v21
	ds_write2_b64 v130, v[136:137], v[138:139] offset0:50 offset1:51
	v_mov_b32_e32 v136, v18
	v_mov_b32_e32 v137, v19
	v_mov_b32_e32 v138, v16
	v_mov_b32_e32 v139, v17
	ds_write2_b64 v130, v[136:137], v[138:139] offset0:52 offset1:53
	;; [unrolled: 5-line block ×4, first 2 shown]
	v_mov_b32_e32 v136, v6
	v_mov_b32_e32 v137, v7
	;; [unrolled: 1-line block ×5, first 2 shown]
	ds_write2_b64 v130, v[136:137], v[138:139] offset0:58 offset1:59
	ds_write_b64 v130, v[124:125] offset:480
.LBB120_843:
	s_or_b64 exec, exec, s[0:1]
	v_cmp_lt_i32_e32 vcc, 49, v131
	s_waitcnt lgkmcnt(0)
	s_barrier
	s_and_saveexec_b64 s[0:1], vcc
	s_cbranch_execz .LBB120_845
; %bb.844:
	ds_read2_b64 v[136:139], v130 offset0:50 offset1:51
	ds_read2_b64 v[140:143], v130 offset0:52 offset1:53
	v_mul_f64 v[24:25], v[126:127], v[24:25]
	ds_read2_b64 v[144:147], v130 offset0:54 offset1:55
	ds_read_b64 v[126:127], v130 offset:480
	s_waitcnt lgkmcnt(0)
	v_fma_f64 v[22:23], -v[24:25], v[136:137], v[22:23]
	v_fma_f64 v[20:21], -v[24:25], v[138:139], v[20:21]
	ds_read2_b64 v[136:139], v130 offset0:56 offset1:57
	v_fma_f64 v[18:19], -v[24:25], v[140:141], v[18:19]
	v_fma_f64 v[16:17], -v[24:25], v[142:143], v[16:17]
	ds_read2_b64 v[140:143], v130 offset0:58 offset1:59
	v_fma_f64 v[14:15], -v[24:25], v[144:145], v[14:15]
	v_fma_f64 v[12:13], -v[24:25], v[146:147], v[12:13]
	s_waitcnt lgkmcnt(0)
	v_fma_f64 v[10:11], -v[24:25], v[136:137], v[10:11]
	v_fma_f64 v[8:9], -v[24:25], v[138:139], v[8:9]
	;; [unrolled: 1-line block ×5, first 2 shown]
.LBB120_845:
	s_or_b64 exec, exec, s[0:1]
	v_lshl_add_u32 v126, v131, 3, v130
	s_barrier
	ds_write_b64 v126, v[22:23]
	s_waitcnt lgkmcnt(0)
	s_barrier
	ds_read_b64 v[126:127], v130 offset:400
	s_cmp_lt_i32 s18, 52
	v_mov_b32_e32 v128, 50
	s_cbranch_scc1 .LBB120_848
; %bb.846:
	v_add_u32_e32 v135, 0x198, v130
	s_mov_b32 s0, 51
	v_mov_b32_e32 v128, 50
.LBB120_847:                            ; =>This Inner Loop Header: Depth=1
	ds_read_b64 v[136:137], v135
	v_mov_b32_e32 v138, s0
	s_add_i32 s0, s0, 1
	v_add_u32_e32 v135, 8, v135
	s_cmp_lg_u32 s18, s0
	s_waitcnt lgkmcnt(0)
	v_cmp_lt_f64_e64 vcc, |v[126:127]|, |v[136:137]|
	v_cndmask_b32_e32 v127, v127, v137, vcc
	v_cndmask_b32_e32 v126, v126, v136, vcc
	;; [unrolled: 1-line block ×3, first 2 shown]
	s_cbranch_scc1 .LBB120_847
.LBB120_848:
	s_waitcnt lgkmcnt(0)
	v_cmp_eq_f64_e32 vcc, 0, v[126:127]
	s_and_saveexec_b64 s[0:1], vcc
	s_xor_b64 s[0:1], exec, s[0:1]
; %bb.849:
	v_cmp_ne_u32_e32 vcc, 0, v134
	v_cndmask_b32_e32 v134, 51, v134, vcc
; %bb.850:
	s_andn2_saveexec_b64 s[0:1], s[0:1]
; %bb.851:
	v_div_scale_f64 v[136:137], s[2:3], v[126:127], v[126:127], 1.0
	v_rcp_f64_e32 v[138:139], v[136:137]
	v_div_scale_f64 v[140:141], vcc, 1.0, v[126:127], 1.0
	v_fma_f64 v[142:143], -v[136:137], v[138:139], 1.0
	v_fmac_f64_e32 v[138:139], v[138:139], v[142:143]
	v_fma_f64 v[142:143], -v[136:137], v[138:139], 1.0
	v_fmac_f64_e32 v[138:139], v[138:139], v[142:143]
	v_mul_f64 v[142:143], v[140:141], v[138:139]
	v_fma_f64 v[136:137], -v[136:137], v[142:143], v[140:141]
	v_div_fmas_f64 v[136:137], v[136:137], v[138:139], v[142:143]
	v_div_fixup_f64 v[126:127], v[136:137], v[126:127], 1.0
; %bb.852:
	s_or_b64 exec, exec, s[0:1]
	v_cmp_ne_u32_e32 vcc, v131, v128
	s_and_saveexec_b64 s[0:1], vcc
	s_xor_b64 s[0:1], exec, s[0:1]
	s_cbranch_execz .LBB120_858
; %bb.853:
	v_cmp_eq_u32_e32 vcc, 50, v131
	s_and_saveexec_b64 s[2:3], vcc
	s_cbranch_execz .LBB120_857
; %bb.854:
	v_cmp_ne_u32_e32 vcc, 50, v128
	s_xor_b64 s[14:15], s[6:7], -1
	s_and_b64 s[16:17], s[14:15], vcc
	s_and_saveexec_b64 s[14:15], s[16:17]
	s_cbranch_execz .LBB120_856
; %bb.855:
	v_ashrrev_i32_e32 v129, 31, v128
	v_lshlrev_b64 v[136:137], 2, v[128:129]
	v_add_co_u32_e32 v136, vcc, v4, v136
	v_addc_co_u32_e32 v137, vcc, v5, v137, vcc
	flat_load_dword v129, v[136:137]
	flat_load_dword v131, v[4:5] offset:200
	s_waitcnt vmcnt(0) lgkmcnt(0)
	flat_store_dword v[4:5], v129 offset:200
	flat_store_dword v[136:137], v131
.LBB120_856:
	s_or_b64 exec, exec, s[14:15]
	v_mov_b32_e32 v129, v128
	v_mov_b32_e32 v131, v128
.LBB120_857:
	s_or_b64 exec, exec, s[2:3]
.LBB120_858:
	s_andn2_saveexec_b64 s[0:1], s[0:1]
	s_cbranch_execz .LBB120_860
; %bb.859:
	v_mov_b32_e32 v131, 50
	ds_write2_b64 v130, v[20:21], v[18:19] offset0:51 offset1:52
	ds_write2_b64 v130, v[16:17], v[14:15] offset0:53 offset1:54
	;; [unrolled: 1-line block ×5, first 2 shown]
.LBB120_860:
	s_or_b64 exec, exec, s[0:1]
	v_cmp_lt_i32_e32 vcc, 50, v131
	s_waitcnt lgkmcnt(0)
	s_barrier
	s_and_saveexec_b64 s[0:1], vcc
	s_cbranch_execz .LBB120_862
; %bb.861:
	ds_read2_b64 v[136:139], v130 offset0:51 offset1:52
	ds_read2_b64 v[140:143], v130 offset0:53 offset1:54
	v_mul_f64 v[22:23], v[126:127], v[22:23]
	ds_read2_b64 v[144:147], v130 offset0:57 offset1:58
	s_waitcnt lgkmcnt(0)
	v_fma_f64 v[20:21], -v[22:23], v[136:137], v[20:21]
	v_fma_f64 v[18:19], -v[22:23], v[138:139], v[18:19]
	ds_read2_b64 v[136:139], v130 offset0:55 offset1:56
	v_fma_f64 v[16:17], -v[22:23], v[140:141], v[16:17]
	v_fma_f64 v[14:15], -v[22:23], v[142:143], v[14:15]
	ds_read2_b64 v[140:143], v130 offset0:59 offset1:60
	v_fma_f64 v[8:9], -v[22:23], v[144:145], v[8:9]
	s_waitcnt lgkmcnt(0)
	v_fma_f64 v[12:13], -v[22:23], v[136:137], v[12:13]
	v_fma_f64 v[10:11], -v[22:23], v[138:139], v[10:11]
	;; [unrolled: 1-line block ×5, first 2 shown]
.LBB120_862:
	s_or_b64 exec, exec, s[0:1]
	v_lshl_add_u32 v126, v131, 3, v130
	s_barrier
	ds_write_b64 v126, v[20:21]
	s_waitcnt lgkmcnt(0)
	s_barrier
	ds_read_b64 v[126:127], v130 offset:408
	s_cmp_lt_i32 s18, 53
	v_mov_b32_e32 v128, 51
	s_cbranch_scc1 .LBB120_865
; %bb.863:
	v_add_u32_e32 v135, 0x1a0, v130
	s_mov_b32 s0, 52
	v_mov_b32_e32 v128, 51
.LBB120_864:                            ; =>This Inner Loop Header: Depth=1
	ds_read_b64 v[136:137], v135
	v_mov_b32_e32 v138, s0
	s_add_i32 s0, s0, 1
	v_add_u32_e32 v135, 8, v135
	s_cmp_lg_u32 s18, s0
	s_waitcnt lgkmcnt(0)
	v_cmp_lt_f64_e64 vcc, |v[126:127]|, |v[136:137]|
	v_cndmask_b32_e32 v127, v127, v137, vcc
	v_cndmask_b32_e32 v126, v126, v136, vcc
	v_cndmask_b32_e32 v128, v128, v138, vcc
	s_cbranch_scc1 .LBB120_864
.LBB120_865:
	s_waitcnt lgkmcnt(0)
	v_cmp_eq_f64_e32 vcc, 0, v[126:127]
	s_and_saveexec_b64 s[0:1], vcc
	s_xor_b64 s[0:1], exec, s[0:1]
; %bb.866:
	v_cmp_ne_u32_e32 vcc, 0, v134
	v_cndmask_b32_e32 v134, 52, v134, vcc
; %bb.867:
	s_andn2_saveexec_b64 s[0:1], s[0:1]
; %bb.868:
	v_div_scale_f64 v[136:137], s[2:3], v[126:127], v[126:127], 1.0
	v_rcp_f64_e32 v[138:139], v[136:137]
	v_div_scale_f64 v[140:141], vcc, 1.0, v[126:127], 1.0
	v_fma_f64 v[142:143], -v[136:137], v[138:139], 1.0
	v_fmac_f64_e32 v[138:139], v[138:139], v[142:143]
	v_fma_f64 v[142:143], -v[136:137], v[138:139], 1.0
	v_fmac_f64_e32 v[138:139], v[138:139], v[142:143]
	v_mul_f64 v[142:143], v[140:141], v[138:139]
	v_fma_f64 v[136:137], -v[136:137], v[142:143], v[140:141]
	v_div_fmas_f64 v[136:137], v[136:137], v[138:139], v[142:143]
	v_div_fixup_f64 v[126:127], v[136:137], v[126:127], 1.0
; %bb.869:
	s_or_b64 exec, exec, s[0:1]
	v_cmp_ne_u32_e32 vcc, v131, v128
	s_and_saveexec_b64 s[0:1], vcc
	s_xor_b64 s[0:1], exec, s[0:1]
	s_cbranch_execz .LBB120_875
; %bb.870:
	v_cmp_eq_u32_e32 vcc, 51, v131
	s_and_saveexec_b64 s[2:3], vcc
	s_cbranch_execz .LBB120_874
; %bb.871:
	v_cmp_ne_u32_e32 vcc, 51, v128
	s_xor_b64 s[14:15], s[6:7], -1
	s_and_b64 s[16:17], s[14:15], vcc
	s_and_saveexec_b64 s[14:15], s[16:17]
	s_cbranch_execz .LBB120_873
; %bb.872:
	v_ashrrev_i32_e32 v129, 31, v128
	v_lshlrev_b64 v[136:137], 2, v[128:129]
	v_add_co_u32_e32 v136, vcc, v4, v136
	v_addc_co_u32_e32 v137, vcc, v5, v137, vcc
	flat_load_dword v129, v[136:137]
	flat_load_dword v131, v[4:5] offset:204
	s_waitcnt vmcnt(0) lgkmcnt(0)
	flat_store_dword v[4:5], v129 offset:204
	flat_store_dword v[136:137], v131
.LBB120_873:
	s_or_b64 exec, exec, s[14:15]
	v_mov_b32_e32 v129, v128
	v_mov_b32_e32 v131, v128
.LBB120_874:
	s_or_b64 exec, exec, s[2:3]
.LBB120_875:
	s_andn2_saveexec_b64 s[0:1], s[0:1]
	s_cbranch_execz .LBB120_877
; %bb.876:
	v_mov_b32_e32 v136, v18
	v_mov_b32_e32 v137, v19
	v_mov_b32_e32 v138, v16
	v_mov_b32_e32 v139, v17
	ds_write2_b64 v130, v[136:137], v[138:139] offset0:52 offset1:53
	v_mov_b32_e32 v136, v14
	v_mov_b32_e32 v137, v15
	v_mov_b32_e32 v138, v12
	v_mov_b32_e32 v139, v13
	ds_write2_b64 v130, v[136:137], v[138:139] offset0:54 offset1:55
	;; [unrolled: 5-line block ×3, first 2 shown]
	v_mov_b32_e32 v136, v6
	v_mov_b32_e32 v137, v7
	;; [unrolled: 1-line block ×5, first 2 shown]
	ds_write2_b64 v130, v[136:137], v[138:139] offset0:58 offset1:59
	ds_write_b64 v130, v[124:125] offset:480
.LBB120_877:
	s_or_b64 exec, exec, s[0:1]
	v_cmp_lt_i32_e32 vcc, 51, v131
	s_waitcnt lgkmcnt(0)
	s_barrier
	s_and_saveexec_b64 s[0:1], vcc
	s_cbranch_execz .LBB120_879
; %bb.878:
	ds_read2_b64 v[136:139], v130 offset0:52 offset1:53
	ds_read2_b64 v[140:143], v130 offset0:54 offset1:55
	v_mul_f64 v[20:21], v[126:127], v[20:21]
	ds_read_b64 v[126:127], v130 offset:480
	ds_read2_b64 v[144:147], v130 offset0:58 offset1:59
	s_waitcnt lgkmcnt(0)
	v_fma_f64 v[18:19], -v[20:21], v[136:137], v[18:19]
	v_fma_f64 v[16:17], -v[20:21], v[138:139], v[16:17]
	ds_read2_b64 v[136:139], v130 offset0:56 offset1:57
	v_fma_f64 v[14:15], -v[20:21], v[140:141], v[14:15]
	v_fma_f64 v[12:13], -v[20:21], v[142:143], v[12:13]
	;; [unrolled: 1-line block ×4, first 2 shown]
	s_waitcnt lgkmcnt(0)
	v_fma_f64 v[10:11], -v[20:21], v[136:137], v[10:11]
	v_fma_f64 v[8:9], -v[20:21], v[138:139], v[8:9]
	;; [unrolled: 1-line block ×3, first 2 shown]
.LBB120_879:
	s_or_b64 exec, exec, s[0:1]
	v_lshl_add_u32 v126, v131, 3, v130
	s_barrier
	ds_write_b64 v126, v[18:19]
	s_waitcnt lgkmcnt(0)
	s_barrier
	ds_read_b64 v[126:127], v130 offset:416
	s_cmp_lt_i32 s18, 54
	v_mov_b32_e32 v128, 52
	s_cbranch_scc1 .LBB120_882
; %bb.880:
	v_add_u32_e32 v135, 0x1a8, v130
	s_mov_b32 s0, 53
	v_mov_b32_e32 v128, 52
.LBB120_881:                            ; =>This Inner Loop Header: Depth=1
	ds_read_b64 v[136:137], v135
	v_mov_b32_e32 v138, s0
	s_add_i32 s0, s0, 1
	v_add_u32_e32 v135, 8, v135
	s_cmp_lg_u32 s18, s0
	s_waitcnt lgkmcnt(0)
	v_cmp_lt_f64_e64 vcc, |v[126:127]|, |v[136:137]|
	v_cndmask_b32_e32 v127, v127, v137, vcc
	v_cndmask_b32_e32 v126, v126, v136, vcc
	;; [unrolled: 1-line block ×3, first 2 shown]
	s_cbranch_scc1 .LBB120_881
.LBB120_882:
	s_waitcnt lgkmcnt(0)
	v_cmp_eq_f64_e32 vcc, 0, v[126:127]
	s_and_saveexec_b64 s[0:1], vcc
	s_xor_b64 s[0:1], exec, s[0:1]
; %bb.883:
	v_cmp_ne_u32_e32 vcc, 0, v134
	v_cndmask_b32_e32 v134, 53, v134, vcc
; %bb.884:
	s_andn2_saveexec_b64 s[0:1], s[0:1]
; %bb.885:
	v_div_scale_f64 v[136:137], s[2:3], v[126:127], v[126:127], 1.0
	v_rcp_f64_e32 v[138:139], v[136:137]
	v_div_scale_f64 v[140:141], vcc, 1.0, v[126:127], 1.0
	v_fma_f64 v[142:143], -v[136:137], v[138:139], 1.0
	v_fmac_f64_e32 v[138:139], v[138:139], v[142:143]
	v_fma_f64 v[142:143], -v[136:137], v[138:139], 1.0
	v_fmac_f64_e32 v[138:139], v[138:139], v[142:143]
	v_mul_f64 v[142:143], v[140:141], v[138:139]
	v_fma_f64 v[136:137], -v[136:137], v[142:143], v[140:141]
	v_div_fmas_f64 v[136:137], v[136:137], v[138:139], v[142:143]
	v_div_fixup_f64 v[126:127], v[136:137], v[126:127], 1.0
; %bb.886:
	s_or_b64 exec, exec, s[0:1]
	v_cmp_ne_u32_e32 vcc, v131, v128
	s_and_saveexec_b64 s[0:1], vcc
	s_xor_b64 s[0:1], exec, s[0:1]
	s_cbranch_execz .LBB120_892
; %bb.887:
	v_cmp_eq_u32_e32 vcc, 52, v131
	s_and_saveexec_b64 s[2:3], vcc
	s_cbranch_execz .LBB120_891
; %bb.888:
	v_cmp_ne_u32_e32 vcc, 52, v128
	s_xor_b64 s[14:15], s[6:7], -1
	s_and_b64 s[16:17], s[14:15], vcc
	s_and_saveexec_b64 s[14:15], s[16:17]
	s_cbranch_execz .LBB120_890
; %bb.889:
	v_ashrrev_i32_e32 v129, 31, v128
	v_lshlrev_b64 v[136:137], 2, v[128:129]
	v_add_co_u32_e32 v136, vcc, v4, v136
	v_addc_co_u32_e32 v137, vcc, v5, v137, vcc
	flat_load_dword v129, v[136:137]
	flat_load_dword v131, v[4:5] offset:208
	s_waitcnt vmcnt(0) lgkmcnt(0)
	flat_store_dword v[4:5], v129 offset:208
	flat_store_dword v[136:137], v131
.LBB120_890:
	s_or_b64 exec, exec, s[14:15]
	v_mov_b32_e32 v129, v128
	v_mov_b32_e32 v131, v128
.LBB120_891:
	s_or_b64 exec, exec, s[2:3]
.LBB120_892:
	s_andn2_saveexec_b64 s[0:1], s[0:1]
	s_cbranch_execz .LBB120_894
; %bb.893:
	v_mov_b32_e32 v131, 52
	ds_write2_b64 v130, v[16:17], v[14:15] offset0:53 offset1:54
	ds_write2_b64 v130, v[12:13], v[10:11] offset0:55 offset1:56
	;; [unrolled: 1-line block ×4, first 2 shown]
.LBB120_894:
	s_or_b64 exec, exec, s[0:1]
	v_cmp_lt_i32_e32 vcc, 52, v131
	s_waitcnt lgkmcnt(0)
	s_barrier
	s_and_saveexec_b64 s[0:1], vcc
	s_cbranch_execz .LBB120_896
; %bb.895:
	ds_read2_b64 v[136:139], v130 offset0:53 offset1:54
	ds_read2_b64 v[140:143], v130 offset0:55 offset1:56
	v_mul_f64 v[18:19], v[126:127], v[18:19]
	ds_read2_b64 v[144:147], v130 offset0:57 offset1:58
	s_waitcnt lgkmcnt(0)
	v_fma_f64 v[16:17], -v[18:19], v[136:137], v[16:17]
	v_fma_f64 v[14:15], -v[18:19], v[138:139], v[14:15]
	ds_read2_b64 v[136:139], v130 offset0:59 offset1:60
	v_fma_f64 v[12:13], -v[18:19], v[140:141], v[12:13]
	v_fma_f64 v[10:11], -v[18:19], v[142:143], v[10:11]
	;; [unrolled: 1-line block ×4, first 2 shown]
	s_waitcnt lgkmcnt(0)
	v_fma_f64 v[0:1], -v[18:19], v[136:137], v[0:1]
	v_fma_f64 v[124:125], -v[18:19], v[138:139], v[124:125]
.LBB120_896:
	s_or_b64 exec, exec, s[0:1]
	v_lshl_add_u32 v126, v131, 3, v130
	s_barrier
	ds_write_b64 v126, v[16:17]
	s_waitcnt lgkmcnt(0)
	s_barrier
	ds_read_b64 v[126:127], v130 offset:424
	s_cmp_lt_i32 s18, 55
	v_mov_b32_e32 v128, 53
	s_cbranch_scc1 .LBB120_899
; %bb.897:
	v_add_u32_e32 v135, 0x1b0, v130
	s_mov_b32 s0, 54
	v_mov_b32_e32 v128, 53
.LBB120_898:                            ; =>This Inner Loop Header: Depth=1
	ds_read_b64 v[136:137], v135
	v_mov_b32_e32 v138, s0
	s_add_i32 s0, s0, 1
	v_add_u32_e32 v135, 8, v135
	s_cmp_lg_u32 s18, s0
	s_waitcnt lgkmcnt(0)
	v_cmp_lt_f64_e64 vcc, |v[126:127]|, |v[136:137]|
	v_cndmask_b32_e32 v127, v127, v137, vcc
	v_cndmask_b32_e32 v126, v126, v136, vcc
	;; [unrolled: 1-line block ×3, first 2 shown]
	s_cbranch_scc1 .LBB120_898
.LBB120_899:
	s_waitcnt lgkmcnt(0)
	v_cmp_eq_f64_e32 vcc, 0, v[126:127]
	s_and_saveexec_b64 s[0:1], vcc
	s_xor_b64 s[0:1], exec, s[0:1]
; %bb.900:
	v_cmp_ne_u32_e32 vcc, 0, v134
	v_cndmask_b32_e32 v134, 54, v134, vcc
; %bb.901:
	s_andn2_saveexec_b64 s[0:1], s[0:1]
; %bb.902:
	v_div_scale_f64 v[136:137], s[2:3], v[126:127], v[126:127], 1.0
	v_rcp_f64_e32 v[138:139], v[136:137]
	v_div_scale_f64 v[140:141], vcc, 1.0, v[126:127], 1.0
	v_fma_f64 v[142:143], -v[136:137], v[138:139], 1.0
	v_fmac_f64_e32 v[138:139], v[138:139], v[142:143]
	v_fma_f64 v[142:143], -v[136:137], v[138:139], 1.0
	v_fmac_f64_e32 v[138:139], v[138:139], v[142:143]
	v_mul_f64 v[142:143], v[140:141], v[138:139]
	v_fma_f64 v[136:137], -v[136:137], v[142:143], v[140:141]
	v_div_fmas_f64 v[136:137], v[136:137], v[138:139], v[142:143]
	v_div_fixup_f64 v[126:127], v[136:137], v[126:127], 1.0
; %bb.903:
	s_or_b64 exec, exec, s[0:1]
	v_cmp_ne_u32_e32 vcc, v131, v128
	s_and_saveexec_b64 s[0:1], vcc
	s_xor_b64 s[0:1], exec, s[0:1]
	s_cbranch_execz .LBB120_909
; %bb.904:
	v_cmp_eq_u32_e32 vcc, 53, v131
	s_and_saveexec_b64 s[2:3], vcc
	s_cbranch_execz .LBB120_908
; %bb.905:
	v_cmp_ne_u32_e32 vcc, 53, v128
	s_xor_b64 s[14:15], s[6:7], -1
	s_and_b64 s[16:17], s[14:15], vcc
	s_and_saveexec_b64 s[14:15], s[16:17]
	s_cbranch_execz .LBB120_907
; %bb.906:
	v_ashrrev_i32_e32 v129, 31, v128
	v_lshlrev_b64 v[136:137], 2, v[128:129]
	v_add_co_u32_e32 v136, vcc, v4, v136
	v_addc_co_u32_e32 v137, vcc, v5, v137, vcc
	flat_load_dword v129, v[136:137]
	flat_load_dword v131, v[4:5] offset:212
	s_waitcnt vmcnt(0) lgkmcnt(0)
	flat_store_dword v[4:5], v129 offset:212
	flat_store_dword v[136:137], v131
.LBB120_907:
	s_or_b64 exec, exec, s[14:15]
	v_mov_b32_e32 v129, v128
	v_mov_b32_e32 v131, v128
.LBB120_908:
	s_or_b64 exec, exec, s[2:3]
.LBB120_909:
	s_andn2_saveexec_b64 s[0:1], s[0:1]
	s_cbranch_execz .LBB120_911
; %bb.910:
	v_mov_b32_e32 v136, v14
	v_mov_b32_e32 v137, v15
	v_mov_b32_e32 v138, v12
	v_mov_b32_e32 v139, v13
	ds_write2_b64 v130, v[136:137], v[138:139] offset0:54 offset1:55
	v_mov_b32_e32 v136, v10
	v_mov_b32_e32 v137, v11
	;; [unrolled: 1-line block ×4, first 2 shown]
	ds_write2_b64 v130, v[136:137], v[138:139] offset0:56 offset1:57
	v_mov_b32_e32 v136, v6
	v_mov_b32_e32 v137, v7
	;; [unrolled: 1-line block ×5, first 2 shown]
	ds_write2_b64 v130, v[136:137], v[138:139] offset0:58 offset1:59
	ds_write_b64 v130, v[124:125] offset:480
.LBB120_911:
	s_or_b64 exec, exec, s[0:1]
	v_cmp_lt_i32_e32 vcc, 53, v131
	s_waitcnt lgkmcnt(0)
	s_barrier
	s_and_saveexec_b64 s[0:1], vcc
	s_cbranch_execz .LBB120_913
; %bb.912:
	ds_read2_b64 v[136:139], v130 offset0:54 offset1:55
	ds_read2_b64 v[140:143], v130 offset0:56 offset1:57
	v_mul_f64 v[16:17], v[126:127], v[16:17]
	ds_read2_b64 v[144:147], v130 offset0:58 offset1:59
	ds_read_b64 v[126:127], v130 offset:480
	s_waitcnt lgkmcnt(0)
	v_fma_f64 v[14:15], -v[16:17], v[136:137], v[14:15]
	v_fma_f64 v[12:13], -v[16:17], v[138:139], v[12:13]
	;; [unrolled: 1-line block ×7, first 2 shown]
.LBB120_913:
	s_or_b64 exec, exec, s[0:1]
	v_lshl_add_u32 v126, v131, 3, v130
	s_barrier
	ds_write_b64 v126, v[14:15]
	s_waitcnt lgkmcnt(0)
	s_barrier
	ds_read_b64 v[126:127], v130 offset:432
	s_cmp_lt_i32 s18, 56
	v_mov_b32_e32 v128, 54
	s_cbranch_scc1 .LBB120_916
; %bb.914:
	v_add_u32_e32 v135, 0x1b8, v130
	s_mov_b32 s0, 55
	v_mov_b32_e32 v128, 54
.LBB120_915:                            ; =>This Inner Loop Header: Depth=1
	ds_read_b64 v[136:137], v135
	v_mov_b32_e32 v138, s0
	s_add_i32 s0, s0, 1
	v_add_u32_e32 v135, 8, v135
	s_cmp_lg_u32 s18, s0
	s_waitcnt lgkmcnt(0)
	v_cmp_lt_f64_e64 vcc, |v[126:127]|, |v[136:137]|
	v_cndmask_b32_e32 v127, v127, v137, vcc
	v_cndmask_b32_e32 v126, v126, v136, vcc
	v_cndmask_b32_e32 v128, v128, v138, vcc
	s_cbranch_scc1 .LBB120_915
.LBB120_916:
	s_waitcnt lgkmcnt(0)
	v_cmp_eq_f64_e32 vcc, 0, v[126:127]
	s_and_saveexec_b64 s[0:1], vcc
	s_xor_b64 s[0:1], exec, s[0:1]
; %bb.917:
	v_cmp_ne_u32_e32 vcc, 0, v134
	v_cndmask_b32_e32 v134, 55, v134, vcc
; %bb.918:
	s_andn2_saveexec_b64 s[0:1], s[0:1]
; %bb.919:
	v_div_scale_f64 v[136:137], s[2:3], v[126:127], v[126:127], 1.0
	v_rcp_f64_e32 v[138:139], v[136:137]
	v_div_scale_f64 v[140:141], vcc, 1.0, v[126:127], 1.0
	v_fma_f64 v[142:143], -v[136:137], v[138:139], 1.0
	v_fmac_f64_e32 v[138:139], v[138:139], v[142:143]
	v_fma_f64 v[142:143], -v[136:137], v[138:139], 1.0
	v_fmac_f64_e32 v[138:139], v[138:139], v[142:143]
	v_mul_f64 v[142:143], v[140:141], v[138:139]
	v_fma_f64 v[136:137], -v[136:137], v[142:143], v[140:141]
	v_div_fmas_f64 v[136:137], v[136:137], v[138:139], v[142:143]
	v_div_fixup_f64 v[126:127], v[136:137], v[126:127], 1.0
; %bb.920:
	s_or_b64 exec, exec, s[0:1]
	v_cmp_ne_u32_e32 vcc, v131, v128
	s_and_saveexec_b64 s[0:1], vcc
	s_xor_b64 s[0:1], exec, s[0:1]
	s_cbranch_execz .LBB120_926
; %bb.921:
	v_cmp_eq_u32_e32 vcc, 54, v131
	s_and_saveexec_b64 s[2:3], vcc
	s_cbranch_execz .LBB120_925
; %bb.922:
	v_cmp_ne_u32_e32 vcc, 54, v128
	s_xor_b64 s[14:15], s[6:7], -1
	s_and_b64 s[16:17], s[14:15], vcc
	s_and_saveexec_b64 s[14:15], s[16:17]
	s_cbranch_execz .LBB120_924
; %bb.923:
	v_ashrrev_i32_e32 v129, 31, v128
	v_lshlrev_b64 v[136:137], 2, v[128:129]
	v_add_co_u32_e32 v136, vcc, v4, v136
	v_addc_co_u32_e32 v137, vcc, v5, v137, vcc
	flat_load_dword v129, v[136:137]
	flat_load_dword v131, v[4:5] offset:216
	s_waitcnt vmcnt(0) lgkmcnt(0)
	flat_store_dword v[4:5], v129 offset:216
	flat_store_dword v[136:137], v131
.LBB120_924:
	s_or_b64 exec, exec, s[14:15]
	v_mov_b32_e32 v129, v128
	v_mov_b32_e32 v131, v128
.LBB120_925:
	s_or_b64 exec, exec, s[2:3]
.LBB120_926:
	s_andn2_saveexec_b64 s[0:1], s[0:1]
	s_cbranch_execz .LBB120_928
; %bb.927:
	v_mov_b32_e32 v131, 54
	ds_write2_b64 v130, v[12:13], v[10:11] offset0:55 offset1:56
	ds_write2_b64 v130, v[8:9], v[6:7] offset0:57 offset1:58
	;; [unrolled: 1-line block ×3, first 2 shown]
.LBB120_928:
	s_or_b64 exec, exec, s[0:1]
	v_cmp_lt_i32_e32 vcc, 54, v131
	s_waitcnt lgkmcnt(0)
	s_barrier
	s_and_saveexec_b64 s[0:1], vcc
	s_cbranch_execz .LBB120_930
; %bb.929:
	ds_read2_b64 v[136:139], v130 offset0:55 offset1:56
	ds_read2_b64 v[140:143], v130 offset0:57 offset1:58
	;; [unrolled: 1-line block ×3, first 2 shown]
	v_mul_f64 v[14:15], v[126:127], v[14:15]
	s_waitcnt lgkmcnt(0)
	v_fma_f64 v[12:13], -v[14:15], v[136:137], v[12:13]
	v_fma_f64 v[10:11], -v[14:15], v[138:139], v[10:11]
	v_fma_f64 v[8:9], -v[14:15], v[140:141], v[8:9]
	v_fma_f64 v[6:7], -v[14:15], v[142:143], v[6:7]
	v_fma_f64 v[0:1], -v[14:15], v[144:145], v[0:1]
	v_fma_f64 v[124:125], -v[14:15], v[146:147], v[124:125]
.LBB120_930:
	s_or_b64 exec, exec, s[0:1]
	v_lshl_add_u32 v126, v131, 3, v130
	s_barrier
	ds_write_b64 v126, v[12:13]
	s_waitcnt lgkmcnt(0)
	s_barrier
	ds_read_b64 v[126:127], v130 offset:440
	s_cmp_lt_i32 s18, 57
	v_mov_b32_e32 v128, 55
	s_cbranch_scc1 .LBB120_933
; %bb.931:
	v_add_u32_e32 v135, 0x1c0, v130
	s_mov_b32 s0, 56
	v_mov_b32_e32 v128, 55
.LBB120_932:                            ; =>This Inner Loop Header: Depth=1
	ds_read_b64 v[136:137], v135
	v_mov_b32_e32 v138, s0
	s_add_i32 s0, s0, 1
	v_add_u32_e32 v135, 8, v135
	s_cmp_lg_u32 s18, s0
	s_waitcnt lgkmcnt(0)
	v_cmp_lt_f64_e64 vcc, |v[126:127]|, |v[136:137]|
	v_cndmask_b32_e32 v127, v127, v137, vcc
	v_cndmask_b32_e32 v126, v126, v136, vcc
	;; [unrolled: 1-line block ×3, first 2 shown]
	s_cbranch_scc1 .LBB120_932
.LBB120_933:
	s_waitcnt lgkmcnt(0)
	v_cmp_eq_f64_e32 vcc, 0, v[126:127]
	s_and_saveexec_b64 s[0:1], vcc
	s_xor_b64 s[0:1], exec, s[0:1]
; %bb.934:
	v_cmp_ne_u32_e32 vcc, 0, v134
	v_cndmask_b32_e32 v134, 56, v134, vcc
; %bb.935:
	s_andn2_saveexec_b64 s[0:1], s[0:1]
; %bb.936:
	v_div_scale_f64 v[136:137], s[2:3], v[126:127], v[126:127], 1.0
	v_rcp_f64_e32 v[138:139], v[136:137]
	v_div_scale_f64 v[140:141], vcc, 1.0, v[126:127], 1.0
	v_fma_f64 v[142:143], -v[136:137], v[138:139], 1.0
	v_fmac_f64_e32 v[138:139], v[138:139], v[142:143]
	v_fma_f64 v[142:143], -v[136:137], v[138:139], 1.0
	v_fmac_f64_e32 v[138:139], v[138:139], v[142:143]
	v_mul_f64 v[142:143], v[140:141], v[138:139]
	v_fma_f64 v[136:137], -v[136:137], v[142:143], v[140:141]
	v_div_fmas_f64 v[136:137], v[136:137], v[138:139], v[142:143]
	v_div_fixup_f64 v[126:127], v[136:137], v[126:127], 1.0
; %bb.937:
	s_or_b64 exec, exec, s[0:1]
	v_cmp_ne_u32_e32 vcc, v131, v128
	s_and_saveexec_b64 s[0:1], vcc
	s_xor_b64 s[0:1], exec, s[0:1]
	s_cbranch_execz .LBB120_943
; %bb.938:
	v_cmp_eq_u32_e32 vcc, 55, v131
	s_and_saveexec_b64 s[2:3], vcc
	s_cbranch_execz .LBB120_942
; %bb.939:
	v_cmp_ne_u32_e32 vcc, 55, v128
	s_xor_b64 s[14:15], s[6:7], -1
	s_and_b64 s[16:17], s[14:15], vcc
	s_and_saveexec_b64 s[14:15], s[16:17]
	s_cbranch_execz .LBB120_941
; %bb.940:
	v_ashrrev_i32_e32 v129, 31, v128
	v_lshlrev_b64 v[136:137], 2, v[128:129]
	v_add_co_u32_e32 v136, vcc, v4, v136
	v_addc_co_u32_e32 v137, vcc, v5, v137, vcc
	flat_load_dword v129, v[136:137]
	flat_load_dword v131, v[4:5] offset:220
	s_waitcnt vmcnt(0) lgkmcnt(0)
	flat_store_dword v[4:5], v129 offset:220
	flat_store_dword v[136:137], v131
.LBB120_941:
	s_or_b64 exec, exec, s[14:15]
	v_mov_b32_e32 v129, v128
	v_mov_b32_e32 v131, v128
.LBB120_942:
	s_or_b64 exec, exec, s[2:3]
.LBB120_943:
	s_andn2_saveexec_b64 s[0:1], s[0:1]
	s_cbranch_execz .LBB120_945
; %bb.944:
	v_mov_b32_e32 v136, v10
	v_mov_b32_e32 v137, v11
	v_mov_b32_e32 v138, v8
	v_mov_b32_e32 v139, v9
	ds_write2_b64 v130, v[136:137], v[138:139] offset0:56 offset1:57
	v_mov_b32_e32 v136, v6
	v_mov_b32_e32 v137, v7
	v_mov_b32_e32 v138, v0
	v_mov_b32_e32 v139, v1
	v_mov_b32_e32 v131, 55
	ds_write2_b64 v130, v[136:137], v[138:139] offset0:58 offset1:59
	ds_write_b64 v130, v[124:125] offset:480
.LBB120_945:
	s_or_b64 exec, exec, s[0:1]
	v_cmp_lt_i32_e32 vcc, 55, v131
	s_waitcnt lgkmcnt(0)
	s_barrier
	s_and_saveexec_b64 s[0:1], vcc
	s_cbranch_execz .LBB120_947
; %bb.946:
	ds_read2_b64 v[136:139], v130 offset0:56 offset1:57
	ds_read2_b64 v[140:143], v130 offset0:58 offset1:59
	v_mul_f64 v[12:13], v[126:127], v[12:13]
	ds_read_b64 v[126:127], v130 offset:480
	s_waitcnt lgkmcnt(0)
	v_fma_f64 v[10:11], -v[12:13], v[136:137], v[10:11]
	v_fma_f64 v[8:9], -v[12:13], v[138:139], v[8:9]
	;; [unrolled: 1-line block ×5, first 2 shown]
.LBB120_947:
	s_or_b64 exec, exec, s[0:1]
	v_lshl_add_u32 v126, v131, 3, v130
	s_barrier
	ds_write_b64 v126, v[10:11]
	s_waitcnt lgkmcnt(0)
	s_barrier
	ds_read_b64 v[126:127], v130 offset:448
	s_cmp_lt_i32 s18, 58
	v_mov_b32_e32 v128, 56
	s_cbranch_scc1 .LBB120_950
; %bb.948:
	v_add_u32_e32 v135, 0x1c8, v130
	s_mov_b32 s0, 57
	v_mov_b32_e32 v128, 56
.LBB120_949:                            ; =>This Inner Loop Header: Depth=1
	ds_read_b64 v[136:137], v135
	v_mov_b32_e32 v138, s0
	s_add_i32 s0, s0, 1
	v_add_u32_e32 v135, 8, v135
	s_cmp_lg_u32 s18, s0
	s_waitcnt lgkmcnt(0)
	v_cmp_lt_f64_e64 vcc, |v[126:127]|, |v[136:137]|
	v_cndmask_b32_e32 v127, v127, v137, vcc
	v_cndmask_b32_e32 v126, v126, v136, vcc
	;; [unrolled: 1-line block ×3, first 2 shown]
	s_cbranch_scc1 .LBB120_949
.LBB120_950:
	s_waitcnt lgkmcnt(0)
	v_cmp_eq_f64_e32 vcc, 0, v[126:127]
	s_and_saveexec_b64 s[0:1], vcc
	s_xor_b64 s[0:1], exec, s[0:1]
; %bb.951:
	v_cmp_ne_u32_e32 vcc, 0, v134
	v_cndmask_b32_e32 v134, 57, v134, vcc
; %bb.952:
	s_andn2_saveexec_b64 s[0:1], s[0:1]
; %bb.953:
	v_div_scale_f64 v[136:137], s[2:3], v[126:127], v[126:127], 1.0
	v_rcp_f64_e32 v[138:139], v[136:137]
	v_div_scale_f64 v[140:141], vcc, 1.0, v[126:127], 1.0
	v_fma_f64 v[142:143], -v[136:137], v[138:139], 1.0
	v_fmac_f64_e32 v[138:139], v[138:139], v[142:143]
	v_fma_f64 v[142:143], -v[136:137], v[138:139], 1.0
	v_fmac_f64_e32 v[138:139], v[138:139], v[142:143]
	v_mul_f64 v[142:143], v[140:141], v[138:139]
	v_fma_f64 v[136:137], -v[136:137], v[142:143], v[140:141]
	v_div_fmas_f64 v[136:137], v[136:137], v[138:139], v[142:143]
	v_div_fixup_f64 v[126:127], v[136:137], v[126:127], 1.0
; %bb.954:
	s_or_b64 exec, exec, s[0:1]
	v_cmp_ne_u32_e32 vcc, v131, v128
	s_and_saveexec_b64 s[0:1], vcc
	s_xor_b64 s[0:1], exec, s[0:1]
	s_cbranch_execz .LBB120_960
; %bb.955:
	v_cmp_eq_u32_e32 vcc, 56, v131
	s_and_saveexec_b64 s[2:3], vcc
	s_cbranch_execz .LBB120_959
; %bb.956:
	v_cmp_ne_u32_e32 vcc, 56, v128
	s_xor_b64 s[14:15], s[6:7], -1
	s_and_b64 s[16:17], s[14:15], vcc
	s_and_saveexec_b64 s[14:15], s[16:17]
	s_cbranch_execz .LBB120_958
; %bb.957:
	v_ashrrev_i32_e32 v129, 31, v128
	v_lshlrev_b64 v[136:137], 2, v[128:129]
	v_add_co_u32_e32 v136, vcc, v4, v136
	v_addc_co_u32_e32 v137, vcc, v5, v137, vcc
	flat_load_dword v129, v[136:137]
	flat_load_dword v131, v[4:5] offset:224
	s_waitcnt vmcnt(0) lgkmcnt(0)
	flat_store_dword v[4:5], v129 offset:224
	flat_store_dword v[136:137], v131
.LBB120_958:
	s_or_b64 exec, exec, s[14:15]
	v_mov_b32_e32 v129, v128
	v_mov_b32_e32 v131, v128
.LBB120_959:
	s_or_b64 exec, exec, s[2:3]
.LBB120_960:
	s_andn2_saveexec_b64 s[0:1], s[0:1]
	s_cbranch_execz .LBB120_962
; %bb.961:
	v_mov_b32_e32 v131, 56
	ds_write2_b64 v130, v[8:9], v[6:7] offset0:57 offset1:58
	ds_write2_b64 v130, v[0:1], v[124:125] offset0:59 offset1:60
.LBB120_962:
	s_or_b64 exec, exec, s[0:1]
	v_cmp_lt_i32_e32 vcc, 56, v131
	s_waitcnt lgkmcnt(0)
	s_barrier
	s_and_saveexec_b64 s[0:1], vcc
	s_cbranch_execz .LBB120_964
; %bb.963:
	ds_read2_b64 v[136:139], v130 offset0:57 offset1:58
	ds_read2_b64 v[140:143], v130 offset0:59 offset1:60
	v_mul_f64 v[10:11], v[126:127], v[10:11]
	s_waitcnt lgkmcnt(0)
	v_fma_f64 v[8:9], -v[10:11], v[136:137], v[8:9]
	v_fma_f64 v[6:7], -v[10:11], v[138:139], v[6:7]
	;; [unrolled: 1-line block ×4, first 2 shown]
.LBB120_964:
	s_or_b64 exec, exec, s[0:1]
	v_lshl_add_u32 v126, v131, 3, v130
	s_barrier
	ds_write_b64 v126, v[8:9]
	s_waitcnt lgkmcnt(0)
	s_barrier
	ds_read_b64 v[126:127], v130 offset:456
	s_cmp_lt_i32 s18, 59
	v_mov_b32_e32 v128, 57
	s_cbranch_scc1 .LBB120_967
; %bb.965:
	v_add_u32_e32 v135, 0x1d0, v130
	s_mov_b32 s0, 58
	v_mov_b32_e32 v128, 57
.LBB120_966:                            ; =>This Inner Loop Header: Depth=1
	ds_read_b64 v[136:137], v135
	v_mov_b32_e32 v138, s0
	s_add_i32 s0, s0, 1
	v_add_u32_e32 v135, 8, v135
	s_cmp_lg_u32 s18, s0
	s_waitcnt lgkmcnt(0)
	v_cmp_lt_f64_e64 vcc, |v[126:127]|, |v[136:137]|
	v_cndmask_b32_e32 v127, v127, v137, vcc
	v_cndmask_b32_e32 v126, v126, v136, vcc
	;; [unrolled: 1-line block ×3, first 2 shown]
	s_cbranch_scc1 .LBB120_966
.LBB120_967:
	s_waitcnt lgkmcnt(0)
	v_cmp_eq_f64_e32 vcc, 0, v[126:127]
	s_and_saveexec_b64 s[0:1], vcc
	s_xor_b64 s[0:1], exec, s[0:1]
; %bb.968:
	v_cmp_ne_u32_e32 vcc, 0, v134
	v_cndmask_b32_e32 v134, 58, v134, vcc
; %bb.969:
	s_andn2_saveexec_b64 s[0:1], s[0:1]
; %bb.970:
	v_div_scale_f64 v[136:137], s[2:3], v[126:127], v[126:127], 1.0
	v_rcp_f64_e32 v[138:139], v[136:137]
	v_div_scale_f64 v[140:141], vcc, 1.0, v[126:127], 1.0
	v_fma_f64 v[142:143], -v[136:137], v[138:139], 1.0
	v_fmac_f64_e32 v[138:139], v[138:139], v[142:143]
	v_fma_f64 v[142:143], -v[136:137], v[138:139], 1.0
	v_fmac_f64_e32 v[138:139], v[138:139], v[142:143]
	v_mul_f64 v[142:143], v[140:141], v[138:139]
	v_fma_f64 v[136:137], -v[136:137], v[142:143], v[140:141]
	v_div_fmas_f64 v[136:137], v[136:137], v[138:139], v[142:143]
	v_div_fixup_f64 v[126:127], v[136:137], v[126:127], 1.0
; %bb.971:
	s_or_b64 exec, exec, s[0:1]
	v_cmp_ne_u32_e32 vcc, v131, v128
	s_and_saveexec_b64 s[0:1], vcc
	s_xor_b64 s[0:1], exec, s[0:1]
	s_cbranch_execz .LBB120_977
; %bb.972:
	v_cmp_eq_u32_e32 vcc, 57, v131
	s_and_saveexec_b64 s[2:3], vcc
	s_cbranch_execz .LBB120_976
; %bb.973:
	v_cmp_ne_u32_e32 vcc, 57, v128
	s_xor_b64 s[14:15], s[6:7], -1
	s_and_b64 s[16:17], s[14:15], vcc
	s_and_saveexec_b64 s[14:15], s[16:17]
	s_cbranch_execz .LBB120_975
; %bb.974:
	v_ashrrev_i32_e32 v129, 31, v128
	v_lshlrev_b64 v[136:137], 2, v[128:129]
	v_add_co_u32_e32 v136, vcc, v4, v136
	v_addc_co_u32_e32 v137, vcc, v5, v137, vcc
	flat_load_dword v129, v[136:137]
	flat_load_dword v131, v[4:5] offset:228
	s_waitcnt vmcnt(0) lgkmcnt(0)
	flat_store_dword v[4:5], v129 offset:228
	flat_store_dword v[136:137], v131
.LBB120_975:
	s_or_b64 exec, exec, s[14:15]
	v_mov_b32_e32 v129, v128
	v_mov_b32_e32 v131, v128
.LBB120_976:
	s_or_b64 exec, exec, s[2:3]
.LBB120_977:
	s_andn2_saveexec_b64 s[0:1], s[0:1]
	s_cbranch_execz .LBB120_979
; %bb.978:
	v_mov_b32_e32 v136, v6
	v_mov_b32_e32 v137, v7
	;; [unrolled: 1-line block ×5, first 2 shown]
	ds_write2_b64 v130, v[136:137], v[138:139] offset0:58 offset1:59
	ds_write_b64 v130, v[124:125] offset:480
.LBB120_979:
	s_or_b64 exec, exec, s[0:1]
	v_cmp_lt_i32_e32 vcc, 57, v131
	s_waitcnt lgkmcnt(0)
	s_barrier
	s_and_saveexec_b64 s[0:1], vcc
	s_cbranch_execz .LBB120_981
; %bb.980:
	ds_read2_b64 v[136:139], v130 offset0:58 offset1:59
	ds_read_b64 v[140:141], v130 offset:480
	v_mul_f64 v[8:9], v[126:127], v[8:9]
	s_waitcnt lgkmcnt(0)
	v_fma_f64 v[6:7], -v[8:9], v[136:137], v[6:7]
	v_fma_f64 v[0:1], -v[8:9], v[138:139], v[0:1]
	;; [unrolled: 1-line block ×3, first 2 shown]
.LBB120_981:
	s_or_b64 exec, exec, s[0:1]
	v_lshl_add_u32 v126, v131, 3, v130
	s_barrier
	ds_write_b64 v126, v[6:7]
	s_waitcnt lgkmcnt(0)
	s_barrier
	ds_read_b64 v[126:127], v130 offset:464
	s_cmp_lt_i32 s18, 60
	v_mov_b32_e32 v128, 58
	s_cbranch_scc1 .LBB120_984
; %bb.982:
	v_add_u32_e32 v135, 0x1d8, v130
	s_mov_b32 s0, 59
	v_mov_b32_e32 v128, 58
.LBB120_983:                            ; =>This Inner Loop Header: Depth=1
	ds_read_b64 v[136:137], v135
	v_mov_b32_e32 v138, s0
	s_add_i32 s0, s0, 1
	v_add_u32_e32 v135, 8, v135
	s_cmp_lg_u32 s18, s0
	s_waitcnt lgkmcnt(0)
	v_cmp_lt_f64_e64 vcc, |v[126:127]|, |v[136:137]|
	v_cndmask_b32_e32 v127, v127, v137, vcc
	v_cndmask_b32_e32 v126, v126, v136, vcc
	;; [unrolled: 1-line block ×3, first 2 shown]
	s_cbranch_scc1 .LBB120_983
.LBB120_984:
	s_waitcnt lgkmcnt(0)
	v_cmp_eq_f64_e32 vcc, 0, v[126:127]
	s_and_saveexec_b64 s[0:1], vcc
	s_xor_b64 s[0:1], exec, s[0:1]
; %bb.985:
	v_cmp_ne_u32_e32 vcc, 0, v134
	v_cndmask_b32_e32 v134, 59, v134, vcc
; %bb.986:
	s_andn2_saveexec_b64 s[0:1], s[0:1]
; %bb.987:
	v_div_scale_f64 v[136:137], s[2:3], v[126:127], v[126:127], 1.0
	v_rcp_f64_e32 v[138:139], v[136:137]
	v_div_scale_f64 v[140:141], vcc, 1.0, v[126:127], 1.0
	v_fma_f64 v[142:143], -v[136:137], v[138:139], 1.0
	v_fmac_f64_e32 v[138:139], v[138:139], v[142:143]
	v_fma_f64 v[142:143], -v[136:137], v[138:139], 1.0
	v_fmac_f64_e32 v[138:139], v[138:139], v[142:143]
	v_mul_f64 v[142:143], v[140:141], v[138:139]
	v_fma_f64 v[136:137], -v[136:137], v[142:143], v[140:141]
	v_div_fmas_f64 v[136:137], v[136:137], v[138:139], v[142:143]
	v_div_fixup_f64 v[126:127], v[136:137], v[126:127], 1.0
; %bb.988:
	s_or_b64 exec, exec, s[0:1]
	v_cmp_ne_u32_e32 vcc, v131, v128
	s_and_saveexec_b64 s[0:1], vcc
	s_xor_b64 s[0:1], exec, s[0:1]
	s_cbranch_execz .LBB120_994
; %bb.989:
	v_cmp_eq_u32_e32 vcc, 58, v131
	s_and_saveexec_b64 s[2:3], vcc
	s_cbranch_execz .LBB120_993
; %bb.990:
	v_cmp_ne_u32_e32 vcc, 58, v128
	s_xor_b64 s[14:15], s[6:7], -1
	s_and_b64 s[16:17], s[14:15], vcc
	s_and_saveexec_b64 s[14:15], s[16:17]
	s_cbranch_execz .LBB120_992
; %bb.991:
	v_ashrrev_i32_e32 v129, 31, v128
	v_lshlrev_b64 v[136:137], 2, v[128:129]
	v_add_co_u32_e32 v136, vcc, v4, v136
	v_addc_co_u32_e32 v137, vcc, v5, v137, vcc
	flat_load_dword v129, v[136:137]
	flat_load_dword v131, v[4:5] offset:232
	s_waitcnt vmcnt(0) lgkmcnt(0)
	flat_store_dword v[4:5], v129 offset:232
	flat_store_dword v[136:137], v131
.LBB120_992:
	s_or_b64 exec, exec, s[14:15]
	v_mov_b32_e32 v129, v128
	v_mov_b32_e32 v131, v128
.LBB120_993:
	s_or_b64 exec, exec, s[2:3]
.LBB120_994:
	s_andn2_saveexec_b64 s[0:1], s[0:1]
	s_cbranch_execz .LBB120_996
; %bb.995:
	v_mov_b32_e32 v131, 58
	ds_write2_b64 v130, v[0:1], v[124:125] offset0:59 offset1:60
.LBB120_996:
	s_or_b64 exec, exec, s[0:1]
	v_cmp_lt_i32_e32 vcc, 58, v131
	s_waitcnt lgkmcnt(0)
	s_barrier
	s_and_saveexec_b64 s[0:1], vcc
	s_cbranch_execz .LBB120_998
; %bb.997:
	ds_read2_b64 v[136:139], v130 offset0:59 offset1:60
	v_mul_f64 v[6:7], v[126:127], v[6:7]
	s_waitcnt lgkmcnt(0)
	v_fma_f64 v[0:1], -v[6:7], v[136:137], v[0:1]
	v_fma_f64 v[124:125], -v[6:7], v[138:139], v[124:125]
.LBB120_998:
	s_or_b64 exec, exec, s[0:1]
	v_lshl_add_u32 v126, v131, 3, v130
	s_barrier
	ds_write_b64 v126, v[0:1]
	s_waitcnt lgkmcnt(0)
	s_barrier
	ds_read_b64 v[126:127], v130 offset:472
	s_cmp_lt_i32 s18, 61
	v_mov_b32_e32 v128, 59
	s_cbranch_scc1 .LBB120_1001
; %bb.999:
	v_add_u32_e32 v135, 0x1e0, v130
	s_mov_b32 s0, 60
	v_mov_b32_e32 v128, 59
.LBB120_1000:                           ; =>This Inner Loop Header: Depth=1
	ds_read_b64 v[136:137], v135
	v_mov_b32_e32 v138, s0
	s_add_i32 s0, s0, 1
	v_add_u32_e32 v135, 8, v135
	s_cmp_lg_u32 s18, s0
	s_waitcnt lgkmcnt(0)
	v_cmp_lt_f64_e64 vcc, |v[126:127]|, |v[136:137]|
	v_cndmask_b32_e32 v127, v127, v137, vcc
	v_cndmask_b32_e32 v126, v126, v136, vcc
	;; [unrolled: 1-line block ×3, first 2 shown]
	s_cbranch_scc1 .LBB120_1000
.LBB120_1001:
	s_waitcnt lgkmcnt(0)
	v_cmp_eq_f64_e32 vcc, 0, v[126:127]
	s_and_saveexec_b64 s[0:1], vcc
	s_xor_b64 s[0:1], exec, s[0:1]
; %bb.1002:
	v_cmp_ne_u32_e32 vcc, 0, v134
	v_cndmask_b32_e32 v134, 60, v134, vcc
; %bb.1003:
	s_andn2_saveexec_b64 s[0:1], s[0:1]
; %bb.1004:
	v_div_scale_f64 v[136:137], s[2:3], v[126:127], v[126:127], 1.0
	v_rcp_f64_e32 v[138:139], v[136:137]
	v_div_scale_f64 v[140:141], vcc, 1.0, v[126:127], 1.0
	v_fma_f64 v[142:143], -v[136:137], v[138:139], 1.0
	v_fmac_f64_e32 v[138:139], v[138:139], v[142:143]
	v_fma_f64 v[142:143], -v[136:137], v[138:139], 1.0
	v_fmac_f64_e32 v[138:139], v[138:139], v[142:143]
	v_mul_f64 v[142:143], v[140:141], v[138:139]
	v_fma_f64 v[136:137], -v[136:137], v[142:143], v[140:141]
	v_div_fmas_f64 v[136:137], v[136:137], v[138:139], v[142:143]
	v_div_fixup_f64 v[126:127], v[136:137], v[126:127], 1.0
; %bb.1005:
	s_or_b64 exec, exec, s[0:1]
	v_cmp_ne_u32_e32 vcc, v131, v128
	s_and_saveexec_b64 s[0:1], vcc
	s_xor_b64 s[0:1], exec, s[0:1]
	s_cbranch_execz .LBB120_1011
; %bb.1006:
	v_cmp_eq_u32_e32 vcc, 59, v131
	s_and_saveexec_b64 s[2:3], vcc
	s_cbranch_execz .LBB120_1010
; %bb.1007:
	v_cmp_ne_u32_e32 vcc, 59, v128
	s_xor_b64 s[14:15], s[6:7], -1
	s_and_b64 s[16:17], s[14:15], vcc
	s_and_saveexec_b64 s[14:15], s[16:17]
	s_cbranch_execz .LBB120_1009
; %bb.1008:
	v_ashrrev_i32_e32 v129, 31, v128
	v_lshlrev_b64 v[136:137], 2, v[128:129]
	v_add_co_u32_e32 v136, vcc, v4, v136
	v_addc_co_u32_e32 v137, vcc, v5, v137, vcc
	flat_load_dword v129, v[136:137]
	flat_load_dword v131, v[4:5] offset:236
	s_waitcnt vmcnt(0) lgkmcnt(0)
	flat_store_dword v[4:5], v129 offset:236
	flat_store_dword v[136:137], v131
.LBB120_1009:
	s_or_b64 exec, exec, s[14:15]
	v_mov_b32_e32 v129, v128
	v_mov_b32_e32 v131, v128
.LBB120_1010:
	s_or_b64 exec, exec, s[2:3]
.LBB120_1011:
	s_andn2_saveexec_b64 s[0:1], s[0:1]
	s_cbranch_execz .LBB120_1013
; %bb.1012:
	v_mov_b32_e32 v131, 59
	ds_write_b64 v130, v[124:125] offset:480
.LBB120_1013:
	s_or_b64 exec, exec, s[0:1]
	v_cmp_lt_i32_e32 vcc, 59, v131
	s_waitcnt lgkmcnt(0)
	s_barrier
	s_and_saveexec_b64 s[0:1], vcc
	s_cbranch_execz .LBB120_1015
; %bb.1014:
	ds_read_b64 v[136:137], v130 offset:480
	v_mul_f64 v[0:1], v[126:127], v[0:1]
	s_waitcnt lgkmcnt(0)
	v_fma_f64 v[124:125], -v[0:1], v[136:137], v[124:125]
.LBB120_1015:
	s_or_b64 exec, exec, s[0:1]
	v_lshl_add_u32 v126, v131, 3, v130
	s_barrier
	ds_write_b64 v126, v[124:125]
	s_waitcnt lgkmcnt(0)
	s_barrier
	ds_read_b64 v[126:127], v130 offset:480
	s_cmp_lt_i32 s18, 62
	v_mov_b32_e32 v128, 60
	s_cbranch_scc1 .LBB120_1018
; %bb.1016:
	v_add_u32_e32 v130, 0x1e8, v130
	s_mov_b32 s0, 61
	v_mov_b32_e32 v128, 60
.LBB120_1017:                           ; =>This Inner Loop Header: Depth=1
	ds_read_b64 v[136:137], v130
	v_mov_b32_e32 v135, s0
	s_add_i32 s0, s0, 1
	v_add_u32_e32 v130, 8, v130
	s_cmp_lg_u32 s18, s0
	s_waitcnt lgkmcnt(0)
	v_cmp_lt_f64_e64 vcc, |v[126:127]|, |v[136:137]|
	v_cndmask_b32_e32 v127, v127, v137, vcc
	v_cndmask_b32_e32 v126, v126, v136, vcc
	v_cndmask_b32_e32 v128, v128, v135, vcc
	s_cbranch_scc1 .LBB120_1017
.LBB120_1018:
	s_waitcnt lgkmcnt(0)
	v_cmp_eq_f64_e32 vcc, 0, v[126:127]
	s_and_saveexec_b64 s[0:1], vcc
	s_xor_b64 s[0:1], exec, s[0:1]
; %bb.1019:
	v_cmp_ne_u32_e32 vcc, 0, v134
	v_cndmask_b32_e32 v134, 61, v134, vcc
; %bb.1020:
	s_andn2_saveexec_b64 s[0:1], s[0:1]
; %bb.1021:
	v_div_scale_f64 v[136:137], s[2:3], v[126:127], v[126:127], 1.0
	v_rcp_f64_e32 v[138:139], v[136:137]
	v_div_scale_f64 v[140:141], vcc, 1.0, v[126:127], 1.0
	v_fma_f64 v[142:143], -v[136:137], v[138:139], 1.0
	v_fmac_f64_e32 v[138:139], v[138:139], v[142:143]
	v_fma_f64 v[142:143], -v[136:137], v[138:139], 1.0
	v_fmac_f64_e32 v[138:139], v[138:139], v[142:143]
	v_mul_f64 v[142:143], v[140:141], v[138:139]
	v_fma_f64 v[136:137], -v[136:137], v[142:143], v[140:141]
	v_div_fmas_f64 v[136:137], v[136:137], v[138:139], v[142:143]
	v_div_fixup_f64 v[126:127], v[136:137], v[126:127], 1.0
; %bb.1022:
	s_or_b64 exec, exec, s[0:1]
	v_cmp_ne_u32_e32 vcc, v131, v128
	v_mov_b32_e32 v130, 60
	s_and_saveexec_b64 s[0:1], vcc
	s_cbranch_execz .LBB120_1028
; %bb.1023:
	v_cmp_eq_u32_e32 vcc, 60, v131
	s_and_saveexec_b64 s[2:3], vcc
	s_cbranch_execz .LBB120_1027
; %bb.1024:
	v_cmp_ne_u32_e32 vcc, 60, v128
	s_xor_b64 s[6:7], s[6:7], -1
	s_and_b64 s[14:15], s[6:7], vcc
	s_and_saveexec_b64 s[6:7], s[14:15]
	s_cbranch_execz .LBB120_1026
; %bb.1025:
	v_ashrrev_i32_e32 v129, 31, v128
	v_lshlrev_b64 v[130:131], 2, v[128:129]
	v_add_co_u32_e32 v130, vcc, v4, v130
	v_addc_co_u32_e32 v131, vcc, v5, v131, vcc
	flat_load_dword v129, v[130:131]
	flat_load_dword v135, v[4:5] offset:240
	s_waitcnt vmcnt(0) lgkmcnt(0)
	flat_store_dword v[4:5], v129 offset:240
	flat_store_dword v[130:131], v135
.LBB120_1026:
	s_or_b64 exec, exec, s[6:7]
	v_mov_b32_e32 v129, v128
	v_mov_b32_e32 v131, v128
.LBB120_1027:
	s_or_b64 exec, exec, s[2:3]
	v_mov_b32_e32 v130, v131
.LBB120_1028:
	s_or_b64 exec, exec, s[0:1]
	s_load_dwordx8 s[0:7], s[4:5], 0x28
	v_cmp_gt_i32_e32 vcc, 61, v130
	v_ashrrev_i32_e32 v131, 31, v130
	s_waitcnt lgkmcnt(0)
	s_barrier
	s_barrier
	s_and_saveexec_b64 s[14:15], vcc
	s_cbranch_execz .LBB120_1030
; %bb.1029:
	v_mul_lo_u32 v128, v3, s4
	v_mul_lo_u32 v135, v2, s5
	v_mad_u64_u32 v[4:5], s[4:5], v2, s4, 0
	s_lshl_b64 s[2:3], s[2:3], 2
	v_add3_u32 v5, v5, v135, v128
	s_add_u32 s0, s2, s0
	v_lshlrev_b64 v[4:5], 2, v[4:5]
	s_addc_u32 s1, s3, s1
	v_mov_b32_e32 v128, s1
	v_add_co_u32_e32 v135, vcc, s0, v4
	v_addc_co_u32_e32 v128, vcc, v128, v5, vcc
	v_lshlrev_b64 v[4:5], 2, v[130:131]
	v_add_co_u32_e32 v4, vcc, v135, v4
	v_addc_co_u32_e32 v5, vcc, v128, v5, vcc
	v_add3_u32 v128, v129, s13, 1
	global_store_dword v[4:5], v128, off
.LBB120_1030:
	s_or_b64 exec, exec, s[14:15]
	v_cmp_eq_u32_e32 vcc, 0, v130
	s_and_saveexec_b64 s[2:3], vcc
	s_cbranch_execz .LBB120_1033
; %bb.1031:
	v_lshlrev_b64 v[2:3], 2, v[2:3]
	v_mov_b32_e32 v4, s7
	v_add_co_u32_e32 v2, vcc, s6, v2
	v_addc_co_u32_e32 v3, vcc, v4, v3, vcc
	global_load_dword v4, v[2:3], off
	v_cmp_lt_i32_e64 s[0:1], 0, v134
	s_waitcnt vmcnt(0)
	v_cmp_eq_u32_e32 vcc, 0, v4
	s_and_b64 s[0:1], vcc, s[0:1]
	s_and_b64 exec, exec, s[0:1]
	s_cbranch_execz .LBB120_1033
; %bb.1032:
	v_add_u32_e32 v4, s13, v134
	global_store_dword v[2:3], v4, off
.LBB120_1033:
	s_or_b64 exec, exec, s[2:3]
	v_mul_f64 v[2:3], v[126:127], v[124:125]
	v_cmp_lt_i32_e32 vcc, 60, v130
	v_lshlrev_b64 v[4:5], 3, v[130:131]
	v_cndmask_b32_e32 v3, v125, v3, vcc
	v_cndmask_b32_e32 v2, v124, v2, vcc
	v_add_co_u32_e32 v4, vcc, v132, v4
	v_addc_co_u32_e32 v5, vcc, v133, v5, vcc
	global_store_dwordx2 v[4:5], v[120:121], off
	v_mov_b32_e32 v120, s11
	v_add_co_u32_e32 v4, vcc, s10, v4
	v_addc_co_u32_e32 v5, vcc, v5, v120, vcc
	global_store_dwordx2 v[4:5], v[122:123], off
	v_add_u32_e32 v4, s12, v130
	v_ashrrev_i32_e32 v5, 31, v4
	v_lshlrev_b64 v[120:121], 3, v[4:5]
	v_add_co_u32_e32 v120, vcc, v132, v120
	v_add_u32_e32 v4, s8, v4
	v_addc_co_u32_e32 v121, vcc, v133, v121, vcc
	v_ashrrev_i32_e32 v5, 31, v4
	global_store_dwordx2 v[120:121], v[118:119], off
	v_lshlrev_b64 v[118:119], 3, v[4:5]
	v_add_co_u32_e32 v118, vcc, v132, v118
	v_add_u32_e32 v4, s8, v4
	v_addc_co_u32_e32 v119, vcc, v133, v119, vcc
	v_ashrrev_i32_e32 v5, 31, v4
	global_store_dwordx2 v[118:119], v[116:117], off
	;; [unrolled: 6-line block ×57, first 2 shown]
	v_lshlrev_b64 v[6:7], 3, v[4:5]
	v_add_co_u32_e32 v6, vcc, v132, v6
	v_addc_co_u32_e32 v7, vcc, v133, v7, vcc
	global_store_dwordx2 v[6:7], v[0:1], off
	v_add_u32_e32 v0, s8, v4
	v_ashrrev_i32_e32 v1, 31, v0
	v_lshlrev_b64 v[0:1], 3, v[0:1]
	v_add_co_u32_e32 v0, vcc, v132, v0
	v_addc_co_u32_e32 v1, vcc, v133, v1, vcc
	global_store_dwordx2 v[0:1], v[2:3], off
.LBB120_1034:
	s_endpgm
	.section	.rodata,"a",@progbits
	.p2align	6, 0x0
	.amdhsa_kernel _ZN9rocsolver6v33100L18getf2_small_kernelILi61EdiiPKPdEEvT1_T3_lS5_lPS5_llPT2_S5_S5_S7_l
		.amdhsa_group_segment_fixed_size 0
		.amdhsa_private_segment_fixed_size 0
		.amdhsa_kernarg_size 352
		.amdhsa_user_sgpr_count 6
		.amdhsa_user_sgpr_private_segment_buffer 1
		.amdhsa_user_sgpr_dispatch_ptr 0
		.amdhsa_user_sgpr_queue_ptr 0
		.amdhsa_user_sgpr_kernarg_segment_ptr 1
		.amdhsa_user_sgpr_dispatch_id 0
		.amdhsa_user_sgpr_flat_scratch_init 0
		.amdhsa_user_sgpr_kernarg_preload_length 0
		.amdhsa_user_sgpr_kernarg_preload_offset 0
		.amdhsa_user_sgpr_private_segment_size 0
		.amdhsa_uses_dynamic_stack 0
		.amdhsa_system_sgpr_private_segment_wavefront_offset 0
		.amdhsa_system_sgpr_workgroup_id_x 1
		.amdhsa_system_sgpr_workgroup_id_y 1
		.amdhsa_system_sgpr_workgroup_id_z 0
		.amdhsa_system_sgpr_workgroup_info 0
		.amdhsa_system_vgpr_workitem_id 1
		.amdhsa_next_free_vgpr 190
		.amdhsa_next_free_sgpr 22
		.amdhsa_accum_offset 192
		.amdhsa_reserve_vcc 1
		.amdhsa_reserve_flat_scratch 0
		.amdhsa_float_round_mode_32 0
		.amdhsa_float_round_mode_16_64 0
		.amdhsa_float_denorm_mode_32 3
		.amdhsa_float_denorm_mode_16_64 3
		.amdhsa_dx10_clamp 1
		.amdhsa_ieee_mode 1
		.amdhsa_fp16_overflow 0
		.amdhsa_tg_split 0
		.amdhsa_exception_fp_ieee_invalid_op 0
		.amdhsa_exception_fp_denorm_src 0
		.amdhsa_exception_fp_ieee_div_zero 0
		.amdhsa_exception_fp_ieee_overflow 0
		.amdhsa_exception_fp_ieee_underflow 0
		.amdhsa_exception_fp_ieee_inexact 0
		.amdhsa_exception_int_div_zero 0
	.end_amdhsa_kernel
	.section	.text._ZN9rocsolver6v33100L18getf2_small_kernelILi61EdiiPKPdEEvT1_T3_lS5_lPS5_llPT2_S5_S5_S7_l,"axG",@progbits,_ZN9rocsolver6v33100L18getf2_small_kernelILi61EdiiPKPdEEvT1_T3_lS5_lPS5_llPT2_S5_S5_S7_l,comdat
.Lfunc_end120:
	.size	_ZN9rocsolver6v33100L18getf2_small_kernelILi61EdiiPKPdEEvT1_T3_lS5_lPS5_llPT2_S5_S5_S7_l, .Lfunc_end120-_ZN9rocsolver6v33100L18getf2_small_kernelILi61EdiiPKPdEEvT1_T3_lS5_lPS5_llPT2_S5_S5_S7_l
                                        ; -- End function
	.section	.AMDGPU.csdata,"",@progbits
; Kernel info:
; codeLenInByte = 66108
; NumSgprs: 26
; NumVgprs: 190
; NumAgprs: 0
; TotalNumVgprs: 190
; ScratchSize: 0
; MemoryBound: 0
; FloatMode: 240
; IeeeMode: 1
; LDSByteSize: 0 bytes/workgroup (compile time only)
; SGPRBlocks: 3
; VGPRBlocks: 23
; NumSGPRsForWavesPerEU: 26
; NumVGPRsForWavesPerEU: 190
; AccumOffset: 192
; Occupancy: 2
; WaveLimiterHint : 1
; COMPUTE_PGM_RSRC2:SCRATCH_EN: 0
; COMPUTE_PGM_RSRC2:USER_SGPR: 6
; COMPUTE_PGM_RSRC2:TRAP_HANDLER: 0
; COMPUTE_PGM_RSRC2:TGID_X_EN: 1
; COMPUTE_PGM_RSRC2:TGID_Y_EN: 1
; COMPUTE_PGM_RSRC2:TGID_Z_EN: 0
; COMPUTE_PGM_RSRC2:TIDIG_COMP_CNT: 1
; COMPUTE_PGM_RSRC3_GFX90A:ACCUM_OFFSET: 47
; COMPUTE_PGM_RSRC3_GFX90A:TG_SPLIT: 0
	.section	.text._ZN9rocsolver6v33100L23getf2_npvt_small_kernelILi61EdiiPKPdEEvT1_T3_lS5_lPT2_S5_S5_,"axG",@progbits,_ZN9rocsolver6v33100L23getf2_npvt_small_kernelILi61EdiiPKPdEEvT1_T3_lS5_lPT2_S5_S5_,comdat
	.globl	_ZN9rocsolver6v33100L23getf2_npvt_small_kernelILi61EdiiPKPdEEvT1_T3_lS5_lPT2_S5_S5_ ; -- Begin function _ZN9rocsolver6v33100L23getf2_npvt_small_kernelILi61EdiiPKPdEEvT1_T3_lS5_lPT2_S5_S5_
	.p2align	8
	.type	_ZN9rocsolver6v33100L23getf2_npvt_small_kernelILi61EdiiPKPdEEvT1_T3_lS5_lPT2_S5_S5_,@function
_ZN9rocsolver6v33100L23getf2_npvt_small_kernelILi61EdiiPKPdEEvT1_T3_lS5_lPT2_S5_S5_: ; @_ZN9rocsolver6v33100L23getf2_npvt_small_kernelILi61EdiiPKPdEEvT1_T3_lS5_lPT2_S5_S5_
; %bb.0:
	s_mov_b64 s[18:19], s[2:3]
	s_mov_b64 s[16:17], s[0:1]
	s_add_u32 s16, s16, s8
	s_load_dword s0, s[4:5], 0x44
	s_load_dwordx2 s[8:9], s[4:5], 0x30
	s_addc_u32 s17, s17, 0
	v_bfe_u32 v1, v0, 10, 10
	s_waitcnt lgkmcnt(0)
	s_lshr_b32 s6, s0, 16
	s_mul_i32 s7, s7, s6
	v_add_u32_e32 v74, s7, v1
	v_cmp_gt_i32_e32 vcc, s8, v74
	s_and_saveexec_b64 s[0:1], vcc
	s_cbranch_execz .LBB121_308
; %bb.1:
	s_load_dwordx4 s[12:15], s[4:5], 0x8
	s_load_dword s0, s[4:5], 0x18
	v_ashrrev_i32_e32 v75, 31, v74
	v_lshlrev_b64 v[2:3], 3, v[74:75]
	v_and_b32_e32 v66, 0x3ff, v0
	s_waitcnt lgkmcnt(0)
	v_mov_b32_e32 v4, s13
	v_add_co_u32_e32 v2, vcc, s12, v2
	v_addc_co_u32_e32 v3, vcc, v4, v3, vcc
	global_load_dwordx2 v[2:3], v[2:3], off
	s_add_i32 s1, s0, s0
	s_lshl_b64 s[2:3], s[14:15], 3
	v_add_u32_e32 v4, s1, v66
	v_mov_b32_e32 v0, s3
	v_ashrrev_i32_e32 v5, 31, v4
	v_add_u32_e32 v6, s0, v4
	v_lshlrev_b64 v[4:5], 3, v[4:5]
	v_ashrrev_i32_e32 v7, 31, v6
	v_add_u32_e32 v8, s0, v6
	v_lshlrev_b64 v[6:7], 3, v[6:7]
	;; [unrolled: 3-line block ×10, first 2 shown]
	v_ashrrev_i32_e32 v25, 31, v24
	s_ashr_i32 s1, s0, 31
	s_mulk_i32 s6, 0x1e8
	s_waitcnt vmcnt(0)
	v_add_co_u32_e32 v26, vcc, s2, v2
	v_addc_co_u32_e32 v0, vcc, v3, v0, vcc
	v_add_co_u32_e32 v76, vcc, v26, v4
	v_addc_co_u32_e32 v77, vcc, v0, v5, vcc
	;; [unrolled: 2-line block ×11, first 2 shown]
	v_lshlrev_b64 v[2:3], 3, v[24:25]
	v_add_co_u32_e32 v96, vcc, v26, v2
	v_add_u32_e32 v2, s0, v24
	v_addc_co_u32_e32 v97, vcc, v0, v3, vcc
	v_ashrrev_i32_e32 v3, 31, v2
	v_lshlrev_b64 v[4:5], 3, v[2:3]
	v_add_u32_e32 v2, s0, v2
	v_add_co_u32_e32 v98, vcc, v26, v4
	v_ashrrev_i32_e32 v3, 31, v2
	v_addc_co_u32_e32 v99, vcc, v0, v5, vcc
	v_lshlrev_b64 v[4:5], 3, v[2:3]
	v_add_u32_e32 v2, s0, v2
	v_add_co_u32_e32 v100, vcc, v26, v4
	v_ashrrev_i32_e32 v3, 31, v2
	v_addc_co_u32_e32 v101, vcc, v0, v5, vcc
	;; [unrolled: 5-line block ×47, first 2 shown]
	v_lshlrev_b64 v[2:3], 3, v[2:3]
	v_add_co_u32_e32 v64, vcc, v26, v2
	v_addc_co_u32_e32 v65, vcc, v0, v3, vcc
	v_lshlrev_b32_e32 v2, 3, v66
	v_add_co_u32_e32 v120, vcc, v26, v2
	v_addc_co_u32_e32 v121, vcc, 0, v0, vcc
	s_lshl_b64 s[0:1], s[0:1], 3
	v_mov_b32_e32 v0, s1
	v_add_co_u32_e32 v2, vcc, s0, v120
	v_addc_co_u32_e32 v3, vcc, v121, v0, vcc
	global_load_dwordx2 v[124:125], v[120:121], off
	s_nop 0
	buffer_store_dword v2, off, s[16:19], 0 offset:240 ; 4-byte Folded Spill
	s_nop 0
	buffer_store_dword v3, off, s[16:19], 0 offset:244 ; 4-byte Folded Spill
	global_load_dwordx2 v[184:185], v[2:3], off
	global_load_dwordx2 v[242:243], v[76:77], off
	;; [unrolled: 1-line block ×30, first 2 shown]
	s_nop 0
	buffer_store_dword v6, off, s[16:19], 0 ; 4-byte Folded Spill
	s_nop 0
	buffer_store_dword v7, off, s[16:19], 0 offset:4 ; 4-byte Folded Spill
	s_movk_i32 s0, 0x1e8
	s_add_i32 s1, s6, 0
	v_cmp_ne_u32_e64 s[2:3], 0, v66
	global_load_dwordx2 v[154:155], v[6:7], off
	s_nop 0
	buffer_store_dword v8, off, s[16:19], 0 offset:8 ; 4-byte Folded Spill
	s_nop 0
	buffer_store_dword v9, off, s[16:19], 0 offset:12 ; 4-byte Folded Spill
	global_load_dwordx2 v[212:213], v[8:9], off
	s_nop 0
	buffer_store_dword v10, off, s[16:19], 0 offset:16 ; 4-byte Folded Spill
	s_nop 0
	buffer_store_dword v11, off, s[16:19], 0 offset:20 ; 4-byte Folded Spill
	;; [unrolled: 5-line block ×29, first 2 shown]
	global_load_dwordx2 v[244:245], v[64:65], off
	v_mad_u32_u24 v65, v1, s0, 0
	v_lshl_add_u32 v64, v1, 3, s1
	v_cmp_eq_u32_e64 s[0:1], 0, v66
	s_and_saveexec_b64 s[6:7], s[0:1]
	s_cbranch_execz .LBB121_4
; %bb.2:
	s_waitcnt vmcnt(62)
	ds_write_b64 v64, v[124:125]
	ds_write2_b64 v65, v[184:185], v[242:243] offset0:1 offset1:2
	ds_write2_b64 v65, v[182:183], v[240:241] offset0:3 offset1:4
	;; [unrolled: 1-line block ×19, first 2 shown]
	s_waitcnt vmcnt(60)
	ds_write2_b64 v65, v[146:147], v[204:205] offset0:39 offset1:40
	s_waitcnt vmcnt(54)
	ds_write2_b64 v65, v[144:145], v[202:203] offset0:41 offset1:42
	;; [unrolled: 2-line block ×11, first 2 shown]
	ds_read_b64 v[0:1], v64
	s_waitcnt lgkmcnt(0)
	v_cmp_neq_f64_e32 vcc, 0, v[0:1]
	s_and_b64 exec, exec, vcc
	s_cbranch_execz .LBB121_4
; %bb.3:
	v_div_scale_f64 v[2:3], s[10:11], v[0:1], v[0:1], 1.0
	v_rcp_f64_e32 v[4:5], v[2:3]
	v_div_scale_f64 v[6:7], vcc, 1.0, v[0:1], 1.0
	v_fma_f64 v[8:9], -v[2:3], v[4:5], 1.0
	v_fmac_f64_e32 v[4:5], v[4:5], v[8:9]
	v_fma_f64 v[8:9], -v[2:3], v[4:5], 1.0
	v_fmac_f64_e32 v[4:5], v[4:5], v[8:9]
	v_mul_f64 v[8:9], v[6:7], v[4:5]
	v_fma_f64 v[2:3], -v[2:3], v[8:9], v[6:7]
	v_div_fmas_f64 v[2:3], v[2:3], v[4:5], v[8:9]
	v_div_fixup_f64 v[0:1], v[2:3], v[0:1], 1.0
	ds_write_b64 v64, v[0:1]
.LBB121_4:
	s_or_b64 exec, exec, s[6:7]
	s_waitcnt lgkmcnt(0)
	s_barrier
	ds_read_b64 v[0:1], v64
	s_waitcnt lgkmcnt(0)
	buffer_store_dword v0, off, s[16:19], 0 offset:248 ; 4-byte Folded Spill
	s_nop 0
	buffer_store_dword v1, off, s[16:19], 0 offset:252 ; 4-byte Folded Spill
	s_and_saveexec_b64 s[6:7], s[2:3]
	s_cbranch_execz .LBB121_6
; %bb.5:
	buffer_load_dword v0, off, s[16:19], 0 offset:248 ; 4-byte Folded Reload
	buffer_load_dword v1, off, s[16:19], 0 offset:252 ; 4-byte Folded Reload
	s_waitcnt vmcnt(0)
	v_mul_f64 v[124:125], v[0:1], v[124:125]
	ds_read2_b64 v[0:3], v65 offset0:1 offset1:2
	s_waitcnt lgkmcnt(0)
	v_fma_f64 v[184:185], -v[124:125], v[0:1], v[184:185]
	v_fma_f64 v[242:243], -v[124:125], v[2:3], v[242:243]
	ds_read2_b64 v[0:3], v65 offset0:3 offset1:4
	s_waitcnt lgkmcnt(0)
	v_fma_f64 v[182:183], -v[124:125], v[0:1], v[182:183]
	v_fma_f64 v[240:241], -v[124:125], v[2:3], v[240:241]
	ds_read2_b64 v[0:3], v65 offset0:5 offset1:6
	s_waitcnt lgkmcnt(0)
	v_fma_f64 v[180:181], -v[124:125], v[0:1], v[180:181]
	v_fma_f64 v[238:239], -v[124:125], v[2:3], v[238:239]
	ds_read2_b64 v[0:3], v65 offset0:7 offset1:8
	s_waitcnt lgkmcnt(0)
	v_fma_f64 v[178:179], -v[124:125], v[0:1], v[178:179]
	v_fma_f64 v[236:237], -v[124:125], v[2:3], v[236:237]
	ds_read2_b64 v[0:3], v65 offset0:9 offset1:10
	s_waitcnt lgkmcnt(0)
	v_fma_f64 v[176:177], -v[124:125], v[0:1], v[176:177]
	v_fma_f64 v[234:235], -v[124:125], v[2:3], v[234:235]
	ds_read2_b64 v[0:3], v65 offset0:11 offset1:12
	s_waitcnt lgkmcnt(0)
	v_fma_f64 v[174:175], -v[124:125], v[0:1], v[174:175]
	v_fma_f64 v[232:233], -v[124:125], v[2:3], v[232:233]
	ds_read2_b64 v[0:3], v65 offset0:13 offset1:14
	s_waitcnt lgkmcnt(0)
	v_fma_f64 v[172:173], -v[124:125], v[0:1], v[172:173]
	v_fma_f64 v[230:231], -v[124:125], v[2:3], v[230:231]
	ds_read2_b64 v[0:3], v65 offset0:15 offset1:16
	s_waitcnt lgkmcnt(0)
	v_fma_f64 v[170:171], -v[124:125], v[0:1], v[170:171]
	v_fma_f64 v[228:229], -v[124:125], v[2:3], v[228:229]
	ds_read2_b64 v[0:3], v65 offset0:17 offset1:18
	s_waitcnt lgkmcnt(0)
	v_fma_f64 v[168:169], -v[124:125], v[0:1], v[168:169]
	v_fma_f64 v[226:227], -v[124:125], v[2:3], v[226:227]
	ds_read2_b64 v[0:3], v65 offset0:19 offset1:20
	s_waitcnt lgkmcnt(0)
	v_fma_f64 v[166:167], -v[124:125], v[0:1], v[166:167]
	v_fma_f64 v[224:225], -v[124:125], v[2:3], v[224:225]
	ds_read2_b64 v[0:3], v65 offset0:21 offset1:22
	s_waitcnt lgkmcnt(0)
	v_fma_f64 v[164:165], -v[124:125], v[0:1], v[164:165]
	v_fma_f64 v[222:223], -v[124:125], v[2:3], v[222:223]
	ds_read2_b64 v[0:3], v65 offset0:23 offset1:24
	s_waitcnt lgkmcnt(0)
	v_fma_f64 v[162:163], -v[124:125], v[0:1], v[162:163]
	v_fma_f64 v[220:221], -v[124:125], v[2:3], v[220:221]
	ds_read2_b64 v[0:3], v65 offset0:25 offset1:26
	s_waitcnt lgkmcnt(0)
	v_fma_f64 v[160:161], -v[124:125], v[0:1], v[160:161]
	v_fma_f64 v[218:219], -v[124:125], v[2:3], v[218:219]
	ds_read2_b64 v[0:3], v65 offset0:27 offset1:28
	s_waitcnt lgkmcnt(0)
	v_fma_f64 v[158:159], -v[124:125], v[0:1], v[158:159]
	v_fma_f64 v[216:217], -v[124:125], v[2:3], v[216:217]
	ds_read2_b64 v[0:3], v65 offset0:29 offset1:30
	s_waitcnt lgkmcnt(0)
	v_fma_f64 v[156:157], -v[124:125], v[0:1], v[156:157]
	v_fma_f64 v[214:215], -v[124:125], v[2:3], v[214:215]
	ds_read2_b64 v[0:3], v65 offset0:31 offset1:32
	s_waitcnt lgkmcnt(0)
	v_fma_f64 v[154:155], -v[124:125], v[0:1], v[154:155]
	v_fma_f64 v[212:213], -v[124:125], v[2:3], v[212:213]
	ds_read2_b64 v[0:3], v65 offset0:33 offset1:34
	s_waitcnt lgkmcnt(0)
	v_fma_f64 v[152:153], -v[124:125], v[0:1], v[152:153]
	v_fma_f64 v[210:211], -v[124:125], v[2:3], v[210:211]
	ds_read2_b64 v[0:3], v65 offset0:35 offset1:36
	s_waitcnt lgkmcnt(0)
	v_fma_f64 v[150:151], -v[124:125], v[0:1], v[150:151]
	v_fma_f64 v[208:209], -v[124:125], v[2:3], v[208:209]
	ds_read2_b64 v[0:3], v65 offset0:37 offset1:38
	s_waitcnt lgkmcnt(0)
	v_fma_f64 v[148:149], -v[124:125], v[0:1], v[148:149]
	v_fma_f64 v[206:207], -v[124:125], v[2:3], v[206:207]
	ds_read2_b64 v[0:3], v65 offset0:39 offset1:40
	s_waitcnt lgkmcnt(0)
	v_fma_f64 v[146:147], -v[124:125], v[0:1], v[146:147]
	v_fma_f64 v[204:205], -v[124:125], v[2:3], v[204:205]
	ds_read2_b64 v[0:3], v65 offset0:41 offset1:42
	s_waitcnt lgkmcnt(0)
	v_fma_f64 v[144:145], -v[124:125], v[0:1], v[144:145]
	v_fma_f64 v[202:203], -v[124:125], v[2:3], v[202:203]
	ds_read2_b64 v[0:3], v65 offset0:43 offset1:44
	s_waitcnt lgkmcnt(0)
	v_fma_f64 v[142:143], -v[124:125], v[0:1], v[142:143]
	v_fma_f64 v[200:201], -v[124:125], v[2:3], v[200:201]
	ds_read2_b64 v[0:3], v65 offset0:45 offset1:46
	s_waitcnt lgkmcnt(0)
	v_fma_f64 v[140:141], -v[124:125], v[0:1], v[140:141]
	v_fma_f64 v[198:199], -v[124:125], v[2:3], v[198:199]
	ds_read2_b64 v[0:3], v65 offset0:47 offset1:48
	s_waitcnt lgkmcnt(0)
	v_fma_f64 v[138:139], -v[124:125], v[0:1], v[138:139]
	v_fma_f64 v[196:197], -v[124:125], v[2:3], v[196:197]
	ds_read2_b64 v[0:3], v65 offset0:49 offset1:50
	s_waitcnt lgkmcnt(0)
	v_fma_f64 v[136:137], -v[124:125], v[0:1], v[136:137]
	v_fma_f64 v[194:195], -v[124:125], v[2:3], v[194:195]
	ds_read2_b64 v[0:3], v65 offset0:51 offset1:52
	s_waitcnt lgkmcnt(0)
	v_fma_f64 v[134:135], -v[124:125], v[0:1], v[134:135]
	v_fma_f64 v[192:193], -v[124:125], v[2:3], v[192:193]
	ds_read2_b64 v[0:3], v65 offset0:53 offset1:54
	s_waitcnt lgkmcnt(0)
	v_fma_f64 v[132:133], -v[124:125], v[0:1], v[132:133]
	v_fma_f64 v[190:191], -v[124:125], v[2:3], v[190:191]
	ds_read2_b64 v[0:3], v65 offset0:55 offset1:56
	s_waitcnt lgkmcnt(0)
	v_fma_f64 v[130:131], -v[124:125], v[0:1], v[130:131]
	v_fma_f64 v[188:189], -v[124:125], v[2:3], v[188:189]
	ds_read2_b64 v[0:3], v65 offset0:57 offset1:58
	s_waitcnt lgkmcnt(0)
	v_fma_f64 v[128:129], -v[124:125], v[0:1], v[128:129]
	v_fma_f64 v[186:187], -v[124:125], v[2:3], v[186:187]
	ds_read2_b64 v[0:3], v65 offset0:59 offset1:60
	s_waitcnt lgkmcnt(0)
	v_fma_f64 v[126:127], -v[124:125], v[0:1], v[126:127]
	v_fma_f64 v[244:245], -v[124:125], v[2:3], v[244:245]
.LBB121_6:
	s_or_b64 exec, exec, s[6:7]
	v_cmp_eq_u32_e32 vcc, 1, v66
	s_waitcnt vmcnt(63) expcnt(7) lgkmcnt(15)
	s_barrier
	s_and_saveexec_b64 s[2:3], vcc
	s_cbranch_execz .LBB121_9
; %bb.7:
	v_mov_b32_e32 v0, v242
	v_mov_b32_e32 v1, v243
	;; [unrolled: 1-line block ×4, first 2 shown]
	ds_write_b64 v64, v[184:185]
	ds_write2_b64 v65, v[0:1], v[2:3] offset0:2 offset1:3
	v_mov_b32_e32 v0, v240
	v_mov_b32_e32 v1, v241
	v_mov_b32_e32 v2, v180
	v_mov_b32_e32 v3, v181
	ds_write2_b64 v65, v[0:1], v[2:3] offset0:4 offset1:5
	v_mov_b32_e32 v0, v238
	v_mov_b32_e32 v1, v239
	v_mov_b32_e32 v2, v178
	v_mov_b32_e32 v3, v179
	;; [unrolled: 5-line block ×18, first 2 shown]
	ds_write2_b64 v65, v[0:1], v[2:3] offset0:38 offset1:39
	s_waitcnt vmcnt(62)
	v_mov_b32_e32 v0, v204
	v_mov_b32_e32 v1, v205
	s_waitcnt vmcnt(59)
	v_mov_b32_e32 v2, v144
	v_mov_b32_e32 v3, v145
	ds_write2_b64 v65, v[0:1], v[2:3] offset0:40 offset1:41
	s_waitcnt vmcnt(56)
	v_mov_b32_e32 v0, v202
	v_mov_b32_e32 v1, v203
	s_waitcnt vmcnt(53)
	v_mov_b32_e32 v2, v142
	v_mov_b32_e32 v3, v143
	ds_write2_b64 v65, v[0:1], v[2:3] offset0:42 offset1:43
	s_waitcnt vmcnt(50)
	v_mov_b32_e32 v0, v200
	v_mov_b32_e32 v1, v201
	s_waitcnt vmcnt(47)
	v_mov_b32_e32 v2, v140
	v_mov_b32_e32 v3, v141
	ds_write2_b64 v65, v[0:1], v[2:3] offset0:44 offset1:45
	s_waitcnt vmcnt(44)
	v_mov_b32_e32 v0, v198
	v_mov_b32_e32 v1, v199
	s_waitcnt vmcnt(41)
	v_mov_b32_e32 v2, v138
	v_mov_b32_e32 v3, v139
	ds_write2_b64 v65, v[0:1], v[2:3] offset0:46 offset1:47
	s_waitcnt vmcnt(38)
	v_mov_b32_e32 v0, v196
	v_mov_b32_e32 v1, v197
	s_waitcnt vmcnt(35)
	v_mov_b32_e32 v2, v136
	v_mov_b32_e32 v3, v137
	ds_write2_b64 v65, v[0:1], v[2:3] offset0:48 offset1:49
	s_waitcnt vmcnt(32)
	v_mov_b32_e32 v0, v194
	v_mov_b32_e32 v1, v195
	s_waitcnt vmcnt(29)
	v_mov_b32_e32 v2, v134
	v_mov_b32_e32 v3, v135
	ds_write2_b64 v65, v[0:1], v[2:3] offset0:50 offset1:51
	s_waitcnt vmcnt(26)
	v_mov_b32_e32 v0, v192
	v_mov_b32_e32 v1, v193
	s_waitcnt vmcnt(23)
	v_mov_b32_e32 v2, v132
	v_mov_b32_e32 v3, v133
	ds_write2_b64 v65, v[0:1], v[2:3] offset0:52 offset1:53
	s_waitcnt vmcnt(20)
	v_mov_b32_e32 v0, v190
	v_mov_b32_e32 v1, v191
	s_waitcnt vmcnt(17)
	v_mov_b32_e32 v2, v130
	v_mov_b32_e32 v3, v131
	ds_write2_b64 v65, v[0:1], v[2:3] offset0:54 offset1:55
	s_waitcnt vmcnt(14)
	v_mov_b32_e32 v0, v188
	v_mov_b32_e32 v1, v189
	s_waitcnt vmcnt(11)
	v_mov_b32_e32 v2, v128
	v_mov_b32_e32 v3, v129
	ds_write2_b64 v65, v[0:1], v[2:3] offset0:56 offset1:57
	s_waitcnt vmcnt(8)
	v_mov_b32_e32 v0, v186
	v_mov_b32_e32 v1, v187
	s_waitcnt vmcnt(5)
	v_mov_b32_e32 v2, v126
	v_mov_b32_e32 v3, v127
	ds_write2_b64 v65, v[0:1], v[2:3] offset0:58 offset1:59
	s_waitcnt vmcnt(2)
	ds_write_b64 v65, v[244:245] offset:480
	ds_read_b64 v[0:1], v64
	s_waitcnt lgkmcnt(0)
	v_cmp_neq_f64_e32 vcc, 0, v[0:1]
	s_and_b64 exec, exec, vcc
	s_cbranch_execz .LBB121_9
; %bb.8:
	v_div_scale_f64 v[2:3], s[6:7], v[0:1], v[0:1], 1.0
	v_rcp_f64_e32 v[4:5], v[2:3]
	v_div_scale_f64 v[6:7], vcc, 1.0, v[0:1], 1.0
	v_fma_f64 v[8:9], -v[2:3], v[4:5], 1.0
	v_fmac_f64_e32 v[4:5], v[4:5], v[8:9]
	v_fma_f64 v[8:9], -v[2:3], v[4:5], 1.0
	v_fmac_f64_e32 v[4:5], v[4:5], v[8:9]
	v_mul_f64 v[8:9], v[6:7], v[4:5]
	v_fma_f64 v[2:3], -v[2:3], v[8:9], v[6:7]
	v_div_fmas_f64 v[2:3], v[2:3], v[4:5], v[8:9]
	v_div_fixup_f64 v[0:1], v[2:3], v[0:1], 1.0
	ds_write_b64 v64, v[0:1]
.LBB121_9:
	s_or_b64 exec, exec, s[2:3]
	s_waitcnt lgkmcnt(0)
	s_barrier
	ds_read_b64 v[0:1], v64
	v_cmp_lt_u32_e32 vcc, 1, v66
	s_waitcnt lgkmcnt(0)
	buffer_store_dword v0, off, s[16:19], 0 offset:256 ; 4-byte Folded Spill
	s_nop 0
	buffer_store_dword v1, off, s[16:19], 0 offset:260 ; 4-byte Folded Spill
	s_and_saveexec_b64 s[2:3], vcc
	s_cbranch_execz .LBB121_11
; %bb.10:
	buffer_load_dword v0, off, s[16:19], 0 offset:256 ; 4-byte Folded Reload
	buffer_load_dword v1, off, s[16:19], 0 offset:260 ; 4-byte Folded Reload
	s_waitcnt vmcnt(0)
	v_mul_f64 v[184:185], v[0:1], v[184:185]
	ds_read2_b64 v[0:3], v65 offset0:2 offset1:3
	s_waitcnt lgkmcnt(0)
	v_fma_f64 v[242:243], -v[184:185], v[0:1], v[242:243]
	v_fma_f64 v[182:183], -v[184:185], v[2:3], v[182:183]
	ds_read2_b64 v[0:3], v65 offset0:4 offset1:5
	s_waitcnt lgkmcnt(0)
	v_fma_f64 v[240:241], -v[184:185], v[0:1], v[240:241]
	v_fma_f64 v[180:181], -v[184:185], v[2:3], v[180:181]
	;; [unrolled: 4-line block ×28, first 2 shown]
	ds_read2_b64 v[0:3], v65 offset0:58 offset1:59
	s_waitcnt lgkmcnt(0)
	v_fma_f64 v[186:187], -v[184:185], v[0:1], v[186:187]
	ds_read_b64 v[0:1], v65 offset:480
	v_fma_f64 v[126:127], -v[184:185], v[2:3], v[126:127]
	s_waitcnt lgkmcnt(0)
	v_fma_f64 v[244:245], -v[184:185], v[0:1], v[244:245]
.LBB121_11:
	s_or_b64 exec, exec, s[2:3]
	v_cmp_eq_u32_e32 vcc, 2, v66
	s_waitcnt vmcnt(63) expcnt(7) lgkmcnt(15)
	s_barrier
	s_and_saveexec_b64 s[2:3], vcc
	s_cbranch_execz .LBB121_14
; %bb.12:
	ds_write_b64 v64, v[242:243]
	ds_write2_b64 v65, v[182:183], v[240:241] offset0:3 offset1:4
	ds_write2_b64 v65, v[180:181], v[238:239] offset0:5 offset1:6
	;; [unrolled: 1-line block ×19, first 2 shown]
	s_waitcnt vmcnt(58)
	ds_write2_b64 v65, v[144:145], v[202:203] offset0:41 offset1:42
	s_waitcnt vmcnt(52)
	ds_write2_b64 v65, v[142:143], v[200:201] offset0:43 offset1:44
	;; [unrolled: 2-line block ×10, first 2 shown]
	ds_read_b64 v[0:1], v64
	s_waitcnt lgkmcnt(0)
	v_cmp_neq_f64_e32 vcc, 0, v[0:1]
	s_and_b64 exec, exec, vcc
	s_cbranch_execz .LBB121_14
; %bb.13:
	v_div_scale_f64 v[2:3], s[6:7], v[0:1], v[0:1], 1.0
	v_rcp_f64_e32 v[4:5], v[2:3]
	v_div_scale_f64 v[6:7], vcc, 1.0, v[0:1], 1.0
	v_fma_f64 v[8:9], -v[2:3], v[4:5], 1.0
	v_fmac_f64_e32 v[4:5], v[4:5], v[8:9]
	v_fma_f64 v[8:9], -v[2:3], v[4:5], 1.0
	v_fmac_f64_e32 v[4:5], v[4:5], v[8:9]
	v_mul_f64 v[8:9], v[6:7], v[4:5]
	v_fma_f64 v[2:3], -v[2:3], v[8:9], v[6:7]
	v_div_fmas_f64 v[2:3], v[2:3], v[4:5], v[8:9]
	v_div_fixup_f64 v[0:1], v[2:3], v[0:1], 1.0
	ds_write_b64 v64, v[0:1]
.LBB121_14:
	s_or_b64 exec, exec, s[2:3]
	s_waitcnt lgkmcnt(0)
	s_barrier
	ds_read_b64 v[0:1], v64
	v_cmp_lt_u32_e32 vcc, 2, v66
	s_waitcnt lgkmcnt(0)
	buffer_store_dword v0, off, s[16:19], 0 offset:264 ; 4-byte Folded Spill
	s_nop 0
	buffer_store_dword v1, off, s[16:19], 0 offset:268 ; 4-byte Folded Spill
	s_and_saveexec_b64 s[2:3], vcc
	s_cbranch_execz .LBB121_16
; %bb.15:
	buffer_load_dword v0, off, s[16:19], 0 offset:264 ; 4-byte Folded Reload
	buffer_load_dword v1, off, s[16:19], 0 offset:268 ; 4-byte Folded Reload
	s_waitcnt vmcnt(0)
	v_mul_f64 v[242:243], v[0:1], v[242:243]
	ds_read2_b64 v[0:3], v65 offset0:3 offset1:4
	s_waitcnt lgkmcnt(0)
	v_fma_f64 v[182:183], -v[242:243], v[0:1], v[182:183]
	v_fma_f64 v[240:241], -v[242:243], v[2:3], v[240:241]
	ds_read2_b64 v[0:3], v65 offset0:5 offset1:6
	s_waitcnt lgkmcnt(0)
	v_fma_f64 v[180:181], -v[242:243], v[0:1], v[180:181]
	v_fma_f64 v[238:239], -v[242:243], v[2:3], v[238:239]
	ds_read2_b64 v[0:3], v65 offset0:7 offset1:8
	s_waitcnt lgkmcnt(0)
	v_fma_f64 v[178:179], -v[242:243], v[0:1], v[178:179]
	v_fma_f64 v[236:237], -v[242:243], v[2:3], v[236:237]
	ds_read2_b64 v[0:3], v65 offset0:9 offset1:10
	s_waitcnt lgkmcnt(0)
	v_fma_f64 v[176:177], -v[242:243], v[0:1], v[176:177]
	v_fma_f64 v[234:235], -v[242:243], v[2:3], v[234:235]
	ds_read2_b64 v[0:3], v65 offset0:11 offset1:12
	s_waitcnt lgkmcnt(0)
	v_fma_f64 v[174:175], -v[242:243], v[0:1], v[174:175]
	v_fma_f64 v[232:233], -v[242:243], v[2:3], v[232:233]
	ds_read2_b64 v[0:3], v65 offset0:13 offset1:14
	s_waitcnt lgkmcnt(0)
	v_fma_f64 v[172:173], -v[242:243], v[0:1], v[172:173]
	v_fma_f64 v[230:231], -v[242:243], v[2:3], v[230:231]
	ds_read2_b64 v[0:3], v65 offset0:15 offset1:16
	s_waitcnt lgkmcnt(0)
	v_fma_f64 v[170:171], -v[242:243], v[0:1], v[170:171]
	v_fma_f64 v[228:229], -v[242:243], v[2:3], v[228:229]
	ds_read2_b64 v[0:3], v65 offset0:17 offset1:18
	s_waitcnt lgkmcnt(0)
	v_fma_f64 v[168:169], -v[242:243], v[0:1], v[168:169]
	v_fma_f64 v[226:227], -v[242:243], v[2:3], v[226:227]
	ds_read2_b64 v[0:3], v65 offset0:19 offset1:20
	s_waitcnt lgkmcnt(0)
	v_fma_f64 v[166:167], -v[242:243], v[0:1], v[166:167]
	v_fma_f64 v[224:225], -v[242:243], v[2:3], v[224:225]
	ds_read2_b64 v[0:3], v65 offset0:21 offset1:22
	s_waitcnt lgkmcnt(0)
	v_fma_f64 v[164:165], -v[242:243], v[0:1], v[164:165]
	v_fma_f64 v[222:223], -v[242:243], v[2:3], v[222:223]
	ds_read2_b64 v[0:3], v65 offset0:23 offset1:24
	s_waitcnt lgkmcnt(0)
	v_fma_f64 v[162:163], -v[242:243], v[0:1], v[162:163]
	v_fma_f64 v[220:221], -v[242:243], v[2:3], v[220:221]
	ds_read2_b64 v[0:3], v65 offset0:25 offset1:26
	s_waitcnt lgkmcnt(0)
	v_fma_f64 v[160:161], -v[242:243], v[0:1], v[160:161]
	v_fma_f64 v[218:219], -v[242:243], v[2:3], v[218:219]
	ds_read2_b64 v[0:3], v65 offset0:27 offset1:28
	s_waitcnt lgkmcnt(0)
	v_fma_f64 v[158:159], -v[242:243], v[0:1], v[158:159]
	v_fma_f64 v[216:217], -v[242:243], v[2:3], v[216:217]
	ds_read2_b64 v[0:3], v65 offset0:29 offset1:30
	s_waitcnt lgkmcnt(0)
	v_fma_f64 v[156:157], -v[242:243], v[0:1], v[156:157]
	v_fma_f64 v[214:215], -v[242:243], v[2:3], v[214:215]
	ds_read2_b64 v[0:3], v65 offset0:31 offset1:32
	s_waitcnt lgkmcnt(0)
	v_fma_f64 v[154:155], -v[242:243], v[0:1], v[154:155]
	v_fma_f64 v[212:213], -v[242:243], v[2:3], v[212:213]
	ds_read2_b64 v[0:3], v65 offset0:33 offset1:34
	s_waitcnt lgkmcnt(0)
	v_fma_f64 v[152:153], -v[242:243], v[0:1], v[152:153]
	v_fma_f64 v[210:211], -v[242:243], v[2:3], v[210:211]
	ds_read2_b64 v[0:3], v65 offset0:35 offset1:36
	s_waitcnt lgkmcnt(0)
	v_fma_f64 v[150:151], -v[242:243], v[0:1], v[150:151]
	v_fma_f64 v[208:209], -v[242:243], v[2:3], v[208:209]
	ds_read2_b64 v[0:3], v65 offset0:37 offset1:38
	s_waitcnt lgkmcnt(0)
	v_fma_f64 v[148:149], -v[242:243], v[0:1], v[148:149]
	v_fma_f64 v[206:207], -v[242:243], v[2:3], v[206:207]
	ds_read2_b64 v[0:3], v65 offset0:39 offset1:40
	s_waitcnt lgkmcnt(0)
	v_fma_f64 v[146:147], -v[242:243], v[0:1], v[146:147]
	v_fma_f64 v[204:205], -v[242:243], v[2:3], v[204:205]
	ds_read2_b64 v[0:3], v65 offset0:41 offset1:42
	s_waitcnt lgkmcnt(0)
	v_fma_f64 v[144:145], -v[242:243], v[0:1], v[144:145]
	v_fma_f64 v[202:203], -v[242:243], v[2:3], v[202:203]
	ds_read2_b64 v[0:3], v65 offset0:43 offset1:44
	s_waitcnt lgkmcnt(0)
	v_fma_f64 v[142:143], -v[242:243], v[0:1], v[142:143]
	v_fma_f64 v[200:201], -v[242:243], v[2:3], v[200:201]
	ds_read2_b64 v[0:3], v65 offset0:45 offset1:46
	s_waitcnt lgkmcnt(0)
	v_fma_f64 v[140:141], -v[242:243], v[0:1], v[140:141]
	v_fma_f64 v[198:199], -v[242:243], v[2:3], v[198:199]
	ds_read2_b64 v[0:3], v65 offset0:47 offset1:48
	s_waitcnt lgkmcnt(0)
	v_fma_f64 v[138:139], -v[242:243], v[0:1], v[138:139]
	v_fma_f64 v[196:197], -v[242:243], v[2:3], v[196:197]
	ds_read2_b64 v[0:3], v65 offset0:49 offset1:50
	s_waitcnt lgkmcnt(0)
	v_fma_f64 v[136:137], -v[242:243], v[0:1], v[136:137]
	v_fma_f64 v[194:195], -v[242:243], v[2:3], v[194:195]
	ds_read2_b64 v[0:3], v65 offset0:51 offset1:52
	s_waitcnt lgkmcnt(0)
	v_fma_f64 v[134:135], -v[242:243], v[0:1], v[134:135]
	v_fma_f64 v[192:193], -v[242:243], v[2:3], v[192:193]
	ds_read2_b64 v[0:3], v65 offset0:53 offset1:54
	s_waitcnt lgkmcnt(0)
	v_fma_f64 v[132:133], -v[242:243], v[0:1], v[132:133]
	v_fma_f64 v[190:191], -v[242:243], v[2:3], v[190:191]
	ds_read2_b64 v[0:3], v65 offset0:55 offset1:56
	s_waitcnt lgkmcnt(0)
	v_fma_f64 v[130:131], -v[242:243], v[0:1], v[130:131]
	v_fma_f64 v[188:189], -v[242:243], v[2:3], v[188:189]
	ds_read2_b64 v[0:3], v65 offset0:57 offset1:58
	s_waitcnt lgkmcnt(0)
	v_fma_f64 v[128:129], -v[242:243], v[0:1], v[128:129]
	v_fma_f64 v[186:187], -v[242:243], v[2:3], v[186:187]
	ds_read2_b64 v[0:3], v65 offset0:59 offset1:60
	s_waitcnt lgkmcnt(0)
	v_fma_f64 v[126:127], -v[242:243], v[0:1], v[126:127]
	v_fma_f64 v[244:245], -v[242:243], v[2:3], v[244:245]
.LBB121_16:
	s_or_b64 exec, exec, s[2:3]
	v_cmp_eq_u32_e32 vcc, 3, v66
	s_waitcnt vmcnt(63) expcnt(7) lgkmcnt(15)
	s_barrier
	s_and_saveexec_b64 s[2:3], vcc
	s_cbranch_execz .LBB121_19
; %bb.17:
	v_mov_b32_e32 v0, v240
	v_mov_b32_e32 v1, v241
	v_mov_b32_e32 v2, v180
	v_mov_b32_e32 v3, v181
	ds_write_b64 v64, v[182:183]
	ds_write2_b64 v65, v[0:1], v[2:3] offset0:4 offset1:5
	v_mov_b32_e32 v0, v238
	v_mov_b32_e32 v1, v239
	v_mov_b32_e32 v2, v178
	v_mov_b32_e32 v3, v179
	ds_write2_b64 v65, v[0:1], v[2:3] offset0:6 offset1:7
	v_mov_b32_e32 v0, v236
	v_mov_b32_e32 v1, v237
	v_mov_b32_e32 v2, v176
	v_mov_b32_e32 v3, v177
	;; [unrolled: 5-line block ×18, first 2 shown]
	ds_write2_b64 v65, v[0:1], v[2:3] offset0:40 offset1:41
	s_waitcnt vmcnt(60)
	v_mov_b32_e32 v0, v202
	v_mov_b32_e32 v1, v203
	s_waitcnt vmcnt(57)
	v_mov_b32_e32 v2, v142
	v_mov_b32_e32 v3, v143
	ds_write2_b64 v65, v[0:1], v[2:3] offset0:42 offset1:43
	s_waitcnt vmcnt(54)
	v_mov_b32_e32 v0, v200
	v_mov_b32_e32 v1, v201
	s_waitcnt vmcnt(51)
	v_mov_b32_e32 v2, v140
	v_mov_b32_e32 v3, v141
	;; [unrolled: 7-line block ×9, first 2 shown]
	ds_write2_b64 v65, v[0:1], v[2:3] offset0:58 offset1:59
	s_waitcnt vmcnt(6)
	ds_write_b64 v65, v[244:245] offset:480
	ds_read_b64 v[0:1], v64
	s_waitcnt lgkmcnt(0)
	v_cmp_neq_f64_e32 vcc, 0, v[0:1]
	s_and_b64 exec, exec, vcc
	s_cbranch_execz .LBB121_19
; %bb.18:
	v_div_scale_f64 v[2:3], s[6:7], v[0:1], v[0:1], 1.0
	v_rcp_f64_e32 v[4:5], v[2:3]
	v_div_scale_f64 v[6:7], vcc, 1.0, v[0:1], 1.0
	v_fma_f64 v[8:9], -v[2:3], v[4:5], 1.0
	v_fmac_f64_e32 v[4:5], v[4:5], v[8:9]
	v_fma_f64 v[8:9], -v[2:3], v[4:5], 1.0
	v_fmac_f64_e32 v[4:5], v[4:5], v[8:9]
	v_mul_f64 v[8:9], v[6:7], v[4:5]
	v_fma_f64 v[2:3], -v[2:3], v[8:9], v[6:7]
	v_div_fmas_f64 v[2:3], v[2:3], v[4:5], v[8:9]
	v_div_fixup_f64 v[0:1], v[2:3], v[0:1], 1.0
	ds_write_b64 v64, v[0:1]
.LBB121_19:
	s_or_b64 exec, exec, s[2:3]
	s_waitcnt lgkmcnt(0)
	s_barrier
	ds_read_b64 v[0:1], v64
	v_cmp_lt_u32_e32 vcc, 3, v66
	s_waitcnt lgkmcnt(0)
	buffer_store_dword v0, off, s[16:19], 0 offset:272 ; 4-byte Folded Spill
	s_nop 0
	buffer_store_dword v1, off, s[16:19], 0 offset:276 ; 4-byte Folded Spill
	s_and_saveexec_b64 s[2:3], vcc
	s_cbranch_execz .LBB121_21
; %bb.20:
	buffer_load_dword v0, off, s[16:19], 0 offset:272 ; 4-byte Folded Reload
	buffer_load_dword v1, off, s[16:19], 0 offset:276 ; 4-byte Folded Reload
	s_waitcnt vmcnt(0)
	v_mul_f64 v[182:183], v[0:1], v[182:183]
	ds_read2_b64 v[0:3], v65 offset0:4 offset1:5
	s_waitcnt lgkmcnt(0)
	v_fma_f64 v[240:241], -v[182:183], v[0:1], v[240:241]
	v_fma_f64 v[180:181], -v[182:183], v[2:3], v[180:181]
	ds_read2_b64 v[0:3], v65 offset0:6 offset1:7
	s_waitcnt lgkmcnt(0)
	v_fma_f64 v[238:239], -v[182:183], v[0:1], v[238:239]
	v_fma_f64 v[178:179], -v[182:183], v[2:3], v[178:179]
	;; [unrolled: 4-line block ×27, first 2 shown]
	ds_read2_b64 v[0:3], v65 offset0:58 offset1:59
	s_waitcnt lgkmcnt(0)
	v_fma_f64 v[186:187], -v[182:183], v[0:1], v[186:187]
	ds_read_b64 v[0:1], v65 offset:480
	v_fma_f64 v[126:127], -v[182:183], v[2:3], v[126:127]
	s_waitcnt lgkmcnt(0)
	v_fma_f64 v[244:245], -v[182:183], v[0:1], v[244:245]
.LBB121_21:
	s_or_b64 exec, exec, s[2:3]
	v_cmp_eq_u32_e32 vcc, 4, v66
	s_waitcnt vmcnt(63) expcnt(7) lgkmcnt(15)
	s_barrier
	s_and_saveexec_b64 s[2:3], vcc
	s_cbranch_execz .LBB121_24
; %bb.22:
	ds_write_b64 v64, v[240:241]
	ds_write2_b64 v65, v[180:181], v[238:239] offset0:5 offset1:6
	ds_write2_b64 v65, v[178:179], v[236:237] offset0:7 offset1:8
	;; [unrolled: 1-line block ×18, first 2 shown]
	s_waitcnt vmcnt(62)
	ds_write2_b64 v65, v[144:145], v[202:203] offset0:41 offset1:42
	s_waitcnt vmcnt(56)
	ds_write2_b64 v65, v[142:143], v[200:201] offset0:43 offset1:44
	;; [unrolled: 2-line block ×10, first 2 shown]
	ds_read_b64 v[0:1], v64
	s_waitcnt lgkmcnt(0)
	v_cmp_neq_f64_e32 vcc, 0, v[0:1]
	s_and_b64 exec, exec, vcc
	s_cbranch_execz .LBB121_24
; %bb.23:
	v_div_scale_f64 v[2:3], s[6:7], v[0:1], v[0:1], 1.0
	v_rcp_f64_e32 v[4:5], v[2:3]
	v_div_scale_f64 v[6:7], vcc, 1.0, v[0:1], 1.0
	v_fma_f64 v[8:9], -v[2:3], v[4:5], 1.0
	v_fmac_f64_e32 v[4:5], v[4:5], v[8:9]
	v_fma_f64 v[8:9], -v[2:3], v[4:5], 1.0
	v_fmac_f64_e32 v[4:5], v[4:5], v[8:9]
	v_mul_f64 v[8:9], v[6:7], v[4:5]
	v_fma_f64 v[2:3], -v[2:3], v[8:9], v[6:7]
	v_div_fmas_f64 v[2:3], v[2:3], v[4:5], v[8:9]
	v_div_fixup_f64 v[0:1], v[2:3], v[0:1], 1.0
	ds_write_b64 v64, v[0:1]
.LBB121_24:
	s_or_b64 exec, exec, s[2:3]
	s_waitcnt lgkmcnt(0)
	s_barrier
	ds_read_b64 v[0:1], v64
	v_cmp_lt_u32_e32 vcc, 4, v66
	s_waitcnt lgkmcnt(0)
	buffer_store_dword v0, off, s[16:19], 0 offset:280 ; 4-byte Folded Spill
	s_nop 0
	buffer_store_dword v1, off, s[16:19], 0 offset:284 ; 4-byte Folded Spill
	s_and_saveexec_b64 s[2:3], vcc
	s_cbranch_execz .LBB121_26
; %bb.25:
	buffer_load_dword v0, off, s[16:19], 0 offset:280 ; 4-byte Folded Reload
	buffer_load_dword v1, off, s[16:19], 0 offset:284 ; 4-byte Folded Reload
	s_waitcnt vmcnt(0)
	v_mul_f64 v[240:241], v[0:1], v[240:241]
	ds_read2_b64 v[0:3], v65 offset0:5 offset1:6
	s_waitcnt lgkmcnt(0)
	v_fma_f64 v[180:181], -v[240:241], v[0:1], v[180:181]
	v_fma_f64 v[238:239], -v[240:241], v[2:3], v[238:239]
	ds_read2_b64 v[0:3], v65 offset0:7 offset1:8
	s_waitcnt lgkmcnt(0)
	v_fma_f64 v[178:179], -v[240:241], v[0:1], v[178:179]
	v_fma_f64 v[236:237], -v[240:241], v[2:3], v[236:237]
	;; [unrolled: 4-line block ×28, first 2 shown]
.LBB121_26:
	s_or_b64 exec, exec, s[2:3]
	v_cmp_eq_u32_e32 vcc, 5, v66
	s_waitcnt vmcnt(63) expcnt(7) lgkmcnt(15)
	s_barrier
	s_and_saveexec_b64 s[2:3], vcc
	s_cbranch_execz .LBB121_29
; %bb.27:
	v_mov_b32_e32 v0, v238
	v_mov_b32_e32 v1, v239
	;; [unrolled: 1-line block ×4, first 2 shown]
	ds_write_b64 v64, v[180:181]
	ds_write2_b64 v65, v[0:1], v[2:3] offset0:6 offset1:7
	v_mov_b32_e32 v0, v236
	v_mov_b32_e32 v1, v237
	v_mov_b32_e32 v2, v176
	v_mov_b32_e32 v3, v177
	ds_write2_b64 v65, v[0:1], v[2:3] offset0:8 offset1:9
	v_mov_b32_e32 v0, v234
	v_mov_b32_e32 v1, v235
	v_mov_b32_e32 v2, v174
	v_mov_b32_e32 v3, v175
	;; [unrolled: 5-line block ×17, first 2 shown]
	ds_write2_b64 v65, v[0:1], v[2:3] offset0:40 offset1:41
	v_mov_b32_e32 v0, v202
	v_mov_b32_e32 v1, v203
	s_waitcnt vmcnt(61)
	v_mov_b32_e32 v2, v142
	v_mov_b32_e32 v3, v143
	ds_write2_b64 v65, v[0:1], v[2:3] offset0:42 offset1:43
	s_waitcnt vmcnt(58)
	v_mov_b32_e32 v0, v200
	v_mov_b32_e32 v1, v201
	s_waitcnt vmcnt(55)
	v_mov_b32_e32 v2, v140
	v_mov_b32_e32 v3, v141
	ds_write2_b64 v65, v[0:1], v[2:3] offset0:44 offset1:45
	s_waitcnt vmcnt(52)
	;; [unrolled: 7-line block ×9, first 2 shown]
	ds_write_b64 v65, v[244:245] offset:480
	ds_read_b64 v[0:1], v64
	s_waitcnt lgkmcnt(0)
	v_cmp_neq_f64_e32 vcc, 0, v[0:1]
	s_and_b64 exec, exec, vcc
	s_cbranch_execz .LBB121_29
; %bb.28:
	v_div_scale_f64 v[2:3], s[6:7], v[0:1], v[0:1], 1.0
	v_rcp_f64_e32 v[4:5], v[2:3]
	v_div_scale_f64 v[6:7], vcc, 1.0, v[0:1], 1.0
	v_fma_f64 v[8:9], -v[2:3], v[4:5], 1.0
	v_fmac_f64_e32 v[4:5], v[4:5], v[8:9]
	v_fma_f64 v[8:9], -v[2:3], v[4:5], 1.0
	v_fmac_f64_e32 v[4:5], v[4:5], v[8:9]
	v_mul_f64 v[8:9], v[6:7], v[4:5]
	v_fma_f64 v[2:3], -v[2:3], v[8:9], v[6:7]
	v_div_fmas_f64 v[2:3], v[2:3], v[4:5], v[8:9]
	v_div_fixup_f64 v[0:1], v[2:3], v[0:1], 1.0
	ds_write_b64 v64, v[0:1]
.LBB121_29:
	s_or_b64 exec, exec, s[2:3]
	s_waitcnt lgkmcnt(0)
	s_barrier
	ds_read_b64 v[0:1], v64
	v_cmp_lt_u32_e32 vcc, 5, v66
	s_waitcnt lgkmcnt(0)
	buffer_store_dword v0, off, s[16:19], 0 offset:288 ; 4-byte Folded Spill
	s_nop 0
	buffer_store_dword v1, off, s[16:19], 0 offset:292 ; 4-byte Folded Spill
	s_and_saveexec_b64 s[2:3], vcc
	s_cbranch_execz .LBB121_31
; %bb.30:
	buffer_load_dword v0, off, s[16:19], 0 offset:288 ; 4-byte Folded Reload
	buffer_load_dword v1, off, s[16:19], 0 offset:292 ; 4-byte Folded Reload
	s_waitcnt vmcnt(0)
	v_mul_f64 v[180:181], v[0:1], v[180:181]
	ds_read2_b64 v[0:3], v65 offset0:6 offset1:7
	s_waitcnt lgkmcnt(0)
	v_fma_f64 v[238:239], -v[180:181], v[0:1], v[238:239]
	v_fma_f64 v[178:179], -v[180:181], v[2:3], v[178:179]
	ds_read2_b64 v[0:3], v65 offset0:8 offset1:9
	s_waitcnt lgkmcnt(0)
	v_fma_f64 v[236:237], -v[180:181], v[0:1], v[236:237]
	v_fma_f64 v[176:177], -v[180:181], v[2:3], v[176:177]
	ds_read2_b64 v[0:3], v65 offset0:10 offset1:11
	s_waitcnt lgkmcnt(0)
	v_fma_f64 v[234:235], -v[180:181], v[0:1], v[234:235]
	v_fma_f64 v[174:175], -v[180:181], v[2:3], v[174:175]
	ds_read2_b64 v[0:3], v65 offset0:12 offset1:13
	s_waitcnt lgkmcnt(0)
	v_fma_f64 v[232:233], -v[180:181], v[0:1], v[232:233]
	v_fma_f64 v[172:173], -v[180:181], v[2:3], v[172:173]
	ds_read2_b64 v[0:3], v65 offset0:14 offset1:15
	s_waitcnt lgkmcnt(0)
	v_fma_f64 v[230:231], -v[180:181], v[0:1], v[230:231]
	v_fma_f64 v[170:171], -v[180:181], v[2:3], v[170:171]
	ds_read2_b64 v[0:3], v65 offset0:16 offset1:17
	s_waitcnt lgkmcnt(0)
	v_fma_f64 v[228:229], -v[180:181], v[0:1], v[228:229]
	v_fma_f64 v[168:169], -v[180:181], v[2:3], v[168:169]
	ds_read2_b64 v[0:3], v65 offset0:18 offset1:19
	s_waitcnt lgkmcnt(0)
	v_fma_f64 v[226:227], -v[180:181], v[0:1], v[226:227]
	v_fma_f64 v[166:167], -v[180:181], v[2:3], v[166:167]
	ds_read2_b64 v[0:3], v65 offset0:20 offset1:21
	s_waitcnt lgkmcnt(0)
	v_fma_f64 v[224:225], -v[180:181], v[0:1], v[224:225]
	v_fma_f64 v[164:165], -v[180:181], v[2:3], v[164:165]
	ds_read2_b64 v[0:3], v65 offset0:22 offset1:23
	s_waitcnt lgkmcnt(0)
	v_fma_f64 v[222:223], -v[180:181], v[0:1], v[222:223]
	v_fma_f64 v[162:163], -v[180:181], v[2:3], v[162:163]
	ds_read2_b64 v[0:3], v65 offset0:24 offset1:25
	s_waitcnt lgkmcnt(0)
	v_fma_f64 v[220:221], -v[180:181], v[0:1], v[220:221]
	v_fma_f64 v[160:161], -v[180:181], v[2:3], v[160:161]
	ds_read2_b64 v[0:3], v65 offset0:26 offset1:27
	s_waitcnt lgkmcnt(0)
	v_fma_f64 v[218:219], -v[180:181], v[0:1], v[218:219]
	v_fma_f64 v[158:159], -v[180:181], v[2:3], v[158:159]
	ds_read2_b64 v[0:3], v65 offset0:28 offset1:29
	s_waitcnt lgkmcnt(0)
	v_fma_f64 v[216:217], -v[180:181], v[0:1], v[216:217]
	v_fma_f64 v[156:157], -v[180:181], v[2:3], v[156:157]
	ds_read2_b64 v[0:3], v65 offset0:30 offset1:31
	s_waitcnt lgkmcnt(0)
	v_fma_f64 v[214:215], -v[180:181], v[0:1], v[214:215]
	v_fma_f64 v[154:155], -v[180:181], v[2:3], v[154:155]
	ds_read2_b64 v[0:3], v65 offset0:32 offset1:33
	s_waitcnt lgkmcnt(0)
	v_fma_f64 v[212:213], -v[180:181], v[0:1], v[212:213]
	v_fma_f64 v[152:153], -v[180:181], v[2:3], v[152:153]
	ds_read2_b64 v[0:3], v65 offset0:34 offset1:35
	s_waitcnt lgkmcnt(0)
	v_fma_f64 v[210:211], -v[180:181], v[0:1], v[210:211]
	v_fma_f64 v[150:151], -v[180:181], v[2:3], v[150:151]
	ds_read2_b64 v[0:3], v65 offset0:36 offset1:37
	s_waitcnt lgkmcnt(0)
	v_fma_f64 v[208:209], -v[180:181], v[0:1], v[208:209]
	v_fma_f64 v[148:149], -v[180:181], v[2:3], v[148:149]
	ds_read2_b64 v[0:3], v65 offset0:38 offset1:39
	s_waitcnt lgkmcnt(0)
	v_fma_f64 v[206:207], -v[180:181], v[0:1], v[206:207]
	v_fma_f64 v[146:147], -v[180:181], v[2:3], v[146:147]
	ds_read2_b64 v[0:3], v65 offset0:40 offset1:41
	s_waitcnt lgkmcnt(0)
	v_fma_f64 v[204:205], -v[180:181], v[0:1], v[204:205]
	v_fma_f64 v[144:145], -v[180:181], v[2:3], v[144:145]
	ds_read2_b64 v[0:3], v65 offset0:42 offset1:43
	s_waitcnt lgkmcnt(0)
	v_fma_f64 v[202:203], -v[180:181], v[0:1], v[202:203]
	v_fma_f64 v[142:143], -v[180:181], v[2:3], v[142:143]
	ds_read2_b64 v[0:3], v65 offset0:44 offset1:45
	s_waitcnt lgkmcnt(0)
	v_fma_f64 v[200:201], -v[180:181], v[0:1], v[200:201]
	v_fma_f64 v[140:141], -v[180:181], v[2:3], v[140:141]
	ds_read2_b64 v[0:3], v65 offset0:46 offset1:47
	s_waitcnt lgkmcnt(0)
	v_fma_f64 v[198:199], -v[180:181], v[0:1], v[198:199]
	v_fma_f64 v[138:139], -v[180:181], v[2:3], v[138:139]
	ds_read2_b64 v[0:3], v65 offset0:48 offset1:49
	s_waitcnt lgkmcnt(0)
	v_fma_f64 v[196:197], -v[180:181], v[0:1], v[196:197]
	v_fma_f64 v[136:137], -v[180:181], v[2:3], v[136:137]
	ds_read2_b64 v[0:3], v65 offset0:50 offset1:51
	s_waitcnt lgkmcnt(0)
	v_fma_f64 v[194:195], -v[180:181], v[0:1], v[194:195]
	v_fma_f64 v[134:135], -v[180:181], v[2:3], v[134:135]
	ds_read2_b64 v[0:3], v65 offset0:52 offset1:53
	s_waitcnt lgkmcnt(0)
	v_fma_f64 v[192:193], -v[180:181], v[0:1], v[192:193]
	v_fma_f64 v[132:133], -v[180:181], v[2:3], v[132:133]
	ds_read2_b64 v[0:3], v65 offset0:54 offset1:55
	s_waitcnt lgkmcnt(0)
	v_fma_f64 v[190:191], -v[180:181], v[0:1], v[190:191]
	v_fma_f64 v[130:131], -v[180:181], v[2:3], v[130:131]
	ds_read2_b64 v[0:3], v65 offset0:56 offset1:57
	s_waitcnt lgkmcnt(0)
	v_fma_f64 v[188:189], -v[180:181], v[0:1], v[188:189]
	v_fma_f64 v[128:129], -v[180:181], v[2:3], v[128:129]
	ds_read2_b64 v[0:3], v65 offset0:58 offset1:59
	s_waitcnt lgkmcnt(0)
	v_fma_f64 v[186:187], -v[180:181], v[0:1], v[186:187]
	ds_read_b64 v[0:1], v65 offset:480
	v_fma_f64 v[126:127], -v[180:181], v[2:3], v[126:127]
	s_waitcnt lgkmcnt(0)
	v_fma_f64 v[244:245], -v[180:181], v[0:1], v[244:245]
.LBB121_31:
	s_or_b64 exec, exec, s[2:3]
	v_cmp_eq_u32_e32 vcc, 6, v66
	s_waitcnt vmcnt(63) expcnt(7) lgkmcnt(15)
	s_barrier
	s_and_saveexec_b64 s[2:3], vcc
	s_cbranch_execz .LBB121_34
; %bb.32:
	ds_write_b64 v64, v[238:239]
	ds_write2_b64 v65, v[178:179], v[236:237] offset0:7 offset1:8
	ds_write2_b64 v65, v[176:177], v[234:235] offset0:9 offset1:10
	;; [unrolled: 1-line block ×18, first 2 shown]
	s_waitcnt vmcnt(60)
	ds_write2_b64 v65, v[142:143], v[200:201] offset0:43 offset1:44
	s_waitcnt vmcnt(54)
	ds_write2_b64 v65, v[140:141], v[198:199] offset0:45 offset1:46
	;; [unrolled: 2-line block ×9, first 2 shown]
	ds_read_b64 v[0:1], v64
	s_waitcnt lgkmcnt(0)
	v_cmp_neq_f64_e32 vcc, 0, v[0:1]
	s_and_b64 exec, exec, vcc
	s_cbranch_execz .LBB121_34
; %bb.33:
	v_div_scale_f64 v[2:3], s[6:7], v[0:1], v[0:1], 1.0
	v_rcp_f64_e32 v[4:5], v[2:3]
	v_div_scale_f64 v[6:7], vcc, 1.0, v[0:1], 1.0
	v_fma_f64 v[8:9], -v[2:3], v[4:5], 1.0
	v_fmac_f64_e32 v[4:5], v[4:5], v[8:9]
	v_fma_f64 v[8:9], -v[2:3], v[4:5], 1.0
	v_fmac_f64_e32 v[4:5], v[4:5], v[8:9]
	v_mul_f64 v[8:9], v[6:7], v[4:5]
	v_fma_f64 v[2:3], -v[2:3], v[8:9], v[6:7]
	v_div_fmas_f64 v[2:3], v[2:3], v[4:5], v[8:9]
	v_div_fixup_f64 v[0:1], v[2:3], v[0:1], 1.0
	ds_write_b64 v64, v[0:1]
.LBB121_34:
	s_or_b64 exec, exec, s[2:3]
	s_waitcnt lgkmcnt(0)
	s_barrier
	ds_read_b64 v[0:1], v64
	v_cmp_lt_u32_e32 vcc, 6, v66
	s_waitcnt lgkmcnt(0)
	buffer_store_dword v0, off, s[16:19], 0 offset:296 ; 4-byte Folded Spill
	s_nop 0
	buffer_store_dword v1, off, s[16:19], 0 offset:300 ; 4-byte Folded Spill
	s_and_saveexec_b64 s[2:3], vcc
	s_cbranch_execz .LBB121_36
; %bb.35:
	buffer_load_dword v0, off, s[16:19], 0 offset:296 ; 4-byte Folded Reload
	buffer_load_dword v1, off, s[16:19], 0 offset:300 ; 4-byte Folded Reload
	s_waitcnt vmcnt(0)
	v_mul_f64 v[238:239], v[0:1], v[238:239]
	ds_read2_b64 v[0:3], v65 offset0:7 offset1:8
	s_waitcnt lgkmcnt(0)
	v_fma_f64 v[178:179], -v[238:239], v[0:1], v[178:179]
	v_fma_f64 v[236:237], -v[238:239], v[2:3], v[236:237]
	ds_read2_b64 v[0:3], v65 offset0:9 offset1:10
	s_waitcnt lgkmcnt(0)
	v_fma_f64 v[176:177], -v[238:239], v[0:1], v[176:177]
	v_fma_f64 v[234:235], -v[238:239], v[2:3], v[234:235]
	;; [unrolled: 4-line block ×27, first 2 shown]
.LBB121_36:
	s_or_b64 exec, exec, s[2:3]
	v_cmp_eq_u32_e32 vcc, 7, v66
	s_waitcnt vmcnt(63) expcnt(7) lgkmcnt(15)
	s_barrier
	s_and_saveexec_b64 s[2:3], vcc
	s_cbranch_execz .LBB121_39
; %bb.37:
	v_mov_b32_e32 v0, v236
	v_mov_b32_e32 v1, v237
	;; [unrolled: 1-line block ×4, first 2 shown]
	ds_write_b64 v64, v[178:179]
	ds_write2_b64 v65, v[0:1], v[2:3] offset0:8 offset1:9
	v_mov_b32_e32 v0, v234
	v_mov_b32_e32 v1, v235
	v_mov_b32_e32 v2, v174
	v_mov_b32_e32 v3, v175
	ds_write2_b64 v65, v[0:1], v[2:3] offset0:10 offset1:11
	v_mov_b32_e32 v0, v232
	v_mov_b32_e32 v1, v233
	v_mov_b32_e32 v2, v172
	v_mov_b32_e32 v3, v173
	;; [unrolled: 5-line block ×17, first 2 shown]
	ds_write2_b64 v65, v[0:1], v[2:3] offset0:42 offset1:43
	s_waitcnt vmcnt(62)
	v_mov_b32_e32 v0, v200
	v_mov_b32_e32 v1, v201
	s_waitcnt vmcnt(59)
	v_mov_b32_e32 v2, v140
	v_mov_b32_e32 v3, v141
	ds_write2_b64 v65, v[0:1], v[2:3] offset0:44 offset1:45
	s_waitcnt vmcnt(56)
	v_mov_b32_e32 v0, v198
	v_mov_b32_e32 v1, v199
	s_waitcnt vmcnt(53)
	v_mov_b32_e32 v2, v138
	v_mov_b32_e32 v3, v139
	;; [unrolled: 7-line block ×8, first 2 shown]
	ds_write2_b64 v65, v[0:1], v[2:3] offset0:58 offset1:59
	s_waitcnt vmcnt(14)
	ds_write_b64 v65, v[244:245] offset:480
	ds_read_b64 v[0:1], v64
	s_waitcnt lgkmcnt(0)
	v_cmp_neq_f64_e32 vcc, 0, v[0:1]
	s_and_b64 exec, exec, vcc
	s_cbranch_execz .LBB121_39
; %bb.38:
	v_div_scale_f64 v[2:3], s[6:7], v[0:1], v[0:1], 1.0
	v_rcp_f64_e32 v[4:5], v[2:3]
	v_div_scale_f64 v[6:7], vcc, 1.0, v[0:1], 1.0
	v_fma_f64 v[8:9], -v[2:3], v[4:5], 1.0
	v_fmac_f64_e32 v[4:5], v[4:5], v[8:9]
	v_fma_f64 v[8:9], -v[2:3], v[4:5], 1.0
	v_fmac_f64_e32 v[4:5], v[4:5], v[8:9]
	v_mul_f64 v[8:9], v[6:7], v[4:5]
	v_fma_f64 v[2:3], -v[2:3], v[8:9], v[6:7]
	v_div_fmas_f64 v[2:3], v[2:3], v[4:5], v[8:9]
	v_div_fixup_f64 v[0:1], v[2:3], v[0:1], 1.0
	ds_write_b64 v64, v[0:1]
.LBB121_39:
	s_or_b64 exec, exec, s[2:3]
	s_waitcnt lgkmcnt(0)
	s_barrier
	ds_read_b64 v[0:1], v64
	v_cmp_lt_u32_e32 vcc, 7, v66
	s_waitcnt lgkmcnt(0)
	buffer_store_dword v0, off, s[16:19], 0 offset:304 ; 4-byte Folded Spill
	s_nop 0
	buffer_store_dword v1, off, s[16:19], 0 offset:308 ; 4-byte Folded Spill
	s_and_saveexec_b64 s[2:3], vcc
	s_cbranch_execz .LBB121_41
; %bb.40:
	buffer_load_dword v0, off, s[16:19], 0 offset:304 ; 4-byte Folded Reload
	buffer_load_dword v1, off, s[16:19], 0 offset:308 ; 4-byte Folded Reload
	s_waitcnt vmcnt(0)
	v_mul_f64 v[178:179], v[0:1], v[178:179]
	ds_read2_b64 v[0:3], v65 offset0:8 offset1:9
	s_waitcnt lgkmcnt(0)
	v_fma_f64 v[236:237], -v[178:179], v[0:1], v[236:237]
	v_fma_f64 v[176:177], -v[178:179], v[2:3], v[176:177]
	ds_read2_b64 v[0:3], v65 offset0:10 offset1:11
	s_waitcnt lgkmcnt(0)
	v_fma_f64 v[234:235], -v[178:179], v[0:1], v[234:235]
	v_fma_f64 v[174:175], -v[178:179], v[2:3], v[174:175]
	;; [unrolled: 4-line block ×25, first 2 shown]
	ds_read2_b64 v[0:3], v65 offset0:58 offset1:59
	s_waitcnt lgkmcnt(0)
	v_fma_f64 v[186:187], -v[178:179], v[0:1], v[186:187]
	ds_read_b64 v[0:1], v65 offset:480
	v_fma_f64 v[126:127], -v[178:179], v[2:3], v[126:127]
	s_waitcnt lgkmcnt(0)
	v_fma_f64 v[244:245], -v[178:179], v[0:1], v[244:245]
.LBB121_41:
	s_or_b64 exec, exec, s[2:3]
	v_cmp_eq_u32_e32 vcc, 8, v66
	s_waitcnt vmcnt(63) expcnt(7) lgkmcnt(15)
	s_barrier
	s_and_saveexec_b64 s[2:3], vcc
	s_cbranch_execz .LBB121_44
; %bb.42:
	ds_write_b64 v64, v[236:237]
	ds_write2_b64 v65, v[176:177], v[234:235] offset0:9 offset1:10
	ds_write2_b64 v65, v[174:175], v[232:233] offset0:11 offset1:12
	ds_write2_b64 v65, v[172:173], v[230:231] offset0:13 offset1:14
	ds_write2_b64 v65, v[170:171], v[228:229] offset0:15 offset1:16
	ds_write2_b64 v65, v[168:169], v[226:227] offset0:17 offset1:18
	ds_write2_b64 v65, v[166:167], v[224:225] offset0:19 offset1:20
	ds_write2_b64 v65, v[164:165], v[222:223] offset0:21 offset1:22
	ds_write2_b64 v65, v[162:163], v[220:221] offset0:23 offset1:24
	ds_write2_b64 v65, v[160:161], v[218:219] offset0:25 offset1:26
	ds_write2_b64 v65, v[158:159], v[216:217] offset0:27 offset1:28
	ds_write2_b64 v65, v[156:157], v[214:215] offset0:29 offset1:30
	ds_write2_b64 v65, v[154:155], v[212:213] offset0:31 offset1:32
	ds_write2_b64 v65, v[152:153], v[210:211] offset0:33 offset1:34
	ds_write2_b64 v65, v[150:151], v[208:209] offset0:35 offset1:36
	ds_write2_b64 v65, v[148:149], v[206:207] offset0:37 offset1:38
	ds_write2_b64 v65, v[146:147], v[204:205] offset0:39 offset1:40
	ds_write2_b64 v65, v[144:145], v[202:203] offset0:41 offset1:42
	ds_write2_b64 v65, v[142:143], v[200:201] offset0:43 offset1:44
	s_waitcnt vmcnt(58)
	ds_write2_b64 v65, v[140:141], v[198:199] offset0:45 offset1:46
	s_waitcnt vmcnt(52)
	ds_write2_b64 v65, v[138:139], v[196:197] offset0:47 offset1:48
	;; [unrolled: 2-line block ×8, first 2 shown]
	ds_read_b64 v[0:1], v64
	s_waitcnt lgkmcnt(0)
	v_cmp_neq_f64_e32 vcc, 0, v[0:1]
	s_and_b64 exec, exec, vcc
	s_cbranch_execz .LBB121_44
; %bb.43:
	v_div_scale_f64 v[2:3], s[6:7], v[0:1], v[0:1], 1.0
	v_rcp_f64_e32 v[4:5], v[2:3]
	v_div_scale_f64 v[6:7], vcc, 1.0, v[0:1], 1.0
	v_fma_f64 v[8:9], -v[2:3], v[4:5], 1.0
	v_fmac_f64_e32 v[4:5], v[4:5], v[8:9]
	v_fma_f64 v[8:9], -v[2:3], v[4:5], 1.0
	v_fmac_f64_e32 v[4:5], v[4:5], v[8:9]
	v_mul_f64 v[8:9], v[6:7], v[4:5]
	v_fma_f64 v[2:3], -v[2:3], v[8:9], v[6:7]
	v_div_fmas_f64 v[2:3], v[2:3], v[4:5], v[8:9]
	v_div_fixup_f64 v[0:1], v[2:3], v[0:1], 1.0
	ds_write_b64 v64, v[0:1]
.LBB121_44:
	s_or_b64 exec, exec, s[2:3]
	s_waitcnt lgkmcnt(0)
	s_barrier
	ds_read_b64 v[0:1], v64
	v_cmp_lt_u32_e32 vcc, 8, v66
	s_waitcnt lgkmcnt(0)
	buffer_store_dword v0, off, s[16:19], 0 offset:312 ; 4-byte Folded Spill
	s_nop 0
	buffer_store_dword v1, off, s[16:19], 0 offset:316 ; 4-byte Folded Spill
	s_and_saveexec_b64 s[2:3], vcc
	s_cbranch_execz .LBB121_46
; %bb.45:
	buffer_load_dword v0, off, s[16:19], 0 offset:312 ; 4-byte Folded Reload
	buffer_load_dword v1, off, s[16:19], 0 offset:316 ; 4-byte Folded Reload
	s_waitcnt vmcnt(0)
	v_mul_f64 v[236:237], v[0:1], v[236:237]
	ds_read2_b64 v[0:3], v65 offset0:9 offset1:10
	s_waitcnt lgkmcnt(0)
	v_fma_f64 v[176:177], -v[236:237], v[0:1], v[176:177]
	v_fma_f64 v[234:235], -v[236:237], v[2:3], v[234:235]
	ds_read2_b64 v[0:3], v65 offset0:11 offset1:12
	s_waitcnt lgkmcnt(0)
	v_fma_f64 v[174:175], -v[236:237], v[0:1], v[174:175]
	v_fma_f64 v[232:233], -v[236:237], v[2:3], v[232:233]
	;; [unrolled: 4-line block ×26, first 2 shown]
.LBB121_46:
	s_or_b64 exec, exec, s[2:3]
	v_cmp_eq_u32_e32 vcc, 9, v66
	s_waitcnt vmcnt(63) expcnt(7) lgkmcnt(15)
	s_barrier
	s_and_saveexec_b64 s[2:3], vcc
	s_cbranch_execz .LBB121_49
; %bb.47:
	v_mov_b32_e32 v0, v234
	v_mov_b32_e32 v1, v235
	;; [unrolled: 1-line block ×4, first 2 shown]
	ds_write_b64 v64, v[176:177]
	ds_write2_b64 v65, v[0:1], v[2:3] offset0:10 offset1:11
	v_mov_b32_e32 v0, v232
	v_mov_b32_e32 v1, v233
	v_mov_b32_e32 v2, v172
	v_mov_b32_e32 v3, v173
	ds_write2_b64 v65, v[0:1], v[2:3] offset0:12 offset1:13
	v_mov_b32_e32 v0, v230
	v_mov_b32_e32 v1, v231
	v_mov_b32_e32 v2, v170
	v_mov_b32_e32 v3, v171
	;; [unrolled: 5-line block ×17, first 2 shown]
	ds_write2_b64 v65, v[0:1], v[2:3] offset0:44 offset1:45
	s_waitcnt vmcnt(60)
	v_mov_b32_e32 v0, v198
	v_mov_b32_e32 v1, v199
	s_waitcnt vmcnt(57)
	v_mov_b32_e32 v2, v138
	v_mov_b32_e32 v3, v139
	ds_write2_b64 v65, v[0:1], v[2:3] offset0:46 offset1:47
	s_waitcnt vmcnt(54)
	v_mov_b32_e32 v0, v196
	v_mov_b32_e32 v1, v197
	s_waitcnt vmcnt(51)
	v_mov_b32_e32 v2, v136
	v_mov_b32_e32 v3, v137
	;; [unrolled: 7-line block ×7, first 2 shown]
	ds_write2_b64 v65, v[0:1], v[2:3] offset0:58 offset1:59
	s_waitcnt vmcnt(18)
	ds_write_b64 v65, v[244:245] offset:480
	ds_read_b64 v[0:1], v64
	s_waitcnt lgkmcnt(0)
	v_cmp_neq_f64_e32 vcc, 0, v[0:1]
	s_and_b64 exec, exec, vcc
	s_cbranch_execz .LBB121_49
; %bb.48:
	v_div_scale_f64 v[2:3], s[6:7], v[0:1], v[0:1], 1.0
	v_rcp_f64_e32 v[4:5], v[2:3]
	v_div_scale_f64 v[6:7], vcc, 1.0, v[0:1], 1.0
	v_fma_f64 v[8:9], -v[2:3], v[4:5], 1.0
	v_fmac_f64_e32 v[4:5], v[4:5], v[8:9]
	v_fma_f64 v[8:9], -v[2:3], v[4:5], 1.0
	v_fmac_f64_e32 v[4:5], v[4:5], v[8:9]
	v_mul_f64 v[8:9], v[6:7], v[4:5]
	v_fma_f64 v[2:3], -v[2:3], v[8:9], v[6:7]
	v_div_fmas_f64 v[2:3], v[2:3], v[4:5], v[8:9]
	v_div_fixup_f64 v[0:1], v[2:3], v[0:1], 1.0
	ds_write_b64 v64, v[0:1]
.LBB121_49:
	s_or_b64 exec, exec, s[2:3]
	s_waitcnt lgkmcnt(0)
	s_barrier
	ds_read_b64 v[0:1], v64
	v_cmp_lt_u32_e32 vcc, 9, v66
	s_waitcnt lgkmcnt(0)
	buffer_store_dword v0, off, s[16:19], 0 offset:320 ; 4-byte Folded Spill
	s_nop 0
	buffer_store_dword v1, off, s[16:19], 0 offset:324 ; 4-byte Folded Spill
	s_and_saveexec_b64 s[2:3], vcc
	s_cbranch_execz .LBB121_51
; %bb.50:
	buffer_load_dword v0, off, s[16:19], 0 offset:320 ; 4-byte Folded Reload
	buffer_load_dword v1, off, s[16:19], 0 offset:324 ; 4-byte Folded Reload
	s_waitcnt vmcnt(0)
	v_mul_f64 v[176:177], v[0:1], v[176:177]
	ds_read2_b64 v[0:3], v65 offset0:10 offset1:11
	s_waitcnt lgkmcnt(0)
	v_fma_f64 v[234:235], -v[176:177], v[0:1], v[234:235]
	v_fma_f64 v[174:175], -v[176:177], v[2:3], v[174:175]
	ds_read2_b64 v[0:3], v65 offset0:12 offset1:13
	s_waitcnt lgkmcnt(0)
	v_fma_f64 v[232:233], -v[176:177], v[0:1], v[232:233]
	v_fma_f64 v[172:173], -v[176:177], v[2:3], v[172:173]
	;; [unrolled: 4-line block ×24, first 2 shown]
	ds_read2_b64 v[0:3], v65 offset0:58 offset1:59
	s_waitcnt lgkmcnt(0)
	v_fma_f64 v[186:187], -v[176:177], v[0:1], v[186:187]
	ds_read_b64 v[0:1], v65 offset:480
	v_fma_f64 v[126:127], -v[176:177], v[2:3], v[126:127]
	s_waitcnt lgkmcnt(0)
	v_fma_f64 v[244:245], -v[176:177], v[0:1], v[244:245]
.LBB121_51:
	s_or_b64 exec, exec, s[2:3]
	v_cmp_eq_u32_e32 vcc, 10, v66
	s_waitcnt vmcnt(63) expcnt(7) lgkmcnt(15)
	s_barrier
	s_and_saveexec_b64 s[2:3], vcc
	s_cbranch_execz .LBB121_54
; %bb.52:
	ds_write_b64 v64, v[234:235]
	ds_write2_b64 v65, v[174:175], v[232:233] offset0:11 offset1:12
	ds_write2_b64 v65, v[172:173], v[230:231] offset0:13 offset1:14
	;; [unrolled: 1-line block ×17, first 2 shown]
	s_waitcnt vmcnt(62)
	ds_write2_b64 v65, v[140:141], v[198:199] offset0:45 offset1:46
	s_waitcnt vmcnt(56)
	ds_write2_b64 v65, v[138:139], v[196:197] offset0:47 offset1:48
	;; [unrolled: 2-line block ×8, first 2 shown]
	ds_read_b64 v[0:1], v64
	s_waitcnt lgkmcnt(0)
	v_cmp_neq_f64_e32 vcc, 0, v[0:1]
	s_and_b64 exec, exec, vcc
	s_cbranch_execz .LBB121_54
; %bb.53:
	v_div_scale_f64 v[2:3], s[6:7], v[0:1], v[0:1], 1.0
	v_rcp_f64_e32 v[4:5], v[2:3]
	v_div_scale_f64 v[6:7], vcc, 1.0, v[0:1], 1.0
	v_fma_f64 v[8:9], -v[2:3], v[4:5], 1.0
	v_fmac_f64_e32 v[4:5], v[4:5], v[8:9]
	v_fma_f64 v[8:9], -v[2:3], v[4:5], 1.0
	v_fmac_f64_e32 v[4:5], v[4:5], v[8:9]
	v_mul_f64 v[8:9], v[6:7], v[4:5]
	v_fma_f64 v[2:3], -v[2:3], v[8:9], v[6:7]
	v_div_fmas_f64 v[2:3], v[2:3], v[4:5], v[8:9]
	v_div_fixup_f64 v[0:1], v[2:3], v[0:1], 1.0
	ds_write_b64 v64, v[0:1]
.LBB121_54:
	s_or_b64 exec, exec, s[2:3]
	s_waitcnt lgkmcnt(0)
	s_barrier
	ds_read_b64 v[0:1], v64
	v_cmp_lt_u32_e32 vcc, 10, v66
	s_waitcnt lgkmcnt(0)
	buffer_store_dword v0, off, s[16:19], 0 offset:328 ; 4-byte Folded Spill
	s_nop 0
	buffer_store_dword v1, off, s[16:19], 0 offset:332 ; 4-byte Folded Spill
	s_and_saveexec_b64 s[2:3], vcc
	s_cbranch_execz .LBB121_56
; %bb.55:
	buffer_load_dword v0, off, s[16:19], 0 offset:328 ; 4-byte Folded Reload
	buffer_load_dword v1, off, s[16:19], 0 offset:332 ; 4-byte Folded Reload
	s_waitcnt vmcnt(0)
	v_mul_f64 v[234:235], v[0:1], v[234:235]
	ds_read2_b64 v[0:3], v65 offset0:11 offset1:12
	s_waitcnt lgkmcnt(0)
	v_fma_f64 v[174:175], -v[234:235], v[0:1], v[174:175]
	v_fma_f64 v[232:233], -v[234:235], v[2:3], v[232:233]
	ds_read2_b64 v[0:3], v65 offset0:13 offset1:14
	s_waitcnt lgkmcnt(0)
	v_fma_f64 v[172:173], -v[234:235], v[0:1], v[172:173]
	v_fma_f64 v[230:231], -v[234:235], v[2:3], v[230:231]
	;; [unrolled: 4-line block ×25, first 2 shown]
.LBB121_56:
	s_or_b64 exec, exec, s[2:3]
	v_cmp_eq_u32_e32 vcc, 11, v66
	s_waitcnt vmcnt(63) expcnt(7) lgkmcnt(15)
	s_barrier
	s_and_saveexec_b64 s[2:3], vcc
	s_cbranch_execz .LBB121_59
; %bb.57:
	v_mov_b32_e32 v0, v232
	v_mov_b32_e32 v1, v233
	;; [unrolled: 1-line block ×4, first 2 shown]
	ds_write_b64 v64, v[174:175]
	ds_write2_b64 v65, v[0:1], v[2:3] offset0:12 offset1:13
	v_mov_b32_e32 v0, v230
	v_mov_b32_e32 v1, v231
	v_mov_b32_e32 v2, v170
	v_mov_b32_e32 v3, v171
	ds_write2_b64 v65, v[0:1], v[2:3] offset0:14 offset1:15
	v_mov_b32_e32 v0, v228
	v_mov_b32_e32 v1, v229
	v_mov_b32_e32 v2, v168
	v_mov_b32_e32 v3, v169
	;; [unrolled: 5-line block ×16, first 2 shown]
	ds_write2_b64 v65, v[0:1], v[2:3] offset0:44 offset1:45
	v_mov_b32_e32 v0, v198
	v_mov_b32_e32 v1, v199
	s_waitcnt vmcnt(61)
	v_mov_b32_e32 v2, v138
	v_mov_b32_e32 v3, v139
	ds_write2_b64 v65, v[0:1], v[2:3] offset0:46 offset1:47
	s_waitcnt vmcnt(58)
	v_mov_b32_e32 v0, v196
	v_mov_b32_e32 v1, v197
	s_waitcnt vmcnt(55)
	v_mov_b32_e32 v2, v136
	v_mov_b32_e32 v3, v137
	ds_write2_b64 v65, v[0:1], v[2:3] offset0:48 offset1:49
	s_waitcnt vmcnt(52)
	;; [unrolled: 7-line block ×7, first 2 shown]
	ds_write_b64 v65, v[244:245] offset:480
	ds_read_b64 v[0:1], v64
	s_waitcnt lgkmcnt(0)
	v_cmp_neq_f64_e32 vcc, 0, v[0:1]
	s_and_b64 exec, exec, vcc
	s_cbranch_execz .LBB121_59
; %bb.58:
	v_div_scale_f64 v[2:3], s[6:7], v[0:1], v[0:1], 1.0
	v_rcp_f64_e32 v[4:5], v[2:3]
	v_div_scale_f64 v[6:7], vcc, 1.0, v[0:1], 1.0
	v_fma_f64 v[8:9], -v[2:3], v[4:5], 1.0
	v_fmac_f64_e32 v[4:5], v[4:5], v[8:9]
	v_fma_f64 v[8:9], -v[2:3], v[4:5], 1.0
	v_fmac_f64_e32 v[4:5], v[4:5], v[8:9]
	v_mul_f64 v[8:9], v[6:7], v[4:5]
	v_fma_f64 v[2:3], -v[2:3], v[8:9], v[6:7]
	v_div_fmas_f64 v[2:3], v[2:3], v[4:5], v[8:9]
	v_div_fixup_f64 v[0:1], v[2:3], v[0:1], 1.0
	ds_write_b64 v64, v[0:1]
.LBB121_59:
	s_or_b64 exec, exec, s[2:3]
	s_waitcnt lgkmcnt(0)
	s_barrier
	ds_read_b64 v[0:1], v64
	v_cmp_lt_u32_e32 vcc, 11, v66
	s_waitcnt lgkmcnt(0)
	buffer_store_dword v0, off, s[16:19], 0 offset:336 ; 4-byte Folded Spill
	s_nop 0
	buffer_store_dword v1, off, s[16:19], 0 offset:340 ; 4-byte Folded Spill
	s_and_saveexec_b64 s[2:3], vcc
	s_cbranch_execz .LBB121_61
; %bb.60:
	buffer_load_dword v0, off, s[16:19], 0 offset:336 ; 4-byte Folded Reload
	buffer_load_dword v1, off, s[16:19], 0 offset:340 ; 4-byte Folded Reload
	s_waitcnt vmcnt(0)
	v_mul_f64 v[174:175], v[0:1], v[174:175]
	ds_read2_b64 v[0:3], v65 offset0:12 offset1:13
	s_waitcnt lgkmcnt(0)
	v_fma_f64 v[232:233], -v[174:175], v[0:1], v[232:233]
	v_fma_f64 v[172:173], -v[174:175], v[2:3], v[172:173]
	ds_read2_b64 v[0:3], v65 offset0:14 offset1:15
	s_waitcnt lgkmcnt(0)
	v_fma_f64 v[230:231], -v[174:175], v[0:1], v[230:231]
	v_fma_f64 v[170:171], -v[174:175], v[2:3], v[170:171]
	;; [unrolled: 4-line block ×23, first 2 shown]
	ds_read2_b64 v[0:3], v65 offset0:58 offset1:59
	s_waitcnt lgkmcnt(0)
	v_fma_f64 v[186:187], -v[174:175], v[0:1], v[186:187]
	ds_read_b64 v[0:1], v65 offset:480
	v_fma_f64 v[126:127], -v[174:175], v[2:3], v[126:127]
	s_waitcnt lgkmcnt(0)
	v_fma_f64 v[244:245], -v[174:175], v[0:1], v[244:245]
.LBB121_61:
	s_or_b64 exec, exec, s[2:3]
	v_cmp_eq_u32_e32 vcc, 12, v66
	s_waitcnt vmcnt(63) expcnt(7) lgkmcnt(15)
	s_barrier
	s_and_saveexec_b64 s[2:3], vcc
	s_cbranch_execz .LBB121_64
; %bb.62:
	ds_write_b64 v64, v[232:233]
	ds_write2_b64 v65, v[172:173], v[230:231] offset0:13 offset1:14
	ds_write2_b64 v65, v[170:171], v[228:229] offset0:15 offset1:16
	;; [unrolled: 1-line block ×17, first 2 shown]
	s_waitcnt vmcnt(60)
	ds_write2_b64 v65, v[138:139], v[196:197] offset0:47 offset1:48
	s_waitcnt vmcnt(54)
	ds_write2_b64 v65, v[136:137], v[194:195] offset0:49 offset1:50
	;; [unrolled: 2-line block ×7, first 2 shown]
	ds_read_b64 v[0:1], v64
	s_waitcnt lgkmcnt(0)
	v_cmp_neq_f64_e32 vcc, 0, v[0:1]
	s_and_b64 exec, exec, vcc
	s_cbranch_execz .LBB121_64
; %bb.63:
	v_div_scale_f64 v[2:3], s[6:7], v[0:1], v[0:1], 1.0
	v_rcp_f64_e32 v[4:5], v[2:3]
	v_div_scale_f64 v[6:7], vcc, 1.0, v[0:1], 1.0
	v_fma_f64 v[8:9], -v[2:3], v[4:5], 1.0
	v_fmac_f64_e32 v[4:5], v[4:5], v[8:9]
	v_fma_f64 v[8:9], -v[2:3], v[4:5], 1.0
	v_fmac_f64_e32 v[4:5], v[4:5], v[8:9]
	v_mul_f64 v[8:9], v[6:7], v[4:5]
	v_fma_f64 v[2:3], -v[2:3], v[8:9], v[6:7]
	v_div_fmas_f64 v[2:3], v[2:3], v[4:5], v[8:9]
	v_div_fixup_f64 v[0:1], v[2:3], v[0:1], 1.0
	ds_write_b64 v64, v[0:1]
.LBB121_64:
	s_or_b64 exec, exec, s[2:3]
	s_waitcnt lgkmcnt(0)
	s_barrier
	ds_read_b64 v[0:1], v64
	v_cmp_lt_u32_e32 vcc, 12, v66
	s_waitcnt lgkmcnt(0)
	buffer_store_dword v0, off, s[16:19], 0 offset:344 ; 4-byte Folded Spill
	s_nop 0
	buffer_store_dword v1, off, s[16:19], 0 offset:348 ; 4-byte Folded Spill
	s_and_saveexec_b64 s[2:3], vcc
	s_cbranch_execz .LBB121_66
; %bb.65:
	buffer_load_dword v0, off, s[16:19], 0 offset:344 ; 4-byte Folded Reload
	buffer_load_dword v1, off, s[16:19], 0 offset:348 ; 4-byte Folded Reload
	s_waitcnt vmcnt(0)
	v_mul_f64 v[232:233], v[0:1], v[232:233]
	ds_read2_b64 v[0:3], v65 offset0:13 offset1:14
	s_waitcnt lgkmcnt(0)
	v_fma_f64 v[172:173], -v[232:233], v[0:1], v[172:173]
	v_fma_f64 v[230:231], -v[232:233], v[2:3], v[230:231]
	ds_read2_b64 v[0:3], v65 offset0:15 offset1:16
	s_waitcnt lgkmcnt(0)
	v_fma_f64 v[170:171], -v[232:233], v[0:1], v[170:171]
	v_fma_f64 v[228:229], -v[232:233], v[2:3], v[228:229]
	;; [unrolled: 4-line block ×24, first 2 shown]
.LBB121_66:
	s_or_b64 exec, exec, s[2:3]
	v_cmp_eq_u32_e32 vcc, 13, v66
	s_waitcnt vmcnt(63) expcnt(7) lgkmcnt(15)
	s_barrier
	s_and_saveexec_b64 s[2:3], vcc
	s_cbranch_execz .LBB121_69
; %bb.67:
	v_mov_b32_e32 v0, v230
	v_mov_b32_e32 v1, v231
	;; [unrolled: 1-line block ×4, first 2 shown]
	ds_write_b64 v64, v[172:173]
	ds_write2_b64 v65, v[0:1], v[2:3] offset0:14 offset1:15
	v_mov_b32_e32 v0, v228
	v_mov_b32_e32 v1, v229
	v_mov_b32_e32 v2, v168
	v_mov_b32_e32 v3, v169
	ds_write2_b64 v65, v[0:1], v[2:3] offset0:16 offset1:17
	v_mov_b32_e32 v0, v226
	v_mov_b32_e32 v1, v227
	v_mov_b32_e32 v2, v166
	v_mov_b32_e32 v3, v167
	;; [unrolled: 5-line block ×16, first 2 shown]
	ds_write2_b64 v65, v[0:1], v[2:3] offset0:46 offset1:47
	s_waitcnt vmcnt(62)
	v_mov_b32_e32 v0, v196
	v_mov_b32_e32 v1, v197
	s_waitcnt vmcnt(59)
	v_mov_b32_e32 v2, v136
	v_mov_b32_e32 v3, v137
	ds_write2_b64 v65, v[0:1], v[2:3] offset0:48 offset1:49
	s_waitcnt vmcnt(56)
	v_mov_b32_e32 v0, v194
	v_mov_b32_e32 v1, v195
	s_waitcnt vmcnt(53)
	v_mov_b32_e32 v2, v134
	v_mov_b32_e32 v3, v135
	;; [unrolled: 7-line block ×6, first 2 shown]
	ds_write2_b64 v65, v[0:1], v[2:3] offset0:58 offset1:59
	s_waitcnt vmcnt(26)
	ds_write_b64 v65, v[244:245] offset:480
	ds_read_b64 v[0:1], v64
	s_waitcnt lgkmcnt(0)
	v_cmp_neq_f64_e32 vcc, 0, v[0:1]
	s_and_b64 exec, exec, vcc
	s_cbranch_execz .LBB121_69
; %bb.68:
	v_div_scale_f64 v[2:3], s[6:7], v[0:1], v[0:1], 1.0
	v_rcp_f64_e32 v[4:5], v[2:3]
	v_div_scale_f64 v[6:7], vcc, 1.0, v[0:1], 1.0
	v_fma_f64 v[8:9], -v[2:3], v[4:5], 1.0
	v_fmac_f64_e32 v[4:5], v[4:5], v[8:9]
	v_fma_f64 v[8:9], -v[2:3], v[4:5], 1.0
	v_fmac_f64_e32 v[4:5], v[4:5], v[8:9]
	v_mul_f64 v[8:9], v[6:7], v[4:5]
	v_fma_f64 v[2:3], -v[2:3], v[8:9], v[6:7]
	v_div_fmas_f64 v[2:3], v[2:3], v[4:5], v[8:9]
	v_div_fixup_f64 v[0:1], v[2:3], v[0:1], 1.0
	ds_write_b64 v64, v[0:1]
.LBB121_69:
	s_or_b64 exec, exec, s[2:3]
	s_waitcnt lgkmcnt(0)
	s_barrier
	ds_read_b64 v[0:1], v64
	v_cmp_lt_u32_e32 vcc, 13, v66
	s_waitcnt lgkmcnt(0)
	buffer_store_dword v0, off, s[16:19], 0 offset:352 ; 4-byte Folded Spill
	s_nop 0
	buffer_store_dword v1, off, s[16:19], 0 offset:356 ; 4-byte Folded Spill
	s_and_saveexec_b64 s[2:3], vcc
	s_cbranch_execz .LBB121_71
; %bb.70:
	buffer_load_dword v0, off, s[16:19], 0 offset:352 ; 4-byte Folded Reload
	buffer_load_dword v1, off, s[16:19], 0 offset:356 ; 4-byte Folded Reload
	s_waitcnt vmcnt(0)
	v_mul_f64 v[172:173], v[0:1], v[172:173]
	ds_read2_b64 v[0:3], v65 offset0:14 offset1:15
	s_waitcnt lgkmcnt(0)
	v_fma_f64 v[230:231], -v[172:173], v[0:1], v[230:231]
	v_fma_f64 v[170:171], -v[172:173], v[2:3], v[170:171]
	ds_read2_b64 v[0:3], v65 offset0:16 offset1:17
	s_waitcnt lgkmcnt(0)
	v_fma_f64 v[228:229], -v[172:173], v[0:1], v[228:229]
	v_fma_f64 v[168:169], -v[172:173], v[2:3], v[168:169]
	;; [unrolled: 4-line block ×22, first 2 shown]
	ds_read2_b64 v[0:3], v65 offset0:58 offset1:59
	s_waitcnt lgkmcnt(0)
	v_fma_f64 v[186:187], -v[172:173], v[0:1], v[186:187]
	ds_read_b64 v[0:1], v65 offset:480
	v_fma_f64 v[126:127], -v[172:173], v[2:3], v[126:127]
	s_waitcnt lgkmcnt(0)
	v_fma_f64 v[244:245], -v[172:173], v[0:1], v[244:245]
.LBB121_71:
	s_or_b64 exec, exec, s[2:3]
	v_cmp_eq_u32_e32 vcc, 14, v66
	s_waitcnt vmcnt(63) expcnt(7) lgkmcnt(15)
	s_barrier
	s_and_saveexec_b64 s[2:3], vcc
	s_cbranch_execz .LBB121_74
; %bb.72:
	ds_write_b64 v64, v[230:231]
	ds_write2_b64 v65, v[170:171], v[228:229] offset0:15 offset1:16
	ds_write2_b64 v65, v[168:169], v[226:227] offset0:17 offset1:18
	;; [unrolled: 1-line block ×17, first 2 shown]
	s_waitcnt vmcnt(58)
	ds_write2_b64 v65, v[136:137], v[194:195] offset0:49 offset1:50
	s_waitcnt vmcnt(52)
	ds_write2_b64 v65, v[134:135], v[192:193] offset0:51 offset1:52
	s_waitcnt vmcnt(46)
	ds_write2_b64 v65, v[132:133], v[190:191] offset0:53 offset1:54
	s_waitcnt vmcnt(40)
	ds_write2_b64 v65, v[130:131], v[188:189] offset0:55 offset1:56
	s_waitcnt vmcnt(34)
	ds_write2_b64 v65, v[128:129], v[186:187] offset0:57 offset1:58
	s_waitcnt vmcnt(28)
	ds_write2_b64 v65, v[126:127], v[244:245] offset0:59 offset1:60
	ds_read_b64 v[0:1], v64
	s_waitcnt lgkmcnt(0)
	v_cmp_neq_f64_e32 vcc, 0, v[0:1]
	s_and_b64 exec, exec, vcc
	s_cbranch_execz .LBB121_74
; %bb.73:
	v_div_scale_f64 v[2:3], s[6:7], v[0:1], v[0:1], 1.0
	v_rcp_f64_e32 v[4:5], v[2:3]
	v_div_scale_f64 v[6:7], vcc, 1.0, v[0:1], 1.0
	v_fma_f64 v[8:9], -v[2:3], v[4:5], 1.0
	v_fmac_f64_e32 v[4:5], v[4:5], v[8:9]
	v_fma_f64 v[8:9], -v[2:3], v[4:5], 1.0
	v_fmac_f64_e32 v[4:5], v[4:5], v[8:9]
	v_mul_f64 v[8:9], v[6:7], v[4:5]
	v_fma_f64 v[2:3], -v[2:3], v[8:9], v[6:7]
	v_div_fmas_f64 v[2:3], v[2:3], v[4:5], v[8:9]
	v_div_fixup_f64 v[0:1], v[2:3], v[0:1], 1.0
	ds_write_b64 v64, v[0:1]
.LBB121_74:
	s_or_b64 exec, exec, s[2:3]
	s_waitcnt lgkmcnt(0)
	s_barrier
	ds_read_b64 v[0:1], v64
	v_cmp_lt_u32_e32 vcc, 14, v66
	s_waitcnt lgkmcnt(0)
	buffer_store_dword v0, off, s[16:19], 0 offset:360 ; 4-byte Folded Spill
	s_nop 0
	buffer_store_dword v1, off, s[16:19], 0 offset:364 ; 4-byte Folded Spill
	s_and_saveexec_b64 s[2:3], vcc
	s_cbranch_execz .LBB121_76
; %bb.75:
	buffer_load_dword v0, off, s[16:19], 0 offset:360 ; 4-byte Folded Reload
	buffer_load_dword v1, off, s[16:19], 0 offset:364 ; 4-byte Folded Reload
	s_waitcnt vmcnt(0)
	v_mul_f64 v[230:231], v[0:1], v[230:231]
	ds_read2_b64 v[0:3], v65 offset0:15 offset1:16
	s_waitcnt lgkmcnt(0)
	v_fma_f64 v[170:171], -v[230:231], v[0:1], v[170:171]
	v_fma_f64 v[228:229], -v[230:231], v[2:3], v[228:229]
	ds_read2_b64 v[0:3], v65 offset0:17 offset1:18
	s_waitcnt lgkmcnt(0)
	v_fma_f64 v[168:169], -v[230:231], v[0:1], v[168:169]
	v_fma_f64 v[226:227], -v[230:231], v[2:3], v[226:227]
	;; [unrolled: 4-line block ×23, first 2 shown]
.LBB121_76:
	s_or_b64 exec, exec, s[2:3]
	v_cmp_eq_u32_e32 vcc, 15, v66
	s_waitcnt vmcnt(63) expcnt(7) lgkmcnt(15)
	s_barrier
	s_and_saveexec_b64 s[2:3], vcc
	s_cbranch_execz .LBB121_79
; %bb.77:
	v_mov_b32_e32 v0, v228
	v_mov_b32_e32 v1, v229
	;; [unrolled: 1-line block ×4, first 2 shown]
	ds_write_b64 v64, v[170:171]
	ds_write2_b64 v65, v[0:1], v[2:3] offset0:16 offset1:17
	v_mov_b32_e32 v0, v226
	v_mov_b32_e32 v1, v227
	v_mov_b32_e32 v2, v166
	v_mov_b32_e32 v3, v167
	ds_write2_b64 v65, v[0:1], v[2:3] offset0:18 offset1:19
	v_mov_b32_e32 v0, v224
	v_mov_b32_e32 v1, v225
	v_mov_b32_e32 v2, v164
	v_mov_b32_e32 v3, v165
	;; [unrolled: 5-line block ×16, first 2 shown]
	ds_write2_b64 v65, v[0:1], v[2:3] offset0:48 offset1:49
	s_waitcnt vmcnt(60)
	v_mov_b32_e32 v0, v194
	v_mov_b32_e32 v1, v195
	s_waitcnt vmcnt(57)
	v_mov_b32_e32 v2, v134
	v_mov_b32_e32 v3, v135
	ds_write2_b64 v65, v[0:1], v[2:3] offset0:50 offset1:51
	s_waitcnt vmcnt(54)
	v_mov_b32_e32 v0, v192
	v_mov_b32_e32 v1, v193
	s_waitcnt vmcnt(51)
	v_mov_b32_e32 v2, v132
	v_mov_b32_e32 v3, v133
	ds_write2_b64 v65, v[0:1], v[2:3] offset0:52 offset1:53
	s_waitcnt vmcnt(48)
	v_mov_b32_e32 v0, v190
	v_mov_b32_e32 v1, v191
	s_waitcnt vmcnt(45)
	v_mov_b32_e32 v2, v130
	v_mov_b32_e32 v3, v131
	ds_write2_b64 v65, v[0:1], v[2:3] offset0:54 offset1:55
	s_waitcnt vmcnt(42)
	v_mov_b32_e32 v0, v188
	v_mov_b32_e32 v1, v189
	s_waitcnt vmcnt(39)
	v_mov_b32_e32 v2, v128
	v_mov_b32_e32 v3, v129
	ds_write2_b64 v65, v[0:1], v[2:3] offset0:56 offset1:57
	s_waitcnt vmcnt(36)
	v_mov_b32_e32 v0, v186
	v_mov_b32_e32 v1, v187
	s_waitcnt vmcnt(33)
	v_mov_b32_e32 v2, v126
	v_mov_b32_e32 v3, v127
	ds_write2_b64 v65, v[0:1], v[2:3] offset0:58 offset1:59
	s_waitcnt vmcnt(30)
	ds_write_b64 v65, v[244:245] offset:480
	ds_read_b64 v[0:1], v64
	s_waitcnt lgkmcnt(0)
	v_cmp_neq_f64_e32 vcc, 0, v[0:1]
	s_and_b64 exec, exec, vcc
	s_cbranch_execz .LBB121_79
; %bb.78:
	v_div_scale_f64 v[2:3], s[6:7], v[0:1], v[0:1], 1.0
	v_rcp_f64_e32 v[4:5], v[2:3]
	v_div_scale_f64 v[6:7], vcc, 1.0, v[0:1], 1.0
	v_fma_f64 v[8:9], -v[2:3], v[4:5], 1.0
	v_fmac_f64_e32 v[4:5], v[4:5], v[8:9]
	v_fma_f64 v[8:9], -v[2:3], v[4:5], 1.0
	v_fmac_f64_e32 v[4:5], v[4:5], v[8:9]
	v_mul_f64 v[8:9], v[6:7], v[4:5]
	v_fma_f64 v[2:3], -v[2:3], v[8:9], v[6:7]
	v_div_fmas_f64 v[2:3], v[2:3], v[4:5], v[8:9]
	v_div_fixup_f64 v[0:1], v[2:3], v[0:1], 1.0
	ds_write_b64 v64, v[0:1]
.LBB121_79:
	s_or_b64 exec, exec, s[2:3]
	s_waitcnt lgkmcnt(0)
	s_barrier
	ds_read_b64 v[0:1], v64
	v_cmp_lt_u32_e32 vcc, 15, v66
	s_waitcnt lgkmcnt(0)
	buffer_store_dword v0, off, s[16:19], 0 offset:368 ; 4-byte Folded Spill
	s_nop 0
	buffer_store_dword v1, off, s[16:19], 0 offset:372 ; 4-byte Folded Spill
	s_and_saveexec_b64 s[2:3], vcc
	s_cbranch_execz .LBB121_81
; %bb.80:
	buffer_load_dword v0, off, s[16:19], 0 offset:368 ; 4-byte Folded Reload
	buffer_load_dword v1, off, s[16:19], 0 offset:372 ; 4-byte Folded Reload
	s_waitcnt vmcnt(0)
	v_mul_f64 v[170:171], v[0:1], v[170:171]
	ds_read2_b64 v[0:3], v65 offset0:16 offset1:17
	s_waitcnt lgkmcnt(0)
	v_fma_f64 v[228:229], -v[170:171], v[0:1], v[228:229]
	v_fma_f64 v[168:169], -v[170:171], v[2:3], v[168:169]
	ds_read2_b64 v[0:3], v65 offset0:18 offset1:19
	s_waitcnt lgkmcnt(0)
	v_fma_f64 v[226:227], -v[170:171], v[0:1], v[226:227]
	v_fma_f64 v[166:167], -v[170:171], v[2:3], v[166:167]
	ds_read2_b64 v[0:3], v65 offset0:20 offset1:21
	s_waitcnt lgkmcnt(0)
	v_fma_f64 v[224:225], -v[170:171], v[0:1], v[224:225]
	v_fma_f64 v[164:165], -v[170:171], v[2:3], v[164:165]
	ds_read2_b64 v[0:3], v65 offset0:22 offset1:23
	s_waitcnt lgkmcnt(0)
	v_fma_f64 v[222:223], -v[170:171], v[0:1], v[222:223]
	v_fma_f64 v[162:163], -v[170:171], v[2:3], v[162:163]
	ds_read2_b64 v[0:3], v65 offset0:24 offset1:25
	s_waitcnt lgkmcnt(0)
	v_fma_f64 v[220:221], -v[170:171], v[0:1], v[220:221]
	v_fma_f64 v[160:161], -v[170:171], v[2:3], v[160:161]
	ds_read2_b64 v[0:3], v65 offset0:26 offset1:27
	s_waitcnt lgkmcnt(0)
	v_fma_f64 v[218:219], -v[170:171], v[0:1], v[218:219]
	v_fma_f64 v[158:159], -v[170:171], v[2:3], v[158:159]
	ds_read2_b64 v[0:3], v65 offset0:28 offset1:29
	s_waitcnt lgkmcnt(0)
	v_fma_f64 v[216:217], -v[170:171], v[0:1], v[216:217]
	v_fma_f64 v[156:157], -v[170:171], v[2:3], v[156:157]
	ds_read2_b64 v[0:3], v65 offset0:30 offset1:31
	s_waitcnt lgkmcnt(0)
	v_fma_f64 v[214:215], -v[170:171], v[0:1], v[214:215]
	v_fma_f64 v[154:155], -v[170:171], v[2:3], v[154:155]
	ds_read2_b64 v[0:3], v65 offset0:32 offset1:33
	s_waitcnt lgkmcnt(0)
	v_fma_f64 v[212:213], -v[170:171], v[0:1], v[212:213]
	v_fma_f64 v[152:153], -v[170:171], v[2:3], v[152:153]
	ds_read2_b64 v[0:3], v65 offset0:34 offset1:35
	s_waitcnt lgkmcnt(0)
	v_fma_f64 v[210:211], -v[170:171], v[0:1], v[210:211]
	v_fma_f64 v[150:151], -v[170:171], v[2:3], v[150:151]
	ds_read2_b64 v[0:3], v65 offset0:36 offset1:37
	s_waitcnt lgkmcnt(0)
	v_fma_f64 v[208:209], -v[170:171], v[0:1], v[208:209]
	v_fma_f64 v[148:149], -v[170:171], v[2:3], v[148:149]
	ds_read2_b64 v[0:3], v65 offset0:38 offset1:39
	s_waitcnt lgkmcnt(0)
	v_fma_f64 v[206:207], -v[170:171], v[0:1], v[206:207]
	v_fma_f64 v[146:147], -v[170:171], v[2:3], v[146:147]
	ds_read2_b64 v[0:3], v65 offset0:40 offset1:41
	s_waitcnt lgkmcnt(0)
	v_fma_f64 v[204:205], -v[170:171], v[0:1], v[204:205]
	v_fma_f64 v[144:145], -v[170:171], v[2:3], v[144:145]
	ds_read2_b64 v[0:3], v65 offset0:42 offset1:43
	s_waitcnt lgkmcnt(0)
	v_fma_f64 v[202:203], -v[170:171], v[0:1], v[202:203]
	v_fma_f64 v[142:143], -v[170:171], v[2:3], v[142:143]
	ds_read2_b64 v[0:3], v65 offset0:44 offset1:45
	s_waitcnt lgkmcnt(0)
	v_fma_f64 v[200:201], -v[170:171], v[0:1], v[200:201]
	v_fma_f64 v[140:141], -v[170:171], v[2:3], v[140:141]
	ds_read2_b64 v[0:3], v65 offset0:46 offset1:47
	s_waitcnt lgkmcnt(0)
	v_fma_f64 v[198:199], -v[170:171], v[0:1], v[198:199]
	v_fma_f64 v[138:139], -v[170:171], v[2:3], v[138:139]
	ds_read2_b64 v[0:3], v65 offset0:48 offset1:49
	s_waitcnt lgkmcnt(0)
	v_fma_f64 v[196:197], -v[170:171], v[0:1], v[196:197]
	v_fma_f64 v[136:137], -v[170:171], v[2:3], v[136:137]
	ds_read2_b64 v[0:3], v65 offset0:50 offset1:51
	s_waitcnt lgkmcnt(0)
	v_fma_f64 v[194:195], -v[170:171], v[0:1], v[194:195]
	v_fma_f64 v[134:135], -v[170:171], v[2:3], v[134:135]
	ds_read2_b64 v[0:3], v65 offset0:52 offset1:53
	s_waitcnt lgkmcnt(0)
	v_fma_f64 v[192:193], -v[170:171], v[0:1], v[192:193]
	v_fma_f64 v[132:133], -v[170:171], v[2:3], v[132:133]
	ds_read2_b64 v[0:3], v65 offset0:54 offset1:55
	s_waitcnt lgkmcnt(0)
	v_fma_f64 v[190:191], -v[170:171], v[0:1], v[190:191]
	v_fma_f64 v[130:131], -v[170:171], v[2:3], v[130:131]
	ds_read2_b64 v[0:3], v65 offset0:56 offset1:57
	s_waitcnt lgkmcnt(0)
	v_fma_f64 v[188:189], -v[170:171], v[0:1], v[188:189]
	v_fma_f64 v[128:129], -v[170:171], v[2:3], v[128:129]
	ds_read2_b64 v[0:3], v65 offset0:58 offset1:59
	s_waitcnt lgkmcnt(0)
	v_fma_f64 v[186:187], -v[170:171], v[0:1], v[186:187]
	ds_read_b64 v[0:1], v65 offset:480
	v_fma_f64 v[126:127], -v[170:171], v[2:3], v[126:127]
	s_waitcnt lgkmcnt(0)
	v_fma_f64 v[244:245], -v[170:171], v[0:1], v[244:245]
.LBB121_81:
	s_or_b64 exec, exec, s[2:3]
	v_cmp_eq_u32_e32 vcc, 16, v66
	s_waitcnt vmcnt(63) expcnt(7) lgkmcnt(15)
	s_barrier
	s_and_saveexec_b64 s[2:3], vcc
	s_cbranch_execz .LBB121_84
; %bb.82:
	ds_write_b64 v64, v[228:229]
	ds_write2_b64 v65, v[168:169], v[226:227] offset0:17 offset1:18
	ds_write2_b64 v65, v[166:167], v[224:225] offset0:19 offset1:20
	;; [unrolled: 1-line block ×16, first 2 shown]
	s_waitcnt vmcnt(62)
	ds_write2_b64 v65, v[136:137], v[194:195] offset0:49 offset1:50
	s_waitcnt vmcnt(56)
	ds_write2_b64 v65, v[134:135], v[192:193] offset0:51 offset1:52
	s_waitcnt vmcnt(50)
	ds_write2_b64 v65, v[132:133], v[190:191] offset0:53 offset1:54
	s_waitcnt vmcnt(44)
	ds_write2_b64 v65, v[130:131], v[188:189] offset0:55 offset1:56
	s_waitcnt vmcnt(38)
	ds_write2_b64 v65, v[128:129], v[186:187] offset0:57 offset1:58
	s_waitcnt vmcnt(32)
	ds_write2_b64 v65, v[126:127], v[244:245] offset0:59 offset1:60
	ds_read_b64 v[0:1], v64
	s_waitcnt lgkmcnt(0)
	v_cmp_neq_f64_e32 vcc, 0, v[0:1]
	s_and_b64 exec, exec, vcc
	s_cbranch_execz .LBB121_84
; %bb.83:
	v_div_scale_f64 v[2:3], s[6:7], v[0:1], v[0:1], 1.0
	v_rcp_f64_e32 v[4:5], v[2:3]
	v_div_scale_f64 v[6:7], vcc, 1.0, v[0:1], 1.0
	v_fma_f64 v[8:9], -v[2:3], v[4:5], 1.0
	v_fmac_f64_e32 v[4:5], v[4:5], v[8:9]
	v_fma_f64 v[8:9], -v[2:3], v[4:5], 1.0
	v_fmac_f64_e32 v[4:5], v[4:5], v[8:9]
	v_mul_f64 v[8:9], v[6:7], v[4:5]
	v_fma_f64 v[2:3], -v[2:3], v[8:9], v[6:7]
	v_div_fmas_f64 v[2:3], v[2:3], v[4:5], v[8:9]
	v_div_fixup_f64 v[0:1], v[2:3], v[0:1], 1.0
	ds_write_b64 v64, v[0:1]
.LBB121_84:
	s_or_b64 exec, exec, s[2:3]
	s_waitcnt lgkmcnt(0)
	s_barrier
	ds_read_b64 v[0:1], v64
	v_cmp_lt_u32_e32 vcc, 16, v66
	s_waitcnt lgkmcnt(0)
	buffer_store_dword v0, off, s[16:19], 0 offset:376 ; 4-byte Folded Spill
	s_nop 0
	buffer_store_dword v1, off, s[16:19], 0 offset:380 ; 4-byte Folded Spill
	s_and_saveexec_b64 s[2:3], vcc
	s_cbranch_execz .LBB121_86
; %bb.85:
	buffer_load_dword v0, off, s[16:19], 0 offset:376 ; 4-byte Folded Reload
	buffer_load_dword v1, off, s[16:19], 0 offset:380 ; 4-byte Folded Reload
	s_waitcnt vmcnt(0)
	v_mul_f64 v[228:229], v[0:1], v[228:229]
	ds_read2_b64 v[0:3], v65 offset0:17 offset1:18
	s_waitcnt lgkmcnt(0)
	v_fma_f64 v[168:169], -v[228:229], v[0:1], v[168:169]
	v_fma_f64 v[226:227], -v[228:229], v[2:3], v[226:227]
	ds_read2_b64 v[0:3], v65 offset0:19 offset1:20
	s_waitcnt lgkmcnt(0)
	v_fma_f64 v[166:167], -v[228:229], v[0:1], v[166:167]
	v_fma_f64 v[224:225], -v[228:229], v[2:3], v[224:225]
	;; [unrolled: 4-line block ×22, first 2 shown]
.LBB121_86:
	s_or_b64 exec, exec, s[2:3]
	v_cmp_eq_u32_e32 vcc, 17, v66
	s_waitcnt vmcnt(63) expcnt(7) lgkmcnt(15)
	s_barrier
	s_and_saveexec_b64 s[2:3], vcc
	s_cbranch_execz .LBB121_89
; %bb.87:
	v_mov_b32_e32 v0, v226
	v_mov_b32_e32 v1, v227
	;; [unrolled: 1-line block ×4, first 2 shown]
	ds_write_b64 v64, v[168:169]
	ds_write2_b64 v65, v[0:1], v[2:3] offset0:18 offset1:19
	v_mov_b32_e32 v0, v224
	v_mov_b32_e32 v1, v225
	v_mov_b32_e32 v2, v164
	v_mov_b32_e32 v3, v165
	ds_write2_b64 v65, v[0:1], v[2:3] offset0:20 offset1:21
	v_mov_b32_e32 v0, v222
	v_mov_b32_e32 v1, v223
	v_mov_b32_e32 v2, v162
	v_mov_b32_e32 v3, v163
	;; [unrolled: 5-line block ×15, first 2 shown]
	ds_write2_b64 v65, v[0:1], v[2:3] offset0:48 offset1:49
	v_mov_b32_e32 v0, v194
	v_mov_b32_e32 v1, v195
	s_waitcnt vmcnt(61)
	v_mov_b32_e32 v2, v134
	v_mov_b32_e32 v3, v135
	ds_write2_b64 v65, v[0:1], v[2:3] offset0:50 offset1:51
	s_waitcnt vmcnt(58)
	v_mov_b32_e32 v0, v192
	v_mov_b32_e32 v1, v193
	s_waitcnt vmcnt(55)
	v_mov_b32_e32 v2, v132
	v_mov_b32_e32 v3, v133
	ds_write2_b64 v65, v[0:1], v[2:3] offset0:52 offset1:53
	s_waitcnt vmcnt(52)
	;; [unrolled: 7-line block ×5, first 2 shown]
	ds_write_b64 v65, v[244:245] offset:480
	ds_read_b64 v[0:1], v64
	s_waitcnt lgkmcnt(0)
	v_cmp_neq_f64_e32 vcc, 0, v[0:1]
	s_and_b64 exec, exec, vcc
	s_cbranch_execz .LBB121_89
; %bb.88:
	v_div_scale_f64 v[2:3], s[6:7], v[0:1], v[0:1], 1.0
	v_rcp_f64_e32 v[4:5], v[2:3]
	v_div_scale_f64 v[6:7], vcc, 1.0, v[0:1], 1.0
	v_fma_f64 v[8:9], -v[2:3], v[4:5], 1.0
	v_fmac_f64_e32 v[4:5], v[4:5], v[8:9]
	v_fma_f64 v[8:9], -v[2:3], v[4:5], 1.0
	v_fmac_f64_e32 v[4:5], v[4:5], v[8:9]
	v_mul_f64 v[8:9], v[6:7], v[4:5]
	v_fma_f64 v[2:3], -v[2:3], v[8:9], v[6:7]
	v_div_fmas_f64 v[2:3], v[2:3], v[4:5], v[8:9]
	v_div_fixup_f64 v[0:1], v[2:3], v[0:1], 1.0
	ds_write_b64 v64, v[0:1]
.LBB121_89:
	s_or_b64 exec, exec, s[2:3]
	s_waitcnt lgkmcnt(0)
	s_barrier
	ds_read_b64 v[0:1], v64
	v_cmp_lt_u32_e32 vcc, 17, v66
	s_waitcnt lgkmcnt(0)
	buffer_store_dword v0, off, s[16:19], 0 offset:384 ; 4-byte Folded Spill
	s_nop 0
	buffer_store_dword v1, off, s[16:19], 0 offset:388 ; 4-byte Folded Spill
	s_and_saveexec_b64 s[2:3], vcc
	s_cbranch_execz .LBB121_91
; %bb.90:
	buffer_load_dword v0, off, s[16:19], 0 offset:384 ; 4-byte Folded Reload
	buffer_load_dword v1, off, s[16:19], 0 offset:388 ; 4-byte Folded Reload
	s_waitcnt vmcnt(0)
	v_mul_f64 v[168:169], v[0:1], v[168:169]
	ds_read2_b64 v[0:3], v65 offset0:18 offset1:19
	s_waitcnt lgkmcnt(0)
	v_fma_f64 v[226:227], -v[168:169], v[0:1], v[226:227]
	v_fma_f64 v[166:167], -v[168:169], v[2:3], v[166:167]
	ds_read2_b64 v[0:3], v65 offset0:20 offset1:21
	s_waitcnt lgkmcnt(0)
	v_fma_f64 v[224:225], -v[168:169], v[0:1], v[224:225]
	v_fma_f64 v[164:165], -v[168:169], v[2:3], v[164:165]
	;; [unrolled: 4-line block ×20, first 2 shown]
	ds_read2_b64 v[0:3], v65 offset0:58 offset1:59
	s_waitcnt lgkmcnt(0)
	v_fma_f64 v[186:187], -v[168:169], v[0:1], v[186:187]
	ds_read_b64 v[0:1], v65 offset:480
	v_fma_f64 v[126:127], -v[168:169], v[2:3], v[126:127]
	s_waitcnt lgkmcnt(0)
	v_fma_f64 v[244:245], -v[168:169], v[0:1], v[244:245]
.LBB121_91:
	s_or_b64 exec, exec, s[2:3]
	v_cmp_eq_u32_e32 vcc, 18, v66
	s_waitcnt vmcnt(63) expcnt(7) lgkmcnt(15)
	s_barrier
	s_and_saveexec_b64 s[2:3], vcc
	s_cbranch_execz .LBB121_94
; %bb.92:
	ds_write_b64 v64, v[226:227]
	ds_write2_b64 v65, v[166:167], v[224:225] offset0:19 offset1:20
	ds_write2_b64 v65, v[164:165], v[222:223] offset0:21 offset1:22
	;; [unrolled: 1-line block ×16, first 2 shown]
	s_waitcnt vmcnt(60)
	ds_write2_b64 v65, v[134:135], v[192:193] offset0:51 offset1:52
	s_waitcnt vmcnt(54)
	ds_write2_b64 v65, v[132:133], v[190:191] offset0:53 offset1:54
	s_waitcnt vmcnt(48)
	ds_write2_b64 v65, v[130:131], v[188:189] offset0:55 offset1:56
	s_waitcnt vmcnt(42)
	ds_write2_b64 v65, v[128:129], v[186:187] offset0:57 offset1:58
	s_waitcnt vmcnt(36)
	ds_write2_b64 v65, v[126:127], v[244:245] offset0:59 offset1:60
	ds_read_b64 v[0:1], v64
	s_waitcnt lgkmcnt(0)
	v_cmp_neq_f64_e32 vcc, 0, v[0:1]
	s_and_b64 exec, exec, vcc
	s_cbranch_execz .LBB121_94
; %bb.93:
	v_div_scale_f64 v[2:3], s[6:7], v[0:1], v[0:1], 1.0
	v_rcp_f64_e32 v[4:5], v[2:3]
	v_div_scale_f64 v[6:7], vcc, 1.0, v[0:1], 1.0
	v_fma_f64 v[8:9], -v[2:3], v[4:5], 1.0
	v_fmac_f64_e32 v[4:5], v[4:5], v[8:9]
	v_fma_f64 v[8:9], -v[2:3], v[4:5], 1.0
	v_fmac_f64_e32 v[4:5], v[4:5], v[8:9]
	v_mul_f64 v[8:9], v[6:7], v[4:5]
	v_fma_f64 v[2:3], -v[2:3], v[8:9], v[6:7]
	v_div_fmas_f64 v[2:3], v[2:3], v[4:5], v[8:9]
	v_div_fixup_f64 v[0:1], v[2:3], v[0:1], 1.0
	ds_write_b64 v64, v[0:1]
.LBB121_94:
	s_or_b64 exec, exec, s[2:3]
	s_waitcnt lgkmcnt(0)
	s_barrier
	ds_read_b64 v[0:1], v64
	v_cmp_lt_u32_e32 vcc, 18, v66
	s_waitcnt lgkmcnt(0)
	buffer_store_dword v0, off, s[16:19], 0 offset:392 ; 4-byte Folded Spill
	s_nop 0
	buffer_store_dword v1, off, s[16:19], 0 offset:396 ; 4-byte Folded Spill
	s_and_saveexec_b64 s[2:3], vcc
	s_cbranch_execz .LBB121_96
; %bb.95:
	buffer_load_dword v0, off, s[16:19], 0 offset:392 ; 4-byte Folded Reload
	buffer_load_dword v1, off, s[16:19], 0 offset:396 ; 4-byte Folded Reload
	s_waitcnt vmcnt(0)
	v_mul_f64 v[226:227], v[0:1], v[226:227]
	ds_read2_b64 v[0:3], v65 offset0:19 offset1:20
	s_waitcnt lgkmcnt(0)
	v_fma_f64 v[166:167], -v[226:227], v[0:1], v[166:167]
	v_fma_f64 v[224:225], -v[226:227], v[2:3], v[224:225]
	ds_read2_b64 v[0:3], v65 offset0:21 offset1:22
	s_waitcnt lgkmcnt(0)
	v_fma_f64 v[164:165], -v[226:227], v[0:1], v[164:165]
	v_fma_f64 v[222:223], -v[226:227], v[2:3], v[222:223]
	;; [unrolled: 4-line block ×21, first 2 shown]
.LBB121_96:
	s_or_b64 exec, exec, s[2:3]
	v_cmp_eq_u32_e32 vcc, 19, v66
	s_waitcnt vmcnt(63) expcnt(7) lgkmcnt(15)
	s_barrier
	s_and_saveexec_b64 s[2:3], vcc
	s_cbranch_execz .LBB121_99
; %bb.97:
	v_mov_b32_e32 v0, v224
	v_mov_b32_e32 v1, v225
	;; [unrolled: 1-line block ×4, first 2 shown]
	ds_write_b64 v64, v[166:167]
	ds_write2_b64 v65, v[0:1], v[2:3] offset0:20 offset1:21
	v_mov_b32_e32 v0, v222
	v_mov_b32_e32 v1, v223
	v_mov_b32_e32 v2, v162
	v_mov_b32_e32 v3, v163
	ds_write2_b64 v65, v[0:1], v[2:3] offset0:22 offset1:23
	v_mov_b32_e32 v0, v220
	v_mov_b32_e32 v1, v221
	v_mov_b32_e32 v2, v160
	v_mov_b32_e32 v3, v161
	;; [unrolled: 5-line block ×15, first 2 shown]
	ds_write2_b64 v65, v[0:1], v[2:3] offset0:50 offset1:51
	s_waitcnt vmcnt(62)
	v_mov_b32_e32 v0, v192
	v_mov_b32_e32 v1, v193
	s_waitcnt vmcnt(59)
	v_mov_b32_e32 v2, v132
	v_mov_b32_e32 v3, v133
	ds_write2_b64 v65, v[0:1], v[2:3] offset0:52 offset1:53
	s_waitcnt vmcnt(56)
	v_mov_b32_e32 v0, v190
	v_mov_b32_e32 v1, v191
	s_waitcnt vmcnt(53)
	v_mov_b32_e32 v2, v130
	v_mov_b32_e32 v3, v131
	;; [unrolled: 7-line block ×4, first 2 shown]
	ds_write2_b64 v65, v[0:1], v[2:3] offset0:58 offset1:59
	s_waitcnt vmcnt(38)
	ds_write_b64 v65, v[244:245] offset:480
	ds_read_b64 v[0:1], v64
	s_waitcnt lgkmcnt(0)
	v_cmp_neq_f64_e32 vcc, 0, v[0:1]
	s_and_b64 exec, exec, vcc
	s_cbranch_execz .LBB121_99
; %bb.98:
	v_div_scale_f64 v[2:3], s[6:7], v[0:1], v[0:1], 1.0
	v_rcp_f64_e32 v[4:5], v[2:3]
	v_div_scale_f64 v[6:7], vcc, 1.0, v[0:1], 1.0
	v_fma_f64 v[8:9], -v[2:3], v[4:5], 1.0
	v_fmac_f64_e32 v[4:5], v[4:5], v[8:9]
	v_fma_f64 v[8:9], -v[2:3], v[4:5], 1.0
	v_fmac_f64_e32 v[4:5], v[4:5], v[8:9]
	v_mul_f64 v[8:9], v[6:7], v[4:5]
	v_fma_f64 v[2:3], -v[2:3], v[8:9], v[6:7]
	v_div_fmas_f64 v[2:3], v[2:3], v[4:5], v[8:9]
	v_div_fixup_f64 v[0:1], v[2:3], v[0:1], 1.0
	ds_write_b64 v64, v[0:1]
.LBB121_99:
	s_or_b64 exec, exec, s[2:3]
	s_waitcnt lgkmcnt(0)
	s_barrier
	ds_read_b64 v[0:1], v64
	v_cmp_lt_u32_e32 vcc, 19, v66
	s_waitcnt lgkmcnt(0)
	buffer_store_dword v0, off, s[16:19], 0 offset:400 ; 4-byte Folded Spill
	s_nop 0
	buffer_store_dword v1, off, s[16:19], 0 offset:404 ; 4-byte Folded Spill
	s_and_saveexec_b64 s[2:3], vcc
	s_cbranch_execz .LBB121_101
; %bb.100:
	buffer_load_dword v0, off, s[16:19], 0 offset:400 ; 4-byte Folded Reload
	buffer_load_dword v1, off, s[16:19], 0 offset:404 ; 4-byte Folded Reload
	s_waitcnt vmcnt(0)
	v_mul_f64 v[166:167], v[0:1], v[166:167]
	ds_read2_b64 v[0:3], v65 offset0:20 offset1:21
	s_waitcnt lgkmcnt(0)
	v_fma_f64 v[224:225], -v[166:167], v[0:1], v[224:225]
	v_fma_f64 v[164:165], -v[166:167], v[2:3], v[164:165]
	ds_read2_b64 v[0:3], v65 offset0:22 offset1:23
	s_waitcnt lgkmcnt(0)
	v_fma_f64 v[222:223], -v[166:167], v[0:1], v[222:223]
	v_fma_f64 v[162:163], -v[166:167], v[2:3], v[162:163]
	;; [unrolled: 4-line block ×19, first 2 shown]
	ds_read2_b64 v[0:3], v65 offset0:58 offset1:59
	s_waitcnt lgkmcnt(0)
	v_fma_f64 v[186:187], -v[166:167], v[0:1], v[186:187]
	ds_read_b64 v[0:1], v65 offset:480
	v_fma_f64 v[126:127], -v[166:167], v[2:3], v[126:127]
	s_waitcnt lgkmcnt(0)
	v_fma_f64 v[244:245], -v[166:167], v[0:1], v[244:245]
.LBB121_101:
	s_or_b64 exec, exec, s[2:3]
	v_cmp_eq_u32_e32 vcc, 20, v66
	s_waitcnt vmcnt(63) expcnt(7) lgkmcnt(15)
	s_barrier
	s_and_saveexec_b64 s[2:3], vcc
	s_cbranch_execz .LBB121_104
; %bb.102:
	ds_write_b64 v64, v[224:225]
	ds_write2_b64 v65, v[164:165], v[222:223] offset0:21 offset1:22
	ds_write2_b64 v65, v[162:163], v[220:221] offset0:23 offset1:24
	;; [unrolled: 1-line block ×16, first 2 shown]
	s_waitcnt vmcnt(58)
	ds_write2_b64 v65, v[132:133], v[190:191] offset0:53 offset1:54
	s_waitcnt vmcnt(52)
	ds_write2_b64 v65, v[130:131], v[188:189] offset0:55 offset1:56
	;; [unrolled: 2-line block ×4, first 2 shown]
	ds_read_b64 v[0:1], v64
	s_waitcnt lgkmcnt(0)
	v_cmp_neq_f64_e32 vcc, 0, v[0:1]
	s_and_b64 exec, exec, vcc
	s_cbranch_execz .LBB121_104
; %bb.103:
	v_div_scale_f64 v[2:3], s[6:7], v[0:1], v[0:1], 1.0
	v_rcp_f64_e32 v[4:5], v[2:3]
	v_div_scale_f64 v[6:7], vcc, 1.0, v[0:1], 1.0
	v_fma_f64 v[8:9], -v[2:3], v[4:5], 1.0
	v_fmac_f64_e32 v[4:5], v[4:5], v[8:9]
	v_fma_f64 v[8:9], -v[2:3], v[4:5], 1.0
	v_fmac_f64_e32 v[4:5], v[4:5], v[8:9]
	v_mul_f64 v[8:9], v[6:7], v[4:5]
	v_fma_f64 v[2:3], -v[2:3], v[8:9], v[6:7]
	v_div_fmas_f64 v[2:3], v[2:3], v[4:5], v[8:9]
	v_div_fixup_f64 v[0:1], v[2:3], v[0:1], 1.0
	ds_write_b64 v64, v[0:1]
.LBB121_104:
	s_or_b64 exec, exec, s[2:3]
	s_waitcnt lgkmcnt(0)
	s_barrier
	ds_read_b64 v[0:1], v64
	v_cmp_lt_u32_e32 vcc, 20, v66
	s_waitcnt lgkmcnt(0)
	buffer_store_dword v0, off, s[16:19], 0 offset:408 ; 4-byte Folded Spill
	s_nop 0
	buffer_store_dword v1, off, s[16:19], 0 offset:412 ; 4-byte Folded Spill
	s_and_saveexec_b64 s[2:3], vcc
	s_cbranch_execz .LBB121_106
; %bb.105:
	buffer_load_dword v0, off, s[16:19], 0 offset:408 ; 4-byte Folded Reload
	buffer_load_dword v1, off, s[16:19], 0 offset:412 ; 4-byte Folded Reload
	s_waitcnt vmcnt(0)
	v_mul_f64 v[224:225], v[0:1], v[224:225]
	ds_read2_b64 v[0:3], v65 offset0:21 offset1:22
	s_waitcnt lgkmcnt(0)
	v_fma_f64 v[164:165], -v[224:225], v[0:1], v[164:165]
	v_fma_f64 v[222:223], -v[224:225], v[2:3], v[222:223]
	ds_read2_b64 v[0:3], v65 offset0:23 offset1:24
	s_waitcnt lgkmcnt(0)
	v_fma_f64 v[162:163], -v[224:225], v[0:1], v[162:163]
	v_fma_f64 v[220:221], -v[224:225], v[2:3], v[220:221]
	;; [unrolled: 4-line block ×20, first 2 shown]
.LBB121_106:
	s_or_b64 exec, exec, s[2:3]
	v_cmp_eq_u32_e32 vcc, 21, v66
	s_waitcnt vmcnt(63) expcnt(7) lgkmcnt(15)
	s_barrier
	s_and_saveexec_b64 s[2:3], vcc
	s_cbranch_execz .LBB121_109
; %bb.107:
	v_mov_b32_e32 v0, v222
	v_mov_b32_e32 v1, v223
	;; [unrolled: 1-line block ×4, first 2 shown]
	ds_write_b64 v64, v[164:165]
	ds_write2_b64 v65, v[0:1], v[2:3] offset0:22 offset1:23
	v_mov_b32_e32 v0, v220
	v_mov_b32_e32 v1, v221
	v_mov_b32_e32 v2, v160
	v_mov_b32_e32 v3, v161
	ds_write2_b64 v65, v[0:1], v[2:3] offset0:24 offset1:25
	v_mov_b32_e32 v0, v218
	v_mov_b32_e32 v1, v219
	v_mov_b32_e32 v2, v158
	v_mov_b32_e32 v3, v159
	;; [unrolled: 5-line block ×15, first 2 shown]
	ds_write2_b64 v65, v[0:1], v[2:3] offset0:52 offset1:53
	s_waitcnt vmcnt(60)
	v_mov_b32_e32 v0, v190
	v_mov_b32_e32 v1, v191
	s_waitcnt vmcnt(57)
	v_mov_b32_e32 v2, v130
	v_mov_b32_e32 v3, v131
	ds_write2_b64 v65, v[0:1], v[2:3] offset0:54 offset1:55
	s_waitcnt vmcnt(54)
	v_mov_b32_e32 v0, v188
	v_mov_b32_e32 v1, v189
	s_waitcnt vmcnt(51)
	v_mov_b32_e32 v2, v128
	v_mov_b32_e32 v3, v129
	;; [unrolled: 7-line block ×3, first 2 shown]
	ds_write2_b64 v65, v[0:1], v[2:3] offset0:58 offset1:59
	s_waitcnt vmcnt(42)
	ds_write_b64 v65, v[244:245] offset:480
	ds_read_b64 v[0:1], v64
	s_waitcnt lgkmcnt(0)
	v_cmp_neq_f64_e32 vcc, 0, v[0:1]
	s_and_b64 exec, exec, vcc
	s_cbranch_execz .LBB121_109
; %bb.108:
	v_div_scale_f64 v[2:3], s[6:7], v[0:1], v[0:1], 1.0
	v_rcp_f64_e32 v[4:5], v[2:3]
	v_div_scale_f64 v[6:7], vcc, 1.0, v[0:1], 1.0
	v_fma_f64 v[8:9], -v[2:3], v[4:5], 1.0
	v_fmac_f64_e32 v[4:5], v[4:5], v[8:9]
	v_fma_f64 v[8:9], -v[2:3], v[4:5], 1.0
	v_fmac_f64_e32 v[4:5], v[4:5], v[8:9]
	v_mul_f64 v[8:9], v[6:7], v[4:5]
	v_fma_f64 v[2:3], -v[2:3], v[8:9], v[6:7]
	v_div_fmas_f64 v[2:3], v[2:3], v[4:5], v[8:9]
	v_div_fixup_f64 v[0:1], v[2:3], v[0:1], 1.0
	ds_write_b64 v64, v[0:1]
.LBB121_109:
	s_or_b64 exec, exec, s[2:3]
	s_waitcnt lgkmcnt(0)
	s_barrier
	ds_read_b64 v[0:1], v64
	v_cmp_lt_u32_e32 vcc, 21, v66
	s_waitcnt lgkmcnt(0)
	buffer_store_dword v0, off, s[16:19], 0 offset:416 ; 4-byte Folded Spill
	s_nop 0
	buffer_store_dword v1, off, s[16:19], 0 offset:420 ; 4-byte Folded Spill
	s_and_saveexec_b64 s[2:3], vcc
	s_cbranch_execz .LBB121_111
; %bb.110:
	buffer_load_dword v0, off, s[16:19], 0 offset:416 ; 4-byte Folded Reload
	buffer_load_dword v1, off, s[16:19], 0 offset:420 ; 4-byte Folded Reload
	s_waitcnt vmcnt(0)
	v_mul_f64 v[164:165], v[0:1], v[164:165]
	ds_read2_b64 v[0:3], v65 offset0:22 offset1:23
	s_waitcnt lgkmcnt(0)
	v_fma_f64 v[222:223], -v[164:165], v[0:1], v[222:223]
	v_fma_f64 v[162:163], -v[164:165], v[2:3], v[162:163]
	ds_read2_b64 v[0:3], v65 offset0:24 offset1:25
	s_waitcnt lgkmcnt(0)
	v_fma_f64 v[220:221], -v[164:165], v[0:1], v[220:221]
	v_fma_f64 v[160:161], -v[164:165], v[2:3], v[160:161]
	ds_read2_b64 v[0:3], v65 offset0:26 offset1:27
	s_waitcnt lgkmcnt(0)
	v_fma_f64 v[218:219], -v[164:165], v[0:1], v[218:219]
	v_fma_f64 v[158:159], -v[164:165], v[2:3], v[158:159]
	ds_read2_b64 v[0:3], v65 offset0:28 offset1:29
	s_waitcnt lgkmcnt(0)
	v_fma_f64 v[216:217], -v[164:165], v[0:1], v[216:217]
	v_fma_f64 v[156:157], -v[164:165], v[2:3], v[156:157]
	ds_read2_b64 v[0:3], v65 offset0:30 offset1:31
	s_waitcnt lgkmcnt(0)
	v_fma_f64 v[214:215], -v[164:165], v[0:1], v[214:215]
	v_fma_f64 v[154:155], -v[164:165], v[2:3], v[154:155]
	ds_read2_b64 v[0:3], v65 offset0:32 offset1:33
	s_waitcnt lgkmcnt(0)
	v_fma_f64 v[212:213], -v[164:165], v[0:1], v[212:213]
	v_fma_f64 v[152:153], -v[164:165], v[2:3], v[152:153]
	ds_read2_b64 v[0:3], v65 offset0:34 offset1:35
	s_waitcnt lgkmcnt(0)
	v_fma_f64 v[210:211], -v[164:165], v[0:1], v[210:211]
	v_fma_f64 v[150:151], -v[164:165], v[2:3], v[150:151]
	ds_read2_b64 v[0:3], v65 offset0:36 offset1:37
	s_waitcnt lgkmcnt(0)
	v_fma_f64 v[208:209], -v[164:165], v[0:1], v[208:209]
	v_fma_f64 v[148:149], -v[164:165], v[2:3], v[148:149]
	ds_read2_b64 v[0:3], v65 offset0:38 offset1:39
	s_waitcnt lgkmcnt(0)
	v_fma_f64 v[206:207], -v[164:165], v[0:1], v[206:207]
	v_fma_f64 v[146:147], -v[164:165], v[2:3], v[146:147]
	ds_read2_b64 v[0:3], v65 offset0:40 offset1:41
	s_waitcnt lgkmcnt(0)
	v_fma_f64 v[204:205], -v[164:165], v[0:1], v[204:205]
	v_fma_f64 v[144:145], -v[164:165], v[2:3], v[144:145]
	ds_read2_b64 v[0:3], v65 offset0:42 offset1:43
	s_waitcnt lgkmcnt(0)
	v_fma_f64 v[202:203], -v[164:165], v[0:1], v[202:203]
	v_fma_f64 v[142:143], -v[164:165], v[2:3], v[142:143]
	ds_read2_b64 v[0:3], v65 offset0:44 offset1:45
	s_waitcnt lgkmcnt(0)
	v_fma_f64 v[200:201], -v[164:165], v[0:1], v[200:201]
	v_fma_f64 v[140:141], -v[164:165], v[2:3], v[140:141]
	ds_read2_b64 v[0:3], v65 offset0:46 offset1:47
	s_waitcnt lgkmcnt(0)
	v_fma_f64 v[198:199], -v[164:165], v[0:1], v[198:199]
	v_fma_f64 v[138:139], -v[164:165], v[2:3], v[138:139]
	ds_read2_b64 v[0:3], v65 offset0:48 offset1:49
	s_waitcnt lgkmcnt(0)
	v_fma_f64 v[196:197], -v[164:165], v[0:1], v[196:197]
	v_fma_f64 v[136:137], -v[164:165], v[2:3], v[136:137]
	ds_read2_b64 v[0:3], v65 offset0:50 offset1:51
	s_waitcnt lgkmcnt(0)
	v_fma_f64 v[194:195], -v[164:165], v[0:1], v[194:195]
	v_fma_f64 v[134:135], -v[164:165], v[2:3], v[134:135]
	ds_read2_b64 v[0:3], v65 offset0:52 offset1:53
	s_waitcnt lgkmcnt(0)
	v_fma_f64 v[192:193], -v[164:165], v[0:1], v[192:193]
	v_fma_f64 v[132:133], -v[164:165], v[2:3], v[132:133]
	ds_read2_b64 v[0:3], v65 offset0:54 offset1:55
	s_waitcnt lgkmcnt(0)
	v_fma_f64 v[190:191], -v[164:165], v[0:1], v[190:191]
	v_fma_f64 v[130:131], -v[164:165], v[2:3], v[130:131]
	ds_read2_b64 v[0:3], v65 offset0:56 offset1:57
	s_waitcnt lgkmcnt(0)
	v_fma_f64 v[188:189], -v[164:165], v[0:1], v[188:189]
	v_fma_f64 v[128:129], -v[164:165], v[2:3], v[128:129]
	ds_read2_b64 v[0:3], v65 offset0:58 offset1:59
	s_waitcnt lgkmcnt(0)
	v_fma_f64 v[186:187], -v[164:165], v[0:1], v[186:187]
	ds_read_b64 v[0:1], v65 offset:480
	v_fma_f64 v[126:127], -v[164:165], v[2:3], v[126:127]
	s_waitcnt lgkmcnt(0)
	v_fma_f64 v[244:245], -v[164:165], v[0:1], v[244:245]
.LBB121_111:
	s_or_b64 exec, exec, s[2:3]
	v_cmp_eq_u32_e32 vcc, 22, v66
	s_waitcnt vmcnt(63) expcnt(7) lgkmcnt(15)
	s_barrier
	s_and_saveexec_b64 s[2:3], vcc
	s_cbranch_execz .LBB121_114
; %bb.112:
	ds_write_b64 v64, v[222:223]
	ds_write2_b64 v65, v[162:163], v[220:221] offset0:23 offset1:24
	ds_write2_b64 v65, v[160:161], v[218:219] offset0:25 offset1:26
	;; [unrolled: 1-line block ×15, first 2 shown]
	s_waitcnt vmcnt(62)
	ds_write2_b64 v65, v[132:133], v[190:191] offset0:53 offset1:54
	s_waitcnt vmcnt(56)
	ds_write2_b64 v65, v[130:131], v[188:189] offset0:55 offset1:56
	s_waitcnt vmcnt(50)
	ds_write2_b64 v65, v[128:129], v[186:187] offset0:57 offset1:58
	s_waitcnt vmcnt(44)
	ds_write2_b64 v65, v[126:127], v[244:245] offset0:59 offset1:60
	ds_read_b64 v[0:1], v64
	s_waitcnt lgkmcnt(0)
	v_cmp_neq_f64_e32 vcc, 0, v[0:1]
	s_and_b64 exec, exec, vcc
	s_cbranch_execz .LBB121_114
; %bb.113:
	v_div_scale_f64 v[2:3], s[6:7], v[0:1], v[0:1], 1.0
	v_rcp_f64_e32 v[4:5], v[2:3]
	v_div_scale_f64 v[6:7], vcc, 1.0, v[0:1], 1.0
	v_fma_f64 v[8:9], -v[2:3], v[4:5], 1.0
	v_fmac_f64_e32 v[4:5], v[4:5], v[8:9]
	v_fma_f64 v[8:9], -v[2:3], v[4:5], 1.0
	v_fmac_f64_e32 v[4:5], v[4:5], v[8:9]
	v_mul_f64 v[8:9], v[6:7], v[4:5]
	v_fma_f64 v[2:3], -v[2:3], v[8:9], v[6:7]
	v_div_fmas_f64 v[2:3], v[2:3], v[4:5], v[8:9]
	v_div_fixup_f64 v[0:1], v[2:3], v[0:1], 1.0
	ds_write_b64 v64, v[0:1]
.LBB121_114:
	s_or_b64 exec, exec, s[2:3]
	s_waitcnt lgkmcnt(0)
	s_barrier
	ds_read_b64 v[0:1], v64
	v_cmp_lt_u32_e32 vcc, 22, v66
	s_waitcnt lgkmcnt(0)
	buffer_store_dword v0, off, s[16:19], 0 offset:424 ; 4-byte Folded Spill
	s_nop 0
	buffer_store_dword v1, off, s[16:19], 0 offset:428 ; 4-byte Folded Spill
	s_and_saveexec_b64 s[2:3], vcc
	s_cbranch_execz .LBB121_116
; %bb.115:
	buffer_load_dword v0, off, s[16:19], 0 offset:424 ; 4-byte Folded Reload
	buffer_load_dword v1, off, s[16:19], 0 offset:428 ; 4-byte Folded Reload
	s_waitcnt vmcnt(0)
	v_mul_f64 v[222:223], v[0:1], v[222:223]
	ds_read2_b64 v[0:3], v65 offset0:23 offset1:24
	s_waitcnt lgkmcnt(0)
	v_fma_f64 v[162:163], -v[222:223], v[0:1], v[162:163]
	v_fma_f64 v[220:221], -v[222:223], v[2:3], v[220:221]
	ds_read2_b64 v[0:3], v65 offset0:25 offset1:26
	s_waitcnt lgkmcnt(0)
	v_fma_f64 v[160:161], -v[222:223], v[0:1], v[160:161]
	v_fma_f64 v[218:219], -v[222:223], v[2:3], v[218:219]
	;; [unrolled: 4-line block ×19, first 2 shown]
.LBB121_116:
	s_or_b64 exec, exec, s[2:3]
	v_cmp_eq_u32_e32 vcc, 23, v66
	s_waitcnt vmcnt(63) expcnt(7) lgkmcnt(15)
	s_barrier
	s_and_saveexec_b64 s[2:3], vcc
	s_cbranch_execz .LBB121_119
; %bb.117:
	v_mov_b32_e32 v0, v220
	v_mov_b32_e32 v1, v221
	;; [unrolled: 1-line block ×4, first 2 shown]
	ds_write_b64 v64, v[162:163]
	ds_write2_b64 v65, v[0:1], v[2:3] offset0:24 offset1:25
	v_mov_b32_e32 v0, v218
	v_mov_b32_e32 v1, v219
	v_mov_b32_e32 v2, v158
	v_mov_b32_e32 v3, v159
	ds_write2_b64 v65, v[0:1], v[2:3] offset0:26 offset1:27
	v_mov_b32_e32 v0, v216
	v_mov_b32_e32 v1, v217
	v_mov_b32_e32 v2, v156
	v_mov_b32_e32 v3, v157
	;; [unrolled: 5-line block ×14, first 2 shown]
	ds_write2_b64 v65, v[0:1], v[2:3] offset0:52 offset1:53
	v_mov_b32_e32 v0, v190
	v_mov_b32_e32 v1, v191
	s_waitcnt vmcnt(61)
	v_mov_b32_e32 v2, v130
	v_mov_b32_e32 v3, v131
	ds_write2_b64 v65, v[0:1], v[2:3] offset0:54 offset1:55
	s_waitcnt vmcnt(58)
	v_mov_b32_e32 v0, v188
	v_mov_b32_e32 v1, v189
	s_waitcnt vmcnt(55)
	v_mov_b32_e32 v2, v128
	v_mov_b32_e32 v3, v129
	ds_write2_b64 v65, v[0:1], v[2:3] offset0:56 offset1:57
	s_waitcnt vmcnt(52)
	;; [unrolled: 7-line block ×3, first 2 shown]
	ds_write_b64 v65, v[244:245] offset:480
	ds_read_b64 v[0:1], v64
	s_waitcnt lgkmcnt(0)
	v_cmp_neq_f64_e32 vcc, 0, v[0:1]
	s_and_b64 exec, exec, vcc
	s_cbranch_execz .LBB121_119
; %bb.118:
	v_div_scale_f64 v[2:3], s[6:7], v[0:1], v[0:1], 1.0
	v_rcp_f64_e32 v[4:5], v[2:3]
	v_div_scale_f64 v[6:7], vcc, 1.0, v[0:1], 1.0
	v_fma_f64 v[8:9], -v[2:3], v[4:5], 1.0
	v_fmac_f64_e32 v[4:5], v[4:5], v[8:9]
	v_fma_f64 v[8:9], -v[2:3], v[4:5], 1.0
	v_fmac_f64_e32 v[4:5], v[4:5], v[8:9]
	v_mul_f64 v[8:9], v[6:7], v[4:5]
	v_fma_f64 v[2:3], -v[2:3], v[8:9], v[6:7]
	v_div_fmas_f64 v[2:3], v[2:3], v[4:5], v[8:9]
	v_div_fixup_f64 v[0:1], v[2:3], v[0:1], 1.0
	ds_write_b64 v64, v[0:1]
.LBB121_119:
	s_or_b64 exec, exec, s[2:3]
	s_waitcnt lgkmcnt(0)
	s_barrier
	ds_read_b64 v[0:1], v64
	v_cmp_lt_u32_e32 vcc, 23, v66
	s_waitcnt lgkmcnt(0)
	buffer_store_dword v0, off, s[16:19], 0 offset:432 ; 4-byte Folded Spill
	s_nop 0
	buffer_store_dword v1, off, s[16:19], 0 offset:436 ; 4-byte Folded Spill
	s_and_saveexec_b64 s[2:3], vcc
	s_cbranch_execz .LBB121_121
; %bb.120:
	buffer_load_dword v0, off, s[16:19], 0 offset:432 ; 4-byte Folded Reload
	buffer_load_dword v1, off, s[16:19], 0 offset:436 ; 4-byte Folded Reload
	s_waitcnt vmcnt(0)
	v_mul_f64 v[162:163], v[0:1], v[162:163]
	ds_read2_b64 v[0:3], v65 offset0:24 offset1:25
	s_waitcnt lgkmcnt(0)
	v_fma_f64 v[220:221], -v[162:163], v[0:1], v[220:221]
	v_fma_f64 v[160:161], -v[162:163], v[2:3], v[160:161]
	ds_read2_b64 v[0:3], v65 offset0:26 offset1:27
	s_waitcnt lgkmcnt(0)
	v_fma_f64 v[218:219], -v[162:163], v[0:1], v[218:219]
	v_fma_f64 v[158:159], -v[162:163], v[2:3], v[158:159]
	;; [unrolled: 4-line block ×17, first 2 shown]
	ds_read2_b64 v[0:3], v65 offset0:58 offset1:59
	s_waitcnt lgkmcnt(0)
	v_fma_f64 v[186:187], -v[162:163], v[0:1], v[186:187]
	ds_read_b64 v[0:1], v65 offset:480
	v_fma_f64 v[126:127], -v[162:163], v[2:3], v[126:127]
	s_waitcnt lgkmcnt(0)
	v_fma_f64 v[244:245], -v[162:163], v[0:1], v[244:245]
.LBB121_121:
	s_or_b64 exec, exec, s[2:3]
	v_cmp_eq_u32_e32 vcc, 24, v66
	s_waitcnt vmcnt(63) expcnt(7) lgkmcnt(15)
	s_barrier
	s_and_saveexec_b64 s[2:3], vcc
	s_cbranch_execz .LBB121_124
; %bb.122:
	ds_write_b64 v64, v[220:221]
	ds_write2_b64 v65, v[160:161], v[218:219] offset0:25 offset1:26
	ds_write2_b64 v65, v[158:159], v[216:217] offset0:27 offset1:28
	;; [unrolled: 1-line block ×15, first 2 shown]
	s_waitcnt vmcnt(60)
	ds_write2_b64 v65, v[130:131], v[188:189] offset0:55 offset1:56
	s_waitcnt vmcnt(54)
	ds_write2_b64 v65, v[128:129], v[186:187] offset0:57 offset1:58
	s_waitcnt vmcnt(48)
	ds_write2_b64 v65, v[126:127], v[244:245] offset0:59 offset1:60
	ds_read_b64 v[0:1], v64
	s_waitcnt lgkmcnt(0)
	v_cmp_neq_f64_e32 vcc, 0, v[0:1]
	s_and_b64 exec, exec, vcc
	s_cbranch_execz .LBB121_124
; %bb.123:
	v_div_scale_f64 v[2:3], s[6:7], v[0:1], v[0:1], 1.0
	v_rcp_f64_e32 v[4:5], v[2:3]
	v_div_scale_f64 v[6:7], vcc, 1.0, v[0:1], 1.0
	v_fma_f64 v[8:9], -v[2:3], v[4:5], 1.0
	v_fmac_f64_e32 v[4:5], v[4:5], v[8:9]
	v_fma_f64 v[8:9], -v[2:3], v[4:5], 1.0
	v_fmac_f64_e32 v[4:5], v[4:5], v[8:9]
	v_mul_f64 v[8:9], v[6:7], v[4:5]
	v_fma_f64 v[2:3], -v[2:3], v[8:9], v[6:7]
	v_div_fmas_f64 v[2:3], v[2:3], v[4:5], v[8:9]
	v_div_fixup_f64 v[0:1], v[2:3], v[0:1], 1.0
	ds_write_b64 v64, v[0:1]
.LBB121_124:
	s_or_b64 exec, exec, s[2:3]
	s_waitcnt lgkmcnt(0)
	s_barrier
	ds_read_b64 v[0:1], v64
	v_cmp_lt_u32_e32 vcc, 24, v66
	s_waitcnt lgkmcnt(0)
	buffer_store_dword v0, off, s[16:19], 0 offset:440 ; 4-byte Folded Spill
	s_nop 0
	buffer_store_dword v1, off, s[16:19], 0 offset:444 ; 4-byte Folded Spill
	s_and_saveexec_b64 s[2:3], vcc
	s_cbranch_execz .LBB121_126
; %bb.125:
	buffer_load_dword v0, off, s[16:19], 0 offset:440 ; 4-byte Folded Reload
	buffer_load_dword v1, off, s[16:19], 0 offset:444 ; 4-byte Folded Reload
	s_waitcnt vmcnt(0)
	v_mul_f64 v[220:221], v[0:1], v[220:221]
	ds_read2_b64 v[0:3], v65 offset0:25 offset1:26
	s_waitcnt lgkmcnt(0)
	v_fma_f64 v[160:161], -v[220:221], v[0:1], v[160:161]
	v_fma_f64 v[218:219], -v[220:221], v[2:3], v[218:219]
	ds_read2_b64 v[0:3], v65 offset0:27 offset1:28
	s_waitcnt lgkmcnt(0)
	v_fma_f64 v[158:159], -v[220:221], v[0:1], v[158:159]
	v_fma_f64 v[216:217], -v[220:221], v[2:3], v[216:217]
	;; [unrolled: 4-line block ×18, first 2 shown]
.LBB121_126:
	s_or_b64 exec, exec, s[2:3]
	v_cmp_eq_u32_e32 vcc, 25, v66
	s_waitcnt vmcnt(63) expcnt(7) lgkmcnt(15)
	s_barrier
	s_and_saveexec_b64 s[2:3], vcc
	s_cbranch_execz .LBB121_129
; %bb.127:
	v_mov_b32_e32 v0, v218
	v_mov_b32_e32 v1, v219
	;; [unrolled: 1-line block ×4, first 2 shown]
	ds_write_b64 v64, v[160:161]
	ds_write2_b64 v65, v[0:1], v[2:3] offset0:26 offset1:27
	v_mov_b32_e32 v0, v216
	v_mov_b32_e32 v1, v217
	v_mov_b32_e32 v2, v156
	v_mov_b32_e32 v3, v157
	ds_write2_b64 v65, v[0:1], v[2:3] offset0:28 offset1:29
	v_mov_b32_e32 v0, v214
	v_mov_b32_e32 v1, v215
	v_mov_b32_e32 v2, v154
	v_mov_b32_e32 v3, v155
	;; [unrolled: 5-line block ×14, first 2 shown]
	ds_write2_b64 v65, v[0:1], v[2:3] offset0:54 offset1:55
	s_waitcnt vmcnt(62)
	v_mov_b32_e32 v0, v188
	v_mov_b32_e32 v1, v189
	s_waitcnt vmcnt(59)
	v_mov_b32_e32 v2, v128
	v_mov_b32_e32 v3, v129
	ds_write2_b64 v65, v[0:1], v[2:3] offset0:56 offset1:57
	s_waitcnt vmcnt(56)
	v_mov_b32_e32 v0, v186
	v_mov_b32_e32 v1, v187
	s_waitcnt vmcnt(53)
	v_mov_b32_e32 v2, v126
	v_mov_b32_e32 v3, v127
	ds_write2_b64 v65, v[0:1], v[2:3] offset0:58 offset1:59
	s_waitcnt vmcnt(50)
	ds_write_b64 v65, v[244:245] offset:480
	ds_read_b64 v[0:1], v64
	s_waitcnt lgkmcnt(0)
	v_cmp_neq_f64_e32 vcc, 0, v[0:1]
	s_and_b64 exec, exec, vcc
	s_cbranch_execz .LBB121_129
; %bb.128:
	v_div_scale_f64 v[2:3], s[6:7], v[0:1], v[0:1], 1.0
	v_rcp_f64_e32 v[4:5], v[2:3]
	v_div_scale_f64 v[6:7], vcc, 1.0, v[0:1], 1.0
	v_fma_f64 v[8:9], -v[2:3], v[4:5], 1.0
	v_fmac_f64_e32 v[4:5], v[4:5], v[8:9]
	v_fma_f64 v[8:9], -v[2:3], v[4:5], 1.0
	v_fmac_f64_e32 v[4:5], v[4:5], v[8:9]
	v_mul_f64 v[8:9], v[6:7], v[4:5]
	v_fma_f64 v[2:3], -v[2:3], v[8:9], v[6:7]
	v_div_fmas_f64 v[2:3], v[2:3], v[4:5], v[8:9]
	v_div_fixup_f64 v[0:1], v[2:3], v[0:1], 1.0
	ds_write_b64 v64, v[0:1]
.LBB121_129:
	s_or_b64 exec, exec, s[2:3]
	s_waitcnt lgkmcnt(0)
	s_barrier
	ds_read_b64 v[0:1], v64
	v_cmp_lt_u32_e32 vcc, 25, v66
	s_waitcnt lgkmcnt(0)
	buffer_store_dword v0, off, s[16:19], 0 offset:448 ; 4-byte Folded Spill
	s_nop 0
	buffer_store_dword v1, off, s[16:19], 0 offset:452 ; 4-byte Folded Spill
	s_and_saveexec_b64 s[2:3], vcc
	s_cbranch_execz .LBB121_131
; %bb.130:
	buffer_load_dword v0, off, s[16:19], 0 offset:448 ; 4-byte Folded Reload
	buffer_load_dword v1, off, s[16:19], 0 offset:452 ; 4-byte Folded Reload
	s_waitcnt vmcnt(0)
	v_mul_f64 v[160:161], v[0:1], v[160:161]
	ds_read2_b64 v[0:3], v65 offset0:26 offset1:27
	s_waitcnt lgkmcnt(0)
	v_fma_f64 v[218:219], -v[160:161], v[0:1], v[218:219]
	v_fma_f64 v[158:159], -v[160:161], v[2:3], v[158:159]
	ds_read2_b64 v[0:3], v65 offset0:28 offset1:29
	s_waitcnt lgkmcnt(0)
	v_fma_f64 v[216:217], -v[160:161], v[0:1], v[216:217]
	v_fma_f64 v[156:157], -v[160:161], v[2:3], v[156:157]
	;; [unrolled: 4-line block ×16, first 2 shown]
	ds_read2_b64 v[0:3], v65 offset0:58 offset1:59
	s_waitcnt lgkmcnt(0)
	v_fma_f64 v[186:187], -v[160:161], v[0:1], v[186:187]
	ds_read_b64 v[0:1], v65 offset:480
	v_fma_f64 v[126:127], -v[160:161], v[2:3], v[126:127]
	s_waitcnt lgkmcnt(0)
	v_fma_f64 v[244:245], -v[160:161], v[0:1], v[244:245]
.LBB121_131:
	s_or_b64 exec, exec, s[2:3]
	v_cmp_eq_u32_e32 vcc, 26, v66
	s_waitcnt vmcnt(63) expcnt(7) lgkmcnt(15)
	s_barrier
	s_and_saveexec_b64 s[2:3], vcc
	s_cbranch_execz .LBB121_134
; %bb.132:
	ds_write_b64 v64, v[218:219]
	ds_write2_b64 v65, v[158:159], v[216:217] offset0:27 offset1:28
	ds_write2_b64 v65, v[156:157], v[214:215] offset0:29 offset1:30
	;; [unrolled: 1-line block ×15, first 2 shown]
	s_waitcnt vmcnt(58)
	ds_write2_b64 v65, v[128:129], v[186:187] offset0:57 offset1:58
	s_waitcnt vmcnt(52)
	ds_write2_b64 v65, v[126:127], v[244:245] offset0:59 offset1:60
	ds_read_b64 v[0:1], v64
	s_waitcnt lgkmcnt(0)
	v_cmp_neq_f64_e32 vcc, 0, v[0:1]
	s_and_b64 exec, exec, vcc
	s_cbranch_execz .LBB121_134
; %bb.133:
	v_div_scale_f64 v[2:3], s[6:7], v[0:1], v[0:1], 1.0
	v_rcp_f64_e32 v[4:5], v[2:3]
	v_div_scale_f64 v[6:7], vcc, 1.0, v[0:1], 1.0
	v_fma_f64 v[8:9], -v[2:3], v[4:5], 1.0
	v_fmac_f64_e32 v[4:5], v[4:5], v[8:9]
	v_fma_f64 v[8:9], -v[2:3], v[4:5], 1.0
	v_fmac_f64_e32 v[4:5], v[4:5], v[8:9]
	v_mul_f64 v[8:9], v[6:7], v[4:5]
	v_fma_f64 v[2:3], -v[2:3], v[8:9], v[6:7]
	v_div_fmas_f64 v[2:3], v[2:3], v[4:5], v[8:9]
	v_div_fixup_f64 v[0:1], v[2:3], v[0:1], 1.0
	ds_write_b64 v64, v[0:1]
.LBB121_134:
	s_or_b64 exec, exec, s[2:3]
	s_waitcnt lgkmcnt(0)
	s_barrier
	ds_read_b64 v[0:1], v64
	v_cmp_lt_u32_e32 vcc, 26, v66
	s_waitcnt lgkmcnt(0)
	buffer_store_dword v0, off, s[16:19], 0 offset:456 ; 4-byte Folded Spill
	s_nop 0
	buffer_store_dword v1, off, s[16:19], 0 offset:460 ; 4-byte Folded Spill
	s_and_saveexec_b64 s[2:3], vcc
	s_cbranch_execz .LBB121_136
; %bb.135:
	buffer_load_dword v0, off, s[16:19], 0 offset:456 ; 4-byte Folded Reload
	buffer_load_dword v1, off, s[16:19], 0 offset:460 ; 4-byte Folded Reload
	s_waitcnt vmcnt(0)
	v_mul_f64 v[218:219], v[0:1], v[218:219]
	ds_read2_b64 v[0:3], v65 offset0:27 offset1:28
	s_waitcnt lgkmcnt(0)
	v_fma_f64 v[158:159], -v[218:219], v[0:1], v[158:159]
	v_fma_f64 v[216:217], -v[218:219], v[2:3], v[216:217]
	ds_read2_b64 v[0:3], v65 offset0:29 offset1:30
	s_waitcnt lgkmcnt(0)
	v_fma_f64 v[156:157], -v[218:219], v[0:1], v[156:157]
	v_fma_f64 v[214:215], -v[218:219], v[2:3], v[214:215]
	ds_read2_b64 v[0:3], v65 offset0:31 offset1:32
	s_waitcnt lgkmcnt(0)
	v_fma_f64 v[154:155], -v[218:219], v[0:1], v[154:155]
	v_fma_f64 v[212:213], -v[218:219], v[2:3], v[212:213]
	ds_read2_b64 v[0:3], v65 offset0:33 offset1:34
	s_waitcnt lgkmcnt(0)
	v_fma_f64 v[152:153], -v[218:219], v[0:1], v[152:153]
	v_fma_f64 v[210:211], -v[218:219], v[2:3], v[210:211]
	ds_read2_b64 v[0:3], v65 offset0:35 offset1:36
	s_waitcnt lgkmcnt(0)
	v_fma_f64 v[150:151], -v[218:219], v[0:1], v[150:151]
	v_fma_f64 v[208:209], -v[218:219], v[2:3], v[208:209]
	ds_read2_b64 v[0:3], v65 offset0:37 offset1:38
	s_waitcnt lgkmcnt(0)
	v_fma_f64 v[148:149], -v[218:219], v[0:1], v[148:149]
	v_fma_f64 v[206:207], -v[218:219], v[2:3], v[206:207]
	ds_read2_b64 v[0:3], v65 offset0:39 offset1:40
	s_waitcnt lgkmcnt(0)
	v_fma_f64 v[146:147], -v[218:219], v[0:1], v[146:147]
	v_fma_f64 v[204:205], -v[218:219], v[2:3], v[204:205]
	ds_read2_b64 v[0:3], v65 offset0:41 offset1:42
	s_waitcnt lgkmcnt(0)
	v_fma_f64 v[144:145], -v[218:219], v[0:1], v[144:145]
	v_fma_f64 v[202:203], -v[218:219], v[2:3], v[202:203]
	ds_read2_b64 v[0:3], v65 offset0:43 offset1:44
	s_waitcnt lgkmcnt(0)
	v_fma_f64 v[142:143], -v[218:219], v[0:1], v[142:143]
	v_fma_f64 v[200:201], -v[218:219], v[2:3], v[200:201]
	ds_read2_b64 v[0:3], v65 offset0:45 offset1:46
	s_waitcnt lgkmcnt(0)
	v_fma_f64 v[140:141], -v[218:219], v[0:1], v[140:141]
	v_fma_f64 v[198:199], -v[218:219], v[2:3], v[198:199]
	ds_read2_b64 v[0:3], v65 offset0:47 offset1:48
	s_waitcnt lgkmcnt(0)
	v_fma_f64 v[138:139], -v[218:219], v[0:1], v[138:139]
	v_fma_f64 v[196:197], -v[218:219], v[2:3], v[196:197]
	ds_read2_b64 v[0:3], v65 offset0:49 offset1:50
	s_waitcnt lgkmcnt(0)
	v_fma_f64 v[136:137], -v[218:219], v[0:1], v[136:137]
	v_fma_f64 v[194:195], -v[218:219], v[2:3], v[194:195]
	ds_read2_b64 v[0:3], v65 offset0:51 offset1:52
	s_waitcnt lgkmcnt(0)
	v_fma_f64 v[134:135], -v[218:219], v[0:1], v[134:135]
	v_fma_f64 v[192:193], -v[218:219], v[2:3], v[192:193]
	ds_read2_b64 v[0:3], v65 offset0:53 offset1:54
	s_waitcnt lgkmcnt(0)
	v_fma_f64 v[132:133], -v[218:219], v[0:1], v[132:133]
	v_fma_f64 v[190:191], -v[218:219], v[2:3], v[190:191]
	ds_read2_b64 v[0:3], v65 offset0:55 offset1:56
	s_waitcnt lgkmcnt(0)
	v_fma_f64 v[130:131], -v[218:219], v[0:1], v[130:131]
	v_fma_f64 v[188:189], -v[218:219], v[2:3], v[188:189]
	ds_read2_b64 v[0:3], v65 offset0:57 offset1:58
	s_waitcnt lgkmcnt(0)
	v_fma_f64 v[128:129], -v[218:219], v[0:1], v[128:129]
	v_fma_f64 v[186:187], -v[218:219], v[2:3], v[186:187]
	ds_read2_b64 v[0:3], v65 offset0:59 offset1:60
	s_waitcnt lgkmcnt(0)
	v_fma_f64 v[126:127], -v[218:219], v[0:1], v[126:127]
	v_fma_f64 v[244:245], -v[218:219], v[2:3], v[244:245]
.LBB121_136:
	s_or_b64 exec, exec, s[2:3]
	v_cmp_eq_u32_e32 vcc, 27, v66
	s_waitcnt vmcnt(63) expcnt(7) lgkmcnt(15)
	s_barrier
	s_and_saveexec_b64 s[2:3], vcc
	s_cbranch_execz .LBB121_139
; %bb.137:
	v_mov_b32_e32 v0, v216
	v_mov_b32_e32 v1, v217
	;; [unrolled: 1-line block ×4, first 2 shown]
	ds_write_b64 v64, v[158:159]
	ds_write2_b64 v65, v[0:1], v[2:3] offset0:28 offset1:29
	v_mov_b32_e32 v0, v214
	v_mov_b32_e32 v1, v215
	v_mov_b32_e32 v2, v154
	v_mov_b32_e32 v3, v155
	ds_write2_b64 v65, v[0:1], v[2:3] offset0:30 offset1:31
	v_mov_b32_e32 v0, v212
	v_mov_b32_e32 v1, v213
	v_mov_b32_e32 v2, v152
	v_mov_b32_e32 v3, v153
	;; [unrolled: 5-line block ×14, first 2 shown]
	ds_write2_b64 v65, v[0:1], v[2:3] offset0:56 offset1:57
	s_waitcnt vmcnt(60)
	v_mov_b32_e32 v0, v186
	v_mov_b32_e32 v1, v187
	s_waitcnt vmcnt(57)
	v_mov_b32_e32 v2, v126
	v_mov_b32_e32 v3, v127
	ds_write2_b64 v65, v[0:1], v[2:3] offset0:58 offset1:59
	s_waitcnt vmcnt(54)
	ds_write_b64 v65, v[244:245] offset:480
	ds_read_b64 v[0:1], v64
	s_waitcnt lgkmcnt(0)
	v_cmp_neq_f64_e32 vcc, 0, v[0:1]
	s_and_b64 exec, exec, vcc
	s_cbranch_execz .LBB121_139
; %bb.138:
	v_div_scale_f64 v[2:3], s[6:7], v[0:1], v[0:1], 1.0
	v_rcp_f64_e32 v[4:5], v[2:3]
	v_div_scale_f64 v[6:7], vcc, 1.0, v[0:1], 1.0
	v_fma_f64 v[8:9], -v[2:3], v[4:5], 1.0
	v_fmac_f64_e32 v[4:5], v[4:5], v[8:9]
	v_fma_f64 v[8:9], -v[2:3], v[4:5], 1.0
	v_fmac_f64_e32 v[4:5], v[4:5], v[8:9]
	v_mul_f64 v[8:9], v[6:7], v[4:5]
	v_fma_f64 v[2:3], -v[2:3], v[8:9], v[6:7]
	v_div_fmas_f64 v[2:3], v[2:3], v[4:5], v[8:9]
	v_div_fixup_f64 v[0:1], v[2:3], v[0:1], 1.0
	ds_write_b64 v64, v[0:1]
.LBB121_139:
	s_or_b64 exec, exec, s[2:3]
	s_waitcnt lgkmcnt(0)
	s_barrier
	ds_read_b64 v[0:1], v64
	v_cmp_lt_u32_e32 vcc, 27, v66
	s_waitcnt lgkmcnt(0)
	buffer_store_dword v0, off, s[16:19], 0 offset:464 ; 4-byte Folded Spill
	s_nop 0
	buffer_store_dword v1, off, s[16:19], 0 offset:468 ; 4-byte Folded Spill
	s_and_saveexec_b64 s[2:3], vcc
	s_cbranch_execz .LBB121_141
; %bb.140:
	buffer_load_dword v0, off, s[16:19], 0 offset:464 ; 4-byte Folded Reload
	buffer_load_dword v1, off, s[16:19], 0 offset:468 ; 4-byte Folded Reload
	s_waitcnt vmcnt(0)
	v_mul_f64 v[158:159], v[0:1], v[158:159]
	ds_read2_b64 v[0:3], v65 offset0:28 offset1:29
	s_waitcnt lgkmcnt(0)
	v_fma_f64 v[216:217], -v[158:159], v[0:1], v[216:217]
	v_fma_f64 v[156:157], -v[158:159], v[2:3], v[156:157]
	ds_read2_b64 v[0:3], v65 offset0:30 offset1:31
	s_waitcnt lgkmcnt(0)
	v_fma_f64 v[214:215], -v[158:159], v[0:1], v[214:215]
	v_fma_f64 v[154:155], -v[158:159], v[2:3], v[154:155]
	;; [unrolled: 4-line block ×15, first 2 shown]
	ds_read2_b64 v[0:3], v65 offset0:58 offset1:59
	s_waitcnt lgkmcnt(0)
	v_fma_f64 v[186:187], -v[158:159], v[0:1], v[186:187]
	ds_read_b64 v[0:1], v65 offset:480
	v_fma_f64 v[126:127], -v[158:159], v[2:3], v[126:127]
	s_waitcnt lgkmcnt(0)
	v_fma_f64 v[244:245], -v[158:159], v[0:1], v[244:245]
.LBB121_141:
	s_or_b64 exec, exec, s[2:3]
	v_cmp_eq_u32_e32 vcc, 28, v66
	s_waitcnt vmcnt(63) expcnt(7) lgkmcnt(15)
	s_barrier
	s_and_saveexec_b64 s[2:3], vcc
	s_cbranch_execz .LBB121_144
; %bb.142:
	ds_write_b64 v64, v[216:217]
	ds_write2_b64 v65, v[156:157], v[214:215] offset0:29 offset1:30
	ds_write2_b64 v65, v[154:155], v[212:213] offset0:31 offset1:32
	;; [unrolled: 1-line block ×14, first 2 shown]
	s_waitcnt vmcnt(62)
	ds_write2_b64 v65, v[128:129], v[186:187] offset0:57 offset1:58
	s_waitcnt vmcnt(56)
	ds_write2_b64 v65, v[126:127], v[244:245] offset0:59 offset1:60
	ds_read_b64 v[0:1], v64
	s_waitcnt lgkmcnt(0)
	v_cmp_neq_f64_e32 vcc, 0, v[0:1]
	s_and_b64 exec, exec, vcc
	s_cbranch_execz .LBB121_144
; %bb.143:
	v_div_scale_f64 v[2:3], s[6:7], v[0:1], v[0:1], 1.0
	v_rcp_f64_e32 v[4:5], v[2:3]
	v_div_scale_f64 v[6:7], vcc, 1.0, v[0:1], 1.0
	v_fma_f64 v[8:9], -v[2:3], v[4:5], 1.0
	v_fmac_f64_e32 v[4:5], v[4:5], v[8:9]
	v_fma_f64 v[8:9], -v[2:3], v[4:5], 1.0
	v_fmac_f64_e32 v[4:5], v[4:5], v[8:9]
	v_mul_f64 v[8:9], v[6:7], v[4:5]
	v_fma_f64 v[2:3], -v[2:3], v[8:9], v[6:7]
	v_div_fmas_f64 v[2:3], v[2:3], v[4:5], v[8:9]
	v_div_fixup_f64 v[0:1], v[2:3], v[0:1], 1.0
	ds_write_b64 v64, v[0:1]
.LBB121_144:
	s_or_b64 exec, exec, s[2:3]
	s_waitcnt lgkmcnt(0)
	s_barrier
	ds_read_b64 v[2:3], v64
	v_cmp_lt_u32_e32 vcc, 28, v66
	s_and_saveexec_b64 s[2:3], vcc
	s_cbranch_execz .LBB121_146
; %bb.145:
	ds_read2_b64 v[4:7], v65 offset0:29 offset1:30
	s_waitcnt lgkmcnt(1)
	v_mul_f64 v[216:217], v[2:3], v[216:217]
	s_waitcnt lgkmcnt(0)
	v_fma_f64 v[156:157], -v[216:217], v[4:5], v[156:157]
	v_fma_f64 v[214:215], -v[216:217], v[6:7], v[214:215]
	ds_read2_b64 v[4:7], v65 offset0:31 offset1:32
	s_waitcnt lgkmcnt(0)
	v_fma_f64 v[154:155], -v[216:217], v[4:5], v[154:155]
	v_fma_f64 v[212:213], -v[216:217], v[6:7], v[212:213]
	ds_read2_b64 v[4:7], v65 offset0:33 offset1:34
	;; [unrolled: 4-line block ×14, first 2 shown]
	s_waitcnt lgkmcnt(0)
	v_fma_f64 v[128:129], -v[216:217], v[4:5], v[128:129]
	s_waitcnt vmcnt(62)
	v_fma_f64 v[186:187], -v[216:217], v[6:7], v[186:187]
	ds_read2_b64 v[4:7], v65 offset0:59 offset1:60
	s_waitcnt vmcnt(59) lgkmcnt(0)
	v_fma_f64 v[126:127], -v[216:217], v[4:5], v[126:127]
	s_waitcnt vmcnt(56)
	v_fma_f64 v[244:245], -v[216:217], v[6:7], v[244:245]
.LBB121_146:
	s_or_b64 exec, exec, s[2:3]
	v_cmp_eq_u32_e32 vcc, 29, v66
	s_waitcnt lgkmcnt(0)
	s_barrier
	s_and_saveexec_b64 s[2:3], vcc
	s_cbranch_execz .LBB121_149
; %bb.147:
	v_mov_b32_e32 v0, v214
	v_mov_b32_e32 v1, v215
	;; [unrolled: 1-line block ×4, first 2 shown]
	ds_write_b64 v64, v[156:157]
	ds_write2_b64 v65, v[0:1], v[4:5] offset0:30 offset1:31
	v_mov_b32_e32 v0, v212
	v_mov_b32_e32 v1, v213
	v_mov_b32_e32 v4, v152
	v_mov_b32_e32 v5, v153
	ds_write2_b64 v65, v[0:1], v[4:5] offset0:32 offset1:33
	v_mov_b32_e32 v0, v210
	v_mov_b32_e32 v1, v211
	v_mov_b32_e32 v4, v150
	v_mov_b32_e32 v5, v151
	;; [unrolled: 5-line block ×13, first 2 shown]
	ds_write2_b64 v65, v[0:1], v[4:5] offset0:56 offset1:57
	s_waitcnt vmcnt(62)
	v_mov_b32_e32 v0, v186
	v_mov_b32_e32 v1, v187
	s_waitcnt vmcnt(59)
	v_mov_b32_e32 v4, v126
	v_mov_b32_e32 v5, v127
	ds_write2_b64 v65, v[0:1], v[4:5] offset0:58 offset1:59
	s_waitcnt vmcnt(56)
	ds_write_b64 v65, v[244:245] offset:480
	ds_read_b64 v[0:1], v64
	s_waitcnt lgkmcnt(0)
	v_cmp_neq_f64_e32 vcc, 0, v[0:1]
	s_and_b64 exec, exec, vcc
	s_cbranch_execz .LBB121_149
; %bb.148:
	v_div_scale_f64 v[4:5], s[6:7], v[0:1], v[0:1], 1.0
	v_rcp_f64_e32 v[6:7], v[4:5]
	v_div_scale_f64 v[8:9], vcc, 1.0, v[0:1], 1.0
	v_fma_f64 v[10:11], -v[4:5], v[6:7], 1.0
	v_fmac_f64_e32 v[6:7], v[6:7], v[10:11]
	v_fma_f64 v[10:11], -v[4:5], v[6:7], 1.0
	v_fmac_f64_e32 v[6:7], v[6:7], v[10:11]
	v_mul_f64 v[10:11], v[8:9], v[6:7]
	v_fma_f64 v[4:5], -v[4:5], v[10:11], v[8:9]
	v_div_fmas_f64 v[4:5], v[4:5], v[6:7], v[10:11]
	v_div_fixup_f64 v[0:1], v[4:5], v[0:1], 1.0
	ds_write_b64 v64, v[0:1]
.LBB121_149:
	s_or_b64 exec, exec, s[2:3]
	s_waitcnt lgkmcnt(0)
	s_barrier
	ds_read_b64 v[0:1], v64
	v_cmp_lt_u32_e32 vcc, 29, v66
	s_waitcnt lgkmcnt(0)
	buffer_store_dword v0, off, s[16:19], 0 offset:472 ; 4-byte Folded Spill
	s_nop 0
	buffer_store_dword v1, off, s[16:19], 0 offset:476 ; 4-byte Folded Spill
	s_and_saveexec_b64 s[2:3], vcc
	s_cbranch_execz .LBB121_151
; %bb.150:
	buffer_load_dword v0, off, s[16:19], 0 offset:472 ; 4-byte Folded Reload
	buffer_load_dword v1, off, s[16:19], 0 offset:476 ; 4-byte Folded Reload
	ds_read2_b64 v[4:7], v65 offset0:30 offset1:31
	s_waitcnt vmcnt(0)
	v_mul_f64 v[156:157], v[0:1], v[156:157]
	s_waitcnt lgkmcnt(0)
	v_fma_f64 v[214:215], -v[156:157], v[4:5], v[214:215]
	v_fma_f64 v[154:155], -v[156:157], v[6:7], v[154:155]
	ds_read2_b64 v[4:7], v65 offset0:32 offset1:33
	s_waitcnt lgkmcnt(0)
	v_fma_f64 v[212:213], -v[156:157], v[4:5], v[212:213]
	v_fma_f64 v[152:153], -v[156:157], v[6:7], v[152:153]
	ds_read2_b64 v[4:7], v65 offset0:34 offset1:35
	;; [unrolled: 4-line block ×14, first 2 shown]
	s_waitcnt lgkmcnt(0)
	v_fma_f64 v[186:187], -v[156:157], v[4:5], v[186:187]
	ds_read_b64 v[4:5], v65 offset:480
	v_fma_f64 v[126:127], -v[156:157], v[6:7], v[126:127]
	s_waitcnt lgkmcnt(0)
	v_fma_f64 v[244:245], -v[156:157], v[4:5], v[244:245]
.LBB121_151:
	s_or_b64 exec, exec, s[2:3]
	v_cmp_eq_u32_e32 vcc, 30, v66
	s_waitcnt vmcnt(63) expcnt(7) lgkmcnt(15)
	s_barrier
	s_and_saveexec_b64 s[2:3], vcc
	s_cbranch_execz .LBB121_154
; %bb.152:
	ds_write_b64 v64, v[214:215]
	ds_write2_b64 v65, v[154:155], v[212:213] offset0:31 offset1:32
	ds_write2_b64 v65, v[152:153], v[210:211] offset0:33 offset1:34
	;; [unrolled: 1-line block ×14, first 2 shown]
	s_waitcnt vmcnt(58)
	ds_write2_b64 v65, v[126:127], v[244:245] offset0:59 offset1:60
	ds_read_b64 v[4:5], v64
	s_waitcnt lgkmcnt(0)
	v_cmp_neq_f64_e32 vcc, 0, v[4:5]
	s_and_b64 exec, exec, vcc
	s_cbranch_execz .LBB121_154
; %bb.153:
	v_div_scale_f64 v[6:7], s[6:7], v[4:5], v[4:5], 1.0
	v_rcp_f64_e32 v[8:9], v[6:7]
	v_div_scale_f64 v[10:11], vcc, 1.0, v[4:5], 1.0
	v_fma_f64 v[12:13], -v[6:7], v[8:9], 1.0
	v_fmac_f64_e32 v[8:9], v[8:9], v[12:13]
	v_fma_f64 v[12:13], -v[6:7], v[8:9], 1.0
	v_fmac_f64_e32 v[8:9], v[8:9], v[12:13]
	v_mul_f64 v[12:13], v[10:11], v[8:9]
	v_fma_f64 v[6:7], -v[6:7], v[12:13], v[10:11]
	v_div_fmas_f64 v[6:7], v[6:7], v[8:9], v[12:13]
	v_div_fixup_f64 v[4:5], v[6:7], v[4:5], 1.0
	ds_write_b64 v64, v[4:5]
.LBB121_154:
	s_or_b64 exec, exec, s[2:3]
	s_waitcnt lgkmcnt(0)
	s_barrier
	ds_read_b64 v[4:5], v64
	v_cmp_lt_u32_e32 vcc, 30, v66
	s_and_saveexec_b64 s[2:3], vcc
	s_cbranch_execz .LBB121_156
; %bb.155:
	ds_read2_b64 v[6:9], v65 offset0:31 offset1:32
	s_waitcnt lgkmcnt(1)
	v_mul_f64 v[214:215], v[4:5], v[214:215]
	s_waitcnt lgkmcnt(0)
	v_fma_f64 v[154:155], -v[214:215], v[6:7], v[154:155]
	v_fma_f64 v[212:213], -v[214:215], v[8:9], v[212:213]
	ds_read2_b64 v[6:9], v65 offset0:33 offset1:34
	s_waitcnt lgkmcnt(0)
	v_fma_f64 v[152:153], -v[214:215], v[6:7], v[152:153]
	v_fma_f64 v[210:211], -v[214:215], v[8:9], v[210:211]
	ds_read2_b64 v[6:9], v65 offset0:35 offset1:36
	;; [unrolled: 4-line block ×14, first 2 shown]
	s_waitcnt vmcnt(61) lgkmcnt(0)
	v_fma_f64 v[126:127], -v[214:215], v[6:7], v[126:127]
	s_waitcnt vmcnt(58)
	v_fma_f64 v[244:245], -v[214:215], v[8:9], v[244:245]
.LBB121_156:
	s_or_b64 exec, exec, s[2:3]
	v_cmp_eq_u32_e32 vcc, 31, v66
	s_waitcnt lgkmcnt(0)
	s_barrier
	s_and_saveexec_b64 s[2:3], vcc
	s_cbranch_execz .LBB121_159
; %bb.157:
	v_mov_b32_e32 v6, v212
	v_mov_b32_e32 v7, v213
	;; [unrolled: 1-line block ×4, first 2 shown]
	ds_write_b64 v64, v[154:155]
	ds_write2_b64 v65, v[6:7], v[8:9] offset0:32 offset1:33
	v_mov_b32_e32 v6, v210
	v_mov_b32_e32 v7, v211
	v_mov_b32_e32 v8, v150
	v_mov_b32_e32 v9, v151
	ds_write2_b64 v65, v[6:7], v[8:9] offset0:34 offset1:35
	v_mov_b32_e32 v6, v208
	v_mov_b32_e32 v7, v209
	v_mov_b32_e32 v8, v148
	v_mov_b32_e32 v9, v149
	;; [unrolled: 5-line block ×12, first 2 shown]
	ds_write2_b64 v65, v[6:7], v[8:9] offset0:56 offset1:57
	v_mov_b32_e32 v6, v186
	v_mov_b32_e32 v7, v187
	s_waitcnt vmcnt(61)
	v_mov_b32_e32 v8, v126
	v_mov_b32_e32 v9, v127
	ds_write2_b64 v65, v[6:7], v[8:9] offset0:58 offset1:59
	s_waitcnt vmcnt(58)
	ds_write_b64 v65, v[244:245] offset:480
	ds_read_b64 v[6:7], v64
	s_waitcnt lgkmcnt(0)
	v_cmp_neq_f64_e32 vcc, 0, v[6:7]
	s_and_b64 exec, exec, vcc
	s_cbranch_execz .LBB121_159
; %bb.158:
	v_div_scale_f64 v[8:9], s[6:7], v[6:7], v[6:7], 1.0
	v_rcp_f64_e32 v[10:11], v[8:9]
	v_div_scale_f64 v[12:13], vcc, 1.0, v[6:7], 1.0
	v_fma_f64 v[14:15], -v[8:9], v[10:11], 1.0
	v_fmac_f64_e32 v[10:11], v[10:11], v[14:15]
	v_fma_f64 v[14:15], -v[8:9], v[10:11], 1.0
	v_fmac_f64_e32 v[10:11], v[10:11], v[14:15]
	v_mul_f64 v[14:15], v[12:13], v[10:11]
	v_fma_f64 v[8:9], -v[8:9], v[14:15], v[12:13]
	v_div_fmas_f64 v[8:9], v[8:9], v[10:11], v[14:15]
	v_div_fixup_f64 v[6:7], v[8:9], v[6:7], 1.0
	ds_write_b64 v64, v[6:7]
.LBB121_159:
	s_or_b64 exec, exec, s[2:3]
	s_waitcnt lgkmcnt(0)
	s_barrier
	ds_read_b64 v[6:7], v64
	v_cmp_lt_u32_e32 vcc, 31, v66
	s_and_saveexec_b64 s[2:3], vcc
	s_cbranch_execz .LBB121_161
; %bb.160:
	ds_read2_b64 v[8:11], v65 offset0:32 offset1:33
	s_waitcnt lgkmcnt(1)
	v_mul_f64 v[154:155], v[6:7], v[154:155]
	s_waitcnt lgkmcnt(0)
	v_fma_f64 v[212:213], -v[154:155], v[8:9], v[212:213]
	v_fma_f64 v[152:153], -v[154:155], v[10:11], v[152:153]
	ds_read2_b64 v[8:11], v65 offset0:34 offset1:35
	s_waitcnt lgkmcnt(0)
	v_fma_f64 v[210:211], -v[154:155], v[8:9], v[210:211]
	v_fma_f64 v[150:151], -v[154:155], v[10:11], v[150:151]
	ds_read2_b64 v[8:11], v65 offset0:36 offset1:37
	;; [unrolled: 4-line block ×13, first 2 shown]
	s_waitcnt lgkmcnt(0)
	v_fma_f64 v[186:187], -v[154:155], v[8:9], v[186:187]
	ds_read_b64 v[8:9], v65 offset:480
	s_waitcnt vmcnt(61)
	v_fma_f64 v[126:127], -v[154:155], v[10:11], v[126:127]
	s_waitcnt vmcnt(58) lgkmcnt(0)
	v_fma_f64 v[244:245], -v[154:155], v[8:9], v[244:245]
.LBB121_161:
	s_or_b64 exec, exec, s[2:3]
	v_cmp_eq_u32_e32 vcc, 32, v66
	s_waitcnt lgkmcnt(0)
	s_barrier
	s_and_saveexec_b64 s[2:3], vcc
	s_cbranch_execz .LBB121_164
; %bb.162:
	ds_write_b64 v64, v[212:213]
	ds_write2_b64 v65, v[152:153], v[210:211] offset0:33 offset1:34
	ds_write2_b64 v65, v[150:151], v[208:209] offset0:35 offset1:36
	;; [unrolled: 1-line block ×13, first 2 shown]
	s_waitcnt vmcnt(58)
	ds_write2_b64 v65, v[126:127], v[244:245] offset0:59 offset1:60
	ds_read_b64 v[8:9], v64
	s_waitcnt lgkmcnt(0)
	v_cmp_neq_f64_e32 vcc, 0, v[8:9]
	s_and_b64 exec, exec, vcc
	s_cbranch_execz .LBB121_164
; %bb.163:
	v_div_scale_f64 v[10:11], s[6:7], v[8:9], v[8:9], 1.0
	v_rcp_f64_e32 v[12:13], v[10:11]
	v_div_scale_f64 v[14:15], vcc, 1.0, v[8:9], 1.0
	v_fma_f64 v[16:17], -v[10:11], v[12:13], 1.0
	v_fmac_f64_e32 v[12:13], v[12:13], v[16:17]
	v_fma_f64 v[16:17], -v[10:11], v[12:13], 1.0
	v_fmac_f64_e32 v[12:13], v[12:13], v[16:17]
	v_mul_f64 v[16:17], v[14:15], v[12:13]
	v_fma_f64 v[10:11], -v[10:11], v[16:17], v[14:15]
	v_div_fmas_f64 v[10:11], v[10:11], v[12:13], v[16:17]
	v_div_fixup_f64 v[8:9], v[10:11], v[8:9], 1.0
	ds_write_b64 v64, v[8:9]
.LBB121_164:
	s_or_b64 exec, exec, s[2:3]
	s_waitcnt lgkmcnt(0)
	s_barrier
	ds_read_b64 v[8:9], v64
	v_cmp_lt_u32_e32 vcc, 32, v66
	s_and_saveexec_b64 s[2:3], vcc
	s_cbranch_execz .LBB121_166
; %bb.165:
	ds_read2_b64 v[10:13], v65 offset0:33 offset1:34
	s_waitcnt lgkmcnt(1)
	v_mul_f64 v[212:213], v[8:9], v[212:213]
	s_waitcnt lgkmcnt(0)
	v_fma_f64 v[152:153], -v[212:213], v[10:11], v[152:153]
	v_fma_f64 v[210:211], -v[212:213], v[12:13], v[210:211]
	ds_read2_b64 v[10:13], v65 offset0:35 offset1:36
	s_waitcnt lgkmcnt(0)
	v_fma_f64 v[150:151], -v[212:213], v[10:11], v[150:151]
	v_fma_f64 v[208:209], -v[212:213], v[12:13], v[208:209]
	ds_read2_b64 v[10:13], v65 offset0:37 offset1:38
	;; [unrolled: 4-line block ×13, first 2 shown]
	s_waitcnt vmcnt(61) lgkmcnt(0)
	v_fma_f64 v[126:127], -v[212:213], v[10:11], v[126:127]
	s_waitcnt vmcnt(58)
	v_fma_f64 v[244:245], -v[212:213], v[12:13], v[244:245]
.LBB121_166:
	s_or_b64 exec, exec, s[2:3]
	v_cmp_eq_u32_e32 vcc, 33, v66
	s_waitcnt lgkmcnt(0)
	s_barrier
	s_and_saveexec_b64 s[2:3], vcc
	s_cbranch_execz .LBB121_169
; %bb.167:
	v_mov_b32_e32 v10, v210
	v_mov_b32_e32 v11, v211
	;; [unrolled: 1-line block ×4, first 2 shown]
	ds_write_b64 v64, v[152:153]
	ds_write2_b64 v65, v[10:11], v[12:13] offset0:34 offset1:35
	v_mov_b32_e32 v10, v208
	v_mov_b32_e32 v11, v209
	v_mov_b32_e32 v12, v148
	v_mov_b32_e32 v13, v149
	ds_write2_b64 v65, v[10:11], v[12:13] offset0:36 offset1:37
	v_mov_b32_e32 v10, v206
	v_mov_b32_e32 v11, v207
	v_mov_b32_e32 v12, v146
	v_mov_b32_e32 v13, v147
	;; [unrolled: 5-line block ×11, first 2 shown]
	ds_write2_b64 v65, v[10:11], v[12:13] offset0:56 offset1:57
	v_mov_b32_e32 v10, v186
	v_mov_b32_e32 v11, v187
	s_waitcnt vmcnt(61)
	v_mov_b32_e32 v12, v126
	v_mov_b32_e32 v13, v127
	ds_write2_b64 v65, v[10:11], v[12:13] offset0:58 offset1:59
	s_waitcnt vmcnt(58)
	ds_write_b64 v65, v[244:245] offset:480
	ds_read_b64 v[10:11], v64
	s_waitcnt lgkmcnt(0)
	v_cmp_neq_f64_e32 vcc, 0, v[10:11]
	s_and_b64 exec, exec, vcc
	s_cbranch_execz .LBB121_169
; %bb.168:
	v_div_scale_f64 v[12:13], s[6:7], v[10:11], v[10:11], 1.0
	v_rcp_f64_e32 v[14:15], v[12:13]
	v_div_scale_f64 v[16:17], vcc, 1.0, v[10:11], 1.0
	v_fma_f64 v[18:19], -v[12:13], v[14:15], 1.0
	v_fmac_f64_e32 v[14:15], v[14:15], v[18:19]
	v_fma_f64 v[18:19], -v[12:13], v[14:15], 1.0
	v_fmac_f64_e32 v[14:15], v[14:15], v[18:19]
	v_mul_f64 v[18:19], v[16:17], v[14:15]
	v_fma_f64 v[12:13], -v[12:13], v[18:19], v[16:17]
	v_div_fmas_f64 v[12:13], v[12:13], v[14:15], v[18:19]
	v_div_fixup_f64 v[10:11], v[12:13], v[10:11], 1.0
	ds_write_b64 v64, v[10:11]
.LBB121_169:
	s_or_b64 exec, exec, s[2:3]
	s_waitcnt lgkmcnt(0)
	s_barrier
	ds_read_b64 v[10:11], v64
	v_cmp_lt_u32_e32 vcc, 33, v66
	s_and_saveexec_b64 s[2:3], vcc
	s_cbranch_execz .LBB121_171
; %bb.170:
	ds_read2_b64 v[12:15], v65 offset0:34 offset1:35
	s_waitcnt lgkmcnt(1)
	v_mul_f64 v[152:153], v[10:11], v[152:153]
	s_waitcnt lgkmcnt(0)
	v_fma_f64 v[210:211], -v[152:153], v[12:13], v[210:211]
	v_fma_f64 v[150:151], -v[152:153], v[14:15], v[150:151]
	ds_read2_b64 v[12:15], v65 offset0:36 offset1:37
	s_waitcnt lgkmcnt(0)
	v_fma_f64 v[208:209], -v[152:153], v[12:13], v[208:209]
	v_fma_f64 v[148:149], -v[152:153], v[14:15], v[148:149]
	ds_read2_b64 v[12:15], v65 offset0:38 offset1:39
	;; [unrolled: 4-line block ×12, first 2 shown]
	s_waitcnt lgkmcnt(0)
	v_fma_f64 v[186:187], -v[152:153], v[12:13], v[186:187]
	ds_read_b64 v[12:13], v65 offset:480
	s_waitcnt vmcnt(61)
	v_fma_f64 v[126:127], -v[152:153], v[14:15], v[126:127]
	s_waitcnt vmcnt(58) lgkmcnt(0)
	v_fma_f64 v[244:245], -v[152:153], v[12:13], v[244:245]
.LBB121_171:
	s_or_b64 exec, exec, s[2:3]
	v_cmp_eq_u32_e32 vcc, 34, v66
	s_waitcnt lgkmcnt(0)
	s_barrier
	s_and_saveexec_b64 s[2:3], vcc
	s_cbranch_execz .LBB121_174
; %bb.172:
	ds_write_b64 v64, v[210:211]
	ds_write2_b64 v65, v[150:151], v[208:209] offset0:35 offset1:36
	ds_write2_b64 v65, v[148:149], v[206:207] offset0:37 offset1:38
	;; [unrolled: 1-line block ×12, first 2 shown]
	s_waitcnt vmcnt(58)
	ds_write2_b64 v65, v[126:127], v[244:245] offset0:59 offset1:60
	ds_read_b64 v[12:13], v64
	s_waitcnt lgkmcnt(0)
	v_cmp_neq_f64_e32 vcc, 0, v[12:13]
	s_and_b64 exec, exec, vcc
	s_cbranch_execz .LBB121_174
; %bb.173:
	v_div_scale_f64 v[14:15], s[6:7], v[12:13], v[12:13], 1.0
	v_rcp_f64_e32 v[16:17], v[14:15]
	v_div_scale_f64 v[18:19], vcc, 1.0, v[12:13], 1.0
	v_fma_f64 v[20:21], -v[14:15], v[16:17], 1.0
	v_fmac_f64_e32 v[16:17], v[16:17], v[20:21]
	v_fma_f64 v[20:21], -v[14:15], v[16:17], 1.0
	v_fmac_f64_e32 v[16:17], v[16:17], v[20:21]
	v_mul_f64 v[20:21], v[18:19], v[16:17]
	v_fma_f64 v[14:15], -v[14:15], v[20:21], v[18:19]
	v_div_fmas_f64 v[14:15], v[14:15], v[16:17], v[20:21]
	v_div_fixup_f64 v[12:13], v[14:15], v[12:13], 1.0
	ds_write_b64 v64, v[12:13]
.LBB121_174:
	s_or_b64 exec, exec, s[2:3]
	s_waitcnt lgkmcnt(0)
	s_barrier
	ds_read_b64 v[12:13], v64
	v_cmp_lt_u32_e32 vcc, 34, v66
	s_and_saveexec_b64 s[2:3], vcc
	s_cbranch_execz .LBB121_176
; %bb.175:
	ds_read2_b64 v[14:17], v65 offset0:35 offset1:36
	s_waitcnt lgkmcnt(1)
	v_mul_f64 v[210:211], v[12:13], v[210:211]
	s_waitcnt lgkmcnt(0)
	v_fma_f64 v[150:151], -v[210:211], v[14:15], v[150:151]
	v_fma_f64 v[208:209], -v[210:211], v[16:17], v[208:209]
	ds_read2_b64 v[14:17], v65 offset0:37 offset1:38
	s_waitcnt lgkmcnt(0)
	v_fma_f64 v[148:149], -v[210:211], v[14:15], v[148:149]
	v_fma_f64 v[206:207], -v[210:211], v[16:17], v[206:207]
	ds_read2_b64 v[14:17], v65 offset0:39 offset1:40
	;; [unrolled: 4-line block ×12, first 2 shown]
	s_waitcnt vmcnt(61) lgkmcnt(0)
	v_fma_f64 v[126:127], -v[210:211], v[14:15], v[126:127]
	s_waitcnt vmcnt(58)
	v_fma_f64 v[244:245], -v[210:211], v[16:17], v[244:245]
.LBB121_176:
	s_or_b64 exec, exec, s[2:3]
	v_cmp_eq_u32_e32 vcc, 35, v66
	s_waitcnt lgkmcnt(0)
	s_barrier
	s_and_saveexec_b64 s[2:3], vcc
	s_cbranch_execz .LBB121_179
; %bb.177:
	v_mov_b32_e32 v14, v208
	v_mov_b32_e32 v15, v209
	;; [unrolled: 1-line block ×4, first 2 shown]
	ds_write_b64 v64, v[150:151]
	ds_write2_b64 v65, v[14:15], v[16:17] offset0:36 offset1:37
	v_mov_b32_e32 v14, v206
	v_mov_b32_e32 v15, v207
	v_mov_b32_e32 v16, v146
	v_mov_b32_e32 v17, v147
	ds_write2_b64 v65, v[14:15], v[16:17] offset0:38 offset1:39
	v_mov_b32_e32 v14, v204
	v_mov_b32_e32 v15, v205
	v_mov_b32_e32 v16, v144
	v_mov_b32_e32 v17, v145
	;; [unrolled: 5-line block ×10, first 2 shown]
	ds_write2_b64 v65, v[14:15], v[16:17] offset0:56 offset1:57
	v_mov_b32_e32 v14, v186
	v_mov_b32_e32 v15, v187
	s_waitcnt vmcnt(61)
	v_mov_b32_e32 v16, v126
	v_mov_b32_e32 v17, v127
	ds_write2_b64 v65, v[14:15], v[16:17] offset0:58 offset1:59
	s_waitcnt vmcnt(58)
	ds_write_b64 v65, v[244:245] offset:480
	ds_read_b64 v[14:15], v64
	s_waitcnt lgkmcnt(0)
	v_cmp_neq_f64_e32 vcc, 0, v[14:15]
	s_and_b64 exec, exec, vcc
	s_cbranch_execz .LBB121_179
; %bb.178:
	v_div_scale_f64 v[16:17], s[6:7], v[14:15], v[14:15], 1.0
	v_rcp_f64_e32 v[18:19], v[16:17]
	v_div_scale_f64 v[20:21], vcc, 1.0, v[14:15], 1.0
	v_fma_f64 v[22:23], -v[16:17], v[18:19], 1.0
	v_fmac_f64_e32 v[18:19], v[18:19], v[22:23]
	v_fma_f64 v[22:23], -v[16:17], v[18:19], 1.0
	v_fmac_f64_e32 v[18:19], v[18:19], v[22:23]
	v_mul_f64 v[22:23], v[20:21], v[18:19]
	v_fma_f64 v[16:17], -v[16:17], v[22:23], v[20:21]
	v_div_fmas_f64 v[16:17], v[16:17], v[18:19], v[22:23]
	v_div_fixup_f64 v[14:15], v[16:17], v[14:15], 1.0
	ds_write_b64 v64, v[14:15]
.LBB121_179:
	s_or_b64 exec, exec, s[2:3]
	s_waitcnt lgkmcnt(0)
	s_barrier
	ds_read_b64 v[14:15], v64
	v_cmp_lt_u32_e32 vcc, 35, v66
	s_and_saveexec_b64 s[2:3], vcc
	s_cbranch_execz .LBB121_181
; %bb.180:
	ds_read2_b64 v[16:19], v65 offset0:36 offset1:37
	s_waitcnt lgkmcnt(1)
	v_mul_f64 v[150:151], v[14:15], v[150:151]
	s_waitcnt lgkmcnt(0)
	v_fma_f64 v[208:209], -v[150:151], v[16:17], v[208:209]
	v_fma_f64 v[148:149], -v[150:151], v[18:19], v[148:149]
	ds_read2_b64 v[16:19], v65 offset0:38 offset1:39
	s_waitcnt lgkmcnt(0)
	v_fma_f64 v[206:207], -v[150:151], v[16:17], v[206:207]
	v_fma_f64 v[146:147], -v[150:151], v[18:19], v[146:147]
	ds_read2_b64 v[16:19], v65 offset0:40 offset1:41
	;; [unrolled: 4-line block ×11, first 2 shown]
	s_waitcnt lgkmcnt(0)
	v_fma_f64 v[186:187], -v[150:151], v[16:17], v[186:187]
	ds_read_b64 v[16:17], v65 offset:480
	s_waitcnt vmcnt(61)
	v_fma_f64 v[126:127], -v[150:151], v[18:19], v[126:127]
	s_waitcnt vmcnt(58) lgkmcnt(0)
	v_fma_f64 v[244:245], -v[150:151], v[16:17], v[244:245]
.LBB121_181:
	s_or_b64 exec, exec, s[2:3]
	v_cmp_eq_u32_e32 vcc, 36, v66
	s_waitcnt lgkmcnt(0)
	s_barrier
	s_and_saveexec_b64 s[2:3], vcc
	s_cbranch_execz .LBB121_184
; %bb.182:
	ds_write_b64 v64, v[208:209]
	ds_write2_b64 v65, v[148:149], v[206:207] offset0:37 offset1:38
	ds_write2_b64 v65, v[146:147], v[204:205] offset0:39 offset1:40
	;; [unrolled: 1-line block ×11, first 2 shown]
	s_waitcnt vmcnt(58)
	ds_write2_b64 v65, v[126:127], v[244:245] offset0:59 offset1:60
	ds_read_b64 v[16:17], v64
	s_waitcnt lgkmcnt(0)
	v_cmp_neq_f64_e32 vcc, 0, v[16:17]
	s_and_b64 exec, exec, vcc
	s_cbranch_execz .LBB121_184
; %bb.183:
	v_div_scale_f64 v[18:19], s[6:7], v[16:17], v[16:17], 1.0
	v_rcp_f64_e32 v[20:21], v[18:19]
	v_div_scale_f64 v[22:23], vcc, 1.0, v[16:17], 1.0
	v_fma_f64 v[24:25], -v[18:19], v[20:21], 1.0
	v_fmac_f64_e32 v[20:21], v[20:21], v[24:25]
	v_fma_f64 v[24:25], -v[18:19], v[20:21], 1.0
	v_fmac_f64_e32 v[20:21], v[20:21], v[24:25]
	v_mul_f64 v[24:25], v[22:23], v[20:21]
	v_fma_f64 v[18:19], -v[18:19], v[24:25], v[22:23]
	v_div_fmas_f64 v[18:19], v[18:19], v[20:21], v[24:25]
	v_div_fixup_f64 v[16:17], v[18:19], v[16:17], 1.0
	ds_write_b64 v64, v[16:17]
.LBB121_184:
	s_or_b64 exec, exec, s[2:3]
	s_waitcnt lgkmcnt(0)
	s_barrier
	ds_read_b64 v[16:17], v64
	v_cmp_lt_u32_e32 vcc, 36, v66
	s_and_saveexec_b64 s[2:3], vcc
	s_cbranch_execz .LBB121_186
; %bb.185:
	ds_read2_b64 v[18:21], v65 offset0:37 offset1:38
	s_waitcnt lgkmcnt(1)
	v_mul_f64 v[208:209], v[16:17], v[208:209]
	s_waitcnt lgkmcnt(0)
	v_fma_f64 v[148:149], -v[208:209], v[18:19], v[148:149]
	v_fma_f64 v[206:207], -v[208:209], v[20:21], v[206:207]
	ds_read2_b64 v[18:21], v65 offset0:39 offset1:40
	s_waitcnt lgkmcnt(0)
	v_fma_f64 v[146:147], -v[208:209], v[18:19], v[146:147]
	v_fma_f64 v[204:205], -v[208:209], v[20:21], v[204:205]
	ds_read2_b64 v[18:21], v65 offset0:41 offset1:42
	;; [unrolled: 4-line block ×11, first 2 shown]
	s_waitcnt vmcnt(61) lgkmcnt(0)
	v_fma_f64 v[126:127], -v[208:209], v[18:19], v[126:127]
	s_waitcnt vmcnt(58)
	v_fma_f64 v[244:245], -v[208:209], v[20:21], v[244:245]
.LBB121_186:
	s_or_b64 exec, exec, s[2:3]
	v_cmp_eq_u32_e32 vcc, 37, v66
	s_waitcnt lgkmcnt(0)
	s_barrier
	s_and_saveexec_b64 s[2:3], vcc
	s_cbranch_execz .LBB121_189
; %bb.187:
	v_mov_b32_e32 v18, v206
	v_mov_b32_e32 v19, v207
	;; [unrolled: 1-line block ×4, first 2 shown]
	ds_write_b64 v64, v[148:149]
	ds_write2_b64 v65, v[18:19], v[20:21] offset0:38 offset1:39
	v_mov_b32_e32 v18, v204
	v_mov_b32_e32 v19, v205
	v_mov_b32_e32 v20, v144
	v_mov_b32_e32 v21, v145
	ds_write2_b64 v65, v[18:19], v[20:21] offset0:40 offset1:41
	v_mov_b32_e32 v18, v202
	v_mov_b32_e32 v19, v203
	v_mov_b32_e32 v20, v142
	v_mov_b32_e32 v21, v143
	;; [unrolled: 5-line block ×9, first 2 shown]
	ds_write2_b64 v65, v[18:19], v[20:21] offset0:56 offset1:57
	v_mov_b32_e32 v18, v186
	v_mov_b32_e32 v19, v187
	s_waitcnt vmcnt(61)
	v_mov_b32_e32 v20, v126
	v_mov_b32_e32 v21, v127
	ds_write2_b64 v65, v[18:19], v[20:21] offset0:58 offset1:59
	s_waitcnt vmcnt(58)
	ds_write_b64 v65, v[244:245] offset:480
	ds_read_b64 v[18:19], v64
	s_waitcnt lgkmcnt(0)
	v_cmp_neq_f64_e32 vcc, 0, v[18:19]
	s_and_b64 exec, exec, vcc
	s_cbranch_execz .LBB121_189
; %bb.188:
	v_div_scale_f64 v[20:21], s[6:7], v[18:19], v[18:19], 1.0
	v_rcp_f64_e32 v[22:23], v[20:21]
	v_div_scale_f64 v[24:25], vcc, 1.0, v[18:19], 1.0
	v_fma_f64 v[26:27], -v[20:21], v[22:23], 1.0
	v_fmac_f64_e32 v[22:23], v[22:23], v[26:27]
	v_fma_f64 v[26:27], -v[20:21], v[22:23], 1.0
	v_fmac_f64_e32 v[22:23], v[22:23], v[26:27]
	v_mul_f64 v[26:27], v[24:25], v[22:23]
	v_fma_f64 v[20:21], -v[20:21], v[26:27], v[24:25]
	v_div_fmas_f64 v[20:21], v[20:21], v[22:23], v[26:27]
	v_div_fixup_f64 v[18:19], v[20:21], v[18:19], 1.0
	ds_write_b64 v64, v[18:19]
.LBB121_189:
	s_or_b64 exec, exec, s[2:3]
	s_waitcnt lgkmcnt(0)
	s_barrier
	ds_read_b64 v[18:19], v64
	v_cmp_lt_u32_e32 vcc, 37, v66
	s_and_saveexec_b64 s[2:3], vcc
	s_cbranch_execz .LBB121_191
; %bb.190:
	ds_read2_b64 v[20:23], v65 offset0:38 offset1:39
	s_waitcnt lgkmcnt(1)
	v_mul_f64 v[148:149], v[18:19], v[148:149]
	s_waitcnt lgkmcnt(0)
	v_fma_f64 v[206:207], -v[148:149], v[20:21], v[206:207]
	v_fma_f64 v[146:147], -v[148:149], v[22:23], v[146:147]
	ds_read2_b64 v[20:23], v65 offset0:40 offset1:41
	s_waitcnt lgkmcnt(0)
	v_fma_f64 v[204:205], -v[148:149], v[20:21], v[204:205]
	v_fma_f64 v[144:145], -v[148:149], v[22:23], v[144:145]
	ds_read2_b64 v[20:23], v65 offset0:42 offset1:43
	;; [unrolled: 4-line block ×10, first 2 shown]
	s_waitcnt lgkmcnt(0)
	v_fma_f64 v[186:187], -v[148:149], v[20:21], v[186:187]
	ds_read_b64 v[20:21], v65 offset:480
	s_waitcnt vmcnt(61)
	v_fma_f64 v[126:127], -v[148:149], v[22:23], v[126:127]
	s_waitcnt vmcnt(58) lgkmcnt(0)
	v_fma_f64 v[244:245], -v[148:149], v[20:21], v[244:245]
.LBB121_191:
	s_or_b64 exec, exec, s[2:3]
	v_cmp_eq_u32_e32 vcc, 38, v66
	s_waitcnt lgkmcnt(0)
	s_barrier
	s_and_saveexec_b64 s[2:3], vcc
	s_cbranch_execz .LBB121_194
; %bb.192:
	ds_write_b64 v64, v[206:207]
	ds_write2_b64 v65, v[146:147], v[204:205] offset0:39 offset1:40
	ds_write2_b64 v65, v[144:145], v[202:203] offset0:41 offset1:42
	;; [unrolled: 1-line block ×10, first 2 shown]
	s_waitcnt vmcnt(58)
	ds_write2_b64 v65, v[126:127], v[244:245] offset0:59 offset1:60
	ds_read_b64 v[20:21], v64
	s_waitcnt lgkmcnt(0)
	v_cmp_neq_f64_e32 vcc, 0, v[20:21]
	s_and_b64 exec, exec, vcc
	s_cbranch_execz .LBB121_194
; %bb.193:
	v_div_scale_f64 v[22:23], s[6:7], v[20:21], v[20:21], 1.0
	v_rcp_f64_e32 v[24:25], v[22:23]
	v_div_scale_f64 v[26:27], vcc, 1.0, v[20:21], 1.0
	v_fma_f64 v[28:29], -v[22:23], v[24:25], 1.0
	v_fmac_f64_e32 v[24:25], v[24:25], v[28:29]
	v_fma_f64 v[28:29], -v[22:23], v[24:25], 1.0
	v_fmac_f64_e32 v[24:25], v[24:25], v[28:29]
	v_mul_f64 v[28:29], v[26:27], v[24:25]
	v_fma_f64 v[22:23], -v[22:23], v[28:29], v[26:27]
	v_div_fmas_f64 v[22:23], v[22:23], v[24:25], v[28:29]
	v_div_fixup_f64 v[20:21], v[22:23], v[20:21], 1.0
	ds_write_b64 v64, v[20:21]
.LBB121_194:
	s_or_b64 exec, exec, s[2:3]
	s_waitcnt lgkmcnt(0)
	s_barrier
	ds_read_b64 v[20:21], v64
	v_cmp_lt_u32_e32 vcc, 38, v66
	s_and_saveexec_b64 s[2:3], vcc
	s_cbranch_execz .LBB121_196
; %bb.195:
	ds_read2_b64 v[22:25], v65 offset0:39 offset1:40
	s_waitcnt lgkmcnt(1)
	v_mul_f64 v[206:207], v[20:21], v[206:207]
	s_waitcnt lgkmcnt(0)
	v_fma_f64 v[146:147], -v[206:207], v[22:23], v[146:147]
	v_fma_f64 v[204:205], -v[206:207], v[24:25], v[204:205]
	ds_read2_b64 v[22:25], v65 offset0:41 offset1:42
	s_waitcnt lgkmcnt(0)
	v_fma_f64 v[144:145], -v[206:207], v[22:23], v[144:145]
	v_fma_f64 v[202:203], -v[206:207], v[24:25], v[202:203]
	ds_read2_b64 v[22:25], v65 offset0:43 offset1:44
	;; [unrolled: 4-line block ×10, first 2 shown]
	s_waitcnt vmcnt(61) lgkmcnt(0)
	v_fma_f64 v[126:127], -v[206:207], v[22:23], v[126:127]
	s_waitcnt vmcnt(58)
	v_fma_f64 v[244:245], -v[206:207], v[24:25], v[244:245]
.LBB121_196:
	s_or_b64 exec, exec, s[2:3]
	v_cmp_eq_u32_e32 vcc, 39, v66
	s_waitcnt lgkmcnt(0)
	s_barrier
	s_and_saveexec_b64 s[2:3], vcc
	s_cbranch_execz .LBB121_199
; %bb.197:
	v_mov_b32_e32 v22, v204
	v_mov_b32_e32 v23, v205
	;; [unrolled: 1-line block ×4, first 2 shown]
	ds_write_b64 v64, v[146:147]
	ds_write2_b64 v65, v[22:23], v[24:25] offset0:40 offset1:41
	v_mov_b32_e32 v22, v202
	v_mov_b32_e32 v23, v203
	v_mov_b32_e32 v24, v142
	v_mov_b32_e32 v25, v143
	ds_write2_b64 v65, v[22:23], v[24:25] offset0:42 offset1:43
	v_mov_b32_e32 v22, v200
	v_mov_b32_e32 v23, v201
	v_mov_b32_e32 v24, v140
	v_mov_b32_e32 v25, v141
	ds_write2_b64 v65, v[22:23], v[24:25] offset0:44 offset1:45
	v_mov_b32_e32 v22, v198
	v_mov_b32_e32 v23, v199
	v_mov_b32_e32 v24, v138
	v_mov_b32_e32 v25, v139
	ds_write2_b64 v65, v[22:23], v[24:25] offset0:46 offset1:47
	v_mov_b32_e32 v22, v196
	v_mov_b32_e32 v23, v197
	v_mov_b32_e32 v24, v136
	v_mov_b32_e32 v25, v137
	ds_write2_b64 v65, v[22:23], v[24:25] offset0:48 offset1:49
	v_mov_b32_e32 v22, v194
	v_mov_b32_e32 v23, v195
	v_mov_b32_e32 v24, v134
	v_mov_b32_e32 v25, v135
	ds_write2_b64 v65, v[22:23], v[24:25] offset0:50 offset1:51
	v_mov_b32_e32 v22, v192
	v_mov_b32_e32 v23, v193
	v_mov_b32_e32 v24, v132
	v_mov_b32_e32 v25, v133
	ds_write2_b64 v65, v[22:23], v[24:25] offset0:52 offset1:53
	v_mov_b32_e32 v22, v190
	v_mov_b32_e32 v23, v191
	v_mov_b32_e32 v24, v130
	v_mov_b32_e32 v25, v131
	ds_write2_b64 v65, v[22:23], v[24:25] offset0:54 offset1:55
	v_mov_b32_e32 v22, v188
	v_mov_b32_e32 v23, v189
	v_mov_b32_e32 v24, v128
	v_mov_b32_e32 v25, v129
	ds_write2_b64 v65, v[22:23], v[24:25] offset0:56 offset1:57
	v_mov_b32_e32 v22, v186
	v_mov_b32_e32 v23, v187
	s_waitcnt vmcnt(61)
	v_mov_b32_e32 v24, v126
	v_mov_b32_e32 v25, v127
	ds_write2_b64 v65, v[22:23], v[24:25] offset0:58 offset1:59
	s_waitcnt vmcnt(58)
	ds_write_b64 v65, v[244:245] offset:480
	ds_read_b64 v[22:23], v64
	s_waitcnt lgkmcnt(0)
	v_cmp_neq_f64_e32 vcc, 0, v[22:23]
	s_and_b64 exec, exec, vcc
	s_cbranch_execz .LBB121_199
; %bb.198:
	v_div_scale_f64 v[24:25], s[6:7], v[22:23], v[22:23], 1.0
	v_rcp_f64_e32 v[26:27], v[24:25]
	v_div_scale_f64 v[28:29], vcc, 1.0, v[22:23], 1.0
	v_fma_f64 v[30:31], -v[24:25], v[26:27], 1.0
	v_fmac_f64_e32 v[26:27], v[26:27], v[30:31]
	v_fma_f64 v[30:31], -v[24:25], v[26:27], 1.0
	v_fmac_f64_e32 v[26:27], v[26:27], v[30:31]
	v_mul_f64 v[30:31], v[28:29], v[26:27]
	v_fma_f64 v[24:25], -v[24:25], v[30:31], v[28:29]
	v_div_fmas_f64 v[24:25], v[24:25], v[26:27], v[30:31]
	v_div_fixup_f64 v[22:23], v[24:25], v[22:23], 1.0
	ds_write_b64 v64, v[22:23]
.LBB121_199:
	s_or_b64 exec, exec, s[2:3]
	s_waitcnt lgkmcnt(0)
	s_barrier
	ds_read_b64 v[22:23], v64
	v_cmp_lt_u32_e32 vcc, 39, v66
	s_and_saveexec_b64 s[2:3], vcc
	s_cbranch_execz .LBB121_201
; %bb.200:
	ds_read2_b64 v[24:27], v65 offset0:40 offset1:41
	s_waitcnt lgkmcnt(1)
	v_mul_f64 v[146:147], v[22:23], v[146:147]
	s_waitcnt lgkmcnt(0)
	v_fma_f64 v[204:205], -v[146:147], v[24:25], v[204:205]
	v_fma_f64 v[144:145], -v[146:147], v[26:27], v[144:145]
	ds_read2_b64 v[24:27], v65 offset0:42 offset1:43
	s_waitcnt lgkmcnt(0)
	v_fma_f64 v[202:203], -v[146:147], v[24:25], v[202:203]
	v_fma_f64 v[142:143], -v[146:147], v[26:27], v[142:143]
	ds_read2_b64 v[24:27], v65 offset0:44 offset1:45
	;; [unrolled: 4-line block ×9, first 2 shown]
	s_waitcnt lgkmcnt(0)
	v_fma_f64 v[186:187], -v[146:147], v[24:25], v[186:187]
	ds_read_b64 v[24:25], v65 offset:480
	s_waitcnt vmcnt(61)
	v_fma_f64 v[126:127], -v[146:147], v[26:27], v[126:127]
	s_waitcnt vmcnt(58) lgkmcnt(0)
	v_fma_f64 v[244:245], -v[146:147], v[24:25], v[244:245]
.LBB121_201:
	s_or_b64 exec, exec, s[2:3]
	v_cmp_eq_u32_e32 vcc, 40, v66
	s_waitcnt lgkmcnt(0)
	s_barrier
	s_and_saveexec_b64 s[2:3], vcc
	s_cbranch_execz .LBB121_204
; %bb.202:
	ds_write_b64 v64, v[204:205]
	ds_write2_b64 v65, v[144:145], v[202:203] offset0:41 offset1:42
	ds_write2_b64 v65, v[142:143], v[200:201] offset0:43 offset1:44
	;; [unrolled: 1-line block ×9, first 2 shown]
	s_waitcnt vmcnt(58)
	ds_write2_b64 v65, v[126:127], v[244:245] offset0:59 offset1:60
	ds_read_b64 v[24:25], v64
	s_waitcnt lgkmcnt(0)
	v_cmp_neq_f64_e32 vcc, 0, v[24:25]
	s_and_b64 exec, exec, vcc
	s_cbranch_execz .LBB121_204
; %bb.203:
	v_div_scale_f64 v[26:27], s[6:7], v[24:25], v[24:25], 1.0
	v_rcp_f64_e32 v[28:29], v[26:27]
	v_div_scale_f64 v[30:31], vcc, 1.0, v[24:25], 1.0
	v_fma_f64 v[32:33], -v[26:27], v[28:29], 1.0
	v_fmac_f64_e32 v[28:29], v[28:29], v[32:33]
	v_fma_f64 v[32:33], -v[26:27], v[28:29], 1.0
	v_fmac_f64_e32 v[28:29], v[28:29], v[32:33]
	v_mul_f64 v[32:33], v[30:31], v[28:29]
	v_fma_f64 v[26:27], -v[26:27], v[32:33], v[30:31]
	v_div_fmas_f64 v[26:27], v[26:27], v[28:29], v[32:33]
	v_div_fixup_f64 v[24:25], v[26:27], v[24:25], 1.0
	ds_write_b64 v64, v[24:25]
.LBB121_204:
	s_or_b64 exec, exec, s[2:3]
	s_waitcnt lgkmcnt(0)
	s_barrier
	ds_read_b64 v[24:25], v64
	v_cmp_lt_u32_e32 vcc, 40, v66
	s_and_saveexec_b64 s[2:3], vcc
	s_cbranch_execz .LBB121_206
; %bb.205:
	ds_read2_b64 v[26:29], v65 offset0:41 offset1:42
	s_waitcnt lgkmcnt(1)
	v_mul_f64 v[204:205], v[24:25], v[204:205]
	s_waitcnt lgkmcnt(0)
	v_fma_f64 v[144:145], -v[204:205], v[26:27], v[144:145]
	v_fma_f64 v[202:203], -v[204:205], v[28:29], v[202:203]
	ds_read2_b64 v[26:29], v65 offset0:43 offset1:44
	s_waitcnt lgkmcnt(0)
	v_fma_f64 v[142:143], -v[204:205], v[26:27], v[142:143]
	v_fma_f64 v[200:201], -v[204:205], v[28:29], v[200:201]
	ds_read2_b64 v[26:29], v65 offset0:45 offset1:46
	;; [unrolled: 4-line block ×9, first 2 shown]
	s_waitcnt vmcnt(61) lgkmcnt(0)
	v_fma_f64 v[126:127], -v[204:205], v[26:27], v[126:127]
	s_waitcnt vmcnt(58)
	v_fma_f64 v[244:245], -v[204:205], v[28:29], v[244:245]
.LBB121_206:
	s_or_b64 exec, exec, s[2:3]
	v_cmp_eq_u32_e32 vcc, 41, v66
	s_waitcnt lgkmcnt(0)
	s_barrier
	s_and_saveexec_b64 s[2:3], vcc
	s_cbranch_execz .LBB121_209
; %bb.207:
	v_mov_b32_e32 v26, v202
	v_mov_b32_e32 v27, v203
	;; [unrolled: 1-line block ×4, first 2 shown]
	ds_write_b64 v64, v[144:145]
	ds_write2_b64 v65, v[26:27], v[28:29] offset0:42 offset1:43
	v_mov_b32_e32 v26, v200
	v_mov_b32_e32 v27, v201
	v_mov_b32_e32 v28, v140
	v_mov_b32_e32 v29, v141
	ds_write2_b64 v65, v[26:27], v[28:29] offset0:44 offset1:45
	v_mov_b32_e32 v26, v198
	v_mov_b32_e32 v27, v199
	v_mov_b32_e32 v28, v138
	v_mov_b32_e32 v29, v139
	;; [unrolled: 5-line block ×7, first 2 shown]
	ds_write2_b64 v65, v[26:27], v[28:29] offset0:56 offset1:57
	v_mov_b32_e32 v26, v186
	v_mov_b32_e32 v27, v187
	s_waitcnt vmcnt(61)
	v_mov_b32_e32 v28, v126
	v_mov_b32_e32 v29, v127
	ds_write2_b64 v65, v[26:27], v[28:29] offset0:58 offset1:59
	s_waitcnt vmcnt(58)
	ds_write_b64 v65, v[244:245] offset:480
	ds_read_b64 v[26:27], v64
	s_waitcnt lgkmcnt(0)
	v_cmp_neq_f64_e32 vcc, 0, v[26:27]
	s_and_b64 exec, exec, vcc
	s_cbranch_execz .LBB121_209
; %bb.208:
	v_div_scale_f64 v[28:29], s[6:7], v[26:27], v[26:27], 1.0
	v_rcp_f64_e32 v[30:31], v[28:29]
	v_div_scale_f64 v[32:33], vcc, 1.0, v[26:27], 1.0
	v_fma_f64 v[34:35], -v[28:29], v[30:31], 1.0
	v_fmac_f64_e32 v[30:31], v[30:31], v[34:35]
	v_fma_f64 v[34:35], -v[28:29], v[30:31], 1.0
	v_fmac_f64_e32 v[30:31], v[30:31], v[34:35]
	v_mul_f64 v[34:35], v[32:33], v[30:31]
	v_fma_f64 v[28:29], -v[28:29], v[34:35], v[32:33]
	v_div_fmas_f64 v[28:29], v[28:29], v[30:31], v[34:35]
	v_div_fixup_f64 v[26:27], v[28:29], v[26:27], 1.0
	ds_write_b64 v64, v[26:27]
.LBB121_209:
	s_or_b64 exec, exec, s[2:3]
	s_waitcnt lgkmcnt(0)
	s_barrier
	ds_read_b64 v[26:27], v64
	v_cmp_lt_u32_e32 vcc, 41, v66
	s_and_saveexec_b64 s[2:3], vcc
	s_cbranch_execz .LBB121_211
; %bb.210:
	ds_read2_b64 v[28:31], v65 offset0:42 offset1:43
	s_waitcnt lgkmcnt(1)
	v_mul_f64 v[144:145], v[26:27], v[144:145]
	s_waitcnt lgkmcnt(0)
	v_fma_f64 v[202:203], -v[144:145], v[28:29], v[202:203]
	v_fma_f64 v[142:143], -v[144:145], v[30:31], v[142:143]
	ds_read2_b64 v[28:31], v65 offset0:44 offset1:45
	s_waitcnt lgkmcnt(0)
	v_fma_f64 v[200:201], -v[144:145], v[28:29], v[200:201]
	v_fma_f64 v[140:141], -v[144:145], v[30:31], v[140:141]
	ds_read2_b64 v[28:31], v65 offset0:46 offset1:47
	;; [unrolled: 4-line block ×8, first 2 shown]
	s_waitcnt lgkmcnt(0)
	v_fma_f64 v[186:187], -v[144:145], v[28:29], v[186:187]
	ds_read_b64 v[28:29], v65 offset:480
	s_waitcnt vmcnt(61)
	v_fma_f64 v[126:127], -v[144:145], v[30:31], v[126:127]
	s_waitcnt vmcnt(58) lgkmcnt(0)
	v_fma_f64 v[244:245], -v[144:145], v[28:29], v[244:245]
.LBB121_211:
	s_or_b64 exec, exec, s[2:3]
	v_cmp_eq_u32_e32 vcc, 42, v66
	s_waitcnt lgkmcnt(0)
	s_barrier
	s_and_saveexec_b64 s[2:3], vcc
	s_cbranch_execz .LBB121_214
; %bb.212:
	ds_write_b64 v64, v[202:203]
	ds_write2_b64 v65, v[142:143], v[200:201] offset0:43 offset1:44
	ds_write2_b64 v65, v[140:141], v[198:199] offset0:45 offset1:46
	;; [unrolled: 1-line block ×8, first 2 shown]
	s_waitcnt vmcnt(58)
	ds_write2_b64 v65, v[126:127], v[244:245] offset0:59 offset1:60
	ds_read_b64 v[28:29], v64
	s_waitcnt lgkmcnt(0)
	v_cmp_neq_f64_e32 vcc, 0, v[28:29]
	s_and_b64 exec, exec, vcc
	s_cbranch_execz .LBB121_214
; %bb.213:
	v_div_scale_f64 v[30:31], s[6:7], v[28:29], v[28:29], 1.0
	v_rcp_f64_e32 v[32:33], v[30:31]
	v_div_scale_f64 v[34:35], vcc, 1.0, v[28:29], 1.0
	v_fma_f64 v[36:37], -v[30:31], v[32:33], 1.0
	v_fmac_f64_e32 v[32:33], v[32:33], v[36:37]
	v_fma_f64 v[36:37], -v[30:31], v[32:33], 1.0
	v_fmac_f64_e32 v[32:33], v[32:33], v[36:37]
	v_mul_f64 v[36:37], v[34:35], v[32:33]
	v_fma_f64 v[30:31], -v[30:31], v[36:37], v[34:35]
	v_div_fmas_f64 v[30:31], v[30:31], v[32:33], v[36:37]
	v_div_fixup_f64 v[28:29], v[30:31], v[28:29], 1.0
	ds_write_b64 v64, v[28:29]
.LBB121_214:
	s_or_b64 exec, exec, s[2:3]
	s_waitcnt lgkmcnt(0)
	s_barrier
	ds_read_b64 v[28:29], v64
	v_cmp_lt_u32_e32 vcc, 42, v66
	s_and_saveexec_b64 s[2:3], vcc
	s_cbranch_execz .LBB121_216
; %bb.215:
	ds_read2_b64 v[30:33], v65 offset0:43 offset1:44
	s_waitcnt lgkmcnt(1)
	v_mul_f64 v[202:203], v[28:29], v[202:203]
	s_waitcnt lgkmcnt(0)
	v_fma_f64 v[142:143], -v[202:203], v[30:31], v[142:143]
	v_fma_f64 v[200:201], -v[202:203], v[32:33], v[200:201]
	ds_read2_b64 v[30:33], v65 offset0:45 offset1:46
	s_waitcnt lgkmcnt(0)
	v_fma_f64 v[140:141], -v[202:203], v[30:31], v[140:141]
	v_fma_f64 v[198:199], -v[202:203], v[32:33], v[198:199]
	ds_read2_b64 v[30:33], v65 offset0:47 offset1:48
	;; [unrolled: 4-line block ×8, first 2 shown]
	s_waitcnt vmcnt(61) lgkmcnt(0)
	v_fma_f64 v[126:127], -v[202:203], v[30:31], v[126:127]
	s_waitcnt vmcnt(58)
	v_fma_f64 v[244:245], -v[202:203], v[32:33], v[244:245]
.LBB121_216:
	s_or_b64 exec, exec, s[2:3]
	v_cmp_eq_u32_e32 vcc, 43, v66
	s_waitcnt lgkmcnt(0)
	s_barrier
	s_and_saveexec_b64 s[2:3], vcc
	s_cbranch_execz .LBB121_219
; %bb.217:
	v_mov_b32_e32 v30, v200
	v_mov_b32_e32 v31, v201
	;; [unrolled: 1-line block ×4, first 2 shown]
	ds_write_b64 v64, v[142:143]
	ds_write2_b64 v65, v[30:31], v[32:33] offset0:44 offset1:45
	v_mov_b32_e32 v30, v198
	v_mov_b32_e32 v31, v199
	v_mov_b32_e32 v32, v138
	v_mov_b32_e32 v33, v139
	ds_write2_b64 v65, v[30:31], v[32:33] offset0:46 offset1:47
	v_mov_b32_e32 v30, v196
	v_mov_b32_e32 v31, v197
	v_mov_b32_e32 v32, v136
	v_mov_b32_e32 v33, v137
	;; [unrolled: 5-line block ×6, first 2 shown]
	ds_write2_b64 v65, v[30:31], v[32:33] offset0:56 offset1:57
	v_mov_b32_e32 v30, v186
	v_mov_b32_e32 v31, v187
	s_waitcnt vmcnt(61)
	v_mov_b32_e32 v32, v126
	v_mov_b32_e32 v33, v127
	ds_write2_b64 v65, v[30:31], v[32:33] offset0:58 offset1:59
	s_waitcnt vmcnt(58)
	ds_write_b64 v65, v[244:245] offset:480
	ds_read_b64 v[30:31], v64
	s_waitcnt lgkmcnt(0)
	v_cmp_neq_f64_e32 vcc, 0, v[30:31]
	s_and_b64 exec, exec, vcc
	s_cbranch_execz .LBB121_219
; %bb.218:
	v_div_scale_f64 v[32:33], s[6:7], v[30:31], v[30:31], 1.0
	v_rcp_f64_e32 v[34:35], v[32:33]
	v_div_scale_f64 v[36:37], vcc, 1.0, v[30:31], 1.0
	v_fma_f64 v[38:39], -v[32:33], v[34:35], 1.0
	v_fmac_f64_e32 v[34:35], v[34:35], v[38:39]
	v_fma_f64 v[38:39], -v[32:33], v[34:35], 1.0
	v_fmac_f64_e32 v[34:35], v[34:35], v[38:39]
	v_mul_f64 v[38:39], v[36:37], v[34:35]
	v_fma_f64 v[32:33], -v[32:33], v[38:39], v[36:37]
	v_div_fmas_f64 v[32:33], v[32:33], v[34:35], v[38:39]
	v_div_fixup_f64 v[30:31], v[32:33], v[30:31], 1.0
	ds_write_b64 v64, v[30:31]
.LBB121_219:
	s_or_b64 exec, exec, s[2:3]
	s_waitcnt lgkmcnt(0)
	s_barrier
	ds_read_b64 v[30:31], v64
	v_cmp_lt_u32_e32 vcc, 43, v66
	s_and_saveexec_b64 s[2:3], vcc
	s_cbranch_execz .LBB121_221
; %bb.220:
	ds_read2_b64 v[32:35], v65 offset0:44 offset1:45
	s_waitcnt lgkmcnt(1)
	v_mul_f64 v[142:143], v[30:31], v[142:143]
	s_waitcnt lgkmcnt(0)
	v_fma_f64 v[200:201], -v[142:143], v[32:33], v[200:201]
	v_fma_f64 v[140:141], -v[142:143], v[34:35], v[140:141]
	ds_read2_b64 v[32:35], v65 offset0:46 offset1:47
	s_waitcnt lgkmcnt(0)
	v_fma_f64 v[198:199], -v[142:143], v[32:33], v[198:199]
	v_fma_f64 v[138:139], -v[142:143], v[34:35], v[138:139]
	ds_read2_b64 v[32:35], v65 offset0:48 offset1:49
	;; [unrolled: 4-line block ×7, first 2 shown]
	s_waitcnt lgkmcnt(0)
	v_fma_f64 v[186:187], -v[142:143], v[32:33], v[186:187]
	ds_read_b64 v[32:33], v65 offset:480
	s_waitcnt vmcnt(61)
	v_fma_f64 v[126:127], -v[142:143], v[34:35], v[126:127]
	s_waitcnt vmcnt(58) lgkmcnt(0)
	v_fma_f64 v[244:245], -v[142:143], v[32:33], v[244:245]
.LBB121_221:
	s_or_b64 exec, exec, s[2:3]
	v_cmp_eq_u32_e32 vcc, 44, v66
	s_waitcnt lgkmcnt(0)
	s_barrier
	s_and_saveexec_b64 s[2:3], vcc
	s_cbranch_execz .LBB121_224
; %bb.222:
	ds_write_b64 v64, v[200:201]
	ds_write2_b64 v65, v[140:141], v[198:199] offset0:45 offset1:46
	ds_write2_b64 v65, v[138:139], v[196:197] offset0:47 offset1:48
	;; [unrolled: 1-line block ×7, first 2 shown]
	s_waitcnt vmcnt(58)
	ds_write2_b64 v65, v[126:127], v[244:245] offset0:59 offset1:60
	ds_read_b64 v[32:33], v64
	s_waitcnt lgkmcnt(0)
	v_cmp_neq_f64_e32 vcc, 0, v[32:33]
	s_and_b64 exec, exec, vcc
	s_cbranch_execz .LBB121_224
; %bb.223:
	v_div_scale_f64 v[34:35], s[6:7], v[32:33], v[32:33], 1.0
	v_rcp_f64_e32 v[36:37], v[34:35]
	v_div_scale_f64 v[38:39], vcc, 1.0, v[32:33], 1.0
	v_fma_f64 v[40:41], -v[34:35], v[36:37], 1.0
	v_fmac_f64_e32 v[36:37], v[36:37], v[40:41]
	v_fma_f64 v[40:41], -v[34:35], v[36:37], 1.0
	v_fmac_f64_e32 v[36:37], v[36:37], v[40:41]
	v_mul_f64 v[40:41], v[38:39], v[36:37]
	v_fma_f64 v[34:35], -v[34:35], v[40:41], v[38:39]
	v_div_fmas_f64 v[34:35], v[34:35], v[36:37], v[40:41]
	v_div_fixup_f64 v[32:33], v[34:35], v[32:33], 1.0
	ds_write_b64 v64, v[32:33]
.LBB121_224:
	s_or_b64 exec, exec, s[2:3]
	s_waitcnt lgkmcnt(0)
	s_barrier
	ds_read_b64 v[32:33], v64
	v_cmp_lt_u32_e32 vcc, 44, v66
	s_and_saveexec_b64 s[2:3], vcc
	s_cbranch_execz .LBB121_226
; %bb.225:
	ds_read2_b64 v[34:37], v65 offset0:45 offset1:46
	s_waitcnt lgkmcnt(1)
	v_mul_f64 v[200:201], v[32:33], v[200:201]
	s_waitcnt lgkmcnt(0)
	v_fma_f64 v[140:141], -v[200:201], v[34:35], v[140:141]
	v_fma_f64 v[198:199], -v[200:201], v[36:37], v[198:199]
	ds_read2_b64 v[34:37], v65 offset0:47 offset1:48
	s_waitcnt lgkmcnt(0)
	v_fma_f64 v[138:139], -v[200:201], v[34:35], v[138:139]
	v_fma_f64 v[196:197], -v[200:201], v[36:37], v[196:197]
	ds_read2_b64 v[34:37], v65 offset0:49 offset1:50
	;; [unrolled: 4-line block ×7, first 2 shown]
	s_waitcnt vmcnt(61) lgkmcnt(0)
	v_fma_f64 v[126:127], -v[200:201], v[34:35], v[126:127]
	s_waitcnt vmcnt(58)
	v_fma_f64 v[244:245], -v[200:201], v[36:37], v[244:245]
.LBB121_226:
	s_or_b64 exec, exec, s[2:3]
	v_cmp_eq_u32_e32 vcc, 45, v66
	s_waitcnt lgkmcnt(0)
	s_barrier
	s_and_saveexec_b64 s[2:3], vcc
	s_cbranch_execz .LBB121_229
; %bb.227:
	v_mov_b32_e32 v34, v198
	v_mov_b32_e32 v35, v199
	;; [unrolled: 1-line block ×4, first 2 shown]
	ds_write_b64 v64, v[140:141]
	ds_write2_b64 v65, v[34:35], v[36:37] offset0:46 offset1:47
	v_mov_b32_e32 v34, v196
	v_mov_b32_e32 v35, v197
	v_mov_b32_e32 v36, v136
	v_mov_b32_e32 v37, v137
	ds_write2_b64 v65, v[34:35], v[36:37] offset0:48 offset1:49
	v_mov_b32_e32 v34, v194
	v_mov_b32_e32 v35, v195
	v_mov_b32_e32 v36, v134
	v_mov_b32_e32 v37, v135
	;; [unrolled: 5-line block ×5, first 2 shown]
	ds_write2_b64 v65, v[34:35], v[36:37] offset0:56 offset1:57
	v_mov_b32_e32 v34, v186
	v_mov_b32_e32 v35, v187
	s_waitcnt vmcnt(61)
	v_mov_b32_e32 v36, v126
	v_mov_b32_e32 v37, v127
	ds_write2_b64 v65, v[34:35], v[36:37] offset0:58 offset1:59
	s_waitcnt vmcnt(58)
	ds_write_b64 v65, v[244:245] offset:480
	ds_read_b64 v[34:35], v64
	s_waitcnt lgkmcnt(0)
	v_cmp_neq_f64_e32 vcc, 0, v[34:35]
	s_and_b64 exec, exec, vcc
	s_cbranch_execz .LBB121_229
; %bb.228:
	v_div_scale_f64 v[36:37], s[6:7], v[34:35], v[34:35], 1.0
	v_rcp_f64_e32 v[38:39], v[36:37]
	v_div_scale_f64 v[40:41], vcc, 1.0, v[34:35], 1.0
	v_fma_f64 v[42:43], -v[36:37], v[38:39], 1.0
	v_fmac_f64_e32 v[38:39], v[38:39], v[42:43]
	v_fma_f64 v[42:43], -v[36:37], v[38:39], 1.0
	v_fmac_f64_e32 v[38:39], v[38:39], v[42:43]
	v_mul_f64 v[42:43], v[40:41], v[38:39]
	v_fma_f64 v[36:37], -v[36:37], v[42:43], v[40:41]
	v_div_fmas_f64 v[36:37], v[36:37], v[38:39], v[42:43]
	v_div_fixup_f64 v[34:35], v[36:37], v[34:35], 1.0
	ds_write_b64 v64, v[34:35]
.LBB121_229:
	s_or_b64 exec, exec, s[2:3]
	s_waitcnt lgkmcnt(0)
	s_barrier
	ds_read_b64 v[34:35], v64
	v_cmp_lt_u32_e32 vcc, 45, v66
	s_and_saveexec_b64 s[2:3], vcc
	s_cbranch_execz .LBB121_231
; %bb.230:
	ds_read2_b64 v[36:39], v65 offset0:46 offset1:47
	s_waitcnt lgkmcnt(1)
	v_mul_f64 v[140:141], v[34:35], v[140:141]
	s_waitcnt lgkmcnt(0)
	v_fma_f64 v[198:199], -v[140:141], v[36:37], v[198:199]
	v_fma_f64 v[138:139], -v[140:141], v[38:39], v[138:139]
	ds_read2_b64 v[36:39], v65 offset0:48 offset1:49
	s_waitcnt lgkmcnt(0)
	v_fma_f64 v[196:197], -v[140:141], v[36:37], v[196:197]
	v_fma_f64 v[136:137], -v[140:141], v[38:39], v[136:137]
	ds_read2_b64 v[36:39], v65 offset0:50 offset1:51
	;; [unrolled: 4-line block ×6, first 2 shown]
	s_waitcnt lgkmcnt(0)
	v_fma_f64 v[186:187], -v[140:141], v[36:37], v[186:187]
	ds_read_b64 v[36:37], v65 offset:480
	s_waitcnt vmcnt(61)
	v_fma_f64 v[126:127], -v[140:141], v[38:39], v[126:127]
	s_waitcnt vmcnt(58) lgkmcnt(0)
	v_fma_f64 v[244:245], -v[140:141], v[36:37], v[244:245]
.LBB121_231:
	s_or_b64 exec, exec, s[2:3]
	v_cmp_eq_u32_e32 vcc, 46, v66
	s_waitcnt lgkmcnt(0)
	s_barrier
	s_and_saveexec_b64 s[2:3], vcc
	s_cbranch_execz .LBB121_234
; %bb.232:
	ds_write_b64 v64, v[198:199]
	ds_write2_b64 v65, v[138:139], v[196:197] offset0:47 offset1:48
	ds_write2_b64 v65, v[136:137], v[194:195] offset0:49 offset1:50
	;; [unrolled: 1-line block ×6, first 2 shown]
	s_waitcnt vmcnt(58)
	ds_write2_b64 v65, v[126:127], v[244:245] offset0:59 offset1:60
	ds_read_b64 v[36:37], v64
	s_waitcnt lgkmcnt(0)
	v_cmp_neq_f64_e32 vcc, 0, v[36:37]
	s_and_b64 exec, exec, vcc
	s_cbranch_execz .LBB121_234
; %bb.233:
	v_div_scale_f64 v[38:39], s[6:7], v[36:37], v[36:37], 1.0
	v_rcp_f64_e32 v[40:41], v[38:39]
	v_div_scale_f64 v[42:43], vcc, 1.0, v[36:37], 1.0
	v_fma_f64 v[44:45], -v[38:39], v[40:41], 1.0
	v_fmac_f64_e32 v[40:41], v[40:41], v[44:45]
	v_fma_f64 v[44:45], -v[38:39], v[40:41], 1.0
	v_fmac_f64_e32 v[40:41], v[40:41], v[44:45]
	v_mul_f64 v[44:45], v[42:43], v[40:41]
	v_fma_f64 v[38:39], -v[38:39], v[44:45], v[42:43]
	v_div_fmas_f64 v[38:39], v[38:39], v[40:41], v[44:45]
	v_div_fixup_f64 v[36:37], v[38:39], v[36:37], 1.0
	ds_write_b64 v64, v[36:37]
.LBB121_234:
	s_or_b64 exec, exec, s[2:3]
	s_waitcnt lgkmcnt(0)
	s_barrier
	ds_read_b64 v[36:37], v64
	v_cmp_lt_u32_e32 vcc, 46, v66
	s_and_saveexec_b64 s[2:3], vcc
	s_cbranch_execz .LBB121_236
; %bb.235:
	ds_read2_b64 v[38:41], v65 offset0:47 offset1:48
	s_waitcnt lgkmcnt(1)
	v_mul_f64 v[198:199], v[36:37], v[198:199]
	s_waitcnt lgkmcnt(0)
	v_fma_f64 v[138:139], -v[198:199], v[38:39], v[138:139]
	v_fma_f64 v[196:197], -v[198:199], v[40:41], v[196:197]
	ds_read2_b64 v[38:41], v65 offset0:49 offset1:50
	s_waitcnt lgkmcnt(0)
	v_fma_f64 v[136:137], -v[198:199], v[38:39], v[136:137]
	v_fma_f64 v[194:195], -v[198:199], v[40:41], v[194:195]
	ds_read2_b64 v[38:41], v65 offset0:51 offset1:52
	;; [unrolled: 4-line block ×6, first 2 shown]
	s_waitcnt vmcnt(61) lgkmcnt(0)
	v_fma_f64 v[126:127], -v[198:199], v[38:39], v[126:127]
	s_waitcnt vmcnt(58)
	v_fma_f64 v[244:245], -v[198:199], v[40:41], v[244:245]
.LBB121_236:
	s_or_b64 exec, exec, s[2:3]
	v_cmp_eq_u32_e32 vcc, 47, v66
	s_waitcnt lgkmcnt(0)
	s_barrier
	s_and_saveexec_b64 s[2:3], vcc
	s_cbranch_execz .LBB121_239
; %bb.237:
	v_mov_b32_e32 v38, v196
	v_mov_b32_e32 v39, v197
	;; [unrolled: 1-line block ×4, first 2 shown]
	ds_write_b64 v64, v[138:139]
	ds_write2_b64 v65, v[38:39], v[40:41] offset0:48 offset1:49
	v_mov_b32_e32 v38, v194
	v_mov_b32_e32 v39, v195
	v_mov_b32_e32 v40, v134
	v_mov_b32_e32 v41, v135
	ds_write2_b64 v65, v[38:39], v[40:41] offset0:50 offset1:51
	v_mov_b32_e32 v38, v192
	v_mov_b32_e32 v39, v193
	v_mov_b32_e32 v40, v132
	v_mov_b32_e32 v41, v133
	;; [unrolled: 5-line block ×4, first 2 shown]
	ds_write2_b64 v65, v[38:39], v[40:41] offset0:56 offset1:57
	v_mov_b32_e32 v38, v186
	v_mov_b32_e32 v39, v187
	s_waitcnt vmcnt(61)
	v_mov_b32_e32 v40, v126
	v_mov_b32_e32 v41, v127
	ds_write2_b64 v65, v[38:39], v[40:41] offset0:58 offset1:59
	s_waitcnt vmcnt(58)
	ds_write_b64 v65, v[244:245] offset:480
	ds_read_b64 v[38:39], v64
	s_waitcnt lgkmcnt(0)
	v_cmp_neq_f64_e32 vcc, 0, v[38:39]
	s_and_b64 exec, exec, vcc
	s_cbranch_execz .LBB121_239
; %bb.238:
	v_div_scale_f64 v[40:41], s[6:7], v[38:39], v[38:39], 1.0
	v_rcp_f64_e32 v[42:43], v[40:41]
	v_div_scale_f64 v[44:45], vcc, 1.0, v[38:39], 1.0
	v_fma_f64 v[46:47], -v[40:41], v[42:43], 1.0
	v_fmac_f64_e32 v[42:43], v[42:43], v[46:47]
	v_fma_f64 v[46:47], -v[40:41], v[42:43], 1.0
	v_fmac_f64_e32 v[42:43], v[42:43], v[46:47]
	v_mul_f64 v[46:47], v[44:45], v[42:43]
	v_fma_f64 v[40:41], -v[40:41], v[46:47], v[44:45]
	v_div_fmas_f64 v[40:41], v[40:41], v[42:43], v[46:47]
	v_div_fixup_f64 v[38:39], v[40:41], v[38:39], 1.0
	ds_write_b64 v64, v[38:39]
.LBB121_239:
	s_or_b64 exec, exec, s[2:3]
	s_waitcnt lgkmcnt(0)
	s_barrier
	ds_read_b64 v[38:39], v64
	v_cmp_lt_u32_e32 vcc, 47, v66
	s_and_saveexec_b64 s[2:3], vcc
	s_cbranch_execz .LBB121_241
; %bb.240:
	ds_read2_b64 v[40:43], v65 offset0:48 offset1:49
	s_waitcnt lgkmcnt(1)
	v_mul_f64 v[138:139], v[38:39], v[138:139]
	s_waitcnt lgkmcnt(0)
	v_fma_f64 v[196:197], -v[138:139], v[40:41], v[196:197]
	v_fma_f64 v[136:137], -v[138:139], v[42:43], v[136:137]
	ds_read2_b64 v[40:43], v65 offset0:50 offset1:51
	s_waitcnt lgkmcnt(0)
	v_fma_f64 v[194:195], -v[138:139], v[40:41], v[194:195]
	v_fma_f64 v[134:135], -v[138:139], v[42:43], v[134:135]
	ds_read2_b64 v[40:43], v65 offset0:52 offset1:53
	;; [unrolled: 4-line block ×5, first 2 shown]
	s_waitcnt lgkmcnt(0)
	v_fma_f64 v[186:187], -v[138:139], v[40:41], v[186:187]
	ds_read_b64 v[40:41], v65 offset:480
	s_waitcnt vmcnt(61)
	v_fma_f64 v[126:127], -v[138:139], v[42:43], v[126:127]
	s_waitcnt vmcnt(58) lgkmcnt(0)
	v_fma_f64 v[244:245], -v[138:139], v[40:41], v[244:245]
.LBB121_241:
	s_or_b64 exec, exec, s[2:3]
	v_cmp_eq_u32_e32 vcc, 48, v66
	s_waitcnt lgkmcnt(0)
	s_barrier
	s_and_saveexec_b64 s[2:3], vcc
	s_cbranch_execz .LBB121_244
; %bb.242:
	ds_write_b64 v64, v[196:197]
	ds_write2_b64 v65, v[136:137], v[194:195] offset0:49 offset1:50
	ds_write2_b64 v65, v[134:135], v[192:193] offset0:51 offset1:52
	ds_write2_b64 v65, v[132:133], v[190:191] offset0:53 offset1:54
	ds_write2_b64 v65, v[130:131], v[188:189] offset0:55 offset1:56
	ds_write2_b64 v65, v[128:129], v[186:187] offset0:57 offset1:58
	s_waitcnt vmcnt(58)
	ds_write2_b64 v65, v[126:127], v[244:245] offset0:59 offset1:60
	ds_read_b64 v[40:41], v64
	s_waitcnt lgkmcnt(0)
	v_cmp_neq_f64_e32 vcc, 0, v[40:41]
	s_and_b64 exec, exec, vcc
	s_cbranch_execz .LBB121_244
; %bb.243:
	v_div_scale_f64 v[42:43], s[6:7], v[40:41], v[40:41], 1.0
	v_rcp_f64_e32 v[44:45], v[42:43]
	v_div_scale_f64 v[46:47], vcc, 1.0, v[40:41], 1.0
	v_fma_f64 v[48:49], -v[42:43], v[44:45], 1.0
	v_fmac_f64_e32 v[44:45], v[44:45], v[48:49]
	v_fma_f64 v[48:49], -v[42:43], v[44:45], 1.0
	v_fmac_f64_e32 v[44:45], v[44:45], v[48:49]
	v_mul_f64 v[48:49], v[46:47], v[44:45]
	v_fma_f64 v[42:43], -v[42:43], v[48:49], v[46:47]
	v_div_fmas_f64 v[42:43], v[42:43], v[44:45], v[48:49]
	v_div_fixup_f64 v[40:41], v[42:43], v[40:41], 1.0
	ds_write_b64 v64, v[40:41]
.LBB121_244:
	s_or_b64 exec, exec, s[2:3]
	s_waitcnt lgkmcnt(0)
	s_barrier
	ds_read_b64 v[40:41], v64
	v_cmp_lt_u32_e32 vcc, 48, v66
	s_and_saveexec_b64 s[2:3], vcc
	s_cbranch_execz .LBB121_246
; %bb.245:
	ds_read2_b64 v[42:45], v65 offset0:49 offset1:50
	s_waitcnt lgkmcnt(1)
	v_mul_f64 v[196:197], v[40:41], v[196:197]
	s_waitcnt lgkmcnt(0)
	v_fma_f64 v[136:137], -v[196:197], v[42:43], v[136:137]
	v_fma_f64 v[194:195], -v[196:197], v[44:45], v[194:195]
	ds_read2_b64 v[42:45], v65 offset0:51 offset1:52
	s_waitcnt lgkmcnt(0)
	v_fma_f64 v[134:135], -v[196:197], v[42:43], v[134:135]
	v_fma_f64 v[192:193], -v[196:197], v[44:45], v[192:193]
	ds_read2_b64 v[42:45], v65 offset0:53 offset1:54
	;; [unrolled: 4-line block ×5, first 2 shown]
	s_waitcnt vmcnt(61) lgkmcnt(0)
	v_fma_f64 v[126:127], -v[196:197], v[42:43], v[126:127]
	s_waitcnt vmcnt(58)
	v_fma_f64 v[244:245], -v[196:197], v[44:45], v[244:245]
.LBB121_246:
	s_or_b64 exec, exec, s[2:3]
	v_cmp_eq_u32_e32 vcc, 49, v66
	s_waitcnt lgkmcnt(0)
	s_barrier
	s_and_saveexec_b64 s[2:3], vcc
	s_cbranch_execz .LBB121_249
; %bb.247:
	v_mov_b32_e32 v42, v194
	v_mov_b32_e32 v43, v195
	v_mov_b32_e32 v44, v134
	v_mov_b32_e32 v45, v135
	ds_write_b64 v64, v[136:137]
	ds_write2_b64 v65, v[42:43], v[44:45] offset0:50 offset1:51
	v_mov_b32_e32 v42, v192
	v_mov_b32_e32 v43, v193
	v_mov_b32_e32 v44, v132
	v_mov_b32_e32 v45, v133
	ds_write2_b64 v65, v[42:43], v[44:45] offset0:52 offset1:53
	v_mov_b32_e32 v42, v190
	v_mov_b32_e32 v43, v191
	v_mov_b32_e32 v44, v130
	v_mov_b32_e32 v45, v131
	ds_write2_b64 v65, v[42:43], v[44:45] offset0:54 offset1:55
	v_mov_b32_e32 v42, v188
	v_mov_b32_e32 v43, v189
	v_mov_b32_e32 v44, v128
	v_mov_b32_e32 v45, v129
	ds_write2_b64 v65, v[42:43], v[44:45] offset0:56 offset1:57
	v_mov_b32_e32 v42, v186
	v_mov_b32_e32 v43, v187
	s_waitcnt vmcnt(61)
	v_mov_b32_e32 v44, v126
	v_mov_b32_e32 v45, v127
	ds_write2_b64 v65, v[42:43], v[44:45] offset0:58 offset1:59
	s_waitcnt vmcnt(58)
	ds_write_b64 v65, v[244:245] offset:480
	ds_read_b64 v[42:43], v64
	s_waitcnt lgkmcnt(0)
	v_cmp_neq_f64_e32 vcc, 0, v[42:43]
	s_and_b64 exec, exec, vcc
	s_cbranch_execz .LBB121_249
; %bb.248:
	v_div_scale_f64 v[44:45], s[6:7], v[42:43], v[42:43], 1.0
	v_rcp_f64_e32 v[46:47], v[44:45]
	v_div_scale_f64 v[48:49], vcc, 1.0, v[42:43], 1.0
	v_fma_f64 v[50:51], -v[44:45], v[46:47], 1.0
	v_fmac_f64_e32 v[46:47], v[46:47], v[50:51]
	v_fma_f64 v[50:51], -v[44:45], v[46:47], 1.0
	v_fmac_f64_e32 v[46:47], v[46:47], v[50:51]
	v_mul_f64 v[50:51], v[48:49], v[46:47]
	v_fma_f64 v[44:45], -v[44:45], v[50:51], v[48:49]
	v_div_fmas_f64 v[44:45], v[44:45], v[46:47], v[50:51]
	v_div_fixup_f64 v[42:43], v[44:45], v[42:43], 1.0
	ds_write_b64 v64, v[42:43]
.LBB121_249:
	s_or_b64 exec, exec, s[2:3]
	s_waitcnt lgkmcnt(0)
	s_barrier
	ds_read_b64 v[42:43], v64
	v_cmp_lt_u32_e32 vcc, 49, v66
	s_and_saveexec_b64 s[2:3], vcc
	s_cbranch_execz .LBB121_251
; %bb.250:
	ds_read2_b64 v[44:47], v65 offset0:50 offset1:51
	s_waitcnt lgkmcnt(1)
	v_mul_f64 v[136:137], v[42:43], v[136:137]
	s_waitcnt lgkmcnt(0)
	v_fma_f64 v[194:195], -v[136:137], v[44:45], v[194:195]
	v_fma_f64 v[134:135], -v[136:137], v[46:47], v[134:135]
	ds_read2_b64 v[44:47], v65 offset0:52 offset1:53
	s_waitcnt lgkmcnt(0)
	v_fma_f64 v[192:193], -v[136:137], v[44:45], v[192:193]
	v_fma_f64 v[132:133], -v[136:137], v[46:47], v[132:133]
	ds_read2_b64 v[44:47], v65 offset0:54 offset1:55
	;; [unrolled: 4-line block ×4, first 2 shown]
	s_waitcnt lgkmcnt(0)
	v_fma_f64 v[186:187], -v[136:137], v[44:45], v[186:187]
	ds_read_b64 v[44:45], v65 offset:480
	s_waitcnt vmcnt(61)
	v_fma_f64 v[126:127], -v[136:137], v[46:47], v[126:127]
	s_waitcnt vmcnt(58) lgkmcnt(0)
	v_fma_f64 v[244:245], -v[136:137], v[44:45], v[244:245]
.LBB121_251:
	s_or_b64 exec, exec, s[2:3]
	v_cmp_eq_u32_e32 vcc, 50, v66
	s_waitcnt lgkmcnt(0)
	s_barrier
	s_and_saveexec_b64 s[2:3], vcc
	s_cbranch_execz .LBB121_254
; %bb.252:
	ds_write_b64 v64, v[194:195]
	ds_write2_b64 v65, v[134:135], v[192:193] offset0:51 offset1:52
	ds_write2_b64 v65, v[132:133], v[190:191] offset0:53 offset1:54
	;; [unrolled: 1-line block ×4, first 2 shown]
	s_waitcnt vmcnt(58)
	ds_write2_b64 v65, v[126:127], v[244:245] offset0:59 offset1:60
	ds_read_b64 v[44:45], v64
	s_waitcnt lgkmcnt(0)
	v_cmp_neq_f64_e32 vcc, 0, v[44:45]
	s_and_b64 exec, exec, vcc
	s_cbranch_execz .LBB121_254
; %bb.253:
	v_div_scale_f64 v[46:47], s[6:7], v[44:45], v[44:45], 1.0
	v_rcp_f64_e32 v[48:49], v[46:47]
	v_div_scale_f64 v[50:51], vcc, 1.0, v[44:45], 1.0
	v_fma_f64 v[52:53], -v[46:47], v[48:49], 1.0
	v_fmac_f64_e32 v[48:49], v[48:49], v[52:53]
	v_fma_f64 v[52:53], -v[46:47], v[48:49], 1.0
	v_fmac_f64_e32 v[48:49], v[48:49], v[52:53]
	v_mul_f64 v[52:53], v[50:51], v[48:49]
	v_fma_f64 v[46:47], -v[46:47], v[52:53], v[50:51]
	v_div_fmas_f64 v[46:47], v[46:47], v[48:49], v[52:53]
	v_div_fixup_f64 v[44:45], v[46:47], v[44:45], 1.0
	ds_write_b64 v64, v[44:45]
.LBB121_254:
	s_or_b64 exec, exec, s[2:3]
	s_waitcnt lgkmcnt(0)
	s_barrier
	ds_read_b64 v[44:45], v64
	v_cmp_lt_u32_e32 vcc, 50, v66
	s_and_saveexec_b64 s[2:3], vcc
	s_cbranch_execz .LBB121_256
; %bb.255:
	ds_read2_b64 v[46:49], v65 offset0:51 offset1:52
	s_waitcnt lgkmcnt(1)
	v_mul_f64 v[194:195], v[44:45], v[194:195]
	s_waitcnt lgkmcnt(0)
	v_fma_f64 v[134:135], -v[194:195], v[46:47], v[134:135]
	v_fma_f64 v[192:193], -v[194:195], v[48:49], v[192:193]
	ds_read2_b64 v[46:49], v65 offset0:53 offset1:54
	s_waitcnt lgkmcnt(0)
	v_fma_f64 v[132:133], -v[194:195], v[46:47], v[132:133]
	v_fma_f64 v[190:191], -v[194:195], v[48:49], v[190:191]
	ds_read2_b64 v[46:49], v65 offset0:55 offset1:56
	;; [unrolled: 4-line block ×4, first 2 shown]
	s_waitcnt vmcnt(61) lgkmcnt(0)
	v_fma_f64 v[126:127], -v[194:195], v[46:47], v[126:127]
	s_waitcnt vmcnt(58)
	v_fma_f64 v[244:245], -v[194:195], v[48:49], v[244:245]
.LBB121_256:
	s_or_b64 exec, exec, s[2:3]
	v_cmp_eq_u32_e32 vcc, 51, v66
	s_waitcnt lgkmcnt(0)
	s_barrier
	s_and_saveexec_b64 s[2:3], vcc
	s_cbranch_execz .LBB121_259
; %bb.257:
	v_mov_b32_e32 v46, v192
	v_mov_b32_e32 v47, v193
	;; [unrolled: 1-line block ×4, first 2 shown]
	ds_write_b64 v64, v[134:135]
	ds_write2_b64 v65, v[46:47], v[48:49] offset0:52 offset1:53
	v_mov_b32_e32 v46, v190
	v_mov_b32_e32 v47, v191
	;; [unrolled: 1-line block ×4, first 2 shown]
	ds_write2_b64 v65, v[46:47], v[48:49] offset0:54 offset1:55
	v_mov_b32_e32 v46, v188
	v_mov_b32_e32 v47, v189
	;; [unrolled: 1-line block ×4, first 2 shown]
	ds_write2_b64 v65, v[46:47], v[48:49] offset0:56 offset1:57
	v_mov_b32_e32 v46, v186
	v_mov_b32_e32 v47, v187
	s_waitcnt vmcnt(61)
	v_mov_b32_e32 v48, v126
	v_mov_b32_e32 v49, v127
	ds_write2_b64 v65, v[46:47], v[48:49] offset0:58 offset1:59
	s_waitcnt vmcnt(58)
	ds_write_b64 v65, v[244:245] offset:480
	ds_read_b64 v[46:47], v64
	s_waitcnt lgkmcnt(0)
	v_cmp_neq_f64_e32 vcc, 0, v[46:47]
	s_and_b64 exec, exec, vcc
	s_cbranch_execz .LBB121_259
; %bb.258:
	v_div_scale_f64 v[48:49], s[6:7], v[46:47], v[46:47], 1.0
	v_rcp_f64_e32 v[50:51], v[48:49]
	v_div_scale_f64 v[52:53], vcc, 1.0, v[46:47], 1.0
	v_fma_f64 v[54:55], -v[48:49], v[50:51], 1.0
	v_fmac_f64_e32 v[50:51], v[50:51], v[54:55]
	v_fma_f64 v[54:55], -v[48:49], v[50:51], 1.0
	v_fmac_f64_e32 v[50:51], v[50:51], v[54:55]
	v_mul_f64 v[54:55], v[52:53], v[50:51]
	v_fma_f64 v[48:49], -v[48:49], v[54:55], v[52:53]
	v_div_fmas_f64 v[48:49], v[48:49], v[50:51], v[54:55]
	v_div_fixup_f64 v[46:47], v[48:49], v[46:47], 1.0
	ds_write_b64 v64, v[46:47]
.LBB121_259:
	s_or_b64 exec, exec, s[2:3]
	s_waitcnt lgkmcnt(0)
	s_barrier
	ds_read_b64 v[46:47], v64
	v_cmp_lt_u32_e32 vcc, 51, v66
	s_and_saveexec_b64 s[2:3], vcc
	s_cbranch_execz .LBB121_261
; %bb.260:
	ds_read2_b64 v[48:51], v65 offset0:52 offset1:53
	s_waitcnt lgkmcnt(1)
	v_mul_f64 v[134:135], v[46:47], v[134:135]
	s_waitcnt lgkmcnt(0)
	v_fma_f64 v[192:193], -v[134:135], v[48:49], v[192:193]
	v_fma_f64 v[132:133], -v[134:135], v[50:51], v[132:133]
	ds_read2_b64 v[48:51], v65 offset0:54 offset1:55
	s_waitcnt lgkmcnt(0)
	v_fma_f64 v[190:191], -v[134:135], v[48:49], v[190:191]
	v_fma_f64 v[130:131], -v[134:135], v[50:51], v[130:131]
	ds_read2_b64 v[48:51], v65 offset0:56 offset1:57
	;; [unrolled: 4-line block ×3, first 2 shown]
	s_waitcnt lgkmcnt(0)
	v_fma_f64 v[186:187], -v[134:135], v[48:49], v[186:187]
	ds_read_b64 v[48:49], v65 offset:480
	s_waitcnt vmcnt(61)
	v_fma_f64 v[126:127], -v[134:135], v[50:51], v[126:127]
	s_waitcnt vmcnt(58) lgkmcnt(0)
	v_fma_f64 v[244:245], -v[134:135], v[48:49], v[244:245]
.LBB121_261:
	s_or_b64 exec, exec, s[2:3]
	v_cmp_eq_u32_e32 vcc, 52, v66
	s_waitcnt lgkmcnt(0)
	s_barrier
	s_and_saveexec_b64 s[2:3], vcc
	s_cbranch_execz .LBB121_264
; %bb.262:
	ds_write_b64 v64, v[192:193]
	ds_write2_b64 v65, v[132:133], v[190:191] offset0:53 offset1:54
	ds_write2_b64 v65, v[130:131], v[188:189] offset0:55 offset1:56
	;; [unrolled: 1-line block ×3, first 2 shown]
	s_waitcnt vmcnt(58)
	ds_write2_b64 v65, v[126:127], v[244:245] offset0:59 offset1:60
	ds_read_b64 v[48:49], v64
	s_waitcnt lgkmcnt(0)
	v_cmp_neq_f64_e32 vcc, 0, v[48:49]
	s_and_b64 exec, exec, vcc
	s_cbranch_execz .LBB121_264
; %bb.263:
	v_div_scale_f64 v[50:51], s[6:7], v[48:49], v[48:49], 1.0
	v_rcp_f64_e32 v[52:53], v[50:51]
	v_div_scale_f64 v[54:55], vcc, 1.0, v[48:49], 1.0
	v_fma_f64 v[56:57], -v[50:51], v[52:53], 1.0
	v_fmac_f64_e32 v[52:53], v[52:53], v[56:57]
	v_fma_f64 v[56:57], -v[50:51], v[52:53], 1.0
	v_fmac_f64_e32 v[52:53], v[52:53], v[56:57]
	v_mul_f64 v[56:57], v[54:55], v[52:53]
	v_fma_f64 v[50:51], -v[50:51], v[56:57], v[54:55]
	v_div_fmas_f64 v[50:51], v[50:51], v[52:53], v[56:57]
	v_div_fixup_f64 v[48:49], v[50:51], v[48:49], 1.0
	ds_write_b64 v64, v[48:49]
.LBB121_264:
	s_or_b64 exec, exec, s[2:3]
	s_waitcnt lgkmcnt(0)
	s_barrier
	ds_read_b64 v[48:49], v64
	v_cmp_lt_u32_e32 vcc, 52, v66
	s_and_saveexec_b64 s[2:3], vcc
	s_cbranch_execz .LBB121_266
; %bb.265:
	ds_read2_b64 v[50:53], v65 offset0:53 offset1:54
	s_waitcnt lgkmcnt(1)
	v_mul_f64 v[192:193], v[48:49], v[192:193]
	s_waitcnt lgkmcnt(0)
	v_fma_f64 v[132:133], -v[192:193], v[50:51], v[132:133]
	v_fma_f64 v[190:191], -v[192:193], v[52:53], v[190:191]
	ds_read2_b64 v[50:53], v65 offset0:55 offset1:56
	s_waitcnt lgkmcnt(0)
	v_fma_f64 v[130:131], -v[192:193], v[50:51], v[130:131]
	v_fma_f64 v[188:189], -v[192:193], v[52:53], v[188:189]
	ds_read2_b64 v[50:53], v65 offset0:57 offset1:58
	s_waitcnt lgkmcnt(0)
	v_fma_f64 v[128:129], -v[192:193], v[50:51], v[128:129]
	v_fma_f64 v[186:187], -v[192:193], v[52:53], v[186:187]
	ds_read2_b64 v[50:53], v65 offset0:59 offset1:60
	s_waitcnt vmcnt(61) lgkmcnt(0)
	v_fma_f64 v[126:127], -v[192:193], v[50:51], v[126:127]
	s_waitcnt vmcnt(58)
	v_fma_f64 v[244:245], -v[192:193], v[52:53], v[244:245]
.LBB121_266:
	s_or_b64 exec, exec, s[2:3]
	v_cmp_eq_u32_e32 vcc, 53, v66
	s_waitcnt lgkmcnt(0)
	s_barrier
	s_and_saveexec_b64 s[2:3], vcc
	s_cbranch_execz .LBB121_269
; %bb.267:
	v_mov_b32_e32 v50, v190
	v_mov_b32_e32 v51, v191
	;; [unrolled: 1-line block ×4, first 2 shown]
	ds_write_b64 v64, v[132:133]
	ds_write2_b64 v65, v[50:51], v[52:53] offset0:54 offset1:55
	v_mov_b32_e32 v50, v188
	v_mov_b32_e32 v51, v189
	;; [unrolled: 1-line block ×4, first 2 shown]
	ds_write2_b64 v65, v[50:51], v[52:53] offset0:56 offset1:57
	v_mov_b32_e32 v50, v186
	v_mov_b32_e32 v51, v187
	s_waitcnt vmcnt(61)
	v_mov_b32_e32 v52, v126
	v_mov_b32_e32 v53, v127
	ds_write2_b64 v65, v[50:51], v[52:53] offset0:58 offset1:59
	s_waitcnt vmcnt(58)
	ds_write_b64 v65, v[244:245] offset:480
	ds_read_b64 v[50:51], v64
	s_waitcnt lgkmcnt(0)
	v_cmp_neq_f64_e32 vcc, 0, v[50:51]
	s_and_b64 exec, exec, vcc
	s_cbranch_execz .LBB121_269
; %bb.268:
	v_div_scale_f64 v[52:53], s[6:7], v[50:51], v[50:51], 1.0
	v_rcp_f64_e32 v[54:55], v[52:53]
	v_div_scale_f64 v[56:57], vcc, 1.0, v[50:51], 1.0
	v_fma_f64 v[58:59], -v[52:53], v[54:55], 1.0
	v_fmac_f64_e32 v[54:55], v[54:55], v[58:59]
	v_fma_f64 v[58:59], -v[52:53], v[54:55], 1.0
	v_fmac_f64_e32 v[54:55], v[54:55], v[58:59]
	v_mul_f64 v[58:59], v[56:57], v[54:55]
	v_fma_f64 v[52:53], -v[52:53], v[58:59], v[56:57]
	v_div_fmas_f64 v[52:53], v[52:53], v[54:55], v[58:59]
	v_div_fixup_f64 v[50:51], v[52:53], v[50:51], 1.0
	ds_write_b64 v64, v[50:51]
.LBB121_269:
	s_or_b64 exec, exec, s[2:3]
	s_waitcnt lgkmcnt(0)
	s_barrier
	ds_read_b64 v[50:51], v64
	v_cmp_lt_u32_e32 vcc, 53, v66
	s_and_saveexec_b64 s[2:3], vcc
	s_cbranch_execz .LBB121_271
; %bb.270:
	ds_read2_b64 v[52:55], v65 offset0:54 offset1:55
	s_waitcnt lgkmcnt(1)
	v_mul_f64 v[132:133], v[50:51], v[132:133]
	s_waitcnt lgkmcnt(0)
	v_fma_f64 v[190:191], -v[132:133], v[52:53], v[190:191]
	v_fma_f64 v[130:131], -v[132:133], v[54:55], v[130:131]
	ds_read2_b64 v[52:55], v65 offset0:56 offset1:57
	s_waitcnt lgkmcnt(0)
	v_fma_f64 v[188:189], -v[132:133], v[52:53], v[188:189]
	v_fma_f64 v[128:129], -v[132:133], v[54:55], v[128:129]
	ds_read2_b64 v[52:55], v65 offset0:58 offset1:59
	s_waitcnt lgkmcnt(0)
	v_fma_f64 v[186:187], -v[132:133], v[52:53], v[186:187]
	ds_read_b64 v[52:53], v65 offset:480
	s_waitcnt vmcnt(61)
	v_fma_f64 v[126:127], -v[132:133], v[54:55], v[126:127]
	s_waitcnt vmcnt(58) lgkmcnt(0)
	v_fma_f64 v[244:245], -v[132:133], v[52:53], v[244:245]
.LBB121_271:
	s_or_b64 exec, exec, s[2:3]
	v_cmp_eq_u32_e32 vcc, 54, v66
	s_waitcnt lgkmcnt(0)
	s_barrier
	s_and_saveexec_b64 s[2:3], vcc
	s_cbranch_execz .LBB121_274
; %bb.272:
	ds_write_b64 v64, v[190:191]
	ds_write2_b64 v65, v[130:131], v[188:189] offset0:55 offset1:56
	ds_write2_b64 v65, v[128:129], v[186:187] offset0:57 offset1:58
	s_waitcnt vmcnt(58)
	ds_write2_b64 v65, v[126:127], v[244:245] offset0:59 offset1:60
	ds_read_b64 v[52:53], v64
	s_waitcnt lgkmcnt(0)
	v_cmp_neq_f64_e32 vcc, 0, v[52:53]
	s_and_b64 exec, exec, vcc
	s_cbranch_execz .LBB121_274
; %bb.273:
	v_div_scale_f64 v[54:55], s[6:7], v[52:53], v[52:53], 1.0
	v_rcp_f64_e32 v[56:57], v[54:55]
	v_div_scale_f64 v[58:59], vcc, 1.0, v[52:53], 1.0
	v_fma_f64 v[60:61], -v[54:55], v[56:57], 1.0
	v_fmac_f64_e32 v[56:57], v[56:57], v[60:61]
	v_fma_f64 v[60:61], -v[54:55], v[56:57], 1.0
	v_fmac_f64_e32 v[56:57], v[56:57], v[60:61]
	v_mul_f64 v[60:61], v[58:59], v[56:57]
	v_fma_f64 v[54:55], -v[54:55], v[60:61], v[58:59]
	v_div_fmas_f64 v[54:55], v[54:55], v[56:57], v[60:61]
	v_div_fixup_f64 v[52:53], v[54:55], v[52:53], 1.0
	ds_write_b64 v64, v[52:53]
.LBB121_274:
	s_or_b64 exec, exec, s[2:3]
	s_waitcnt lgkmcnt(0)
	s_barrier
	ds_read_b64 v[52:53], v64
	v_cmp_lt_u32_e32 vcc, 54, v66
	s_and_saveexec_b64 s[2:3], vcc
	s_cbranch_execz .LBB121_276
; %bb.275:
	ds_read2_b64 v[54:57], v65 offset0:55 offset1:56
	s_waitcnt lgkmcnt(1)
	v_mul_f64 v[190:191], v[52:53], v[190:191]
	s_waitcnt lgkmcnt(0)
	v_fma_f64 v[130:131], -v[190:191], v[54:55], v[130:131]
	v_fma_f64 v[188:189], -v[190:191], v[56:57], v[188:189]
	ds_read2_b64 v[54:57], v65 offset0:57 offset1:58
	s_waitcnt lgkmcnt(0)
	v_fma_f64 v[128:129], -v[190:191], v[54:55], v[128:129]
	v_fma_f64 v[186:187], -v[190:191], v[56:57], v[186:187]
	ds_read2_b64 v[54:57], v65 offset0:59 offset1:60
	s_waitcnt vmcnt(61) lgkmcnt(0)
	v_fma_f64 v[126:127], -v[190:191], v[54:55], v[126:127]
	s_waitcnt vmcnt(58)
	v_fma_f64 v[244:245], -v[190:191], v[56:57], v[244:245]
.LBB121_276:
	s_or_b64 exec, exec, s[2:3]
	v_cmp_eq_u32_e32 vcc, 55, v66
	s_waitcnt lgkmcnt(0)
	s_barrier
	s_and_saveexec_b64 s[2:3], vcc
	s_cbranch_execz .LBB121_279
; %bb.277:
	v_mov_b32_e32 v54, v188
	v_mov_b32_e32 v55, v189
	;; [unrolled: 1-line block ×4, first 2 shown]
	ds_write_b64 v64, v[130:131]
	ds_write2_b64 v65, v[54:55], v[56:57] offset0:56 offset1:57
	v_mov_b32_e32 v54, v186
	v_mov_b32_e32 v55, v187
	s_waitcnt vmcnt(61)
	v_mov_b32_e32 v56, v126
	v_mov_b32_e32 v57, v127
	ds_write2_b64 v65, v[54:55], v[56:57] offset0:58 offset1:59
	s_waitcnt vmcnt(58)
	ds_write_b64 v65, v[244:245] offset:480
	ds_read_b64 v[54:55], v64
	s_waitcnt lgkmcnt(0)
	v_cmp_neq_f64_e32 vcc, 0, v[54:55]
	s_and_b64 exec, exec, vcc
	s_cbranch_execz .LBB121_279
; %bb.278:
	v_div_scale_f64 v[56:57], s[6:7], v[54:55], v[54:55], 1.0
	v_rcp_f64_e32 v[58:59], v[56:57]
	v_div_scale_f64 v[60:61], vcc, 1.0, v[54:55], 1.0
	v_fma_f64 v[62:63], -v[56:57], v[58:59], 1.0
	v_fmac_f64_e32 v[58:59], v[58:59], v[62:63]
	v_fma_f64 v[62:63], -v[56:57], v[58:59], 1.0
	v_fmac_f64_e32 v[58:59], v[58:59], v[62:63]
	v_mul_f64 v[62:63], v[60:61], v[58:59]
	v_fma_f64 v[56:57], -v[56:57], v[62:63], v[60:61]
	v_div_fmas_f64 v[56:57], v[56:57], v[58:59], v[62:63]
	v_div_fixup_f64 v[54:55], v[56:57], v[54:55], 1.0
	ds_write_b64 v64, v[54:55]
.LBB121_279:
	s_or_b64 exec, exec, s[2:3]
	s_waitcnt lgkmcnt(0)
	s_barrier
	ds_read_b64 v[54:55], v64
	v_cmp_lt_u32_e32 vcc, 55, v66
	s_and_saveexec_b64 s[2:3], vcc
	s_cbranch_execz .LBB121_281
; %bb.280:
	ds_read2_b64 v[56:59], v65 offset0:56 offset1:57
	s_waitcnt lgkmcnt(1)
	v_mul_f64 v[130:131], v[54:55], v[130:131]
	s_waitcnt lgkmcnt(0)
	v_fma_f64 v[188:189], -v[130:131], v[56:57], v[188:189]
	v_fma_f64 v[128:129], -v[130:131], v[58:59], v[128:129]
	ds_read2_b64 v[56:59], v65 offset0:58 offset1:59
	s_waitcnt lgkmcnt(0)
	v_fma_f64 v[186:187], -v[130:131], v[56:57], v[186:187]
	ds_read_b64 v[56:57], v65 offset:480
	s_waitcnt vmcnt(61)
	v_fma_f64 v[126:127], -v[130:131], v[58:59], v[126:127]
	s_waitcnt vmcnt(58) lgkmcnt(0)
	v_fma_f64 v[244:245], -v[130:131], v[56:57], v[244:245]
.LBB121_281:
	s_or_b64 exec, exec, s[2:3]
	v_cmp_eq_u32_e32 vcc, 56, v66
	s_waitcnt lgkmcnt(0)
	s_barrier
	s_and_saveexec_b64 s[2:3], vcc
	s_cbranch_execz .LBB121_284
; %bb.282:
	ds_write_b64 v64, v[188:189]
	ds_write2_b64 v65, v[128:129], v[186:187] offset0:57 offset1:58
	s_waitcnt vmcnt(58)
	ds_write2_b64 v65, v[126:127], v[244:245] offset0:59 offset1:60
	ds_read_b64 v[56:57], v64
	s_waitcnt lgkmcnt(0)
	v_cmp_neq_f64_e32 vcc, 0, v[56:57]
	s_and_b64 exec, exec, vcc
	s_cbranch_execz .LBB121_284
; %bb.283:
	v_div_scale_f64 v[58:59], s[6:7], v[56:57], v[56:57], 1.0
	v_rcp_f64_e32 v[60:61], v[58:59]
	v_div_scale_f64 v[62:63], vcc, 1.0, v[56:57], 1.0
	v_fma_f64 v[68:69], -v[58:59], v[60:61], 1.0
	v_fmac_f64_e32 v[60:61], v[60:61], v[68:69]
	v_fma_f64 v[68:69], -v[58:59], v[60:61], 1.0
	v_fmac_f64_e32 v[60:61], v[60:61], v[68:69]
	v_mul_f64 v[68:69], v[62:63], v[60:61]
	v_fma_f64 v[58:59], -v[58:59], v[68:69], v[62:63]
	v_div_fmas_f64 v[58:59], v[58:59], v[60:61], v[68:69]
	v_div_fixup_f64 v[56:57], v[58:59], v[56:57], 1.0
	ds_write_b64 v64, v[56:57]
.LBB121_284:
	s_or_b64 exec, exec, s[2:3]
	s_waitcnt lgkmcnt(0)
	s_barrier
	ds_read_b64 v[56:57], v64
	v_cmp_lt_u32_e32 vcc, 56, v66
	s_and_saveexec_b64 s[2:3], vcc
	s_cbranch_execz .LBB121_286
; %bb.285:
	ds_read2_b64 v[58:61], v65 offset0:57 offset1:58
	s_waitcnt lgkmcnt(1)
	v_mul_f64 v[188:189], v[56:57], v[188:189]
	s_waitcnt lgkmcnt(0)
	v_fma_f64 v[128:129], -v[188:189], v[58:59], v[128:129]
	v_fma_f64 v[186:187], -v[188:189], v[60:61], v[186:187]
	ds_read2_b64 v[58:61], v65 offset0:59 offset1:60
	s_waitcnt vmcnt(61) lgkmcnt(0)
	v_fma_f64 v[126:127], -v[188:189], v[58:59], v[126:127]
	s_waitcnt vmcnt(58)
	v_fma_f64 v[244:245], -v[188:189], v[60:61], v[244:245]
.LBB121_286:
	s_or_b64 exec, exec, s[2:3]
	v_cmp_eq_u32_e32 vcc, 57, v66
	s_waitcnt lgkmcnt(0)
	s_barrier
	s_and_saveexec_b64 s[2:3], vcc
	s_cbranch_execz .LBB121_289
; %bb.287:
	v_mov_b32_e32 v58, v186
	v_mov_b32_e32 v59, v187
	s_waitcnt vmcnt(61)
	v_mov_b32_e32 v60, v126
	v_mov_b32_e32 v61, v127
	ds_write_b64 v64, v[128:129]
	ds_write2_b64 v65, v[58:59], v[60:61] offset0:58 offset1:59
	s_waitcnt vmcnt(58)
	ds_write_b64 v65, v[244:245] offset:480
	ds_read_b64 v[58:59], v64
	s_waitcnt lgkmcnt(0)
	v_cmp_neq_f64_e32 vcc, 0, v[58:59]
	s_and_b64 exec, exec, vcc
	s_cbranch_execz .LBB121_289
; %bb.288:
	v_div_scale_f64 v[60:61], s[6:7], v[58:59], v[58:59], 1.0
	v_rcp_f64_e32 v[62:63], v[60:61]
	v_div_scale_f64 v[68:69], vcc, 1.0, v[58:59], 1.0
	v_fma_f64 v[70:71], -v[60:61], v[62:63], 1.0
	v_fmac_f64_e32 v[62:63], v[62:63], v[70:71]
	v_fma_f64 v[70:71], -v[60:61], v[62:63], 1.0
	v_fmac_f64_e32 v[62:63], v[62:63], v[70:71]
	v_mul_f64 v[70:71], v[68:69], v[62:63]
	v_fma_f64 v[60:61], -v[60:61], v[70:71], v[68:69]
	v_div_fmas_f64 v[60:61], v[60:61], v[62:63], v[70:71]
	v_div_fixup_f64 v[58:59], v[60:61], v[58:59], 1.0
	ds_write_b64 v64, v[58:59]
.LBB121_289:
	s_or_b64 exec, exec, s[2:3]
	s_waitcnt lgkmcnt(0)
	s_barrier
	ds_read_b64 v[58:59], v64
	v_cmp_lt_u32_e32 vcc, 57, v66
	s_and_saveexec_b64 s[2:3], vcc
	s_cbranch_execz .LBB121_291
; %bb.290:
	ds_read2_b64 v[60:63], v65 offset0:58 offset1:59
	s_waitcnt lgkmcnt(1)
	v_mul_f64 v[128:129], v[58:59], v[128:129]
	s_waitcnt lgkmcnt(0)
	v_fma_f64 v[186:187], -v[128:129], v[60:61], v[186:187]
	ds_read_b64 v[60:61], v65 offset:480
	s_waitcnt vmcnt(61)
	v_fma_f64 v[126:127], -v[128:129], v[62:63], v[126:127]
	s_waitcnt vmcnt(58) lgkmcnt(0)
	v_fma_f64 v[244:245], -v[128:129], v[60:61], v[244:245]
.LBB121_291:
	s_or_b64 exec, exec, s[2:3]
	v_cmp_eq_u32_e32 vcc, 58, v66
	s_waitcnt lgkmcnt(0)
	s_barrier
	s_and_saveexec_b64 s[2:3], vcc
	s_cbranch_execz .LBB121_294
; %bb.292:
	ds_write_b64 v64, v[186:187]
	s_waitcnt vmcnt(58)
	ds_write2_b64 v65, v[126:127], v[244:245] offset0:59 offset1:60
	ds_read_b64 v[60:61], v64
	s_waitcnt lgkmcnt(0)
	v_cmp_neq_f64_e32 vcc, 0, v[60:61]
	s_and_b64 exec, exec, vcc
	s_cbranch_execz .LBB121_294
; %bb.293:
	v_div_scale_f64 v[62:63], s[6:7], v[60:61], v[60:61], 1.0
	v_rcp_f64_e32 v[68:69], v[62:63]
	v_pk_mov_b32 v[0:1], v[72:73], v[72:73] op_sel:[0,1]
	v_div_scale_f64 v[70:71], vcc, 1.0, v[60:61], 1.0
	v_fma_f64 v[72:73], -v[62:63], v[68:69], 1.0
	v_fmac_f64_e32 v[68:69], v[68:69], v[72:73]
	v_fma_f64 v[72:73], -v[62:63], v[68:69], 1.0
	v_fmac_f64_e32 v[68:69], v[68:69], v[72:73]
	v_mul_f64 v[72:73], v[70:71], v[68:69]
	v_fma_f64 v[62:63], -v[62:63], v[72:73], v[70:71]
	v_div_fmas_f64 v[62:63], v[62:63], v[68:69], v[72:73]
	v_pk_mov_b32 v[72:73], v[0:1], v[0:1] op_sel:[0,1]
	v_div_fixup_f64 v[60:61], v[62:63], v[60:61], 1.0
	ds_write_b64 v64, v[60:61]
.LBB121_294:
	s_or_b64 exec, exec, s[2:3]
	s_waitcnt lgkmcnt(0)
	s_barrier
	ds_read_b64 v[60:61], v64
	v_cmp_lt_u32_e32 vcc, 58, v66
	s_and_saveexec_b64 s[2:3], vcc
	s_cbranch_execz .LBB121_296
; %bb.295:
	ds_read2_b64 v[68:71], v65 offset0:59 offset1:60
	s_waitcnt lgkmcnt(1)
	v_mul_f64 v[186:187], v[60:61], v[186:187]
	s_waitcnt vmcnt(61) lgkmcnt(0)
	v_fma_f64 v[126:127], -v[186:187], v[68:69], v[126:127]
	s_waitcnt vmcnt(58)
	v_fma_f64 v[244:245], -v[186:187], v[70:71], v[244:245]
.LBB121_296:
	s_or_b64 exec, exec, s[2:3]
	v_cmp_eq_u32_e32 vcc, 59, v66
	s_waitcnt lgkmcnt(0)
	s_barrier
	s_and_saveexec_b64 s[2:3], vcc
	s_cbranch_execz .LBB121_299
; %bb.297:
	s_waitcnt vmcnt(61)
	ds_write_b64 v64, v[126:127]
	s_waitcnt vmcnt(58)
	ds_write_b64 v65, v[244:245] offset:480
	ds_read_b64 v[62:63], v64
	s_waitcnt lgkmcnt(0)
	v_cmp_neq_f64_e32 vcc, 0, v[62:63]
	s_and_b64 exec, exec, vcc
	s_cbranch_execz .LBB121_299
; %bb.298:
	v_div_scale_f64 v[68:69], s[6:7], v[62:63], v[62:63], 1.0
	v_rcp_f64_e32 v[70:71], v[68:69]
	buffer_store_dword v64, off, s[16:19], 0 offset:480 ; 4-byte Folded Spill
	v_mov_b32_e32 v64, v66
	v_pk_mov_b32 v[66:67], v[164:165], v[164:165] op_sel:[0,1]
	v_pk_mov_b32 v[164:165], v[224:225], v[224:225] op_sel:[0,1]
	v_pk_mov_b32 v[224:225], v[166:167], v[166:167] op_sel:[0,1]
	v_pk_mov_b32 v[166:167], v[226:227], v[226:227] op_sel:[0,1]
	v_pk_mov_b32 v[226:227], v[48:49], v[48:49] op_sel:[0,1]
	v_pk_mov_b32 v[48:49], v[168:169], v[168:169] op_sel:[0,1]
	v_pk_mov_b32 v[168:169], v[228:229], v[228:229] op_sel:[0,1]
	v_pk_mov_b32 v[228:229], v[170:171], v[170:171] op_sel:[0,1]
	v_pk_mov_b32 v[170:171], v[230:231], v[230:231] op_sel:[0,1]
	v_pk_mov_b32 v[230:231], v[172:173], v[172:173] op_sel:[0,1]
	v_pk_mov_b32 v[172:173], v[232:233], v[232:233] op_sel:[0,1]
	v_pk_mov_b32 v[232:233], v[46:47], v[46:47] op_sel:[0,1]
	v_pk_mov_b32 v[46:47], v[174:175], v[174:175] op_sel:[0,1]
	v_pk_mov_b32 v[174:175], v[234:235], v[234:235] op_sel:[0,1]
	v_pk_mov_b32 v[234:235], v[176:177], v[176:177] op_sel:[0,1]
	v_pk_mov_b32 v[176:177], v[236:237], v[236:237] op_sel:[0,1]
	v_pk_mov_b32 v[236:237], v[178:179], v[178:179] op_sel:[0,1]
	v_pk_mov_b32 v[178:179], v[44:45], v[44:45] op_sel:[0,1]
	v_pk_mov_b32 v[44:45], v[238:239], v[238:239] op_sel:[0,1]
	v_pk_mov_b32 v[238:239], v[180:181], v[180:181] op_sel:[0,1]
	v_pk_mov_b32 v[180:181], v[240:241], v[240:241] op_sel:[0,1]
	v_pk_mov_b32 v[240:241], v[182:183], v[182:183] op_sel:[0,1]
	v_pk_mov_b32 v[182:183], v[42:43], v[42:43] op_sel:[0,1]
	v_pk_mov_b32 v[42:43], v[242:243], v[242:243] op_sel:[0,1]
	v_pk_mov_b32 v[242:243], v[184:185], v[184:185] op_sel:[0,1]
	v_pk_mov_b32 v[184:185], v[124:125], v[124:125] op_sel:[0,1]
	v_pk_mov_b32 v[124:125], v[40:41], v[40:41] op_sel:[0,1]
	v_pk_mov_b32 v[40:41], v[38:39], v[38:39] op_sel:[0,1]
	v_pk_mov_b32 v[38:39], v[36:37], v[36:37] op_sel:[0,1]
	v_pk_mov_b32 v[36:37], v[34:35], v[34:35] op_sel:[0,1]
	v_pk_mov_b32 v[34:35], v[32:33], v[32:33] op_sel:[0,1]
	v_pk_mov_b32 v[32:33], v[30:31], v[30:31] op_sel:[0,1]
	v_pk_mov_b32 v[30:31], v[28:29], v[28:29] op_sel:[0,1]
	v_pk_mov_b32 v[28:29], v[26:27], v[26:27] op_sel:[0,1]
	v_pk_mov_b32 v[26:27], v[24:25], v[24:25] op_sel:[0,1]
	v_pk_mov_b32 v[24:25], v[22:23], v[22:23] op_sel:[0,1]
	v_pk_mov_b32 v[22:23], v[20:21], v[20:21] op_sel:[0,1]
	v_pk_mov_b32 v[20:21], v[18:19], v[18:19] op_sel:[0,1]
	v_pk_mov_b32 v[18:19], v[16:17], v[16:17] op_sel:[0,1]
	v_pk_mov_b32 v[16:17], v[14:15], v[14:15] op_sel:[0,1]
	v_pk_mov_b32 v[14:15], v[12:13], v[12:13] op_sel:[0,1]
	v_pk_mov_b32 v[12:13], v[10:11], v[10:11] op_sel:[0,1]
	v_pk_mov_b32 v[10:11], v[8:9], v[8:9] op_sel:[0,1]
	v_pk_mov_b32 v[8:9], v[6:7], v[6:7] op_sel:[0,1]
	v_pk_mov_b32 v[6:7], v[4:5], v[4:5] op_sel:[0,1]
	v_pk_mov_b32 v[4:5], v[120:121], v[120:121] op_sel:[0,1]
	v_pk_mov_b32 v[120:121], v[2:3], v[2:3] op_sel:[0,1]
	v_pk_mov_b32 v[2:3], v[248:249], v[248:249] op_sel:[0,1]
	v_pk_mov_b32 v[248:249], v[246:247], v[246:247] op_sel:[0,1]
	v_pk_mov_b32 v[246:247], v[254:255], v[254:255] op_sel:[0,1]
	v_pk_mov_b32 v[254:255], v[252:253], v[252:253] op_sel:[0,1]
	v_pk_mov_b32 v[252:253], v[250:251], v[250:251] op_sel:[0,1]
	v_pk_mov_b32 v[250:251], v[122:123], v[122:123] op_sel:[0,1]
	v_pk_mov_b32 v[122:123], v[118:119], v[118:119] op_sel:[0,1]
	v_pk_mov_b32 v[118:119], v[116:117], v[116:117] op_sel:[0,1]
	v_pk_mov_b32 v[116:117], v[114:115], v[114:115] op_sel:[0,1]
	v_pk_mov_b32 v[114:115], v[112:113], v[112:113] op_sel:[0,1]
	v_pk_mov_b32 v[112:113], v[110:111], v[110:111] op_sel:[0,1]
	v_pk_mov_b32 v[110:111], v[108:109], v[108:109] op_sel:[0,1]
	v_pk_mov_b32 v[108:109], v[106:107], v[106:107] op_sel:[0,1]
	v_pk_mov_b32 v[106:107], v[104:105], v[104:105] op_sel:[0,1]
	v_pk_mov_b32 v[104:105], v[102:103], v[102:103] op_sel:[0,1]
	v_pk_mov_b32 v[102:103], v[100:101], v[100:101] op_sel:[0,1]
	v_pk_mov_b32 v[100:101], v[98:99], v[98:99] op_sel:[0,1]
	v_pk_mov_b32 v[98:99], v[96:97], v[96:97] op_sel:[0,1]
	v_pk_mov_b32 v[96:97], v[94:95], v[94:95] op_sel:[0,1]
	v_pk_mov_b32 v[94:95], v[92:93], v[92:93] op_sel:[0,1]
	v_pk_mov_b32 v[92:93], v[90:91], v[90:91] op_sel:[0,1]
	v_pk_mov_b32 v[90:91], v[88:89], v[88:89] op_sel:[0,1]
	v_pk_mov_b32 v[88:89], v[86:87], v[86:87] op_sel:[0,1]
	v_pk_mov_b32 v[86:87], v[84:85], v[84:85] op_sel:[0,1]
	v_pk_mov_b32 v[84:85], v[82:83], v[82:83] op_sel:[0,1]
	v_pk_mov_b32 v[82:83], v[80:81], v[80:81] op_sel:[0,1]
	v_pk_mov_b32 v[80:81], v[78:79], v[78:79] op_sel:[0,1]
	v_pk_mov_b32 v[78:79], v[74:75], v[74:75] op_sel:[0,1]
	v_fma_f64 v[74:75], -v[68:69], v[70:71], 1.0
	v_fmac_f64_e32 v[70:71], v[70:71], v[74:75]
	v_fma_f64 v[74:75], -v[68:69], v[70:71], 1.0
	v_pk_mov_b32 v[0:1], v[72:73], v[72:73] op_sel:[0,1]
	v_div_scale_f64 v[72:73], vcc, 1.0, v[62:63], 1.0
	v_fmac_f64_e32 v[70:71], v[70:71], v[74:75]
	v_mul_f64 v[74:75], v[72:73], v[70:71]
	v_fma_f64 v[68:69], -v[68:69], v[74:75], v[72:73]
	s_nop 0
	v_div_fmas_f64 v[68:69], v[68:69], v[70:71], v[74:75]
	v_pk_mov_b32 v[74:75], v[78:79], v[78:79] op_sel:[0,1]
	v_pk_mov_b32 v[78:79], v[80:81], v[80:81] op_sel:[0,1]
	;; [unrolled: 1-line block ×75, first 2 shown]
	v_mov_b32_e32 v66, v64
	buffer_load_dword v64, off, s[16:19], 0 offset:480 ; 4-byte Folded Reload
	v_pk_mov_b32 v[72:73], v[0:1], v[0:1] op_sel:[0,1]
	v_div_fixup_f64 v[62:63], v[68:69], v[62:63], 1.0
	s_waitcnt vmcnt(0)
	ds_write_b64 v64, v[62:63]
.LBB121_299:
	s_or_b64 exec, exec, s[2:3]
	s_waitcnt lgkmcnt(0)
	s_barrier
	ds_read_b64 v[62:63], v64
	v_cmp_lt_u32_e32 vcc, 59, v66
	s_and_saveexec_b64 s[2:3], vcc
	s_cbranch_execz .LBB121_301
; %bb.300:
	ds_read_b64 v[68:69], v65 offset:480
	s_waitcnt vmcnt(61) lgkmcnt(1)
	v_mul_f64 v[126:127], v[62:63], v[126:127]
	s_waitcnt vmcnt(58) lgkmcnt(0)
	v_fma_f64 v[244:245], -v[126:127], v[68:69], v[244:245]
.LBB121_301:
	s_or_b64 exec, exec, s[2:3]
	v_cmp_eq_u32_e32 vcc, 60, v66
	s_waitcnt lgkmcnt(0)
	s_barrier
	s_and_saveexec_b64 s[2:3], vcc
	s_cbranch_execz .LBB121_304
; %bb.302:
	s_waitcnt vmcnt(58)
	v_cmp_neq_f64_e32 vcc, 0, v[244:245]
	ds_write_b64 v64, v[244:245]
	s_and_b64 exec, exec, vcc
	s_cbranch_execz .LBB121_304
; %bb.303:
	v_div_scale_f64 v[68:69], s[6:7], v[244:245], v[244:245], 1.0
	v_rcp_f64_e32 v[70:71], v[68:69]
	v_mov_b32_e32 v65, v66
	v_pk_mov_b32 v[66:67], v[164:165], v[164:165] op_sel:[0,1]
	v_pk_mov_b32 v[164:165], v[224:225], v[224:225] op_sel:[0,1]
	;; [unrolled: 1-line block ×76, first 2 shown]
	v_fma_f64 v[74:75], -v[68:69], v[70:71], 1.0
	v_fmac_f64_e32 v[70:71], v[70:71], v[74:75]
	v_fma_f64 v[74:75], -v[68:69], v[70:71], 1.0
	v_pk_mov_b32 v[0:1], v[72:73], v[72:73] op_sel:[0,1]
	v_div_scale_f64 v[72:73], vcc, 1.0, v[244:245], 1.0
	v_fmac_f64_e32 v[70:71], v[70:71], v[74:75]
	v_mul_f64 v[74:75], v[72:73], v[70:71]
	v_fma_f64 v[68:69], -v[68:69], v[74:75], v[72:73]
	s_nop 0
	v_div_fmas_f64 v[68:69], v[68:69], v[70:71], v[74:75]
	v_pk_mov_b32 v[72:73], v[0:1], v[0:1] op_sel:[0,1]
	v_pk_mov_b32 v[74:75], v[76:77], v[76:77] op_sel:[0,1]
	;; [unrolled: 1-line block ×77, first 2 shown]
	v_mov_b32_e32 v66, v65
	v_div_fixup_f64 v[68:69], v[68:69], v[244:245], 1.0
	ds_write_b64 v64, v[68:69]
.LBB121_304:
	s_or_b64 exec, exec, s[2:3]
	s_waitcnt lgkmcnt(0)
	s_barrier
	ds_read_b64 v[64:65], v64
	s_waitcnt lgkmcnt(0)
	s_barrier
	s_and_saveexec_b64 s[2:3], s[0:1]
	s_cbranch_execz .LBB121_307
; %bb.305:
	buffer_load_dword v0, off, s[16:19], 0 offset:248 ; 4-byte Folded Reload
	buffer_load_dword v1, off, s[16:19], 0 offset:252 ; 4-byte Folded Reload
	s_load_dwordx2 s[4:5], s[4:5], 0x28
	s_waitcnt vmcnt(0)
	v_cmp_eq_f64_e32 vcc, 0, v[0:1]
	buffer_load_dword v0, off, s[16:19], 0 offset:256 ; 4-byte Folded Reload
	buffer_load_dword v1, off, s[16:19], 0 offset:260 ; 4-byte Folded Reload
	v_cndmask_b32_e64 v67, 0, 1, vcc
	s_waitcnt vmcnt(0)
	v_cmp_neq_f64_e64 s[0:1], 0, v[0:1]
	buffer_load_dword v0, off, s[16:19], 0 offset:264 ; 4-byte Folded Reload
	buffer_load_dword v1, off, s[16:19], 0 offset:268 ; 4-byte Folded Reload
	s_or_b64 vcc, s[0:1], vcc
	v_cndmask_b32_e32 v67, 2, v67, vcc
	v_cmp_eq_u32_e64 s[0:1], 0, v67
	s_waitcnt vmcnt(0)
	v_cmp_eq_f64_e32 vcc, 0, v[0:1]
	buffer_load_dword v0, off, s[16:19], 0 offset:272 ; 4-byte Folded Reload
	buffer_load_dword v1, off, s[16:19], 0 offset:276 ; 4-byte Folded Reload
	s_and_b64 s[0:1], vcc, s[0:1]
	v_cndmask_b32_e64 v67, v67, 3, s[0:1]
	v_cmp_eq_u32_e64 s[0:1], 0, v67
	s_waitcnt vmcnt(0)
	v_cmp_eq_f64_e32 vcc, 0, v[0:1]
	buffer_load_dword v0, off, s[16:19], 0 offset:280 ; 4-byte Folded Reload
	buffer_load_dword v1, off, s[16:19], 0 offset:284 ; 4-byte Folded Reload
	s_and_b64 s[0:1], vcc, s[0:1]
	v_cndmask_b32_e64 v67, v67, 4, s[0:1]
	;; [unrolled: 7-line block ×26, first 2 shown]
	v_cmp_eq_f64_e32 vcc, 0, v[2:3]
	v_cmp_eq_u32_e64 s[0:1], 0, v67
	s_and_b64 s[0:1], vcc, s[0:1]
	v_cndmask_b32_e64 v2, v67, 29, s[0:1]
	v_cmp_eq_u32_e64 s[0:1], 0, v2
	s_waitcnt lgkmcnt(0)
	v_mov_b32_e32 v3, s5
	s_waitcnt vmcnt(0)
	v_cmp_eq_f64_e32 vcc, 0, v[0:1]
	s_and_b64 s[0:1], vcc, s[0:1]
	v_cndmask_b32_e64 v0, v2, 30, s[0:1]
	v_cmp_eq_f64_e32 vcc, 0, v[4:5]
	v_cmp_eq_u32_e64 s[0:1], 0, v0
	s_and_b64 s[0:1], vcc, s[0:1]
	v_cndmask_b32_e64 v0, v0, 31, s[0:1]
	v_cmp_eq_f64_e32 vcc, 0, v[6:7]
	v_cmp_eq_u32_e64 s[0:1], 0, v0
	;; [unrolled: 4-line block ×11, first 2 shown]
	s_and_b64 s[0:1], vcc, s[0:1]
	v_cndmask_b32_e64 v2, v0, 41, s[0:1]
	v_lshlrev_b64 v[0:1], 2, v[74:75]
	v_add_co_u32_e64 v0, s[0:1], s4, v0
	v_addc_co_u32_e64 v1, s[0:1], v3, v1, s[0:1]
	global_load_dword v3, v[0:1], off
	v_cmp_eq_f64_e32 vcc, 0, v[26:27]
	v_cmp_eq_u32_e64 s[0:1], 0, v2
	s_and_b64 s[0:1], vcc, s[0:1]
	v_cndmask_b32_e64 v2, v2, 42, s[0:1]
	v_cmp_eq_f64_e32 vcc, 0, v[28:29]
	v_cmp_eq_u32_e64 s[0:1], 0, v2
	s_and_b64 s[0:1], vcc, s[0:1]
	v_cndmask_b32_e64 v2, v2, 43, s[0:1]
	v_cmp_eq_f64_e32 vcc, 0, v[30:31]
	v_cmp_eq_u32_e64 s[0:1], 0, v2
	s_and_b64 s[0:1], vcc, s[0:1]
	v_cndmask_b32_e64 v2, v2, 44, s[0:1]
	v_cmp_eq_f64_e32 vcc, 0, v[32:33]
	v_cmp_eq_u32_e64 s[0:1], 0, v2
	s_and_b64 s[0:1], vcc, s[0:1]
	v_cndmask_b32_e64 v2, v2, 45, s[0:1]
	v_cmp_eq_f64_e32 vcc, 0, v[34:35]
	v_cmp_eq_u32_e64 s[0:1], 0, v2
	s_and_b64 s[0:1], vcc, s[0:1]
	v_cndmask_b32_e64 v2, v2, 46, s[0:1]
	v_cmp_eq_f64_e32 vcc, 0, v[36:37]
	v_cmp_eq_u32_e64 s[0:1], 0, v2
	s_and_b64 s[0:1], vcc, s[0:1]
	v_cndmask_b32_e64 v2, v2, 47, s[0:1]
	v_cmp_eq_f64_e32 vcc, 0, v[38:39]
	v_cmp_eq_u32_e64 s[0:1], 0, v2
	s_and_b64 s[0:1], vcc, s[0:1]
	v_cndmask_b32_e64 v2, v2, 48, s[0:1]
	v_cmp_eq_f64_e32 vcc, 0, v[40:41]
	v_cmp_eq_u32_e64 s[0:1], 0, v2
	s_and_b64 s[0:1], vcc, s[0:1]
	v_cndmask_b32_e64 v2, v2, 49, s[0:1]
	v_cmp_eq_f64_e32 vcc, 0, v[42:43]
	v_cmp_eq_u32_e64 s[0:1], 0, v2
	s_and_b64 s[0:1], vcc, s[0:1]
	v_cndmask_b32_e64 v2, v2, 50, s[0:1]
	v_cmp_eq_f64_e32 vcc, 0, v[44:45]
	v_cmp_eq_u32_e64 s[0:1], 0, v2
	s_and_b64 s[0:1], vcc, s[0:1]
	v_cndmask_b32_e64 v2, v2, 51, s[0:1]
	v_cmp_eq_f64_e32 vcc, 0, v[46:47]
	v_cmp_eq_u32_e64 s[0:1], 0, v2
	s_and_b64 s[0:1], vcc, s[0:1]
	v_cndmask_b32_e64 v2, v2, 52, s[0:1]
	v_cmp_eq_f64_e32 vcc, 0, v[48:49]
	v_cmp_eq_u32_e64 s[0:1], 0, v2
	s_and_b64 s[0:1], vcc, s[0:1]
	v_cndmask_b32_e64 v2, v2, 53, s[0:1]
	v_cmp_eq_f64_e32 vcc, 0, v[50:51]
	v_cmp_eq_u32_e64 s[0:1], 0, v2
	s_and_b64 s[0:1], vcc, s[0:1]
	v_cndmask_b32_e64 v2, v2, 54, s[0:1]
	v_cmp_eq_f64_e32 vcc, 0, v[52:53]
	v_cmp_eq_u32_e64 s[0:1], 0, v2
	s_and_b64 s[0:1], vcc, s[0:1]
	v_cndmask_b32_e64 v2, v2, 55, s[0:1]
	v_cmp_eq_f64_e32 vcc, 0, v[54:55]
	v_cmp_eq_u32_e64 s[0:1], 0, v2
	s_and_b64 s[0:1], vcc, s[0:1]
	v_cndmask_b32_e64 v2, v2, 56, s[0:1]
	v_cmp_eq_f64_e32 vcc, 0, v[56:57]
	v_cmp_eq_u32_e64 s[0:1], 0, v2
	s_and_b64 s[0:1], vcc, s[0:1]
	v_cndmask_b32_e64 v2, v2, 57, s[0:1]
	v_cmp_eq_f64_e32 vcc, 0, v[58:59]
	v_cmp_eq_u32_e64 s[0:1], 0, v2
	s_and_b64 s[0:1], vcc, s[0:1]
	v_cndmask_b32_e64 v2, v2, 58, s[0:1]
	v_cmp_eq_f64_e32 vcc, 0, v[60:61]
	v_cmp_eq_u32_e64 s[0:1], 0, v2
	s_and_b64 s[0:1], vcc, s[0:1]
	v_cndmask_b32_e64 v2, v2, 59, s[0:1]
	v_cmp_eq_f64_e32 vcc, 0, v[62:63]
	v_cmp_eq_u32_e64 s[0:1], 0, v2
	s_and_b64 s[0:1], vcc, s[0:1]
	v_cndmask_b32_e64 v2, v2, 60, s[0:1]
	v_cmp_eq_f64_e32 vcc, 0, v[64:65]
	v_cmp_eq_u32_e64 s[0:1], 0, v2
	s_and_b64 s[0:1], vcc, s[0:1]
	v_cndmask_b32_e64 v2, v2, 61, s[0:1]
	s_waitcnt vmcnt(0)
	v_cmp_eq_u32_e32 vcc, 0, v3
	v_cmp_ne_u32_e64 s[0:1], 0, v2
	s_and_b64 s[0:1], vcc, s[0:1]
	s_and_b64 exec, exec, s[0:1]
	s_cbranch_execz .LBB121_307
; %bb.306:
	v_add_u32_e32 v2, s9, v2
	global_store_dword v[0:1], v2, off
.LBB121_307:
	s_or_b64 exec, exec, s[2:3]
	global_store_dwordx2 v[120:121], v[124:125], off
	buffer_load_dword v2, off, s[16:19], 0 offset:240 ; 4-byte Folded Reload
	buffer_load_dword v3, off, s[16:19], 0 offset:244 ; 4-byte Folded Reload
	s_waitcnt vmcnt(61)
	v_mul_f64 v[0:1], v[64:65], v[244:245]
	v_cmp_lt_u32_e32 vcc, 60, v66
	v_cndmask_b32_e32 v1, v245, v1, vcc
	v_cndmask_b32_e32 v0, v244, v0, vcc
	s_waitcnt vmcnt(0)
	global_store_dwordx2 v[2:3], v[184:185], off
	global_store_dwordx2 v[76:77], v[242:243], off
	;; [unrolled: 1-line block ×30, first 2 shown]
	buffer_load_dword v2, off, s[16:19], 0  ; 4-byte Folded Reload
	buffer_load_dword v3, off, s[16:19], 0 offset:4 ; 4-byte Folded Reload
	s_waitcnt vmcnt(0)
	global_store_dwordx2 v[2:3], v[154:155], off
	buffer_load_dword v2, off, s[16:19], 0 offset:8 ; 4-byte Folded Reload
	s_nop 0
	buffer_load_dword v3, off, s[16:19], 0 offset:12 ; 4-byte Folded Reload
	s_waitcnt vmcnt(0)
	global_store_dwordx2 v[2:3], v[212:213], off
	buffer_load_dword v2, off, s[16:19], 0 offset:16 ; 4-byte Folded Reload
	s_nop 0
	;; [unrolled: 5-line block ×29, first 2 shown]
	buffer_load_dword v3, off, s[16:19], 0 offset:236 ; 4-byte Folded Reload
	s_waitcnt vmcnt(0)
	global_store_dwordx2 v[2:3], v[0:1], off
.LBB121_308:
	s_endpgm
	.section	.rodata,"a",@progbits
	.p2align	6, 0x0
	.amdhsa_kernel _ZN9rocsolver6v33100L23getf2_npvt_small_kernelILi61EdiiPKPdEEvT1_T3_lS5_lPT2_S5_S5_
		.amdhsa_group_segment_fixed_size 0
		.amdhsa_private_segment_fixed_size 488
		.amdhsa_kernarg_size 312
		.amdhsa_user_sgpr_count 6
		.amdhsa_user_sgpr_private_segment_buffer 1
		.amdhsa_user_sgpr_dispatch_ptr 0
		.amdhsa_user_sgpr_queue_ptr 0
		.amdhsa_user_sgpr_kernarg_segment_ptr 1
		.amdhsa_user_sgpr_dispatch_id 0
		.amdhsa_user_sgpr_flat_scratch_init 0
		.amdhsa_user_sgpr_kernarg_preload_length 0
		.amdhsa_user_sgpr_kernarg_preload_offset 0
		.amdhsa_user_sgpr_private_segment_size 0
		.amdhsa_uses_dynamic_stack 0
		.amdhsa_system_sgpr_private_segment_wavefront_offset 1
		.amdhsa_system_sgpr_workgroup_id_x 1
		.amdhsa_system_sgpr_workgroup_id_y 1
		.amdhsa_system_sgpr_workgroup_id_z 0
		.amdhsa_system_sgpr_workgroup_info 0
		.amdhsa_system_vgpr_workitem_id 1
		.amdhsa_next_free_vgpr 256
		.amdhsa_next_free_sgpr 20
		.amdhsa_accum_offset 256
		.amdhsa_reserve_vcc 1
		.amdhsa_reserve_flat_scratch 0
		.amdhsa_float_round_mode_32 0
		.amdhsa_float_round_mode_16_64 0
		.amdhsa_float_denorm_mode_32 3
		.amdhsa_float_denorm_mode_16_64 3
		.amdhsa_dx10_clamp 1
		.amdhsa_ieee_mode 1
		.amdhsa_fp16_overflow 0
		.amdhsa_tg_split 0
		.amdhsa_exception_fp_ieee_invalid_op 0
		.amdhsa_exception_fp_denorm_src 0
		.amdhsa_exception_fp_ieee_div_zero 0
		.amdhsa_exception_fp_ieee_overflow 0
		.amdhsa_exception_fp_ieee_underflow 0
		.amdhsa_exception_fp_ieee_inexact 0
		.amdhsa_exception_int_div_zero 0
	.end_amdhsa_kernel
	.section	.text._ZN9rocsolver6v33100L23getf2_npvt_small_kernelILi61EdiiPKPdEEvT1_T3_lS5_lPT2_S5_S5_,"axG",@progbits,_ZN9rocsolver6v33100L23getf2_npvt_small_kernelILi61EdiiPKPdEEvT1_T3_lS5_lPT2_S5_S5_,comdat
.Lfunc_end121:
	.size	_ZN9rocsolver6v33100L23getf2_npvt_small_kernelILi61EdiiPKPdEEvT1_T3_lS5_lPT2_S5_S5_, .Lfunc_end121-_ZN9rocsolver6v33100L23getf2_npvt_small_kernelILi61EdiiPKPdEEvT1_T3_lS5_lPT2_S5_S5_
                                        ; -- End function
	.section	.AMDGPU.csdata,"",@progbits
; Kernel info:
; codeLenInByte = 62672
; NumSgprs: 24
; NumVgprs: 256
; NumAgprs: 0
; TotalNumVgprs: 256
; ScratchSize: 488
; MemoryBound: 0
; FloatMode: 240
; IeeeMode: 1
; LDSByteSize: 0 bytes/workgroup (compile time only)
; SGPRBlocks: 2
; VGPRBlocks: 31
; NumSGPRsForWavesPerEU: 24
; NumVGPRsForWavesPerEU: 256
; AccumOffset: 256
; Occupancy: 2
; WaveLimiterHint : 1
; COMPUTE_PGM_RSRC2:SCRATCH_EN: 1
; COMPUTE_PGM_RSRC2:USER_SGPR: 6
; COMPUTE_PGM_RSRC2:TRAP_HANDLER: 0
; COMPUTE_PGM_RSRC2:TGID_X_EN: 1
; COMPUTE_PGM_RSRC2:TGID_Y_EN: 1
; COMPUTE_PGM_RSRC2:TGID_Z_EN: 0
; COMPUTE_PGM_RSRC2:TIDIG_COMP_CNT: 1
; COMPUTE_PGM_RSRC3_GFX90A:ACCUM_OFFSET: 63
; COMPUTE_PGM_RSRC3_GFX90A:TG_SPLIT: 0
	.section	.text._ZN9rocsolver6v33100L18getf2_small_kernelILi62EdiiPKPdEEvT1_T3_lS5_lPS5_llPT2_S5_S5_S7_l,"axG",@progbits,_ZN9rocsolver6v33100L18getf2_small_kernelILi62EdiiPKPdEEvT1_T3_lS5_lPS5_llPT2_S5_S5_S7_l,comdat
	.globl	_ZN9rocsolver6v33100L18getf2_small_kernelILi62EdiiPKPdEEvT1_T3_lS5_lPS5_llPT2_S5_S5_S7_l ; -- Begin function _ZN9rocsolver6v33100L18getf2_small_kernelILi62EdiiPKPdEEvT1_T3_lS5_lPS5_llPT2_S5_S5_S7_l
	.p2align	8
	.type	_ZN9rocsolver6v33100L18getf2_small_kernelILi62EdiiPKPdEEvT1_T3_lS5_lPS5_llPT2_S5_S5_S7_l,@function
_ZN9rocsolver6v33100L18getf2_small_kernelILi62EdiiPKPdEEvT1_T3_lS5_lPS5_llPT2_S5_S5_S7_l: ; @_ZN9rocsolver6v33100L18getf2_small_kernelILi62EdiiPKPdEEvT1_T3_lS5_lPS5_llPT2_S5_S5_S7_l
; %bb.0:
	s_load_dword s0, s[4:5], 0x6c
	s_load_dwordx2 s[12:13], s[4:5], 0x48
	v_bfe_u32 v128, v0, 10, 10
	s_waitcnt lgkmcnt(0)
	s_lshr_b32 s0, s0, 16
	s_mul_i32 s7, s7, s0
	v_add_u32_e32 v2, s7, v128
	v_cmp_gt_i32_e32 vcc, s12, v2
	s_and_saveexec_b64 s[0:1], vcc
	s_cbranch_execz .LBB122_1051
; %bb.1:
	s_load_dwordx4 s[0:3], s[4:5], 0x8
	s_load_dwordx4 s[8:11], s[4:5], 0x50
	v_ashrrev_i32_e32 v3, 31, v2
	v_lshlrev_b64 v[4:5], 3, v[2:3]
	s_waitcnt lgkmcnt(0)
	v_mov_b32_e32 v1, s1
	v_add_co_u32_e32 v4, vcc, s0, v4
	v_addc_co_u32_e32 v5, vcc, v1, v5, vcc
	global_load_dwordx2 v[6:7], v[4:5], off
	s_cmp_eq_u64 s[8:9], 0
	s_cselect_b64 s[6:7], -1, 0
	s_and_b64 vcc, exec, s[6:7]
	v_pk_mov_b32 v[4:5], 0, 0
	s_cbranch_vccnz .LBB122_3
; %bb.2:
	v_mul_lo_u32 v1, v3, s10
	v_mul_lo_u32 v8, v2, s11
	v_mad_u64_u32 v[4:5], s[0:1], v2, s10, 0
	v_add3_u32 v5, v5, v8, v1
	v_lshlrev_b64 v[4:5], 2, v[4:5]
	v_mov_b32_e32 v1, s9
	v_add_co_u32_e32 v4, vcc, s8, v4
	v_addc_co_u32_e32 v5, vcc, v1, v5, vcc
.LBB122_3:
	s_load_dword s8, s[4:5], 0x18
	s_load_dword s18, s[4:5], 0x0
	s_lshl_b64 s[0:1], s[2:3], 3
	v_and_b32_e32 v136, 0x3ff, v0
	v_mov_b32_e32 v1, s1
	s_waitcnt lgkmcnt(0)
	s_add_i32 s12, s8, s8
	s_waitcnt vmcnt(0)
	v_add_co_u32_e32 v134, vcc, s0, v6
	v_add_u32_e32 v6, s12, v136
	v_addc_co_u32_e32 v135, vcc, v7, v1, vcc
	v_ashrrev_i32_e32 v7, 31, v6
	v_lshlrev_b64 v[0:1], 3, v[6:7]
	v_add_u32_e32 v8, s8, v6
	v_add_co_u32_e32 v0, vcc, v134, v0
	v_ashrrev_i32_e32 v9, 31, v8
	v_addc_co_u32_e32 v1, vcc, v135, v1, vcc
	v_lshlrev_b64 v[6:7], 3, v[8:9]
	v_add_u32_e32 v10, s8, v8
	v_add_co_u32_e32 v6, vcc, v134, v6
	v_ashrrev_i32_e32 v11, 31, v10
	v_addc_co_u32_e32 v7, vcc, v135, v7, vcc
	;; [unrolled: 5-line block ×59, first 2 shown]
	v_lshlrev_b64 v[36:37], 3, v[36:37]
	v_add_co_u32_e32 v192, vcc, v134, v36
	v_addc_co_u32_e32 v193, vcc, v135, v37, vcc
	v_lshlrev_b32_e32 v129, 3, v136
	v_add_co_u32_e32 v36, vcc, v134, v129
	s_ashr_i32 s9, s8, 31
	v_addc_co_u32_e32 v37, vcc, 0, v135, vcc
	s_lshl_b64 s[10:11], s[8:9], 3
	v_mov_b32_e32 v65, s11
	v_add_co_u32_e32 v64, vcc, s10, v36
	v_addc_co_u32_e32 v65, vcc, v37, v65, vcc
	global_load_dwordx2 v[122:123], v[36:37], off
	global_load_dwordx2 v[124:125], v[64:65], off
	global_load_dwordx2 v[120:121], v[0:1], off
	global_load_dwordx2 v[118:119], v[6:7], off
	global_load_dwordx2 v[116:117], v[8:9], off
	global_load_dwordx2 v[114:115], v[10:11], off
	global_load_dwordx2 v[112:113], v[12:13], off
	global_load_dwordx2 v[110:111], v[14:15], off
	global_load_dwordx2 v[108:109], v[16:17], off
	global_load_dwordx2 v[106:107], v[18:19], off
	global_load_dwordx2 v[104:105], v[20:21], off
	global_load_dwordx2 v[102:103], v[22:23], off
	global_load_dwordx2 v[100:101], v[24:25], off
	global_load_dwordx2 v[98:99], v[26:27], off
	global_load_dwordx2 v[96:97], v[28:29], off
	global_load_dwordx2 v[94:95], v[30:31], off
	global_load_dwordx2 v[92:93], v[32:33], off
	global_load_dwordx2 v[90:91], v[34:35], off
	global_load_dwordx2 v[88:89], v[38:39], off
	global_load_dwordx2 v[86:87], v[40:41], off
	global_load_dwordx2 v[84:85], v[42:43], off
	global_load_dwordx2 v[82:83], v[44:45], off
	global_load_dwordx2 v[80:81], v[46:47], off
	global_load_dwordx2 v[78:79], v[48:49], off
	global_load_dwordx2 v[76:77], v[50:51], off
	global_load_dwordx2 v[74:75], v[52:53], off
	global_load_dwordx2 v[72:73], v[54:55], off
	global_load_dwordx2 v[70:71], v[56:57], off
	global_load_dwordx2 v[68:69], v[58:59], off
	global_load_dwordx2 v[66:67], v[60:61], off
	global_load_dwordx2 v[64:65], v[62:63], off
	s_nop 0
	global_load_dwordx2 v[62:63], v[126:127], off
	global_load_dwordx2 v[60:61], v[130:131], off
	;; [unrolled: 1-line block ×31, first 2 shown]
	s_max_i32 s0, s18, 62
	v_mul_lo_u32 v130, s0, v128
	v_lshl_add_u32 v132, v130, 3, 0
	v_add_u32_e32 v128, v132, v129
	s_cmp_lt_i32 s18, 2
	v_lshlrev_b32_e32 v137, 3, v130
	v_mov_b32_e32 v130, 0
	s_waitcnt vmcnt(61)
	ds_write_b64 v128, v[122:123]
	s_waitcnt lgkmcnt(0)
	s_barrier
	ds_read_b64 v[128:129], v132
	s_cbranch_scc1 .LBB122_6
; %bb.4:
	v_add3_u32 v131, v137, 0, 8
	s_mov_b32 s0, 1
	v_mov_b32_e32 v130, 0
.LBB122_5:                              ; =>This Inner Loop Header: Depth=1
	ds_read_b64 v[138:139], v131
	v_mov_b32_e32 v133, s0
	s_add_i32 s0, s0, 1
	v_add_u32_e32 v131, 8, v131
	s_cmp_eq_u32 s18, s0
	s_waitcnt lgkmcnt(0)
	v_cmp_lt_f64_e64 vcc, |v[128:129]|, |v[138:139]|
	v_cndmask_b32_e32 v129, v129, v139, vcc
	v_cndmask_b32_e32 v128, v128, v138, vcc
	;; [unrolled: 1-line block ×3, first 2 shown]
	s_cbranch_scc0 .LBB122_5
.LBB122_6:
	v_cmp_ne_u32_e32 vcc, v136, v130
                                        ; implicit-def: $vgpr133
	s_and_saveexec_b64 s[0:1], vcc
	s_xor_b64 s[0:1], exec, s[0:1]
	s_cbranch_execz .LBB122_12
; %bb.7:
	v_cmp_eq_u32_e32 vcc, 0, v136
	s_and_saveexec_b64 s[2:3], vcc
	s_cbranch_execz .LBB122_11
; %bb.8:
	v_cmp_ne_u32_e32 vcc, 0, v130
	s_xor_b64 s[14:15], s[6:7], -1
	s_and_b64 s[16:17], s[14:15], vcc
	s_and_saveexec_b64 s[14:15], s[16:17]
	s_cbranch_execz .LBB122_10
; %bb.9:
	v_ashrrev_i32_e32 v131, 31, v130
	v_lshlrev_b64 v[138:139], 2, v[130:131]
	v_add_co_u32_e32 v138, vcc, v4, v138
	v_addc_co_u32_e32 v139, vcc, v5, v139, vcc
	flat_load_dword v131, v[138:139]
	flat_load_dword v133, v[4:5]
	s_waitcnt vmcnt(0) lgkmcnt(0)
	flat_store_dword v[4:5], v131
	flat_store_dword v[138:139], v133
.LBB122_10:
	s_or_b64 exec, exec, s[14:15]
	v_mov_b32_e32 v136, v130
.LBB122_11:
	s_or_b64 exec, exec, s[2:3]
	v_mov_b32_e32 v133, v136
                                        ; implicit-def: $vgpr136
.LBB122_12:
	s_or_saveexec_b64 s[0:1], s[0:1]
	v_mov_b32_e32 v131, v133
	s_xor_b64 exec, exec, s[0:1]
	s_cbranch_execz .LBB122_14
; %bb.13:
	v_mov_b32_e32 v133, 0
	v_mov_b32_e32 v131, v136
	s_waitcnt vmcnt(0)
	ds_write2_b64 v132, v[124:125], v[120:121] offset0:1 offset1:2
	ds_write2_b64 v132, v[118:119], v[116:117] offset0:3 offset1:4
	;; [unrolled: 1-line block ×30, first 2 shown]
	ds_write_b64 v132, v[126:127] offset:488
.LBB122_14:
	s_or_b64 exec, exec, s[0:1]
	s_waitcnt lgkmcnt(0)
	v_cmp_eq_f64_e64 s[0:1], 0, v[128:129]
	v_cmp_lt_i32_e32 vcc, 0, v133
	s_barrier
	s_and_saveexec_b64 s[2:3], vcc
	s_cbranch_execz .LBB122_16
; %bb.15:
	v_div_scale_f64 v[138:139], s[14:15], v[128:129], v[128:129], 1.0
	v_rcp_f64_e32 v[140:141], v[138:139]
	v_div_scale_f64 v[142:143], vcc, 1.0, v[128:129], 1.0
	ds_read2_b64 v[146:149], v132 offset0:5 offset1:6
	v_fma_f64 v[144:145], -v[138:139], v[140:141], 1.0
	v_fmac_f64_e32 v[140:141], v[140:141], v[144:145]
	v_fma_f64 v[144:145], -v[138:139], v[140:141], 1.0
	v_fmac_f64_e32 v[140:141], v[140:141], v[144:145]
	v_mul_f64 v[144:145], v[142:143], v[140:141]
	v_fma_f64 v[138:139], -v[138:139], v[144:145], v[142:143]
	v_div_fmas_f64 v[138:139], v[138:139], v[140:141], v[144:145]
	v_div_fixup_f64 v[142:143], v[138:139], v[128:129], 1.0
	ds_read2_b64 v[138:141], v132 offset0:1 offset1:2
	v_cndmask_b32_e64 v129, v143, v129, s[0:1]
	v_cndmask_b32_e64 v128, v142, v128, s[0:1]
	ds_read2_b64 v[142:145], v132 offset0:3 offset1:4
	v_mul_f64 v[122:123], v[128:129], v[122:123]
	s_waitcnt vmcnt(0) lgkmcnt(0)
	v_fma_f64 v[124:125], -v[122:123], v[138:139], v[124:125]
	v_fma_f64 v[120:121], -v[122:123], v[140:141], v[120:121]
	ds_read2_b64 v[138:141], v132 offset0:7 offset1:8
	v_fma_f64 v[118:119], -v[122:123], v[142:143], v[118:119]
	v_fma_f64 v[116:117], -v[122:123], v[144:145], v[116:117]
	v_fma_f64 v[114:115], -v[122:123], v[146:147], v[114:115]
	ds_read2_b64 v[142:145], v132 offset0:9 offset1:10
	v_fma_f64 v[112:113], -v[122:123], v[148:149], v[112:113]
	ds_read2_b64 v[146:149], v132 offset0:11 offset1:12
	s_waitcnt lgkmcnt(2)
	v_fma_f64 v[110:111], -v[122:123], v[138:139], v[110:111]
	v_fma_f64 v[108:109], -v[122:123], v[140:141], v[108:109]
	s_waitcnt lgkmcnt(1)
	v_fma_f64 v[106:107], -v[122:123], v[142:143], v[106:107]
	ds_read2_b64 v[138:141], v132 offset0:13 offset1:14
	v_fma_f64 v[104:105], -v[122:123], v[144:145], v[104:105]
	ds_read2_b64 v[142:145], v132 offset0:15 offset1:16
	s_waitcnt lgkmcnt(2)
	v_fma_f64 v[102:103], -v[122:123], v[146:147], v[102:103]
	v_fma_f64 v[100:101], -v[122:123], v[148:149], v[100:101]
	ds_read2_b64 v[146:149], v132 offset0:17 offset1:18
	s_waitcnt lgkmcnt(2)
	v_fma_f64 v[98:99], -v[122:123], v[138:139], v[98:99]
	v_fma_f64 v[96:97], -v[122:123], v[140:141], v[96:97]
	ds_read2_b64 v[138:141], v132 offset0:19 offset1:20
	s_waitcnt lgkmcnt(2)
	v_fma_f64 v[94:95], -v[122:123], v[142:143], v[94:95]
	v_fma_f64 v[92:93], -v[122:123], v[144:145], v[92:93]
	s_waitcnt lgkmcnt(1)
	v_fma_f64 v[90:91], -v[122:123], v[146:147], v[90:91]
	ds_read2_b64 v[142:145], v132 offset0:21 offset1:22
	v_fma_f64 v[88:89], -v[122:123], v[148:149], v[88:89]
	ds_read2_b64 v[146:149], v132 offset0:23 offset1:24
	s_waitcnt lgkmcnt(2)
	v_fma_f64 v[86:87], -v[122:123], v[138:139], v[86:87]
	v_fma_f64 v[84:85], -v[122:123], v[140:141], v[84:85]
	s_waitcnt lgkmcnt(1)
	v_fma_f64 v[82:83], -v[122:123], v[142:143], v[82:83]
	ds_read2_b64 v[138:141], v132 offset0:25 offset1:26
	v_fma_f64 v[80:81], -v[122:123], v[144:145], v[80:81]
	ds_read2_b64 v[142:145], v132 offset0:27 offset1:28
	s_waitcnt lgkmcnt(2)
	v_fma_f64 v[78:79], -v[122:123], v[146:147], v[78:79]
	v_fma_f64 v[76:77], -v[122:123], v[148:149], v[76:77]
	ds_read2_b64 v[146:149], v132 offset0:29 offset1:30
	s_waitcnt lgkmcnt(2)
	v_fma_f64 v[74:75], -v[122:123], v[138:139], v[74:75]
	v_fma_f64 v[72:73], -v[122:123], v[140:141], v[72:73]
	ds_read2_b64 v[138:141], v132 offset0:31 offset1:32
	s_waitcnt lgkmcnt(2)
	v_fma_f64 v[70:71], -v[122:123], v[142:143], v[70:71]
	v_fma_f64 v[68:69], -v[122:123], v[144:145], v[68:69]
	s_waitcnt lgkmcnt(1)
	v_fma_f64 v[66:67], -v[122:123], v[146:147], v[66:67]
	;; [unrolled: 24-line block ×4, first 2 shown]
	v_fma_f64 v[16:17], -v[122:123], v[148:149], v[16:17]
	ds_read2_b64 v[142:145], v132 offset0:57 offset1:58
	ds_read2_b64 v[146:149], v132 offset0:59 offset1:60
	ds_read_b64 v[128:129], v132 offset:488
	s_waitcnt lgkmcnt(3)
	v_fma_f64 v[14:15], -v[122:123], v[138:139], v[14:15]
	v_fma_f64 v[12:13], -v[122:123], v[140:141], v[12:13]
	s_waitcnt lgkmcnt(2)
	v_fma_f64 v[10:11], -v[122:123], v[142:143], v[10:11]
	v_fma_f64 v[8:9], -v[122:123], v[144:145], v[8:9]
	s_waitcnt lgkmcnt(1)
	v_fma_f64 v[6:7], -v[122:123], v[146:147], v[6:7]
	v_fma_f64 v[0:1], -v[122:123], v[148:149], v[0:1]
	s_waitcnt lgkmcnt(0)
	v_fma_f64 v[126:127], -v[122:123], v[128:129], v[126:127]
.LBB122_16:
	s_or_b64 exec, exec, s[2:3]
	v_lshl_add_u32 v128, v133, 3, v132
	s_barrier
	s_waitcnt vmcnt(0)
	ds_write_b64 v128, v[124:125]
	s_waitcnt lgkmcnt(0)
	s_barrier
	ds_read_b64 v[128:129], v132 offset:8
	s_cmp_lt_i32 s18, 3
	v_mov_b32_e32 v130, 1
	s_cbranch_scc1 .LBB122_19
; %bb.17:
	v_add3_u32 v136, v137, 0, 16
	s_mov_b32 s2, 2
	v_mov_b32_e32 v130, 1
.LBB122_18:                             ; =>This Inner Loop Header: Depth=1
	ds_read_b64 v[138:139], v136
	v_mov_b32_e32 v140, s2
	s_add_i32 s2, s2, 1
	v_add_u32_e32 v136, 8, v136
	s_cmp_lg_u32 s18, s2
	s_waitcnt lgkmcnt(0)
	v_cmp_lt_f64_e64 vcc, |v[128:129]|, |v[138:139]|
	v_cndmask_b32_e32 v129, v129, v139, vcc
	v_cndmask_b32_e32 v128, v128, v138, vcc
	;; [unrolled: 1-line block ×3, first 2 shown]
	s_cbranch_scc1 .LBB122_18
.LBB122_19:
	v_cmp_ne_u32_e32 vcc, v133, v130
	s_and_saveexec_b64 s[2:3], vcc
	s_xor_b64 s[2:3], exec, s[2:3]
	s_cbranch_execz .LBB122_25
; %bb.20:
	v_cmp_eq_u32_e32 vcc, 1, v133
	s_and_saveexec_b64 s[14:15], vcc
	s_cbranch_execz .LBB122_24
; %bb.21:
	v_cmp_ne_u32_e32 vcc, 1, v130
	s_xor_b64 s[16:17], s[6:7], -1
	s_and_b64 s[20:21], s[16:17], vcc
	s_and_saveexec_b64 s[16:17], s[20:21]
	s_cbranch_execz .LBB122_23
; %bb.22:
	v_ashrrev_i32_e32 v131, 31, v130
	v_lshlrev_b64 v[138:139], 2, v[130:131]
	v_add_co_u32_e32 v138, vcc, v4, v138
	v_addc_co_u32_e32 v139, vcc, v5, v139, vcc
	flat_load_dword v131, v[138:139]
	flat_load_dword v133, v[4:5] offset:4
	s_waitcnt vmcnt(0) lgkmcnt(0)
	flat_store_dword v[4:5], v131 offset:4
	flat_store_dword v[138:139], v133
.LBB122_23:
	s_or_b64 exec, exec, s[16:17]
	v_mov_b32_e32 v131, v130
	v_mov_b32_e32 v133, v130
.LBB122_24:
	s_or_b64 exec, exec, s[14:15]
.LBB122_25:
	s_andn2_saveexec_b64 s[2:3], s[2:3]
	s_cbranch_execz .LBB122_27
; %bb.26:
	v_mov_b32_e32 v138, v120
	v_mov_b32_e32 v139, v121
	v_mov_b32_e32 v140, v118
	v_mov_b32_e32 v141, v119
	ds_write2_b64 v132, v[138:139], v[140:141] offset0:2 offset1:3
	v_mov_b32_e32 v138, v116
	v_mov_b32_e32 v139, v117
	v_mov_b32_e32 v140, v114
	v_mov_b32_e32 v141, v115
	ds_write2_b64 v132, v[138:139], v[140:141] offset0:4 offset1:5
	;; [unrolled: 5-line block ×29, first 2 shown]
	v_mov_b32_e32 v138, v0
	v_mov_b32_e32 v139, v1
	;; [unrolled: 1-line block ×3, first 2 shown]
	ds_write2_b64 v132, v[138:139], v[126:127] offset0:60 offset1:61
.LBB122_27:
	s_or_b64 exec, exec, s[2:3]
	s_waitcnt lgkmcnt(0)
	v_cmp_neq_f64_e64 s[2:3], 0, v[128:129]
	v_cmp_lt_i32_e32 vcc, 1, v133
	s_barrier
	s_and_saveexec_b64 s[14:15], vcc
	s_cbranch_execz .LBB122_29
; %bb.28:
	v_div_scale_f64 v[138:139], s[16:17], v[128:129], v[128:129], 1.0
	v_rcp_f64_e32 v[140:141], v[138:139]
	v_div_scale_f64 v[142:143], vcc, 1.0, v[128:129], 1.0
	ds_read2_b64 v[146:149], v132 offset0:6 offset1:7
	v_fma_f64 v[144:145], -v[138:139], v[140:141], 1.0
	v_fmac_f64_e32 v[140:141], v[140:141], v[144:145]
	v_fma_f64 v[144:145], -v[138:139], v[140:141], 1.0
	v_fmac_f64_e32 v[140:141], v[140:141], v[144:145]
	v_mul_f64 v[144:145], v[142:143], v[140:141]
	v_fma_f64 v[138:139], -v[138:139], v[144:145], v[142:143]
	v_div_fmas_f64 v[138:139], v[138:139], v[140:141], v[144:145]
	v_div_fixup_f64 v[142:143], v[138:139], v[128:129], 1.0
	ds_read2_b64 v[138:141], v132 offset0:2 offset1:3
	v_cndmask_b32_e64 v129, v129, v143, s[2:3]
	v_cndmask_b32_e64 v128, v128, v142, s[2:3]
	ds_read2_b64 v[142:145], v132 offset0:4 offset1:5
	v_mul_f64 v[124:125], v[128:129], v[124:125]
	s_waitcnt lgkmcnt(0)
	v_fma_f64 v[120:121], -v[124:125], v[138:139], v[120:121]
	v_fma_f64 v[118:119], -v[124:125], v[140:141], v[118:119]
	ds_read2_b64 v[138:141], v132 offset0:8 offset1:9
	v_fma_f64 v[116:117], -v[124:125], v[142:143], v[116:117]
	v_fma_f64 v[114:115], -v[124:125], v[144:145], v[114:115]
	v_fma_f64 v[112:113], -v[124:125], v[146:147], v[112:113]
	ds_read2_b64 v[142:145], v132 offset0:10 offset1:11
	v_fma_f64 v[110:111], -v[124:125], v[148:149], v[110:111]
	ds_read2_b64 v[146:149], v132 offset0:12 offset1:13
	s_waitcnt lgkmcnt(0)
	v_fma_f64 v[108:109], -v[124:125], v[138:139], v[108:109]
	v_fma_f64 v[106:107], -v[124:125], v[140:141], v[106:107]
	v_fma_f64 v[104:105], -v[124:125], v[142:143], v[104:105]
	ds_read2_b64 v[138:141], v132 offset0:14 offset1:15
	v_fma_f64 v[102:103], -v[124:125], v[144:145], v[102:103]
	ds_read2_b64 v[142:145], v132 offset0:16 offset1:17
	v_fma_f64 v[100:101], -v[124:125], v[146:147], v[100:101]
	v_fma_f64 v[98:99], -v[124:125], v[148:149], v[98:99]
	ds_read2_b64 v[146:149], v132 offset0:18 offset1:19
	s_waitcnt lgkmcnt(0)
	v_fma_f64 v[96:97], -v[124:125], v[138:139], v[96:97]
	v_fma_f64 v[94:95], -v[124:125], v[140:141], v[94:95]
	ds_read2_b64 v[138:141], v132 offset0:20 offset1:21
	v_fma_f64 v[92:93], -v[124:125], v[142:143], v[92:93]
	v_fma_f64 v[90:91], -v[124:125], v[144:145], v[90:91]
	v_fma_f64 v[88:89], -v[124:125], v[146:147], v[88:89]
	ds_read2_b64 v[142:145], v132 offset0:22 offset1:23
	v_fma_f64 v[86:87], -v[124:125], v[148:149], v[86:87]
	ds_read2_b64 v[146:149], v132 offset0:24 offset1:25
	s_waitcnt lgkmcnt(0)
	v_fma_f64 v[84:85], -v[124:125], v[138:139], v[84:85]
	v_fma_f64 v[82:83], -v[124:125], v[140:141], v[82:83]
	v_fma_f64 v[80:81], -v[124:125], v[142:143], v[80:81]
	ds_read2_b64 v[138:141], v132 offset0:26 offset1:27
	v_fma_f64 v[78:79], -v[124:125], v[144:145], v[78:79]
	ds_read2_b64 v[142:145], v132 offset0:28 offset1:29
	v_fma_f64 v[76:77], -v[124:125], v[146:147], v[76:77]
	v_fma_f64 v[74:75], -v[124:125], v[148:149], v[74:75]
	ds_read2_b64 v[146:149], v132 offset0:30 offset1:31
	;; [unrolled: 20-line block ×4, first 2 shown]
	s_waitcnt lgkmcnt(0)
	v_fma_f64 v[24:25], -v[124:125], v[138:139], v[24:25]
	v_fma_f64 v[22:23], -v[124:125], v[140:141], v[22:23]
	ds_read2_b64 v[138:141], v132 offset0:56 offset1:57
	v_fma_f64 v[20:21], -v[124:125], v[142:143], v[20:21]
	v_fma_f64 v[18:19], -v[124:125], v[144:145], v[18:19]
	;; [unrolled: 1-line block ×3, first 2 shown]
	ds_read2_b64 v[142:145], v132 offset0:58 offset1:59
	v_fma_f64 v[14:15], -v[124:125], v[148:149], v[14:15]
	ds_read2_b64 v[146:149], v132 offset0:60 offset1:61
	s_waitcnt lgkmcnt(0)
	v_fma_f64 v[12:13], -v[124:125], v[138:139], v[12:13]
	v_fma_f64 v[10:11], -v[124:125], v[140:141], v[10:11]
	;; [unrolled: 1-line block ×6, first 2 shown]
.LBB122_29:
	s_or_b64 exec, exec, s[14:15]
	v_lshl_add_u32 v128, v133, 3, v132
	s_barrier
	ds_write_b64 v128, v[120:121]
	s_waitcnt lgkmcnt(0)
	s_barrier
	ds_read_b64 v[128:129], v132 offset:16
	s_mov_b32 s9, 3
	s_cmp_lt_i32 s18, 4
	v_mov_b32_e32 v130, 2
	s_cbranch_scc1 .LBB122_32
; %bb.30:
	v_add3_u32 v136, v137, 0, 24
	v_mov_b32_e32 v130, 2
.LBB122_31:                             ; =>This Inner Loop Header: Depth=1
	ds_read_b64 v[138:139], v136
	v_mov_b32_e32 v140, s9
	s_add_i32 s9, s9, 1
	v_add_u32_e32 v136, 8, v136
	s_cmp_lg_u32 s18, s9
	s_waitcnt lgkmcnt(0)
	v_cmp_lt_f64_e64 vcc, |v[128:129]|, |v[138:139]|
	v_cndmask_b32_e32 v129, v129, v139, vcc
	v_cndmask_b32_e32 v128, v128, v138, vcc
	;; [unrolled: 1-line block ×3, first 2 shown]
	s_cbranch_scc1 .LBB122_31
.LBB122_32:
	v_cndmask_b32_e64 v136, 2, 1, s[0:1]
	v_cndmask_b32_e64 v138, 0, 1, s[0:1]
	;; [unrolled: 1-line block ×3, first 2 shown]
	s_waitcnt lgkmcnt(0)
	v_cmp_eq_f64_e32 vcc, 0, v[128:129]
	s_and_saveexec_b64 s[0:1], vcc
	s_xor_b64 s[0:1], exec, s[0:1]
; %bb.33:
	v_cmp_ne_u32_e32 vcc, 0, v136
	v_cndmask_b32_e32 v136, 3, v136, vcc
; %bb.34:
	s_andn2_saveexec_b64 s[0:1], s[0:1]
; %bb.35:
	v_div_scale_f64 v[138:139], s[2:3], v[128:129], v[128:129], 1.0
	v_rcp_f64_e32 v[140:141], v[138:139]
	v_div_scale_f64 v[142:143], vcc, 1.0, v[128:129], 1.0
	v_fma_f64 v[144:145], -v[138:139], v[140:141], 1.0
	v_fmac_f64_e32 v[140:141], v[140:141], v[144:145]
	v_fma_f64 v[144:145], -v[138:139], v[140:141], 1.0
	v_fmac_f64_e32 v[140:141], v[140:141], v[144:145]
	v_mul_f64 v[144:145], v[142:143], v[140:141]
	v_fma_f64 v[138:139], -v[138:139], v[144:145], v[142:143]
	v_div_fmas_f64 v[138:139], v[138:139], v[140:141], v[144:145]
	v_div_fixup_f64 v[128:129], v[138:139], v[128:129], 1.0
; %bb.36:
	s_or_b64 exec, exec, s[0:1]
	v_cmp_ne_u32_e32 vcc, v133, v130
	s_and_saveexec_b64 s[0:1], vcc
	s_xor_b64 s[0:1], exec, s[0:1]
	s_cbranch_execz .LBB122_42
; %bb.37:
	v_cmp_eq_u32_e32 vcc, 2, v133
	s_and_saveexec_b64 s[2:3], vcc
	s_cbranch_execz .LBB122_41
; %bb.38:
	v_cmp_ne_u32_e32 vcc, 2, v130
	s_xor_b64 s[14:15], s[6:7], -1
	s_and_b64 s[16:17], s[14:15], vcc
	s_and_saveexec_b64 s[14:15], s[16:17]
	s_cbranch_execz .LBB122_40
; %bb.39:
	v_ashrrev_i32_e32 v131, 31, v130
	v_lshlrev_b64 v[138:139], 2, v[130:131]
	v_add_co_u32_e32 v138, vcc, v4, v138
	v_addc_co_u32_e32 v139, vcc, v5, v139, vcc
	flat_load_dword v131, v[138:139]
	flat_load_dword v133, v[4:5] offset:8
	s_waitcnt vmcnt(0) lgkmcnt(0)
	flat_store_dword v[4:5], v131 offset:8
	flat_store_dword v[138:139], v133
.LBB122_40:
	s_or_b64 exec, exec, s[14:15]
	v_mov_b32_e32 v131, v130
	v_mov_b32_e32 v133, v130
.LBB122_41:
	s_or_b64 exec, exec, s[2:3]
.LBB122_42:
	s_andn2_saveexec_b64 s[0:1], s[0:1]
	s_cbranch_execz .LBB122_44
; %bb.43:
	v_mov_b32_e32 v133, 2
	ds_write2_b64 v132, v[118:119], v[116:117] offset0:3 offset1:4
	ds_write2_b64 v132, v[114:115], v[112:113] offset0:5 offset1:6
	;; [unrolled: 1-line block ×29, first 2 shown]
	ds_write_b64 v132, v[126:127] offset:488
.LBB122_44:
	s_or_b64 exec, exec, s[0:1]
	v_cmp_lt_i32_e32 vcc, 2, v133
	s_waitcnt lgkmcnt(0)
	s_barrier
	s_and_saveexec_b64 s[0:1], vcc
	s_cbranch_execz .LBB122_46
; %bb.45:
	ds_read2_b64 v[138:141], v132 offset0:3 offset1:4
	ds_read2_b64 v[142:145], v132 offset0:5 offset1:6
	v_mul_f64 v[120:121], v[128:129], v[120:121]
	ds_read2_b64 v[146:149], v132 offset0:7 offset1:8
	ds_read_b64 v[128:129], v132 offset:488
	s_waitcnt lgkmcnt(0)
	v_fma_f64 v[118:119], -v[120:121], v[138:139], v[118:119]
	v_fma_f64 v[116:117], -v[120:121], v[140:141], v[116:117]
	ds_read2_b64 v[138:141], v132 offset0:9 offset1:10
	v_fma_f64 v[114:115], -v[120:121], v[142:143], v[114:115]
	v_fma_f64 v[112:113], -v[120:121], v[144:145], v[112:113]
	ds_read2_b64 v[142:145], v132 offset0:11 offset1:12
	;; [unrolled: 3-line block ×3, first 2 shown]
	s_waitcnt lgkmcnt(0)
	v_fma_f64 v[106:107], -v[120:121], v[138:139], v[106:107]
	v_fma_f64 v[104:105], -v[120:121], v[140:141], v[104:105]
	;; [unrolled: 1-line block ×3, first 2 shown]
	ds_read2_b64 v[138:141], v132 offset0:15 offset1:16
	v_fma_f64 v[100:101], -v[120:121], v[144:145], v[100:101]
	ds_read2_b64 v[142:145], v132 offset0:17 offset1:18
	v_fma_f64 v[98:99], -v[120:121], v[146:147], v[98:99]
	v_fma_f64 v[96:97], -v[120:121], v[148:149], v[96:97]
	s_waitcnt lgkmcnt(0)
	v_fma_f64 v[94:95], -v[120:121], v[138:139], v[94:95]
	ds_read2_b64 v[146:149], v132 offset0:19 offset1:20
	v_fma_f64 v[92:93], -v[120:121], v[140:141], v[92:93]
	ds_read2_b64 v[138:141], v132 offset0:21 offset1:22
	v_fma_f64 v[90:91], -v[120:121], v[142:143], v[90:91]
	v_fma_f64 v[88:89], -v[120:121], v[144:145], v[88:89]
	ds_read2_b64 v[142:145], v132 offset0:23 offset1:24
	s_waitcnt lgkmcnt(0)
	v_fma_f64 v[86:87], -v[120:121], v[146:147], v[86:87]
	v_fma_f64 v[84:85], -v[120:121], v[148:149], v[84:85]
	ds_read2_b64 v[146:149], v132 offset0:25 offset1:26
	v_fma_f64 v[82:83], -v[120:121], v[138:139], v[82:83]
	v_fma_f64 v[80:81], -v[120:121], v[140:141], v[80:81]
	v_fma_f64 v[78:79], -v[120:121], v[142:143], v[78:79]
	ds_read2_b64 v[138:141], v132 offset0:27 offset1:28
	v_fma_f64 v[76:77], -v[120:121], v[144:145], v[76:77]
	ds_read2_b64 v[142:145], v132 offset0:29 offset1:30
	s_waitcnt lgkmcnt(0)
	v_fma_f64 v[74:75], -v[120:121], v[146:147], v[74:75]
	v_fma_f64 v[72:73], -v[120:121], v[148:149], v[72:73]
	v_fma_f64 v[70:71], -v[120:121], v[138:139], v[70:71]
	ds_read2_b64 v[146:149], v132 offset0:31 offset1:32
	v_fma_f64 v[68:69], -v[120:121], v[140:141], v[68:69]
	ds_read2_b64 v[138:141], v132 offset0:33 offset1:34
	v_fma_f64 v[66:67], -v[120:121], v[142:143], v[66:67]
	v_fma_f64 v[64:65], -v[120:121], v[144:145], v[64:65]
	ds_read2_b64 v[142:145], v132 offset0:35 offset1:36
	s_waitcnt lgkmcnt(0)
	v_fma_f64 v[62:63], -v[120:121], v[146:147], v[62:63]
	v_fma_f64 v[60:61], -v[120:121], v[148:149], v[60:61]
	ds_read2_b64 v[146:149], v132 offset0:37 offset1:38
	v_fma_f64 v[58:59], -v[120:121], v[138:139], v[58:59]
	v_fma_f64 v[56:57], -v[120:121], v[140:141], v[56:57]
	v_fma_f64 v[54:55], -v[120:121], v[142:143], v[54:55]
	ds_read2_b64 v[138:141], v132 offset0:39 offset1:40
	v_fma_f64 v[52:53], -v[120:121], v[144:145], v[52:53]
	ds_read2_b64 v[142:145], v132 offset0:41 offset1:42
	s_waitcnt lgkmcnt(0)
	v_fma_f64 v[50:51], -v[120:121], v[146:147], v[50:51]
	v_fma_f64 v[48:49], -v[120:121], v[148:149], v[48:49]
	;; [unrolled: 20-line block ×3, first 2 shown]
	v_fma_f64 v[22:23], -v[120:121], v[138:139], v[22:23]
	ds_read2_b64 v[146:149], v132 offset0:55 offset1:56
	v_fma_f64 v[20:21], -v[120:121], v[140:141], v[20:21]
	ds_read2_b64 v[138:141], v132 offset0:57 offset1:58
	v_fma_f64 v[18:19], -v[120:121], v[142:143], v[18:19]
	v_fma_f64 v[16:17], -v[120:121], v[144:145], v[16:17]
	ds_read2_b64 v[142:145], v132 offset0:59 offset1:60
	s_waitcnt lgkmcnt(0)
	v_fma_f64 v[14:15], -v[120:121], v[146:147], v[14:15]
	v_fma_f64 v[12:13], -v[120:121], v[148:149], v[12:13]
	v_fma_f64 v[10:11], -v[120:121], v[138:139], v[10:11]
	v_fma_f64 v[8:9], -v[120:121], v[140:141], v[8:9]
	v_fma_f64 v[6:7], -v[120:121], v[142:143], v[6:7]
	v_fma_f64 v[0:1], -v[120:121], v[144:145], v[0:1]
	v_fma_f64 v[126:127], -v[120:121], v[128:129], v[126:127]
.LBB122_46:
	s_or_b64 exec, exec, s[0:1]
	v_lshl_add_u32 v128, v133, 3, v132
	s_barrier
	ds_write_b64 v128, v[118:119]
	s_waitcnt lgkmcnt(0)
	s_barrier
	ds_read_b64 v[128:129], v132 offset:24
	s_cmp_lt_i32 s18, 5
	v_mov_b32_e32 v130, 3
	s_cbranch_scc1 .LBB122_49
; %bb.47:
	v_add3_u32 v138, v137, 0, 32
	s_mov_b32 s0, 4
	v_mov_b32_e32 v130, 3
.LBB122_48:                             ; =>This Inner Loop Header: Depth=1
	ds_read_b64 v[140:141], v138
	v_mov_b32_e32 v139, s0
	s_add_i32 s0, s0, 1
	v_add_u32_e32 v138, 8, v138
	s_cmp_lg_u32 s18, s0
	s_waitcnt lgkmcnt(0)
	v_cmp_lt_f64_e64 vcc, |v[128:129]|, |v[140:141]|
	v_cndmask_b32_e32 v129, v129, v141, vcc
	v_cndmask_b32_e32 v128, v128, v140, vcc
	;; [unrolled: 1-line block ×3, first 2 shown]
	s_cbranch_scc1 .LBB122_48
.LBB122_49:
	s_waitcnt lgkmcnt(0)
	v_cmp_eq_f64_e32 vcc, 0, v[128:129]
	s_and_saveexec_b64 s[0:1], vcc
	s_xor_b64 s[0:1], exec, s[0:1]
; %bb.50:
	v_cmp_ne_u32_e32 vcc, 0, v136
	v_cndmask_b32_e32 v136, 4, v136, vcc
; %bb.51:
	s_andn2_saveexec_b64 s[0:1], s[0:1]
; %bb.52:
	v_div_scale_f64 v[138:139], s[2:3], v[128:129], v[128:129], 1.0
	v_rcp_f64_e32 v[140:141], v[138:139]
	v_div_scale_f64 v[142:143], vcc, 1.0, v[128:129], 1.0
	v_fma_f64 v[144:145], -v[138:139], v[140:141], 1.0
	v_fmac_f64_e32 v[140:141], v[140:141], v[144:145]
	v_fma_f64 v[144:145], -v[138:139], v[140:141], 1.0
	v_fmac_f64_e32 v[140:141], v[140:141], v[144:145]
	v_mul_f64 v[144:145], v[142:143], v[140:141]
	v_fma_f64 v[138:139], -v[138:139], v[144:145], v[142:143]
	v_div_fmas_f64 v[138:139], v[138:139], v[140:141], v[144:145]
	v_div_fixup_f64 v[128:129], v[138:139], v[128:129], 1.0
; %bb.53:
	s_or_b64 exec, exec, s[0:1]
	v_cmp_ne_u32_e32 vcc, v133, v130
	s_and_saveexec_b64 s[0:1], vcc
	s_xor_b64 s[0:1], exec, s[0:1]
	s_cbranch_execz .LBB122_59
; %bb.54:
	v_cmp_eq_u32_e32 vcc, 3, v133
	s_and_saveexec_b64 s[2:3], vcc
	s_cbranch_execz .LBB122_58
; %bb.55:
	v_cmp_ne_u32_e32 vcc, 3, v130
	s_xor_b64 s[14:15], s[6:7], -1
	s_and_b64 s[16:17], s[14:15], vcc
	s_and_saveexec_b64 s[14:15], s[16:17]
	s_cbranch_execz .LBB122_57
; %bb.56:
	v_ashrrev_i32_e32 v131, 31, v130
	v_lshlrev_b64 v[138:139], 2, v[130:131]
	v_add_co_u32_e32 v138, vcc, v4, v138
	v_addc_co_u32_e32 v139, vcc, v5, v139, vcc
	flat_load_dword v131, v[138:139]
	flat_load_dword v133, v[4:5] offset:12
	s_waitcnt vmcnt(0) lgkmcnt(0)
	flat_store_dword v[4:5], v131 offset:12
	flat_store_dword v[138:139], v133
.LBB122_57:
	s_or_b64 exec, exec, s[14:15]
	v_mov_b32_e32 v131, v130
	v_mov_b32_e32 v133, v130
.LBB122_58:
	s_or_b64 exec, exec, s[2:3]
.LBB122_59:
	s_andn2_saveexec_b64 s[0:1], s[0:1]
	s_cbranch_execz .LBB122_61
; %bb.60:
	v_mov_b32_e32 v138, v116
	v_mov_b32_e32 v139, v117
	v_mov_b32_e32 v140, v114
	v_mov_b32_e32 v141, v115
	ds_write2_b64 v132, v[138:139], v[140:141] offset0:4 offset1:5
	v_mov_b32_e32 v138, v112
	v_mov_b32_e32 v139, v113
	v_mov_b32_e32 v140, v110
	v_mov_b32_e32 v141, v111
	ds_write2_b64 v132, v[138:139], v[140:141] offset0:6 offset1:7
	;; [unrolled: 5-line block ×28, first 2 shown]
	v_mov_b32_e32 v138, v0
	v_mov_b32_e32 v139, v1
	;; [unrolled: 1-line block ×3, first 2 shown]
	ds_write2_b64 v132, v[138:139], v[126:127] offset0:60 offset1:61
.LBB122_61:
	s_or_b64 exec, exec, s[0:1]
	v_cmp_lt_i32_e32 vcc, 3, v133
	s_waitcnt lgkmcnt(0)
	s_barrier
	s_and_saveexec_b64 s[0:1], vcc
	s_cbranch_execz .LBB122_63
; %bb.62:
	ds_read2_b64 v[138:141], v132 offset0:4 offset1:5
	ds_read2_b64 v[142:145], v132 offset0:6 offset1:7
	v_mul_f64 v[118:119], v[128:129], v[118:119]
	ds_read2_b64 v[146:149], v132 offset0:8 offset1:9
	s_waitcnt lgkmcnt(0)
	v_fma_f64 v[116:117], -v[118:119], v[138:139], v[116:117]
	v_fma_f64 v[114:115], -v[118:119], v[140:141], v[114:115]
	ds_read2_b64 v[138:141], v132 offset0:10 offset1:11
	v_fma_f64 v[112:113], -v[118:119], v[142:143], v[112:113]
	v_fma_f64 v[110:111], -v[118:119], v[144:145], v[110:111]
	ds_read2_b64 v[142:145], v132 offset0:12 offset1:13
	;; [unrolled: 3-line block ×3, first 2 shown]
	s_waitcnt lgkmcnt(0)
	v_fma_f64 v[104:105], -v[118:119], v[138:139], v[104:105]
	v_fma_f64 v[102:103], -v[118:119], v[140:141], v[102:103]
	;; [unrolled: 1-line block ×3, first 2 shown]
	ds_read2_b64 v[138:141], v132 offset0:16 offset1:17
	v_fma_f64 v[98:99], -v[118:119], v[144:145], v[98:99]
	ds_read2_b64 v[142:145], v132 offset0:18 offset1:19
	v_fma_f64 v[96:97], -v[118:119], v[146:147], v[96:97]
	v_fma_f64 v[94:95], -v[118:119], v[148:149], v[94:95]
	s_waitcnt lgkmcnt(0)
	v_fma_f64 v[92:93], -v[118:119], v[138:139], v[92:93]
	ds_read2_b64 v[146:149], v132 offset0:20 offset1:21
	v_fma_f64 v[90:91], -v[118:119], v[140:141], v[90:91]
	ds_read2_b64 v[138:141], v132 offset0:22 offset1:23
	v_fma_f64 v[88:89], -v[118:119], v[142:143], v[88:89]
	v_fma_f64 v[86:87], -v[118:119], v[144:145], v[86:87]
	ds_read2_b64 v[142:145], v132 offset0:24 offset1:25
	s_waitcnt lgkmcnt(0)
	v_fma_f64 v[84:85], -v[118:119], v[146:147], v[84:85]
	v_fma_f64 v[82:83], -v[118:119], v[148:149], v[82:83]
	ds_read2_b64 v[146:149], v132 offset0:26 offset1:27
	v_fma_f64 v[80:81], -v[118:119], v[138:139], v[80:81]
	v_fma_f64 v[78:79], -v[118:119], v[140:141], v[78:79]
	v_fma_f64 v[76:77], -v[118:119], v[142:143], v[76:77]
	ds_read2_b64 v[138:141], v132 offset0:28 offset1:29
	v_fma_f64 v[74:75], -v[118:119], v[144:145], v[74:75]
	ds_read2_b64 v[142:145], v132 offset0:30 offset1:31
	s_waitcnt lgkmcnt(0)
	v_fma_f64 v[72:73], -v[118:119], v[146:147], v[72:73]
	v_fma_f64 v[70:71], -v[118:119], v[148:149], v[70:71]
	v_fma_f64 v[68:69], -v[118:119], v[138:139], v[68:69]
	ds_read2_b64 v[146:149], v132 offset0:32 offset1:33
	v_fma_f64 v[66:67], -v[118:119], v[140:141], v[66:67]
	ds_read2_b64 v[138:141], v132 offset0:34 offset1:35
	v_fma_f64 v[64:65], -v[118:119], v[142:143], v[64:65]
	v_fma_f64 v[62:63], -v[118:119], v[144:145], v[62:63]
	ds_read2_b64 v[142:145], v132 offset0:36 offset1:37
	s_waitcnt lgkmcnt(0)
	v_fma_f64 v[60:61], -v[118:119], v[146:147], v[60:61]
	v_fma_f64 v[58:59], -v[118:119], v[148:149], v[58:59]
	ds_read2_b64 v[146:149], v132 offset0:38 offset1:39
	v_fma_f64 v[56:57], -v[118:119], v[138:139], v[56:57]
	v_fma_f64 v[54:55], -v[118:119], v[140:141], v[54:55]
	v_fma_f64 v[52:53], -v[118:119], v[142:143], v[52:53]
	ds_read2_b64 v[138:141], v132 offset0:40 offset1:41
	v_fma_f64 v[50:51], -v[118:119], v[144:145], v[50:51]
	ds_read2_b64 v[142:145], v132 offset0:42 offset1:43
	s_waitcnt lgkmcnt(0)
	v_fma_f64 v[48:49], -v[118:119], v[146:147], v[48:49]
	v_fma_f64 v[46:47], -v[118:119], v[148:149], v[46:47]
	;; [unrolled: 20-line block ×3, first 2 shown]
	v_fma_f64 v[20:21], -v[118:119], v[138:139], v[20:21]
	v_fma_f64 v[18:19], -v[118:119], v[140:141], v[18:19]
	ds_read2_b64 v[138:141], v132 offset0:56 offset1:57
	ds_read2_b64 v[146:149], v132 offset0:58 offset1:59
	v_fma_f64 v[16:17], -v[118:119], v[142:143], v[16:17]
	v_fma_f64 v[14:15], -v[118:119], v[144:145], v[14:15]
	ds_read2_b64 v[142:145], v132 offset0:60 offset1:61
	s_waitcnt lgkmcnt(0)
	v_fma_f64 v[12:13], -v[118:119], v[138:139], v[12:13]
	v_fma_f64 v[10:11], -v[118:119], v[140:141], v[10:11]
	;; [unrolled: 1-line block ×6, first 2 shown]
.LBB122_63:
	s_or_b64 exec, exec, s[0:1]
	v_lshl_add_u32 v128, v133, 3, v132
	s_barrier
	ds_write_b64 v128, v[116:117]
	s_waitcnt lgkmcnt(0)
	s_barrier
	ds_read_b64 v[128:129], v132 offset:32
	s_cmp_lt_i32 s18, 6
	v_mov_b32_e32 v130, 4
	s_cbranch_scc1 .LBB122_66
; %bb.64:
	v_add3_u32 v138, v137, 0, 40
	s_mov_b32 s0, 5
	v_mov_b32_e32 v130, 4
.LBB122_65:                             ; =>This Inner Loop Header: Depth=1
	ds_read_b64 v[140:141], v138
	v_mov_b32_e32 v139, s0
	s_add_i32 s0, s0, 1
	v_add_u32_e32 v138, 8, v138
	s_cmp_lg_u32 s18, s0
	s_waitcnt lgkmcnt(0)
	v_cmp_lt_f64_e64 vcc, |v[128:129]|, |v[140:141]|
	v_cndmask_b32_e32 v129, v129, v141, vcc
	v_cndmask_b32_e32 v128, v128, v140, vcc
	;; [unrolled: 1-line block ×3, first 2 shown]
	s_cbranch_scc1 .LBB122_65
.LBB122_66:
	s_waitcnt lgkmcnt(0)
	v_cmp_eq_f64_e32 vcc, 0, v[128:129]
	s_and_saveexec_b64 s[0:1], vcc
	s_xor_b64 s[0:1], exec, s[0:1]
; %bb.67:
	v_cmp_ne_u32_e32 vcc, 0, v136
	v_cndmask_b32_e32 v136, 5, v136, vcc
; %bb.68:
	s_andn2_saveexec_b64 s[0:1], s[0:1]
; %bb.69:
	v_div_scale_f64 v[138:139], s[2:3], v[128:129], v[128:129], 1.0
	v_rcp_f64_e32 v[140:141], v[138:139]
	v_div_scale_f64 v[142:143], vcc, 1.0, v[128:129], 1.0
	v_fma_f64 v[144:145], -v[138:139], v[140:141], 1.0
	v_fmac_f64_e32 v[140:141], v[140:141], v[144:145]
	v_fma_f64 v[144:145], -v[138:139], v[140:141], 1.0
	v_fmac_f64_e32 v[140:141], v[140:141], v[144:145]
	v_mul_f64 v[144:145], v[142:143], v[140:141]
	v_fma_f64 v[138:139], -v[138:139], v[144:145], v[142:143]
	v_div_fmas_f64 v[138:139], v[138:139], v[140:141], v[144:145]
	v_div_fixup_f64 v[128:129], v[138:139], v[128:129], 1.0
; %bb.70:
	s_or_b64 exec, exec, s[0:1]
	v_cmp_ne_u32_e32 vcc, v133, v130
	s_and_saveexec_b64 s[0:1], vcc
	s_xor_b64 s[0:1], exec, s[0:1]
	s_cbranch_execz .LBB122_76
; %bb.71:
	v_cmp_eq_u32_e32 vcc, 4, v133
	s_and_saveexec_b64 s[2:3], vcc
	s_cbranch_execz .LBB122_75
; %bb.72:
	v_cmp_ne_u32_e32 vcc, 4, v130
	s_xor_b64 s[14:15], s[6:7], -1
	s_and_b64 s[16:17], s[14:15], vcc
	s_and_saveexec_b64 s[14:15], s[16:17]
	s_cbranch_execz .LBB122_74
; %bb.73:
	v_ashrrev_i32_e32 v131, 31, v130
	v_lshlrev_b64 v[138:139], 2, v[130:131]
	v_add_co_u32_e32 v138, vcc, v4, v138
	v_addc_co_u32_e32 v139, vcc, v5, v139, vcc
	flat_load_dword v131, v[138:139]
	flat_load_dword v133, v[4:5] offset:16
	s_waitcnt vmcnt(0) lgkmcnt(0)
	flat_store_dword v[4:5], v131 offset:16
	flat_store_dword v[138:139], v133
.LBB122_74:
	s_or_b64 exec, exec, s[14:15]
	v_mov_b32_e32 v131, v130
	v_mov_b32_e32 v133, v130
.LBB122_75:
	s_or_b64 exec, exec, s[2:3]
.LBB122_76:
	s_andn2_saveexec_b64 s[0:1], s[0:1]
	s_cbranch_execz .LBB122_78
; %bb.77:
	v_mov_b32_e32 v133, 4
	ds_write2_b64 v132, v[114:115], v[112:113] offset0:5 offset1:6
	ds_write2_b64 v132, v[110:111], v[108:109] offset0:7 offset1:8
	ds_write2_b64 v132, v[106:107], v[104:105] offset0:9 offset1:10
	ds_write2_b64 v132, v[102:103], v[100:101] offset0:11 offset1:12
	ds_write2_b64 v132, v[98:99], v[96:97] offset0:13 offset1:14
	ds_write2_b64 v132, v[94:95], v[92:93] offset0:15 offset1:16
	ds_write2_b64 v132, v[90:91], v[88:89] offset0:17 offset1:18
	ds_write2_b64 v132, v[86:87], v[84:85] offset0:19 offset1:20
	ds_write2_b64 v132, v[82:83], v[80:81] offset0:21 offset1:22
	ds_write2_b64 v132, v[78:79], v[76:77] offset0:23 offset1:24
	ds_write2_b64 v132, v[74:75], v[72:73] offset0:25 offset1:26
	ds_write2_b64 v132, v[70:71], v[68:69] offset0:27 offset1:28
	ds_write2_b64 v132, v[66:67], v[64:65] offset0:29 offset1:30
	ds_write2_b64 v132, v[62:63], v[60:61] offset0:31 offset1:32
	ds_write2_b64 v132, v[58:59], v[56:57] offset0:33 offset1:34
	ds_write2_b64 v132, v[54:55], v[52:53] offset0:35 offset1:36
	ds_write2_b64 v132, v[50:51], v[48:49] offset0:37 offset1:38
	ds_write2_b64 v132, v[46:47], v[44:45] offset0:39 offset1:40
	ds_write2_b64 v132, v[42:43], v[40:41] offset0:41 offset1:42
	ds_write2_b64 v132, v[38:39], v[36:37] offset0:43 offset1:44
	ds_write2_b64 v132, v[34:35], v[32:33] offset0:45 offset1:46
	ds_write2_b64 v132, v[30:31], v[28:29] offset0:47 offset1:48
	ds_write2_b64 v132, v[26:27], v[24:25] offset0:49 offset1:50
	ds_write2_b64 v132, v[22:23], v[20:21] offset0:51 offset1:52
	ds_write2_b64 v132, v[18:19], v[16:17] offset0:53 offset1:54
	ds_write2_b64 v132, v[14:15], v[12:13] offset0:55 offset1:56
	ds_write2_b64 v132, v[10:11], v[8:9] offset0:57 offset1:58
	ds_write2_b64 v132, v[6:7], v[0:1] offset0:59 offset1:60
	ds_write_b64 v132, v[126:127] offset:488
.LBB122_78:
	s_or_b64 exec, exec, s[0:1]
	v_cmp_lt_i32_e32 vcc, 4, v133
	s_waitcnt lgkmcnt(0)
	s_barrier
	s_and_saveexec_b64 s[0:1], vcc
	s_cbranch_execz .LBB122_80
; %bb.79:
	ds_read2_b64 v[138:141], v132 offset0:5 offset1:6
	ds_read2_b64 v[142:145], v132 offset0:7 offset1:8
	v_mul_f64 v[116:117], v[128:129], v[116:117]
	ds_read2_b64 v[146:149], v132 offset0:9 offset1:10
	ds_read_b64 v[128:129], v132 offset:488
	s_waitcnt lgkmcnt(0)
	v_fma_f64 v[114:115], -v[116:117], v[138:139], v[114:115]
	v_fma_f64 v[112:113], -v[116:117], v[140:141], v[112:113]
	ds_read2_b64 v[138:141], v132 offset0:11 offset1:12
	v_fma_f64 v[110:111], -v[116:117], v[142:143], v[110:111]
	v_fma_f64 v[108:109], -v[116:117], v[144:145], v[108:109]
	;; [unrolled: 1-line block ×3, first 2 shown]
	ds_read2_b64 v[142:145], v132 offset0:13 offset1:14
	v_fma_f64 v[104:105], -v[116:117], v[148:149], v[104:105]
	ds_read2_b64 v[146:149], v132 offset0:15 offset1:16
	s_waitcnt lgkmcnt(0)
	v_fma_f64 v[102:103], -v[116:117], v[138:139], v[102:103]
	v_fma_f64 v[100:101], -v[116:117], v[140:141], v[100:101]
	ds_read2_b64 v[138:141], v132 offset0:17 offset1:18
	v_fma_f64 v[98:99], -v[116:117], v[142:143], v[98:99]
	v_fma_f64 v[96:97], -v[116:117], v[144:145], v[96:97]
	ds_read2_b64 v[142:145], v132 offset0:19 offset1:20
	v_fma_f64 v[94:95], -v[116:117], v[146:147], v[94:95]
	v_fma_f64 v[92:93], -v[116:117], v[148:149], v[92:93]
	s_waitcnt lgkmcnt(0)
	v_fma_f64 v[90:91], -v[116:117], v[138:139], v[90:91]
	ds_read2_b64 v[146:149], v132 offset0:21 offset1:22
	v_fma_f64 v[88:89], -v[116:117], v[140:141], v[88:89]
	ds_read2_b64 v[138:141], v132 offset0:23 offset1:24
	v_fma_f64 v[86:87], -v[116:117], v[142:143], v[86:87]
	v_fma_f64 v[84:85], -v[116:117], v[144:145], v[84:85]
	s_waitcnt lgkmcnt(0)
	v_fma_f64 v[82:83], -v[116:117], v[146:147], v[82:83]
	ds_read2_b64 v[142:145], v132 offset0:25 offset1:26
	v_fma_f64 v[80:81], -v[116:117], v[148:149], v[80:81]
	ds_read2_b64 v[146:149], v132 offset0:27 offset1:28
	v_fma_f64 v[78:79], -v[116:117], v[138:139], v[78:79]
	v_fma_f64 v[76:77], -v[116:117], v[140:141], v[76:77]
	ds_read2_b64 v[138:141], v132 offset0:29 offset1:30
	s_waitcnt lgkmcnt(0)
	v_fma_f64 v[74:75], -v[116:117], v[142:143], v[74:75]
	v_fma_f64 v[72:73], -v[116:117], v[144:145], v[72:73]
	ds_read2_b64 v[142:145], v132 offset0:31 offset1:32
	v_fma_f64 v[70:71], -v[116:117], v[146:147], v[70:71]
	v_fma_f64 v[68:69], -v[116:117], v[148:149], v[68:69]
	;; [unrolled: 1-line block ×3, first 2 shown]
	ds_read2_b64 v[146:149], v132 offset0:33 offset1:34
	v_fma_f64 v[64:65], -v[116:117], v[140:141], v[64:65]
	ds_read2_b64 v[138:141], v132 offset0:35 offset1:36
	s_waitcnt lgkmcnt(0)
	v_fma_f64 v[62:63], -v[116:117], v[142:143], v[62:63]
	v_fma_f64 v[60:61], -v[116:117], v[144:145], v[60:61]
	;; [unrolled: 1-line block ×3, first 2 shown]
	ds_read2_b64 v[142:145], v132 offset0:37 offset1:38
	v_fma_f64 v[56:57], -v[116:117], v[148:149], v[56:57]
	ds_read2_b64 v[146:149], v132 offset0:39 offset1:40
	v_fma_f64 v[54:55], -v[116:117], v[138:139], v[54:55]
	v_fma_f64 v[52:53], -v[116:117], v[140:141], v[52:53]
	ds_read2_b64 v[138:141], v132 offset0:41 offset1:42
	s_waitcnt lgkmcnt(0)
	v_fma_f64 v[50:51], -v[116:117], v[142:143], v[50:51]
	v_fma_f64 v[48:49], -v[116:117], v[144:145], v[48:49]
	ds_read2_b64 v[142:145], v132 offset0:43 offset1:44
	v_fma_f64 v[46:47], -v[116:117], v[146:147], v[46:47]
	v_fma_f64 v[44:45], -v[116:117], v[148:149], v[44:45]
	;; [unrolled: 1-line block ×3, first 2 shown]
	ds_read2_b64 v[146:149], v132 offset0:45 offset1:46
	v_fma_f64 v[40:41], -v[116:117], v[140:141], v[40:41]
	ds_read2_b64 v[138:141], v132 offset0:47 offset1:48
	s_waitcnt lgkmcnt(0)
	v_fma_f64 v[38:39], -v[116:117], v[142:143], v[38:39]
	v_fma_f64 v[36:37], -v[116:117], v[144:145], v[36:37]
	;; [unrolled: 1-line block ×3, first 2 shown]
	ds_read2_b64 v[142:145], v132 offset0:49 offset1:50
	v_fma_f64 v[32:33], -v[116:117], v[148:149], v[32:33]
	ds_read2_b64 v[146:149], v132 offset0:51 offset1:52
	v_fma_f64 v[30:31], -v[116:117], v[138:139], v[30:31]
	v_fma_f64 v[28:29], -v[116:117], v[140:141], v[28:29]
	ds_read2_b64 v[138:141], v132 offset0:53 offset1:54
	s_waitcnt lgkmcnt(0)
	v_fma_f64 v[26:27], -v[116:117], v[142:143], v[26:27]
	v_fma_f64 v[24:25], -v[116:117], v[144:145], v[24:25]
	ds_read2_b64 v[142:145], v132 offset0:55 offset1:56
	v_fma_f64 v[22:23], -v[116:117], v[146:147], v[22:23]
	v_fma_f64 v[20:21], -v[116:117], v[148:149], v[20:21]
	;; [unrolled: 1-line block ×4, first 2 shown]
	ds_read2_b64 v[138:141], v132 offset0:57 offset1:58
	ds_read2_b64 v[146:149], v132 offset0:59 offset1:60
	s_waitcnt lgkmcnt(0)
	v_fma_f64 v[14:15], -v[116:117], v[142:143], v[14:15]
	v_fma_f64 v[12:13], -v[116:117], v[144:145], v[12:13]
	;; [unrolled: 1-line block ×7, first 2 shown]
.LBB122_80:
	s_or_b64 exec, exec, s[0:1]
	v_lshl_add_u32 v128, v133, 3, v132
	s_barrier
	ds_write_b64 v128, v[114:115]
	s_waitcnt lgkmcnt(0)
	s_barrier
	ds_read_b64 v[128:129], v132 offset:40
	s_cmp_lt_i32 s18, 7
	v_mov_b32_e32 v130, 5
	s_cbranch_scc1 .LBB122_83
; %bb.81:
	v_add3_u32 v138, v137, 0, 48
	s_mov_b32 s0, 6
	v_mov_b32_e32 v130, 5
.LBB122_82:                             ; =>This Inner Loop Header: Depth=1
	ds_read_b64 v[140:141], v138
	v_mov_b32_e32 v139, s0
	s_add_i32 s0, s0, 1
	v_add_u32_e32 v138, 8, v138
	s_cmp_lg_u32 s18, s0
	s_waitcnt lgkmcnt(0)
	v_cmp_lt_f64_e64 vcc, |v[128:129]|, |v[140:141]|
	v_cndmask_b32_e32 v129, v129, v141, vcc
	v_cndmask_b32_e32 v128, v128, v140, vcc
	;; [unrolled: 1-line block ×3, first 2 shown]
	s_cbranch_scc1 .LBB122_82
.LBB122_83:
	s_waitcnt lgkmcnt(0)
	v_cmp_eq_f64_e32 vcc, 0, v[128:129]
	s_and_saveexec_b64 s[0:1], vcc
	s_xor_b64 s[0:1], exec, s[0:1]
; %bb.84:
	v_cmp_ne_u32_e32 vcc, 0, v136
	v_cndmask_b32_e32 v136, 6, v136, vcc
; %bb.85:
	s_andn2_saveexec_b64 s[0:1], s[0:1]
; %bb.86:
	v_div_scale_f64 v[138:139], s[2:3], v[128:129], v[128:129], 1.0
	v_rcp_f64_e32 v[140:141], v[138:139]
	v_div_scale_f64 v[142:143], vcc, 1.0, v[128:129], 1.0
	v_fma_f64 v[144:145], -v[138:139], v[140:141], 1.0
	v_fmac_f64_e32 v[140:141], v[140:141], v[144:145]
	v_fma_f64 v[144:145], -v[138:139], v[140:141], 1.0
	v_fmac_f64_e32 v[140:141], v[140:141], v[144:145]
	v_mul_f64 v[144:145], v[142:143], v[140:141]
	v_fma_f64 v[138:139], -v[138:139], v[144:145], v[142:143]
	v_div_fmas_f64 v[138:139], v[138:139], v[140:141], v[144:145]
	v_div_fixup_f64 v[128:129], v[138:139], v[128:129], 1.0
; %bb.87:
	s_or_b64 exec, exec, s[0:1]
	v_cmp_ne_u32_e32 vcc, v133, v130
	s_and_saveexec_b64 s[0:1], vcc
	s_xor_b64 s[0:1], exec, s[0:1]
	s_cbranch_execz .LBB122_93
; %bb.88:
	v_cmp_eq_u32_e32 vcc, 5, v133
	s_and_saveexec_b64 s[2:3], vcc
	s_cbranch_execz .LBB122_92
; %bb.89:
	v_cmp_ne_u32_e32 vcc, 5, v130
	s_xor_b64 s[14:15], s[6:7], -1
	s_and_b64 s[16:17], s[14:15], vcc
	s_and_saveexec_b64 s[14:15], s[16:17]
	s_cbranch_execz .LBB122_91
; %bb.90:
	v_ashrrev_i32_e32 v131, 31, v130
	v_lshlrev_b64 v[138:139], 2, v[130:131]
	v_add_co_u32_e32 v138, vcc, v4, v138
	v_addc_co_u32_e32 v139, vcc, v5, v139, vcc
	flat_load_dword v131, v[138:139]
	flat_load_dword v133, v[4:5] offset:20
	s_waitcnt vmcnt(0) lgkmcnt(0)
	flat_store_dword v[4:5], v131 offset:20
	flat_store_dword v[138:139], v133
.LBB122_91:
	s_or_b64 exec, exec, s[14:15]
	v_mov_b32_e32 v131, v130
	v_mov_b32_e32 v133, v130
.LBB122_92:
	s_or_b64 exec, exec, s[2:3]
.LBB122_93:
	s_andn2_saveexec_b64 s[0:1], s[0:1]
	s_cbranch_execz .LBB122_95
; %bb.94:
	v_mov_b32_e32 v138, v112
	v_mov_b32_e32 v139, v113
	v_mov_b32_e32 v140, v110
	v_mov_b32_e32 v141, v111
	ds_write2_b64 v132, v[138:139], v[140:141] offset0:6 offset1:7
	v_mov_b32_e32 v138, v108
	v_mov_b32_e32 v139, v109
	v_mov_b32_e32 v140, v106
	v_mov_b32_e32 v141, v107
	ds_write2_b64 v132, v[138:139], v[140:141] offset0:8 offset1:9
	;; [unrolled: 5-line block ×27, first 2 shown]
	v_mov_b32_e32 v138, v0
	v_mov_b32_e32 v139, v1
	;; [unrolled: 1-line block ×3, first 2 shown]
	ds_write2_b64 v132, v[138:139], v[126:127] offset0:60 offset1:61
.LBB122_95:
	s_or_b64 exec, exec, s[0:1]
	v_cmp_lt_i32_e32 vcc, 5, v133
	s_waitcnt lgkmcnt(0)
	s_barrier
	s_and_saveexec_b64 s[0:1], vcc
	s_cbranch_execz .LBB122_97
; %bb.96:
	ds_read2_b64 v[138:141], v132 offset0:6 offset1:7
	ds_read2_b64 v[142:145], v132 offset0:8 offset1:9
	v_mul_f64 v[114:115], v[128:129], v[114:115]
	ds_read2_b64 v[146:149], v132 offset0:10 offset1:11
	s_waitcnt lgkmcnt(0)
	v_fma_f64 v[112:113], -v[114:115], v[138:139], v[112:113]
	v_fma_f64 v[110:111], -v[114:115], v[140:141], v[110:111]
	ds_read2_b64 v[138:141], v132 offset0:12 offset1:13
	v_fma_f64 v[108:109], -v[114:115], v[142:143], v[108:109]
	v_fma_f64 v[106:107], -v[114:115], v[144:145], v[106:107]
	;; [unrolled: 1-line block ×3, first 2 shown]
	ds_read2_b64 v[142:145], v132 offset0:14 offset1:15
	v_fma_f64 v[102:103], -v[114:115], v[148:149], v[102:103]
	ds_read2_b64 v[146:149], v132 offset0:16 offset1:17
	s_waitcnt lgkmcnt(0)
	v_fma_f64 v[100:101], -v[114:115], v[138:139], v[100:101]
	v_fma_f64 v[98:99], -v[114:115], v[140:141], v[98:99]
	ds_read2_b64 v[138:141], v132 offset0:18 offset1:19
	v_fma_f64 v[96:97], -v[114:115], v[142:143], v[96:97]
	v_fma_f64 v[94:95], -v[114:115], v[144:145], v[94:95]
	ds_read2_b64 v[142:145], v132 offset0:20 offset1:21
	v_fma_f64 v[92:93], -v[114:115], v[146:147], v[92:93]
	v_fma_f64 v[90:91], -v[114:115], v[148:149], v[90:91]
	s_waitcnt lgkmcnt(0)
	v_fma_f64 v[88:89], -v[114:115], v[138:139], v[88:89]
	ds_read2_b64 v[146:149], v132 offset0:22 offset1:23
	v_fma_f64 v[86:87], -v[114:115], v[140:141], v[86:87]
	ds_read2_b64 v[138:141], v132 offset0:24 offset1:25
	v_fma_f64 v[84:85], -v[114:115], v[142:143], v[84:85]
	v_fma_f64 v[82:83], -v[114:115], v[144:145], v[82:83]
	s_waitcnt lgkmcnt(0)
	v_fma_f64 v[80:81], -v[114:115], v[146:147], v[80:81]
	ds_read2_b64 v[142:145], v132 offset0:26 offset1:27
	v_fma_f64 v[78:79], -v[114:115], v[148:149], v[78:79]
	ds_read2_b64 v[146:149], v132 offset0:28 offset1:29
	v_fma_f64 v[76:77], -v[114:115], v[138:139], v[76:77]
	v_fma_f64 v[74:75], -v[114:115], v[140:141], v[74:75]
	ds_read2_b64 v[138:141], v132 offset0:30 offset1:31
	s_waitcnt lgkmcnt(0)
	v_fma_f64 v[72:73], -v[114:115], v[142:143], v[72:73]
	v_fma_f64 v[70:71], -v[114:115], v[144:145], v[70:71]
	ds_read2_b64 v[142:145], v132 offset0:32 offset1:33
	v_fma_f64 v[68:69], -v[114:115], v[146:147], v[68:69]
	v_fma_f64 v[66:67], -v[114:115], v[148:149], v[66:67]
	v_fma_f64 v[64:65], -v[114:115], v[138:139], v[64:65]
	ds_read2_b64 v[146:149], v132 offset0:34 offset1:35
	v_fma_f64 v[62:63], -v[114:115], v[140:141], v[62:63]
	ds_read2_b64 v[138:141], v132 offset0:36 offset1:37
	s_waitcnt lgkmcnt(0)
	v_fma_f64 v[60:61], -v[114:115], v[142:143], v[60:61]
	v_fma_f64 v[58:59], -v[114:115], v[144:145], v[58:59]
	v_fma_f64 v[56:57], -v[114:115], v[146:147], v[56:57]
	ds_read2_b64 v[142:145], v132 offset0:38 offset1:39
	v_fma_f64 v[54:55], -v[114:115], v[148:149], v[54:55]
	ds_read2_b64 v[146:149], v132 offset0:40 offset1:41
	v_fma_f64 v[52:53], -v[114:115], v[138:139], v[52:53]
	v_fma_f64 v[50:51], -v[114:115], v[140:141], v[50:51]
	ds_read2_b64 v[138:141], v132 offset0:42 offset1:43
	s_waitcnt lgkmcnt(0)
	v_fma_f64 v[48:49], -v[114:115], v[142:143], v[48:49]
	v_fma_f64 v[46:47], -v[114:115], v[144:145], v[46:47]
	ds_read2_b64 v[142:145], v132 offset0:44 offset1:45
	v_fma_f64 v[44:45], -v[114:115], v[146:147], v[44:45]
	v_fma_f64 v[42:43], -v[114:115], v[148:149], v[42:43]
	v_fma_f64 v[40:41], -v[114:115], v[138:139], v[40:41]
	ds_read2_b64 v[146:149], v132 offset0:46 offset1:47
	v_fma_f64 v[38:39], -v[114:115], v[140:141], v[38:39]
	ds_read2_b64 v[138:141], v132 offset0:48 offset1:49
	s_waitcnt lgkmcnt(0)
	v_fma_f64 v[36:37], -v[114:115], v[142:143], v[36:37]
	v_fma_f64 v[34:35], -v[114:115], v[144:145], v[34:35]
	;; [unrolled: 20-line block ×3, first 2 shown]
	v_fma_f64 v[8:9], -v[114:115], v[146:147], v[8:9]
	v_fma_f64 v[6:7], -v[114:115], v[148:149], v[6:7]
	;; [unrolled: 1-line block ×4, first 2 shown]
.LBB122_97:
	s_or_b64 exec, exec, s[0:1]
	v_lshl_add_u32 v128, v133, 3, v132
	s_barrier
	ds_write_b64 v128, v[112:113]
	s_waitcnt lgkmcnt(0)
	s_barrier
	ds_read_b64 v[128:129], v132 offset:48
	s_cmp_lt_i32 s18, 8
	v_mov_b32_e32 v130, 6
	s_cbranch_scc1 .LBB122_100
; %bb.98:
	v_add3_u32 v138, v137, 0, 56
	s_mov_b32 s0, 7
	v_mov_b32_e32 v130, 6
.LBB122_99:                             ; =>This Inner Loop Header: Depth=1
	ds_read_b64 v[140:141], v138
	v_mov_b32_e32 v139, s0
	s_add_i32 s0, s0, 1
	v_add_u32_e32 v138, 8, v138
	s_cmp_lg_u32 s18, s0
	s_waitcnt lgkmcnt(0)
	v_cmp_lt_f64_e64 vcc, |v[128:129]|, |v[140:141]|
	v_cndmask_b32_e32 v129, v129, v141, vcc
	v_cndmask_b32_e32 v128, v128, v140, vcc
	v_cndmask_b32_e32 v130, v130, v139, vcc
	s_cbranch_scc1 .LBB122_99
.LBB122_100:
	s_waitcnt lgkmcnt(0)
	v_cmp_eq_f64_e32 vcc, 0, v[128:129]
	s_and_saveexec_b64 s[0:1], vcc
	s_xor_b64 s[0:1], exec, s[0:1]
; %bb.101:
	v_cmp_ne_u32_e32 vcc, 0, v136
	v_cndmask_b32_e32 v136, 7, v136, vcc
; %bb.102:
	s_andn2_saveexec_b64 s[0:1], s[0:1]
; %bb.103:
	v_div_scale_f64 v[138:139], s[2:3], v[128:129], v[128:129], 1.0
	v_rcp_f64_e32 v[140:141], v[138:139]
	v_div_scale_f64 v[142:143], vcc, 1.0, v[128:129], 1.0
	v_fma_f64 v[144:145], -v[138:139], v[140:141], 1.0
	v_fmac_f64_e32 v[140:141], v[140:141], v[144:145]
	v_fma_f64 v[144:145], -v[138:139], v[140:141], 1.0
	v_fmac_f64_e32 v[140:141], v[140:141], v[144:145]
	v_mul_f64 v[144:145], v[142:143], v[140:141]
	v_fma_f64 v[138:139], -v[138:139], v[144:145], v[142:143]
	v_div_fmas_f64 v[138:139], v[138:139], v[140:141], v[144:145]
	v_div_fixup_f64 v[128:129], v[138:139], v[128:129], 1.0
; %bb.104:
	s_or_b64 exec, exec, s[0:1]
	v_cmp_ne_u32_e32 vcc, v133, v130
	s_and_saveexec_b64 s[0:1], vcc
	s_xor_b64 s[0:1], exec, s[0:1]
	s_cbranch_execz .LBB122_110
; %bb.105:
	v_cmp_eq_u32_e32 vcc, 6, v133
	s_and_saveexec_b64 s[2:3], vcc
	s_cbranch_execz .LBB122_109
; %bb.106:
	v_cmp_ne_u32_e32 vcc, 6, v130
	s_xor_b64 s[14:15], s[6:7], -1
	s_and_b64 s[16:17], s[14:15], vcc
	s_and_saveexec_b64 s[14:15], s[16:17]
	s_cbranch_execz .LBB122_108
; %bb.107:
	v_ashrrev_i32_e32 v131, 31, v130
	v_lshlrev_b64 v[138:139], 2, v[130:131]
	v_add_co_u32_e32 v138, vcc, v4, v138
	v_addc_co_u32_e32 v139, vcc, v5, v139, vcc
	flat_load_dword v131, v[138:139]
	flat_load_dword v133, v[4:5] offset:24
	s_waitcnt vmcnt(0) lgkmcnt(0)
	flat_store_dword v[4:5], v131 offset:24
	flat_store_dword v[138:139], v133
.LBB122_108:
	s_or_b64 exec, exec, s[14:15]
	v_mov_b32_e32 v131, v130
	v_mov_b32_e32 v133, v130
.LBB122_109:
	s_or_b64 exec, exec, s[2:3]
.LBB122_110:
	s_andn2_saveexec_b64 s[0:1], s[0:1]
	s_cbranch_execz .LBB122_112
; %bb.111:
	v_mov_b32_e32 v133, 6
	ds_write2_b64 v132, v[110:111], v[108:109] offset0:7 offset1:8
	ds_write2_b64 v132, v[106:107], v[104:105] offset0:9 offset1:10
	;; [unrolled: 1-line block ×27, first 2 shown]
	ds_write_b64 v132, v[126:127] offset:488
.LBB122_112:
	s_or_b64 exec, exec, s[0:1]
	v_cmp_lt_i32_e32 vcc, 6, v133
	s_waitcnt lgkmcnt(0)
	s_barrier
	s_and_saveexec_b64 s[0:1], vcc
	s_cbranch_execz .LBB122_114
; %bb.113:
	ds_read2_b64 v[138:141], v132 offset0:7 offset1:8
	ds_read2_b64 v[142:145], v132 offset0:9 offset1:10
	ds_read2_b64 v[146:149], v132 offset0:11 offset1:12
	v_mul_f64 v[112:113], v[128:129], v[112:113]
	ds_read_b64 v[128:129], v132 offset:488
	s_waitcnt lgkmcnt(0)
	v_fma_f64 v[110:111], -v[112:113], v[138:139], v[110:111]
	v_fma_f64 v[108:109], -v[112:113], v[140:141], v[108:109]
	ds_read2_b64 v[138:141], v132 offset0:13 offset1:14
	v_fma_f64 v[106:107], -v[112:113], v[142:143], v[106:107]
	v_fma_f64 v[104:105], -v[112:113], v[144:145], v[104:105]
	v_fma_f64 v[102:103], -v[112:113], v[146:147], v[102:103]
	ds_read2_b64 v[142:145], v132 offset0:15 offset1:16
	v_fma_f64 v[100:101], -v[112:113], v[148:149], v[100:101]
	ds_read2_b64 v[146:149], v132 offset0:17 offset1:18
	s_waitcnt lgkmcnt(0)
	v_fma_f64 v[98:99], -v[112:113], v[138:139], v[98:99]
	v_fma_f64 v[96:97], -v[112:113], v[140:141], v[96:97]
	v_fma_f64 v[94:95], -v[112:113], v[142:143], v[94:95]
	ds_read2_b64 v[138:141], v132 offset0:19 offset1:20
	v_fma_f64 v[92:93], -v[112:113], v[144:145], v[92:93]
	ds_read2_b64 v[142:145], v132 offset0:21 offset1:22
	v_fma_f64 v[90:91], -v[112:113], v[146:147], v[90:91]
	v_fma_f64 v[88:89], -v[112:113], v[148:149], v[88:89]
	ds_read2_b64 v[146:149], v132 offset0:23 offset1:24
	s_waitcnt lgkmcnt(0)
	v_fma_f64 v[86:87], -v[112:113], v[138:139], v[86:87]
	v_fma_f64 v[84:85], -v[112:113], v[140:141], v[84:85]
	ds_read2_b64 v[138:141], v132 offset0:25 offset1:26
	v_fma_f64 v[82:83], -v[112:113], v[142:143], v[82:83]
	v_fma_f64 v[80:81], -v[112:113], v[144:145], v[80:81]
	v_fma_f64 v[78:79], -v[112:113], v[146:147], v[78:79]
	ds_read2_b64 v[142:145], v132 offset0:27 offset1:28
	v_fma_f64 v[76:77], -v[112:113], v[148:149], v[76:77]
	ds_read2_b64 v[146:149], v132 offset0:29 offset1:30
	s_waitcnt lgkmcnt(0)
	v_fma_f64 v[74:75], -v[112:113], v[138:139], v[74:75]
	v_fma_f64 v[72:73], -v[112:113], v[140:141], v[72:73]
	v_fma_f64 v[70:71], -v[112:113], v[142:143], v[70:71]
	ds_read2_b64 v[138:141], v132 offset0:31 offset1:32
	v_fma_f64 v[68:69], -v[112:113], v[144:145], v[68:69]
	ds_read2_b64 v[142:145], v132 offset0:33 offset1:34
	v_fma_f64 v[66:67], -v[112:113], v[146:147], v[66:67]
	v_fma_f64 v[64:65], -v[112:113], v[148:149], v[64:65]
	ds_read2_b64 v[146:149], v132 offset0:35 offset1:36
	;; [unrolled: 20-line block ×4, first 2 shown]
	s_waitcnt lgkmcnt(0)
	v_fma_f64 v[14:15], -v[112:113], v[138:139], v[14:15]
	v_fma_f64 v[12:13], -v[112:113], v[140:141], v[12:13]
	;; [unrolled: 1-line block ×7, first 2 shown]
.LBB122_114:
	s_or_b64 exec, exec, s[0:1]
	v_lshl_add_u32 v128, v133, 3, v132
	s_barrier
	ds_write_b64 v128, v[110:111]
	s_waitcnt lgkmcnt(0)
	s_barrier
	ds_read_b64 v[128:129], v132 offset:56
	s_cmp_lt_i32 s18, 9
	v_mov_b32_e32 v130, 7
	s_cbranch_scc1 .LBB122_117
; %bb.115:
	v_add3_u32 v137, v137, 0, 64
	s_mov_b32 s0, 8
	v_mov_b32_e32 v130, 7
.LBB122_116:                            ; =>This Inner Loop Header: Depth=1
	ds_read_b64 v[138:139], v137
	v_mov_b32_e32 v140, s0
	s_add_i32 s0, s0, 1
	v_add_u32_e32 v137, 8, v137
	s_cmp_lg_u32 s18, s0
	s_waitcnt lgkmcnt(0)
	v_cmp_lt_f64_e64 vcc, |v[128:129]|, |v[138:139]|
	v_cndmask_b32_e32 v129, v129, v139, vcc
	v_cndmask_b32_e32 v128, v128, v138, vcc
	;; [unrolled: 1-line block ×3, first 2 shown]
	s_cbranch_scc1 .LBB122_116
.LBB122_117:
	s_waitcnt lgkmcnt(0)
	v_cmp_eq_f64_e32 vcc, 0, v[128:129]
	s_and_saveexec_b64 s[0:1], vcc
	s_xor_b64 s[0:1], exec, s[0:1]
; %bb.118:
	v_cmp_ne_u32_e32 vcc, 0, v136
	v_cndmask_b32_e32 v136, 8, v136, vcc
; %bb.119:
	s_andn2_saveexec_b64 s[0:1], s[0:1]
; %bb.120:
	v_div_scale_f64 v[138:139], s[2:3], v[128:129], v[128:129], 1.0
	v_rcp_f64_e32 v[140:141], v[138:139]
	v_div_scale_f64 v[142:143], vcc, 1.0, v[128:129], 1.0
	v_fma_f64 v[144:145], -v[138:139], v[140:141], 1.0
	v_fmac_f64_e32 v[140:141], v[140:141], v[144:145]
	v_fma_f64 v[144:145], -v[138:139], v[140:141], 1.0
	v_fmac_f64_e32 v[140:141], v[140:141], v[144:145]
	v_mul_f64 v[144:145], v[142:143], v[140:141]
	v_fma_f64 v[138:139], -v[138:139], v[144:145], v[142:143]
	v_div_fmas_f64 v[138:139], v[138:139], v[140:141], v[144:145]
	v_div_fixup_f64 v[128:129], v[138:139], v[128:129], 1.0
; %bb.121:
	s_or_b64 exec, exec, s[0:1]
	v_cmp_ne_u32_e32 vcc, v133, v130
	s_and_saveexec_b64 s[0:1], vcc
	s_xor_b64 s[0:1], exec, s[0:1]
	s_cbranch_execz .LBB122_127
; %bb.122:
	v_cmp_eq_u32_e32 vcc, 7, v133
	s_and_saveexec_b64 s[2:3], vcc
	s_cbranch_execz .LBB122_126
; %bb.123:
	v_cmp_ne_u32_e32 vcc, 7, v130
	s_xor_b64 s[14:15], s[6:7], -1
	s_and_b64 s[16:17], s[14:15], vcc
	s_and_saveexec_b64 s[14:15], s[16:17]
	s_cbranch_execz .LBB122_125
; %bb.124:
	v_ashrrev_i32_e32 v131, 31, v130
	v_lshlrev_b64 v[138:139], 2, v[130:131]
	v_add_co_u32_e32 v138, vcc, v4, v138
	v_addc_co_u32_e32 v139, vcc, v5, v139, vcc
	flat_load_dword v131, v[138:139]
	flat_load_dword v133, v[4:5] offset:28
	s_waitcnt vmcnt(0) lgkmcnt(0)
	flat_store_dword v[4:5], v131 offset:28
	flat_store_dword v[138:139], v133
.LBB122_125:
	s_or_b64 exec, exec, s[14:15]
	v_mov_b32_e32 v131, v130
	v_mov_b32_e32 v133, v130
.LBB122_126:
	s_or_b64 exec, exec, s[2:3]
.LBB122_127:
	s_andn2_saveexec_b64 s[0:1], s[0:1]
	s_cbranch_execz .LBB122_129
; %bb.128:
	v_mov_b32_e32 v138, v108
	v_mov_b32_e32 v139, v109
	v_mov_b32_e32 v140, v106
	v_mov_b32_e32 v141, v107
	ds_write2_b64 v132, v[138:139], v[140:141] offset0:8 offset1:9
	v_mov_b32_e32 v138, v104
	v_mov_b32_e32 v139, v105
	v_mov_b32_e32 v140, v102
	v_mov_b32_e32 v141, v103
	ds_write2_b64 v132, v[138:139], v[140:141] offset0:10 offset1:11
	;; [unrolled: 5-line block ×26, first 2 shown]
	v_mov_b32_e32 v138, v0
	v_mov_b32_e32 v139, v1
	;; [unrolled: 1-line block ×3, first 2 shown]
	ds_write2_b64 v132, v[138:139], v[126:127] offset0:60 offset1:61
.LBB122_129:
	s_or_b64 exec, exec, s[0:1]
	v_cmp_lt_i32_e32 vcc, 7, v133
	s_waitcnt lgkmcnt(0)
	s_barrier
	s_and_saveexec_b64 s[0:1], vcc
	s_cbranch_execz .LBB122_131
; %bb.130:
	ds_read2_b64 v[138:141], v132 offset0:8 offset1:9
	ds_read2_b64 v[142:145], v132 offset0:10 offset1:11
	;; [unrolled: 1-line block ×3, first 2 shown]
	v_mul_f64 v[110:111], v[128:129], v[110:111]
	s_waitcnt lgkmcnt(0)
	v_fma_f64 v[108:109], -v[110:111], v[138:139], v[108:109]
	v_fma_f64 v[106:107], -v[110:111], v[140:141], v[106:107]
	ds_read2_b64 v[138:141], v132 offset0:14 offset1:15
	v_fma_f64 v[104:105], -v[110:111], v[142:143], v[104:105]
	v_fma_f64 v[102:103], -v[110:111], v[144:145], v[102:103]
	v_fma_f64 v[100:101], -v[110:111], v[146:147], v[100:101]
	ds_read2_b64 v[142:145], v132 offset0:16 offset1:17
	v_fma_f64 v[98:99], -v[110:111], v[148:149], v[98:99]
	ds_read2_b64 v[146:149], v132 offset0:18 offset1:19
	s_waitcnt lgkmcnt(0)
	v_fma_f64 v[96:97], -v[110:111], v[138:139], v[96:97]
	v_fma_f64 v[94:95], -v[110:111], v[140:141], v[94:95]
	v_fma_f64 v[92:93], -v[110:111], v[142:143], v[92:93]
	ds_read2_b64 v[138:141], v132 offset0:20 offset1:21
	v_fma_f64 v[90:91], -v[110:111], v[144:145], v[90:91]
	ds_read2_b64 v[142:145], v132 offset0:22 offset1:23
	v_fma_f64 v[88:89], -v[110:111], v[146:147], v[88:89]
	v_fma_f64 v[86:87], -v[110:111], v[148:149], v[86:87]
	ds_read2_b64 v[146:149], v132 offset0:24 offset1:25
	s_waitcnt lgkmcnt(0)
	v_fma_f64 v[84:85], -v[110:111], v[138:139], v[84:85]
	v_fma_f64 v[82:83], -v[110:111], v[140:141], v[82:83]
	ds_read2_b64 v[138:141], v132 offset0:26 offset1:27
	v_fma_f64 v[80:81], -v[110:111], v[142:143], v[80:81]
	v_fma_f64 v[78:79], -v[110:111], v[144:145], v[78:79]
	v_fma_f64 v[76:77], -v[110:111], v[146:147], v[76:77]
	ds_read2_b64 v[142:145], v132 offset0:28 offset1:29
	v_fma_f64 v[74:75], -v[110:111], v[148:149], v[74:75]
	ds_read2_b64 v[146:149], v132 offset0:30 offset1:31
	s_waitcnt lgkmcnt(0)
	v_fma_f64 v[72:73], -v[110:111], v[138:139], v[72:73]
	v_fma_f64 v[70:71], -v[110:111], v[140:141], v[70:71]
	v_fma_f64 v[68:69], -v[110:111], v[142:143], v[68:69]
	ds_read2_b64 v[138:141], v132 offset0:32 offset1:33
	v_fma_f64 v[66:67], -v[110:111], v[144:145], v[66:67]
	ds_read2_b64 v[142:145], v132 offset0:34 offset1:35
	v_fma_f64 v[64:65], -v[110:111], v[146:147], v[64:65]
	v_fma_f64 v[62:63], -v[110:111], v[148:149], v[62:63]
	ds_read2_b64 v[146:149], v132 offset0:36 offset1:37
	;; [unrolled: 20-line block ×3, first 2 shown]
	s_waitcnt lgkmcnt(0)
	v_fma_f64 v[36:37], -v[110:111], v[138:139], v[36:37]
	v_fma_f64 v[34:35], -v[110:111], v[140:141], v[34:35]
	ds_read2_b64 v[138:141], v132 offset0:50 offset1:51
	v_fma_f64 v[32:33], -v[110:111], v[142:143], v[32:33]
	v_fma_f64 v[30:31], -v[110:111], v[144:145], v[30:31]
	;; [unrolled: 1-line block ×3, first 2 shown]
	ds_read2_b64 v[142:145], v132 offset0:52 offset1:53
	v_fma_f64 v[26:27], -v[110:111], v[148:149], v[26:27]
	ds_read2_b64 v[146:149], v132 offset0:54 offset1:55
	s_waitcnt lgkmcnt(0)
	v_fma_f64 v[24:25], -v[110:111], v[138:139], v[24:25]
	v_fma_f64 v[22:23], -v[110:111], v[140:141], v[22:23]
	;; [unrolled: 1-line block ×4, first 2 shown]
	ds_read2_b64 v[138:141], v132 offset0:56 offset1:57
	ds_read2_b64 v[142:145], v132 offset0:58 offset1:59
	v_fma_f64 v[16:17], -v[110:111], v[146:147], v[16:17]
	v_fma_f64 v[14:15], -v[110:111], v[148:149], v[14:15]
	ds_read2_b64 v[146:149], v132 offset0:60 offset1:61
	s_waitcnt lgkmcnt(0)
	v_fma_f64 v[12:13], -v[110:111], v[138:139], v[12:13]
	v_fma_f64 v[10:11], -v[110:111], v[140:141], v[10:11]
	;; [unrolled: 1-line block ×6, first 2 shown]
.LBB122_131:
	s_or_b64 exec, exec, s[0:1]
	v_lshl_add_u32 v128, v133, 3, v132
	s_barrier
	ds_write_b64 v128, v[108:109]
	s_waitcnt lgkmcnt(0)
	s_barrier
	ds_read_b64 v[128:129], v132 offset:64
	s_cmp_lt_i32 s18, 10
	v_mov_b32_e32 v130, 8
	s_cbranch_scc1 .LBB122_134
; %bb.132:
	v_add_u32_e32 v137, 0x48, v132
	s_mov_b32 s0, 9
	v_mov_b32_e32 v130, 8
.LBB122_133:                            ; =>This Inner Loop Header: Depth=1
	ds_read_b64 v[138:139], v137
	v_mov_b32_e32 v140, s0
	s_add_i32 s0, s0, 1
	v_add_u32_e32 v137, 8, v137
	s_cmp_lg_u32 s18, s0
	s_waitcnt lgkmcnt(0)
	v_cmp_lt_f64_e64 vcc, |v[128:129]|, |v[138:139]|
	v_cndmask_b32_e32 v129, v129, v139, vcc
	v_cndmask_b32_e32 v128, v128, v138, vcc
	;; [unrolled: 1-line block ×3, first 2 shown]
	s_cbranch_scc1 .LBB122_133
.LBB122_134:
	s_waitcnt lgkmcnt(0)
	v_cmp_eq_f64_e32 vcc, 0, v[128:129]
	s_and_saveexec_b64 s[0:1], vcc
	s_xor_b64 s[0:1], exec, s[0:1]
; %bb.135:
	v_cmp_ne_u32_e32 vcc, 0, v136
	v_cndmask_b32_e32 v136, 9, v136, vcc
; %bb.136:
	s_andn2_saveexec_b64 s[0:1], s[0:1]
; %bb.137:
	v_div_scale_f64 v[138:139], s[2:3], v[128:129], v[128:129], 1.0
	v_rcp_f64_e32 v[140:141], v[138:139]
	v_div_scale_f64 v[142:143], vcc, 1.0, v[128:129], 1.0
	v_fma_f64 v[144:145], -v[138:139], v[140:141], 1.0
	v_fmac_f64_e32 v[140:141], v[140:141], v[144:145]
	v_fma_f64 v[144:145], -v[138:139], v[140:141], 1.0
	v_fmac_f64_e32 v[140:141], v[140:141], v[144:145]
	v_mul_f64 v[144:145], v[142:143], v[140:141]
	v_fma_f64 v[138:139], -v[138:139], v[144:145], v[142:143]
	v_div_fmas_f64 v[138:139], v[138:139], v[140:141], v[144:145]
	v_div_fixup_f64 v[128:129], v[138:139], v[128:129], 1.0
; %bb.138:
	s_or_b64 exec, exec, s[0:1]
	v_cmp_ne_u32_e32 vcc, v133, v130
	s_and_saveexec_b64 s[0:1], vcc
	s_xor_b64 s[0:1], exec, s[0:1]
	s_cbranch_execz .LBB122_144
; %bb.139:
	v_cmp_eq_u32_e32 vcc, 8, v133
	s_and_saveexec_b64 s[2:3], vcc
	s_cbranch_execz .LBB122_143
; %bb.140:
	v_cmp_ne_u32_e32 vcc, 8, v130
	s_xor_b64 s[14:15], s[6:7], -1
	s_and_b64 s[16:17], s[14:15], vcc
	s_and_saveexec_b64 s[14:15], s[16:17]
	s_cbranch_execz .LBB122_142
; %bb.141:
	v_ashrrev_i32_e32 v131, 31, v130
	v_lshlrev_b64 v[138:139], 2, v[130:131]
	v_add_co_u32_e32 v138, vcc, v4, v138
	v_addc_co_u32_e32 v139, vcc, v5, v139, vcc
	flat_load_dword v131, v[138:139]
	flat_load_dword v133, v[4:5] offset:32
	s_waitcnt vmcnt(0) lgkmcnt(0)
	flat_store_dword v[4:5], v131 offset:32
	flat_store_dword v[138:139], v133
.LBB122_142:
	s_or_b64 exec, exec, s[14:15]
	v_mov_b32_e32 v131, v130
	v_mov_b32_e32 v133, v130
.LBB122_143:
	s_or_b64 exec, exec, s[2:3]
.LBB122_144:
	s_andn2_saveexec_b64 s[0:1], s[0:1]
	s_cbranch_execz .LBB122_146
; %bb.145:
	v_mov_b32_e32 v133, 8
	ds_write2_b64 v132, v[106:107], v[104:105] offset0:9 offset1:10
	ds_write2_b64 v132, v[102:103], v[100:101] offset0:11 offset1:12
	;; [unrolled: 1-line block ×26, first 2 shown]
	ds_write_b64 v132, v[126:127] offset:488
.LBB122_146:
	s_or_b64 exec, exec, s[0:1]
	v_cmp_lt_i32_e32 vcc, 8, v133
	s_waitcnt lgkmcnt(0)
	s_barrier
	s_and_saveexec_b64 s[0:1], vcc
	s_cbranch_execz .LBB122_148
; %bb.147:
	ds_read2_b64 v[138:141], v132 offset0:9 offset1:10
	ds_read2_b64 v[142:145], v132 offset0:11 offset1:12
	v_mul_f64 v[108:109], v[128:129], v[108:109]
	ds_read2_b64 v[146:149], v132 offset0:13 offset1:14
	ds_read_b64 v[128:129], v132 offset:488
	s_waitcnt lgkmcnt(0)
	v_fma_f64 v[106:107], -v[108:109], v[138:139], v[106:107]
	v_fma_f64 v[104:105], -v[108:109], v[140:141], v[104:105]
	ds_read2_b64 v[138:141], v132 offset0:15 offset1:16
	v_fma_f64 v[102:103], -v[108:109], v[142:143], v[102:103]
	v_fma_f64 v[100:101], -v[108:109], v[144:145], v[100:101]
	ds_read2_b64 v[142:145], v132 offset0:17 offset1:18
	;; [unrolled: 3-line block ×3, first 2 shown]
	s_waitcnt lgkmcnt(0)
	v_fma_f64 v[94:95], -v[108:109], v[138:139], v[94:95]
	v_fma_f64 v[92:93], -v[108:109], v[140:141], v[92:93]
	;; [unrolled: 1-line block ×3, first 2 shown]
	ds_read2_b64 v[138:141], v132 offset0:21 offset1:22
	v_fma_f64 v[88:89], -v[108:109], v[144:145], v[88:89]
	ds_read2_b64 v[142:145], v132 offset0:23 offset1:24
	v_fma_f64 v[86:87], -v[108:109], v[146:147], v[86:87]
	v_fma_f64 v[84:85], -v[108:109], v[148:149], v[84:85]
	s_waitcnt lgkmcnt(0)
	v_fma_f64 v[82:83], -v[108:109], v[138:139], v[82:83]
	ds_read2_b64 v[146:149], v132 offset0:25 offset1:26
	v_fma_f64 v[80:81], -v[108:109], v[140:141], v[80:81]
	ds_read2_b64 v[138:141], v132 offset0:27 offset1:28
	v_fma_f64 v[78:79], -v[108:109], v[142:143], v[78:79]
	v_fma_f64 v[76:77], -v[108:109], v[144:145], v[76:77]
	ds_read2_b64 v[142:145], v132 offset0:29 offset1:30
	s_waitcnt lgkmcnt(0)
	v_fma_f64 v[74:75], -v[108:109], v[146:147], v[74:75]
	v_fma_f64 v[72:73], -v[108:109], v[148:149], v[72:73]
	ds_read2_b64 v[146:149], v132 offset0:31 offset1:32
	v_fma_f64 v[70:71], -v[108:109], v[138:139], v[70:71]
	v_fma_f64 v[68:69], -v[108:109], v[140:141], v[68:69]
	;; [unrolled: 1-line block ×3, first 2 shown]
	ds_read2_b64 v[138:141], v132 offset0:33 offset1:34
	v_fma_f64 v[64:65], -v[108:109], v[144:145], v[64:65]
	ds_read2_b64 v[142:145], v132 offset0:35 offset1:36
	s_waitcnt lgkmcnt(0)
	v_fma_f64 v[62:63], -v[108:109], v[146:147], v[62:63]
	v_fma_f64 v[60:61], -v[108:109], v[148:149], v[60:61]
	;; [unrolled: 1-line block ×3, first 2 shown]
	ds_read2_b64 v[146:149], v132 offset0:37 offset1:38
	v_fma_f64 v[56:57], -v[108:109], v[140:141], v[56:57]
	ds_read2_b64 v[138:141], v132 offset0:39 offset1:40
	v_fma_f64 v[54:55], -v[108:109], v[142:143], v[54:55]
	v_fma_f64 v[52:53], -v[108:109], v[144:145], v[52:53]
	ds_read2_b64 v[142:145], v132 offset0:41 offset1:42
	s_waitcnt lgkmcnt(0)
	v_fma_f64 v[50:51], -v[108:109], v[146:147], v[50:51]
	v_fma_f64 v[48:49], -v[108:109], v[148:149], v[48:49]
	ds_read2_b64 v[146:149], v132 offset0:43 offset1:44
	v_fma_f64 v[46:47], -v[108:109], v[138:139], v[46:47]
	v_fma_f64 v[44:45], -v[108:109], v[140:141], v[44:45]
	;; [unrolled: 1-line block ×3, first 2 shown]
	ds_read2_b64 v[138:141], v132 offset0:45 offset1:46
	v_fma_f64 v[40:41], -v[108:109], v[144:145], v[40:41]
	ds_read2_b64 v[142:145], v132 offset0:47 offset1:48
	s_waitcnt lgkmcnt(0)
	v_fma_f64 v[38:39], -v[108:109], v[146:147], v[38:39]
	v_fma_f64 v[36:37], -v[108:109], v[148:149], v[36:37]
	;; [unrolled: 1-line block ×3, first 2 shown]
	ds_read2_b64 v[146:149], v132 offset0:49 offset1:50
	v_fma_f64 v[32:33], -v[108:109], v[140:141], v[32:33]
	ds_read2_b64 v[138:141], v132 offset0:51 offset1:52
	v_fma_f64 v[30:31], -v[108:109], v[142:143], v[30:31]
	v_fma_f64 v[28:29], -v[108:109], v[144:145], v[28:29]
	ds_read2_b64 v[142:145], v132 offset0:53 offset1:54
	s_waitcnt lgkmcnt(0)
	v_fma_f64 v[26:27], -v[108:109], v[146:147], v[26:27]
	v_fma_f64 v[24:25], -v[108:109], v[148:149], v[24:25]
	ds_read2_b64 v[146:149], v132 offset0:55 offset1:56
	v_fma_f64 v[22:23], -v[108:109], v[138:139], v[22:23]
	v_fma_f64 v[20:21], -v[108:109], v[140:141], v[20:21]
	;; [unrolled: 1-line block ×4, first 2 shown]
	ds_read2_b64 v[138:141], v132 offset0:57 offset1:58
	ds_read2_b64 v[142:145], v132 offset0:59 offset1:60
	s_waitcnt lgkmcnt(0)
	v_fma_f64 v[14:15], -v[108:109], v[146:147], v[14:15]
	v_fma_f64 v[12:13], -v[108:109], v[148:149], v[12:13]
	;; [unrolled: 1-line block ×7, first 2 shown]
.LBB122_148:
	s_or_b64 exec, exec, s[0:1]
	v_lshl_add_u32 v128, v133, 3, v132
	s_barrier
	ds_write_b64 v128, v[106:107]
	s_waitcnt lgkmcnt(0)
	s_barrier
	ds_read_b64 v[128:129], v132 offset:72
	s_cmp_lt_i32 s18, 11
	v_mov_b32_e32 v130, 9
	s_cbranch_scc1 .LBB122_151
; %bb.149:
	v_add_u32_e32 v137, 0x50, v132
	s_mov_b32 s0, 10
	v_mov_b32_e32 v130, 9
.LBB122_150:                            ; =>This Inner Loop Header: Depth=1
	ds_read_b64 v[138:139], v137
	v_mov_b32_e32 v140, s0
	s_add_i32 s0, s0, 1
	v_add_u32_e32 v137, 8, v137
	s_cmp_lg_u32 s18, s0
	s_waitcnt lgkmcnt(0)
	v_cmp_lt_f64_e64 vcc, |v[128:129]|, |v[138:139]|
	v_cndmask_b32_e32 v129, v129, v139, vcc
	v_cndmask_b32_e32 v128, v128, v138, vcc
	;; [unrolled: 1-line block ×3, first 2 shown]
	s_cbranch_scc1 .LBB122_150
.LBB122_151:
	s_waitcnt lgkmcnt(0)
	v_cmp_eq_f64_e32 vcc, 0, v[128:129]
	s_and_saveexec_b64 s[0:1], vcc
	s_xor_b64 s[0:1], exec, s[0:1]
; %bb.152:
	v_cmp_ne_u32_e32 vcc, 0, v136
	v_cndmask_b32_e32 v136, 10, v136, vcc
; %bb.153:
	s_andn2_saveexec_b64 s[0:1], s[0:1]
; %bb.154:
	v_div_scale_f64 v[138:139], s[2:3], v[128:129], v[128:129], 1.0
	v_rcp_f64_e32 v[140:141], v[138:139]
	v_div_scale_f64 v[142:143], vcc, 1.0, v[128:129], 1.0
	v_fma_f64 v[144:145], -v[138:139], v[140:141], 1.0
	v_fmac_f64_e32 v[140:141], v[140:141], v[144:145]
	v_fma_f64 v[144:145], -v[138:139], v[140:141], 1.0
	v_fmac_f64_e32 v[140:141], v[140:141], v[144:145]
	v_mul_f64 v[144:145], v[142:143], v[140:141]
	v_fma_f64 v[138:139], -v[138:139], v[144:145], v[142:143]
	v_div_fmas_f64 v[138:139], v[138:139], v[140:141], v[144:145]
	v_div_fixup_f64 v[128:129], v[138:139], v[128:129], 1.0
; %bb.155:
	s_or_b64 exec, exec, s[0:1]
	v_cmp_ne_u32_e32 vcc, v133, v130
	s_and_saveexec_b64 s[0:1], vcc
	s_xor_b64 s[0:1], exec, s[0:1]
	s_cbranch_execz .LBB122_161
; %bb.156:
	v_cmp_eq_u32_e32 vcc, 9, v133
	s_and_saveexec_b64 s[2:3], vcc
	s_cbranch_execz .LBB122_160
; %bb.157:
	v_cmp_ne_u32_e32 vcc, 9, v130
	s_xor_b64 s[14:15], s[6:7], -1
	s_and_b64 s[16:17], s[14:15], vcc
	s_and_saveexec_b64 s[14:15], s[16:17]
	s_cbranch_execz .LBB122_159
; %bb.158:
	v_ashrrev_i32_e32 v131, 31, v130
	v_lshlrev_b64 v[138:139], 2, v[130:131]
	v_add_co_u32_e32 v138, vcc, v4, v138
	v_addc_co_u32_e32 v139, vcc, v5, v139, vcc
	flat_load_dword v131, v[138:139]
	flat_load_dword v133, v[4:5] offset:36
	s_waitcnt vmcnt(0) lgkmcnt(0)
	flat_store_dword v[4:5], v131 offset:36
	flat_store_dword v[138:139], v133
.LBB122_159:
	s_or_b64 exec, exec, s[14:15]
	v_mov_b32_e32 v131, v130
	v_mov_b32_e32 v133, v130
.LBB122_160:
	s_or_b64 exec, exec, s[2:3]
.LBB122_161:
	s_andn2_saveexec_b64 s[0:1], s[0:1]
	s_cbranch_execz .LBB122_163
; %bb.162:
	v_mov_b32_e32 v138, v104
	v_mov_b32_e32 v139, v105
	v_mov_b32_e32 v140, v102
	v_mov_b32_e32 v141, v103
	ds_write2_b64 v132, v[138:139], v[140:141] offset0:10 offset1:11
	v_mov_b32_e32 v138, v100
	v_mov_b32_e32 v139, v101
	v_mov_b32_e32 v140, v98
	v_mov_b32_e32 v141, v99
	ds_write2_b64 v132, v[138:139], v[140:141] offset0:12 offset1:13
	;; [unrolled: 5-line block ×25, first 2 shown]
	v_mov_b32_e32 v138, v0
	v_mov_b32_e32 v139, v1
	;; [unrolled: 1-line block ×3, first 2 shown]
	ds_write2_b64 v132, v[138:139], v[126:127] offset0:60 offset1:61
.LBB122_163:
	s_or_b64 exec, exec, s[0:1]
	v_cmp_lt_i32_e32 vcc, 9, v133
	s_waitcnt lgkmcnt(0)
	s_barrier
	s_and_saveexec_b64 s[0:1], vcc
	s_cbranch_execz .LBB122_165
; %bb.164:
	ds_read2_b64 v[138:141], v132 offset0:10 offset1:11
	ds_read2_b64 v[142:145], v132 offset0:12 offset1:13
	v_mul_f64 v[106:107], v[128:129], v[106:107]
	ds_read2_b64 v[146:149], v132 offset0:14 offset1:15
	s_waitcnt lgkmcnt(0)
	v_fma_f64 v[104:105], -v[106:107], v[138:139], v[104:105]
	v_fma_f64 v[102:103], -v[106:107], v[140:141], v[102:103]
	ds_read2_b64 v[138:141], v132 offset0:16 offset1:17
	v_fma_f64 v[100:101], -v[106:107], v[142:143], v[100:101]
	v_fma_f64 v[98:99], -v[106:107], v[144:145], v[98:99]
	ds_read2_b64 v[142:145], v132 offset0:18 offset1:19
	;; [unrolled: 3-line block ×3, first 2 shown]
	s_waitcnt lgkmcnt(0)
	v_fma_f64 v[92:93], -v[106:107], v[138:139], v[92:93]
	v_fma_f64 v[90:91], -v[106:107], v[140:141], v[90:91]
	;; [unrolled: 1-line block ×3, first 2 shown]
	ds_read2_b64 v[138:141], v132 offset0:22 offset1:23
	v_fma_f64 v[86:87], -v[106:107], v[144:145], v[86:87]
	ds_read2_b64 v[142:145], v132 offset0:24 offset1:25
	v_fma_f64 v[84:85], -v[106:107], v[146:147], v[84:85]
	v_fma_f64 v[82:83], -v[106:107], v[148:149], v[82:83]
	s_waitcnt lgkmcnt(0)
	v_fma_f64 v[80:81], -v[106:107], v[138:139], v[80:81]
	ds_read2_b64 v[146:149], v132 offset0:26 offset1:27
	v_fma_f64 v[78:79], -v[106:107], v[140:141], v[78:79]
	ds_read2_b64 v[138:141], v132 offset0:28 offset1:29
	v_fma_f64 v[76:77], -v[106:107], v[142:143], v[76:77]
	v_fma_f64 v[74:75], -v[106:107], v[144:145], v[74:75]
	ds_read2_b64 v[142:145], v132 offset0:30 offset1:31
	s_waitcnt lgkmcnt(0)
	v_fma_f64 v[72:73], -v[106:107], v[146:147], v[72:73]
	v_fma_f64 v[70:71], -v[106:107], v[148:149], v[70:71]
	ds_read2_b64 v[146:149], v132 offset0:32 offset1:33
	v_fma_f64 v[68:69], -v[106:107], v[138:139], v[68:69]
	v_fma_f64 v[66:67], -v[106:107], v[140:141], v[66:67]
	;; [unrolled: 1-line block ×3, first 2 shown]
	ds_read2_b64 v[138:141], v132 offset0:34 offset1:35
	v_fma_f64 v[62:63], -v[106:107], v[144:145], v[62:63]
	ds_read2_b64 v[142:145], v132 offset0:36 offset1:37
	s_waitcnt lgkmcnt(0)
	v_fma_f64 v[60:61], -v[106:107], v[146:147], v[60:61]
	v_fma_f64 v[58:59], -v[106:107], v[148:149], v[58:59]
	;; [unrolled: 1-line block ×3, first 2 shown]
	ds_read2_b64 v[146:149], v132 offset0:38 offset1:39
	v_fma_f64 v[54:55], -v[106:107], v[140:141], v[54:55]
	ds_read2_b64 v[138:141], v132 offset0:40 offset1:41
	v_fma_f64 v[52:53], -v[106:107], v[142:143], v[52:53]
	v_fma_f64 v[50:51], -v[106:107], v[144:145], v[50:51]
	ds_read2_b64 v[142:145], v132 offset0:42 offset1:43
	s_waitcnt lgkmcnt(0)
	v_fma_f64 v[48:49], -v[106:107], v[146:147], v[48:49]
	v_fma_f64 v[46:47], -v[106:107], v[148:149], v[46:47]
	ds_read2_b64 v[146:149], v132 offset0:44 offset1:45
	v_fma_f64 v[44:45], -v[106:107], v[138:139], v[44:45]
	v_fma_f64 v[42:43], -v[106:107], v[140:141], v[42:43]
	;; [unrolled: 1-line block ×3, first 2 shown]
	ds_read2_b64 v[138:141], v132 offset0:46 offset1:47
	v_fma_f64 v[38:39], -v[106:107], v[144:145], v[38:39]
	ds_read2_b64 v[142:145], v132 offset0:48 offset1:49
	s_waitcnt lgkmcnt(0)
	v_fma_f64 v[36:37], -v[106:107], v[146:147], v[36:37]
	v_fma_f64 v[34:35], -v[106:107], v[148:149], v[34:35]
	;; [unrolled: 1-line block ×3, first 2 shown]
	ds_read2_b64 v[146:149], v132 offset0:50 offset1:51
	v_fma_f64 v[30:31], -v[106:107], v[140:141], v[30:31]
	ds_read2_b64 v[138:141], v132 offset0:52 offset1:53
	v_fma_f64 v[28:29], -v[106:107], v[142:143], v[28:29]
	v_fma_f64 v[26:27], -v[106:107], v[144:145], v[26:27]
	ds_read2_b64 v[142:145], v132 offset0:54 offset1:55
	s_waitcnt lgkmcnt(0)
	v_fma_f64 v[24:25], -v[106:107], v[146:147], v[24:25]
	v_fma_f64 v[22:23], -v[106:107], v[148:149], v[22:23]
	;; [unrolled: 1-line block ×4, first 2 shown]
	ds_read2_b64 v[138:141], v132 offset0:56 offset1:57
	v_fma_f64 v[16:17], -v[106:107], v[142:143], v[16:17]
	ds_read2_b64 v[146:149], v132 offset0:58 offset1:59
	v_fma_f64 v[14:15], -v[106:107], v[144:145], v[14:15]
	ds_read2_b64 v[142:145], v132 offset0:60 offset1:61
	s_waitcnt lgkmcnt(0)
	v_fma_f64 v[12:13], -v[106:107], v[138:139], v[12:13]
	v_fma_f64 v[10:11], -v[106:107], v[140:141], v[10:11]
	v_fma_f64 v[8:9], -v[106:107], v[146:147], v[8:9]
	v_fma_f64 v[6:7], -v[106:107], v[148:149], v[6:7]
	v_fma_f64 v[0:1], -v[106:107], v[142:143], v[0:1]
	v_fma_f64 v[126:127], -v[106:107], v[144:145], v[126:127]
.LBB122_165:
	s_or_b64 exec, exec, s[0:1]
	v_lshl_add_u32 v128, v133, 3, v132
	s_barrier
	ds_write_b64 v128, v[104:105]
	s_waitcnt lgkmcnt(0)
	s_barrier
	ds_read_b64 v[128:129], v132 offset:80
	s_cmp_lt_i32 s18, 12
	v_mov_b32_e32 v130, 10
	s_cbranch_scc1 .LBB122_168
; %bb.166:
	v_add_u32_e32 v137, 0x58, v132
	s_mov_b32 s0, 11
	v_mov_b32_e32 v130, 10
.LBB122_167:                            ; =>This Inner Loop Header: Depth=1
	ds_read_b64 v[138:139], v137
	v_mov_b32_e32 v140, s0
	s_add_i32 s0, s0, 1
	v_add_u32_e32 v137, 8, v137
	s_cmp_lg_u32 s18, s0
	s_waitcnt lgkmcnt(0)
	v_cmp_lt_f64_e64 vcc, |v[128:129]|, |v[138:139]|
	v_cndmask_b32_e32 v129, v129, v139, vcc
	v_cndmask_b32_e32 v128, v128, v138, vcc
	;; [unrolled: 1-line block ×3, first 2 shown]
	s_cbranch_scc1 .LBB122_167
.LBB122_168:
	s_waitcnt lgkmcnt(0)
	v_cmp_eq_f64_e32 vcc, 0, v[128:129]
	s_and_saveexec_b64 s[0:1], vcc
	s_xor_b64 s[0:1], exec, s[0:1]
; %bb.169:
	v_cmp_ne_u32_e32 vcc, 0, v136
	v_cndmask_b32_e32 v136, 11, v136, vcc
; %bb.170:
	s_andn2_saveexec_b64 s[0:1], s[0:1]
; %bb.171:
	v_div_scale_f64 v[138:139], s[2:3], v[128:129], v[128:129], 1.0
	v_rcp_f64_e32 v[140:141], v[138:139]
	v_div_scale_f64 v[142:143], vcc, 1.0, v[128:129], 1.0
	v_fma_f64 v[144:145], -v[138:139], v[140:141], 1.0
	v_fmac_f64_e32 v[140:141], v[140:141], v[144:145]
	v_fma_f64 v[144:145], -v[138:139], v[140:141], 1.0
	v_fmac_f64_e32 v[140:141], v[140:141], v[144:145]
	v_mul_f64 v[144:145], v[142:143], v[140:141]
	v_fma_f64 v[138:139], -v[138:139], v[144:145], v[142:143]
	v_div_fmas_f64 v[138:139], v[138:139], v[140:141], v[144:145]
	v_div_fixup_f64 v[128:129], v[138:139], v[128:129], 1.0
; %bb.172:
	s_or_b64 exec, exec, s[0:1]
	v_cmp_ne_u32_e32 vcc, v133, v130
	s_and_saveexec_b64 s[0:1], vcc
	s_xor_b64 s[0:1], exec, s[0:1]
	s_cbranch_execz .LBB122_178
; %bb.173:
	v_cmp_eq_u32_e32 vcc, 10, v133
	s_and_saveexec_b64 s[2:3], vcc
	s_cbranch_execz .LBB122_177
; %bb.174:
	v_cmp_ne_u32_e32 vcc, 10, v130
	s_xor_b64 s[14:15], s[6:7], -1
	s_and_b64 s[16:17], s[14:15], vcc
	s_and_saveexec_b64 s[14:15], s[16:17]
	s_cbranch_execz .LBB122_176
; %bb.175:
	v_ashrrev_i32_e32 v131, 31, v130
	v_lshlrev_b64 v[138:139], 2, v[130:131]
	v_add_co_u32_e32 v138, vcc, v4, v138
	v_addc_co_u32_e32 v139, vcc, v5, v139, vcc
	flat_load_dword v131, v[138:139]
	flat_load_dword v133, v[4:5] offset:40
	s_waitcnt vmcnt(0) lgkmcnt(0)
	flat_store_dword v[4:5], v131 offset:40
	flat_store_dword v[138:139], v133
.LBB122_176:
	s_or_b64 exec, exec, s[14:15]
	v_mov_b32_e32 v131, v130
	v_mov_b32_e32 v133, v130
.LBB122_177:
	s_or_b64 exec, exec, s[2:3]
.LBB122_178:
	s_andn2_saveexec_b64 s[0:1], s[0:1]
	s_cbranch_execz .LBB122_180
; %bb.179:
	v_mov_b32_e32 v133, 10
	ds_write2_b64 v132, v[102:103], v[100:101] offset0:11 offset1:12
	ds_write2_b64 v132, v[98:99], v[96:97] offset0:13 offset1:14
	;; [unrolled: 1-line block ×25, first 2 shown]
	ds_write_b64 v132, v[126:127] offset:488
.LBB122_180:
	s_or_b64 exec, exec, s[0:1]
	v_cmp_lt_i32_e32 vcc, 10, v133
	s_waitcnt lgkmcnt(0)
	s_barrier
	s_and_saveexec_b64 s[0:1], vcc
	s_cbranch_execz .LBB122_182
; %bb.181:
	ds_read2_b64 v[138:141], v132 offset0:11 offset1:12
	ds_read2_b64 v[142:145], v132 offset0:13 offset1:14
	v_mul_f64 v[104:105], v[128:129], v[104:105]
	ds_read2_b64 v[146:149], v132 offset0:15 offset1:16
	ds_read_b64 v[128:129], v132 offset:488
	s_waitcnt lgkmcnt(0)
	v_fma_f64 v[102:103], -v[104:105], v[138:139], v[102:103]
	v_fma_f64 v[100:101], -v[104:105], v[140:141], v[100:101]
	ds_read2_b64 v[138:141], v132 offset0:17 offset1:18
	v_fma_f64 v[98:99], -v[104:105], v[142:143], v[98:99]
	v_fma_f64 v[96:97], -v[104:105], v[144:145], v[96:97]
	;; [unrolled: 1-line block ×3, first 2 shown]
	ds_read2_b64 v[142:145], v132 offset0:19 offset1:20
	v_fma_f64 v[92:93], -v[104:105], v[148:149], v[92:93]
	ds_read2_b64 v[146:149], v132 offset0:21 offset1:22
	s_waitcnt lgkmcnt(0)
	v_fma_f64 v[90:91], -v[104:105], v[138:139], v[90:91]
	v_fma_f64 v[88:89], -v[104:105], v[140:141], v[88:89]
	ds_read2_b64 v[138:141], v132 offset0:23 offset1:24
	v_fma_f64 v[86:87], -v[104:105], v[142:143], v[86:87]
	v_fma_f64 v[84:85], -v[104:105], v[144:145], v[84:85]
	ds_read2_b64 v[142:145], v132 offset0:25 offset1:26
	v_fma_f64 v[82:83], -v[104:105], v[146:147], v[82:83]
	v_fma_f64 v[80:81], -v[104:105], v[148:149], v[80:81]
	s_waitcnt lgkmcnt(0)
	v_fma_f64 v[78:79], -v[104:105], v[138:139], v[78:79]
	ds_read2_b64 v[146:149], v132 offset0:27 offset1:28
	v_fma_f64 v[76:77], -v[104:105], v[140:141], v[76:77]
	ds_read2_b64 v[138:141], v132 offset0:29 offset1:30
	v_fma_f64 v[74:75], -v[104:105], v[142:143], v[74:75]
	v_fma_f64 v[72:73], -v[104:105], v[144:145], v[72:73]
	s_waitcnt lgkmcnt(0)
	v_fma_f64 v[70:71], -v[104:105], v[146:147], v[70:71]
	ds_read2_b64 v[142:145], v132 offset0:31 offset1:32
	v_fma_f64 v[68:69], -v[104:105], v[148:149], v[68:69]
	ds_read2_b64 v[146:149], v132 offset0:33 offset1:34
	v_fma_f64 v[66:67], -v[104:105], v[138:139], v[66:67]
	v_fma_f64 v[64:65], -v[104:105], v[140:141], v[64:65]
	ds_read2_b64 v[138:141], v132 offset0:35 offset1:36
	s_waitcnt lgkmcnt(0)
	v_fma_f64 v[62:63], -v[104:105], v[142:143], v[62:63]
	v_fma_f64 v[60:61], -v[104:105], v[144:145], v[60:61]
	ds_read2_b64 v[142:145], v132 offset0:37 offset1:38
	v_fma_f64 v[58:59], -v[104:105], v[146:147], v[58:59]
	v_fma_f64 v[56:57], -v[104:105], v[148:149], v[56:57]
	;; [unrolled: 1-line block ×3, first 2 shown]
	ds_read2_b64 v[146:149], v132 offset0:39 offset1:40
	v_fma_f64 v[52:53], -v[104:105], v[140:141], v[52:53]
	ds_read2_b64 v[138:141], v132 offset0:41 offset1:42
	s_waitcnt lgkmcnt(0)
	v_fma_f64 v[50:51], -v[104:105], v[142:143], v[50:51]
	v_fma_f64 v[48:49], -v[104:105], v[144:145], v[48:49]
	;; [unrolled: 1-line block ×3, first 2 shown]
	ds_read2_b64 v[142:145], v132 offset0:43 offset1:44
	v_fma_f64 v[44:45], -v[104:105], v[148:149], v[44:45]
	ds_read2_b64 v[146:149], v132 offset0:45 offset1:46
	v_fma_f64 v[42:43], -v[104:105], v[138:139], v[42:43]
	v_fma_f64 v[40:41], -v[104:105], v[140:141], v[40:41]
	ds_read2_b64 v[138:141], v132 offset0:47 offset1:48
	s_waitcnt lgkmcnt(0)
	v_fma_f64 v[38:39], -v[104:105], v[142:143], v[38:39]
	v_fma_f64 v[36:37], -v[104:105], v[144:145], v[36:37]
	ds_read2_b64 v[142:145], v132 offset0:49 offset1:50
	v_fma_f64 v[34:35], -v[104:105], v[146:147], v[34:35]
	v_fma_f64 v[32:33], -v[104:105], v[148:149], v[32:33]
	;; [unrolled: 1-line block ×3, first 2 shown]
	ds_read2_b64 v[146:149], v132 offset0:51 offset1:52
	v_fma_f64 v[28:29], -v[104:105], v[140:141], v[28:29]
	ds_read2_b64 v[138:141], v132 offset0:53 offset1:54
	s_waitcnt lgkmcnt(0)
	v_fma_f64 v[26:27], -v[104:105], v[142:143], v[26:27]
	v_fma_f64 v[24:25], -v[104:105], v[144:145], v[24:25]
	v_fma_f64 v[22:23], -v[104:105], v[146:147], v[22:23]
	ds_read2_b64 v[142:145], v132 offset0:55 offset1:56
	v_fma_f64 v[20:21], -v[104:105], v[148:149], v[20:21]
	v_fma_f64 v[18:19], -v[104:105], v[138:139], v[18:19]
	;; [unrolled: 1-line block ×3, first 2 shown]
	ds_read2_b64 v[138:141], v132 offset0:57 offset1:58
	ds_read2_b64 v[146:149], v132 offset0:59 offset1:60
	s_waitcnt lgkmcnt(0)
	v_fma_f64 v[14:15], -v[104:105], v[142:143], v[14:15]
	v_fma_f64 v[12:13], -v[104:105], v[144:145], v[12:13]
	;; [unrolled: 1-line block ×7, first 2 shown]
.LBB122_182:
	s_or_b64 exec, exec, s[0:1]
	v_lshl_add_u32 v128, v133, 3, v132
	s_barrier
	ds_write_b64 v128, v[102:103]
	s_waitcnt lgkmcnt(0)
	s_barrier
	ds_read_b64 v[128:129], v132 offset:88
	s_cmp_lt_i32 s18, 13
	v_mov_b32_e32 v130, 11
	s_cbranch_scc1 .LBB122_185
; %bb.183:
	v_add_u32_e32 v137, 0x60, v132
	s_mov_b32 s0, 12
	v_mov_b32_e32 v130, 11
.LBB122_184:                            ; =>This Inner Loop Header: Depth=1
	ds_read_b64 v[138:139], v137
	v_mov_b32_e32 v140, s0
	s_add_i32 s0, s0, 1
	v_add_u32_e32 v137, 8, v137
	s_cmp_lg_u32 s18, s0
	s_waitcnt lgkmcnt(0)
	v_cmp_lt_f64_e64 vcc, |v[128:129]|, |v[138:139]|
	v_cndmask_b32_e32 v129, v129, v139, vcc
	v_cndmask_b32_e32 v128, v128, v138, vcc
	;; [unrolled: 1-line block ×3, first 2 shown]
	s_cbranch_scc1 .LBB122_184
.LBB122_185:
	s_waitcnt lgkmcnt(0)
	v_cmp_eq_f64_e32 vcc, 0, v[128:129]
	s_and_saveexec_b64 s[0:1], vcc
	s_xor_b64 s[0:1], exec, s[0:1]
; %bb.186:
	v_cmp_ne_u32_e32 vcc, 0, v136
	v_cndmask_b32_e32 v136, 12, v136, vcc
; %bb.187:
	s_andn2_saveexec_b64 s[0:1], s[0:1]
; %bb.188:
	v_div_scale_f64 v[138:139], s[2:3], v[128:129], v[128:129], 1.0
	v_rcp_f64_e32 v[140:141], v[138:139]
	v_div_scale_f64 v[142:143], vcc, 1.0, v[128:129], 1.0
	v_fma_f64 v[144:145], -v[138:139], v[140:141], 1.0
	v_fmac_f64_e32 v[140:141], v[140:141], v[144:145]
	v_fma_f64 v[144:145], -v[138:139], v[140:141], 1.0
	v_fmac_f64_e32 v[140:141], v[140:141], v[144:145]
	v_mul_f64 v[144:145], v[142:143], v[140:141]
	v_fma_f64 v[138:139], -v[138:139], v[144:145], v[142:143]
	v_div_fmas_f64 v[138:139], v[138:139], v[140:141], v[144:145]
	v_div_fixup_f64 v[128:129], v[138:139], v[128:129], 1.0
; %bb.189:
	s_or_b64 exec, exec, s[0:1]
	v_cmp_ne_u32_e32 vcc, v133, v130
	s_and_saveexec_b64 s[0:1], vcc
	s_xor_b64 s[0:1], exec, s[0:1]
	s_cbranch_execz .LBB122_195
; %bb.190:
	v_cmp_eq_u32_e32 vcc, 11, v133
	s_and_saveexec_b64 s[2:3], vcc
	s_cbranch_execz .LBB122_194
; %bb.191:
	v_cmp_ne_u32_e32 vcc, 11, v130
	s_xor_b64 s[14:15], s[6:7], -1
	s_and_b64 s[16:17], s[14:15], vcc
	s_and_saveexec_b64 s[14:15], s[16:17]
	s_cbranch_execz .LBB122_193
; %bb.192:
	v_ashrrev_i32_e32 v131, 31, v130
	v_lshlrev_b64 v[138:139], 2, v[130:131]
	v_add_co_u32_e32 v138, vcc, v4, v138
	v_addc_co_u32_e32 v139, vcc, v5, v139, vcc
	flat_load_dword v131, v[138:139]
	flat_load_dword v133, v[4:5] offset:44
	s_waitcnt vmcnt(0) lgkmcnt(0)
	flat_store_dword v[4:5], v131 offset:44
	flat_store_dword v[138:139], v133
.LBB122_193:
	s_or_b64 exec, exec, s[14:15]
	v_mov_b32_e32 v131, v130
	v_mov_b32_e32 v133, v130
.LBB122_194:
	s_or_b64 exec, exec, s[2:3]
.LBB122_195:
	s_andn2_saveexec_b64 s[0:1], s[0:1]
	s_cbranch_execz .LBB122_197
; %bb.196:
	v_mov_b32_e32 v138, v100
	v_mov_b32_e32 v139, v101
	v_mov_b32_e32 v140, v98
	v_mov_b32_e32 v141, v99
	ds_write2_b64 v132, v[138:139], v[140:141] offset0:12 offset1:13
	v_mov_b32_e32 v138, v96
	v_mov_b32_e32 v139, v97
	v_mov_b32_e32 v140, v94
	v_mov_b32_e32 v141, v95
	ds_write2_b64 v132, v[138:139], v[140:141] offset0:14 offset1:15
	;; [unrolled: 5-line block ×24, first 2 shown]
	v_mov_b32_e32 v138, v0
	v_mov_b32_e32 v139, v1
	;; [unrolled: 1-line block ×3, first 2 shown]
	ds_write2_b64 v132, v[138:139], v[126:127] offset0:60 offset1:61
.LBB122_197:
	s_or_b64 exec, exec, s[0:1]
	v_cmp_lt_i32_e32 vcc, 11, v133
	s_waitcnt lgkmcnt(0)
	s_barrier
	s_and_saveexec_b64 s[0:1], vcc
	s_cbranch_execz .LBB122_199
; %bb.198:
	ds_read2_b64 v[138:141], v132 offset0:12 offset1:13
	ds_read2_b64 v[142:145], v132 offset0:14 offset1:15
	v_mul_f64 v[102:103], v[128:129], v[102:103]
	ds_read2_b64 v[146:149], v132 offset0:16 offset1:17
	s_waitcnt lgkmcnt(0)
	v_fma_f64 v[100:101], -v[102:103], v[138:139], v[100:101]
	v_fma_f64 v[98:99], -v[102:103], v[140:141], v[98:99]
	ds_read2_b64 v[138:141], v132 offset0:18 offset1:19
	v_fma_f64 v[96:97], -v[102:103], v[142:143], v[96:97]
	v_fma_f64 v[94:95], -v[102:103], v[144:145], v[94:95]
	;; [unrolled: 1-line block ×3, first 2 shown]
	ds_read2_b64 v[142:145], v132 offset0:20 offset1:21
	v_fma_f64 v[90:91], -v[102:103], v[148:149], v[90:91]
	ds_read2_b64 v[146:149], v132 offset0:22 offset1:23
	s_waitcnt lgkmcnt(0)
	v_fma_f64 v[88:89], -v[102:103], v[138:139], v[88:89]
	v_fma_f64 v[86:87], -v[102:103], v[140:141], v[86:87]
	ds_read2_b64 v[138:141], v132 offset0:24 offset1:25
	v_fma_f64 v[84:85], -v[102:103], v[142:143], v[84:85]
	v_fma_f64 v[82:83], -v[102:103], v[144:145], v[82:83]
	ds_read2_b64 v[142:145], v132 offset0:26 offset1:27
	v_fma_f64 v[80:81], -v[102:103], v[146:147], v[80:81]
	v_fma_f64 v[78:79], -v[102:103], v[148:149], v[78:79]
	s_waitcnt lgkmcnt(0)
	v_fma_f64 v[76:77], -v[102:103], v[138:139], v[76:77]
	ds_read2_b64 v[146:149], v132 offset0:28 offset1:29
	v_fma_f64 v[74:75], -v[102:103], v[140:141], v[74:75]
	ds_read2_b64 v[138:141], v132 offset0:30 offset1:31
	v_fma_f64 v[72:73], -v[102:103], v[142:143], v[72:73]
	v_fma_f64 v[70:71], -v[102:103], v[144:145], v[70:71]
	s_waitcnt lgkmcnt(0)
	v_fma_f64 v[68:69], -v[102:103], v[146:147], v[68:69]
	ds_read2_b64 v[142:145], v132 offset0:32 offset1:33
	v_fma_f64 v[66:67], -v[102:103], v[148:149], v[66:67]
	ds_read2_b64 v[146:149], v132 offset0:34 offset1:35
	v_fma_f64 v[64:65], -v[102:103], v[138:139], v[64:65]
	v_fma_f64 v[62:63], -v[102:103], v[140:141], v[62:63]
	ds_read2_b64 v[138:141], v132 offset0:36 offset1:37
	s_waitcnt lgkmcnt(0)
	v_fma_f64 v[60:61], -v[102:103], v[142:143], v[60:61]
	v_fma_f64 v[58:59], -v[102:103], v[144:145], v[58:59]
	ds_read2_b64 v[142:145], v132 offset0:38 offset1:39
	v_fma_f64 v[56:57], -v[102:103], v[146:147], v[56:57]
	v_fma_f64 v[54:55], -v[102:103], v[148:149], v[54:55]
	v_fma_f64 v[52:53], -v[102:103], v[138:139], v[52:53]
	ds_read2_b64 v[146:149], v132 offset0:40 offset1:41
	v_fma_f64 v[50:51], -v[102:103], v[140:141], v[50:51]
	ds_read2_b64 v[138:141], v132 offset0:42 offset1:43
	s_waitcnt lgkmcnt(0)
	v_fma_f64 v[48:49], -v[102:103], v[142:143], v[48:49]
	v_fma_f64 v[46:47], -v[102:103], v[144:145], v[46:47]
	;; [unrolled: 1-line block ×3, first 2 shown]
	ds_read2_b64 v[142:145], v132 offset0:44 offset1:45
	v_fma_f64 v[42:43], -v[102:103], v[148:149], v[42:43]
	ds_read2_b64 v[146:149], v132 offset0:46 offset1:47
	v_fma_f64 v[40:41], -v[102:103], v[138:139], v[40:41]
	v_fma_f64 v[38:39], -v[102:103], v[140:141], v[38:39]
	ds_read2_b64 v[138:141], v132 offset0:48 offset1:49
	s_waitcnt lgkmcnt(0)
	v_fma_f64 v[36:37], -v[102:103], v[142:143], v[36:37]
	v_fma_f64 v[34:35], -v[102:103], v[144:145], v[34:35]
	ds_read2_b64 v[142:145], v132 offset0:50 offset1:51
	v_fma_f64 v[32:33], -v[102:103], v[146:147], v[32:33]
	v_fma_f64 v[30:31], -v[102:103], v[148:149], v[30:31]
	;; [unrolled: 1-line block ×3, first 2 shown]
	ds_read2_b64 v[146:149], v132 offset0:52 offset1:53
	v_fma_f64 v[26:27], -v[102:103], v[140:141], v[26:27]
	ds_read2_b64 v[138:141], v132 offset0:54 offset1:55
	s_waitcnt lgkmcnt(0)
	v_fma_f64 v[24:25], -v[102:103], v[142:143], v[24:25]
	v_fma_f64 v[22:23], -v[102:103], v[144:145], v[22:23]
	;; [unrolled: 1-line block ×4, first 2 shown]
	ds_read2_b64 v[142:145], v132 offset0:56 offset1:57
	ds_read2_b64 v[146:149], v132 offset0:58 offset1:59
	v_fma_f64 v[16:17], -v[102:103], v[138:139], v[16:17]
	v_fma_f64 v[14:15], -v[102:103], v[140:141], v[14:15]
	ds_read2_b64 v[138:141], v132 offset0:60 offset1:61
	s_waitcnt lgkmcnt(0)
	v_fma_f64 v[12:13], -v[102:103], v[142:143], v[12:13]
	v_fma_f64 v[10:11], -v[102:103], v[144:145], v[10:11]
	;; [unrolled: 1-line block ×6, first 2 shown]
.LBB122_199:
	s_or_b64 exec, exec, s[0:1]
	v_lshl_add_u32 v128, v133, 3, v132
	s_barrier
	ds_write_b64 v128, v[100:101]
	s_waitcnt lgkmcnt(0)
	s_barrier
	ds_read_b64 v[128:129], v132 offset:96
	s_cmp_lt_i32 s18, 14
	v_mov_b32_e32 v130, 12
	s_cbranch_scc1 .LBB122_202
; %bb.200:
	v_add_u32_e32 v137, 0x68, v132
	s_mov_b32 s0, 13
	v_mov_b32_e32 v130, 12
.LBB122_201:                            ; =>This Inner Loop Header: Depth=1
	ds_read_b64 v[138:139], v137
	v_mov_b32_e32 v140, s0
	s_add_i32 s0, s0, 1
	v_add_u32_e32 v137, 8, v137
	s_cmp_lg_u32 s18, s0
	s_waitcnt lgkmcnt(0)
	v_cmp_lt_f64_e64 vcc, |v[128:129]|, |v[138:139]|
	v_cndmask_b32_e32 v129, v129, v139, vcc
	v_cndmask_b32_e32 v128, v128, v138, vcc
	v_cndmask_b32_e32 v130, v130, v140, vcc
	s_cbranch_scc1 .LBB122_201
.LBB122_202:
	s_waitcnt lgkmcnt(0)
	v_cmp_eq_f64_e32 vcc, 0, v[128:129]
	s_and_saveexec_b64 s[0:1], vcc
	s_xor_b64 s[0:1], exec, s[0:1]
; %bb.203:
	v_cmp_ne_u32_e32 vcc, 0, v136
	v_cndmask_b32_e32 v136, 13, v136, vcc
; %bb.204:
	s_andn2_saveexec_b64 s[0:1], s[0:1]
; %bb.205:
	v_div_scale_f64 v[138:139], s[2:3], v[128:129], v[128:129], 1.0
	v_rcp_f64_e32 v[140:141], v[138:139]
	v_div_scale_f64 v[142:143], vcc, 1.0, v[128:129], 1.0
	v_fma_f64 v[144:145], -v[138:139], v[140:141], 1.0
	v_fmac_f64_e32 v[140:141], v[140:141], v[144:145]
	v_fma_f64 v[144:145], -v[138:139], v[140:141], 1.0
	v_fmac_f64_e32 v[140:141], v[140:141], v[144:145]
	v_mul_f64 v[144:145], v[142:143], v[140:141]
	v_fma_f64 v[138:139], -v[138:139], v[144:145], v[142:143]
	v_div_fmas_f64 v[138:139], v[138:139], v[140:141], v[144:145]
	v_div_fixup_f64 v[128:129], v[138:139], v[128:129], 1.0
; %bb.206:
	s_or_b64 exec, exec, s[0:1]
	v_cmp_ne_u32_e32 vcc, v133, v130
	s_and_saveexec_b64 s[0:1], vcc
	s_xor_b64 s[0:1], exec, s[0:1]
	s_cbranch_execz .LBB122_212
; %bb.207:
	v_cmp_eq_u32_e32 vcc, 12, v133
	s_and_saveexec_b64 s[2:3], vcc
	s_cbranch_execz .LBB122_211
; %bb.208:
	v_cmp_ne_u32_e32 vcc, 12, v130
	s_xor_b64 s[14:15], s[6:7], -1
	s_and_b64 s[16:17], s[14:15], vcc
	s_and_saveexec_b64 s[14:15], s[16:17]
	s_cbranch_execz .LBB122_210
; %bb.209:
	v_ashrrev_i32_e32 v131, 31, v130
	v_lshlrev_b64 v[138:139], 2, v[130:131]
	v_add_co_u32_e32 v138, vcc, v4, v138
	v_addc_co_u32_e32 v139, vcc, v5, v139, vcc
	flat_load_dword v131, v[138:139]
	flat_load_dword v133, v[4:5] offset:48
	s_waitcnt vmcnt(0) lgkmcnt(0)
	flat_store_dword v[4:5], v131 offset:48
	flat_store_dword v[138:139], v133
.LBB122_210:
	s_or_b64 exec, exec, s[14:15]
	v_mov_b32_e32 v131, v130
	v_mov_b32_e32 v133, v130
.LBB122_211:
	s_or_b64 exec, exec, s[2:3]
.LBB122_212:
	s_andn2_saveexec_b64 s[0:1], s[0:1]
	s_cbranch_execz .LBB122_214
; %bb.213:
	v_mov_b32_e32 v133, 12
	ds_write2_b64 v132, v[98:99], v[96:97] offset0:13 offset1:14
	ds_write2_b64 v132, v[94:95], v[92:93] offset0:15 offset1:16
	;; [unrolled: 1-line block ×24, first 2 shown]
	ds_write_b64 v132, v[126:127] offset:488
.LBB122_214:
	s_or_b64 exec, exec, s[0:1]
	v_cmp_lt_i32_e32 vcc, 12, v133
	s_waitcnt lgkmcnt(0)
	s_barrier
	s_and_saveexec_b64 s[0:1], vcc
	s_cbranch_execz .LBB122_216
; %bb.215:
	ds_read2_b64 v[138:141], v132 offset0:13 offset1:14
	ds_read2_b64 v[142:145], v132 offset0:15 offset1:16
	;; [unrolled: 1-line block ×3, first 2 shown]
	v_mul_f64 v[100:101], v[128:129], v[100:101]
	ds_read_b64 v[128:129], v132 offset:488
	s_waitcnt lgkmcnt(0)
	v_fma_f64 v[98:99], -v[100:101], v[138:139], v[98:99]
	v_fma_f64 v[96:97], -v[100:101], v[140:141], v[96:97]
	ds_read2_b64 v[138:141], v132 offset0:19 offset1:20
	v_fma_f64 v[94:95], -v[100:101], v[142:143], v[94:95]
	v_fma_f64 v[92:93], -v[100:101], v[144:145], v[92:93]
	v_fma_f64 v[90:91], -v[100:101], v[146:147], v[90:91]
	ds_read2_b64 v[142:145], v132 offset0:21 offset1:22
	v_fma_f64 v[88:89], -v[100:101], v[148:149], v[88:89]
	ds_read2_b64 v[146:149], v132 offset0:23 offset1:24
	s_waitcnt lgkmcnt(0)
	v_fma_f64 v[86:87], -v[100:101], v[138:139], v[86:87]
	v_fma_f64 v[84:85], -v[100:101], v[140:141], v[84:85]
	v_fma_f64 v[82:83], -v[100:101], v[142:143], v[82:83]
	ds_read2_b64 v[138:141], v132 offset0:25 offset1:26
	v_fma_f64 v[80:81], -v[100:101], v[144:145], v[80:81]
	ds_read2_b64 v[142:145], v132 offset0:27 offset1:28
	v_fma_f64 v[78:79], -v[100:101], v[146:147], v[78:79]
	v_fma_f64 v[76:77], -v[100:101], v[148:149], v[76:77]
	ds_read2_b64 v[146:149], v132 offset0:29 offset1:30
	s_waitcnt lgkmcnt(0)
	v_fma_f64 v[74:75], -v[100:101], v[138:139], v[74:75]
	v_fma_f64 v[72:73], -v[100:101], v[140:141], v[72:73]
	ds_read2_b64 v[138:141], v132 offset0:31 offset1:32
	v_fma_f64 v[70:71], -v[100:101], v[142:143], v[70:71]
	v_fma_f64 v[68:69], -v[100:101], v[144:145], v[68:69]
	v_fma_f64 v[66:67], -v[100:101], v[146:147], v[66:67]
	ds_read2_b64 v[142:145], v132 offset0:33 offset1:34
	v_fma_f64 v[64:65], -v[100:101], v[148:149], v[64:65]
	ds_read2_b64 v[146:149], v132 offset0:35 offset1:36
	s_waitcnt lgkmcnt(0)
	v_fma_f64 v[62:63], -v[100:101], v[138:139], v[62:63]
	v_fma_f64 v[60:61], -v[100:101], v[140:141], v[60:61]
	v_fma_f64 v[58:59], -v[100:101], v[142:143], v[58:59]
	ds_read2_b64 v[138:141], v132 offset0:37 offset1:38
	v_fma_f64 v[56:57], -v[100:101], v[144:145], v[56:57]
	ds_read2_b64 v[142:145], v132 offset0:39 offset1:40
	v_fma_f64 v[54:55], -v[100:101], v[146:147], v[54:55]
	v_fma_f64 v[52:53], -v[100:101], v[148:149], v[52:53]
	ds_read2_b64 v[146:149], v132 offset0:41 offset1:42
	;; [unrolled: 20-line block ×3, first 2 shown]
	s_waitcnt lgkmcnt(0)
	v_fma_f64 v[26:27], -v[100:101], v[138:139], v[26:27]
	v_fma_f64 v[24:25], -v[100:101], v[140:141], v[24:25]
	ds_read2_b64 v[138:141], v132 offset0:55 offset1:56
	v_fma_f64 v[22:23], -v[100:101], v[142:143], v[22:23]
	v_fma_f64 v[20:21], -v[100:101], v[144:145], v[20:21]
	v_fma_f64 v[18:19], -v[100:101], v[146:147], v[18:19]
	v_fma_f64 v[16:17], -v[100:101], v[148:149], v[16:17]
	ds_read2_b64 v[142:145], v132 offset0:57 offset1:58
	ds_read2_b64 v[146:149], v132 offset0:59 offset1:60
	s_waitcnt lgkmcnt(0)
	v_fma_f64 v[14:15], -v[100:101], v[138:139], v[14:15]
	v_fma_f64 v[12:13], -v[100:101], v[140:141], v[12:13]
	;; [unrolled: 1-line block ×7, first 2 shown]
.LBB122_216:
	s_or_b64 exec, exec, s[0:1]
	v_lshl_add_u32 v128, v133, 3, v132
	s_barrier
	ds_write_b64 v128, v[98:99]
	s_waitcnt lgkmcnt(0)
	s_barrier
	ds_read_b64 v[128:129], v132 offset:104
	s_cmp_lt_i32 s18, 15
	v_mov_b32_e32 v130, 13
	s_cbranch_scc1 .LBB122_219
; %bb.217:
	v_add_u32_e32 v137, 0x70, v132
	s_mov_b32 s0, 14
	v_mov_b32_e32 v130, 13
.LBB122_218:                            ; =>This Inner Loop Header: Depth=1
	ds_read_b64 v[138:139], v137
	v_mov_b32_e32 v140, s0
	s_add_i32 s0, s0, 1
	v_add_u32_e32 v137, 8, v137
	s_cmp_lg_u32 s18, s0
	s_waitcnt lgkmcnt(0)
	v_cmp_lt_f64_e64 vcc, |v[128:129]|, |v[138:139]|
	v_cndmask_b32_e32 v129, v129, v139, vcc
	v_cndmask_b32_e32 v128, v128, v138, vcc
	;; [unrolled: 1-line block ×3, first 2 shown]
	s_cbranch_scc1 .LBB122_218
.LBB122_219:
	s_waitcnt lgkmcnt(0)
	v_cmp_eq_f64_e32 vcc, 0, v[128:129]
	s_and_saveexec_b64 s[0:1], vcc
	s_xor_b64 s[0:1], exec, s[0:1]
; %bb.220:
	v_cmp_ne_u32_e32 vcc, 0, v136
	v_cndmask_b32_e32 v136, 14, v136, vcc
; %bb.221:
	s_andn2_saveexec_b64 s[0:1], s[0:1]
; %bb.222:
	v_div_scale_f64 v[138:139], s[2:3], v[128:129], v[128:129], 1.0
	v_rcp_f64_e32 v[140:141], v[138:139]
	v_div_scale_f64 v[142:143], vcc, 1.0, v[128:129], 1.0
	v_fma_f64 v[144:145], -v[138:139], v[140:141], 1.0
	v_fmac_f64_e32 v[140:141], v[140:141], v[144:145]
	v_fma_f64 v[144:145], -v[138:139], v[140:141], 1.0
	v_fmac_f64_e32 v[140:141], v[140:141], v[144:145]
	v_mul_f64 v[144:145], v[142:143], v[140:141]
	v_fma_f64 v[138:139], -v[138:139], v[144:145], v[142:143]
	v_div_fmas_f64 v[138:139], v[138:139], v[140:141], v[144:145]
	v_div_fixup_f64 v[128:129], v[138:139], v[128:129], 1.0
; %bb.223:
	s_or_b64 exec, exec, s[0:1]
	v_cmp_ne_u32_e32 vcc, v133, v130
	s_and_saveexec_b64 s[0:1], vcc
	s_xor_b64 s[0:1], exec, s[0:1]
	s_cbranch_execz .LBB122_229
; %bb.224:
	v_cmp_eq_u32_e32 vcc, 13, v133
	s_and_saveexec_b64 s[2:3], vcc
	s_cbranch_execz .LBB122_228
; %bb.225:
	v_cmp_ne_u32_e32 vcc, 13, v130
	s_xor_b64 s[14:15], s[6:7], -1
	s_and_b64 s[16:17], s[14:15], vcc
	s_and_saveexec_b64 s[14:15], s[16:17]
	s_cbranch_execz .LBB122_227
; %bb.226:
	v_ashrrev_i32_e32 v131, 31, v130
	v_lshlrev_b64 v[138:139], 2, v[130:131]
	v_add_co_u32_e32 v138, vcc, v4, v138
	v_addc_co_u32_e32 v139, vcc, v5, v139, vcc
	flat_load_dword v131, v[138:139]
	flat_load_dword v133, v[4:5] offset:52
	s_waitcnt vmcnt(0) lgkmcnt(0)
	flat_store_dword v[4:5], v131 offset:52
	flat_store_dword v[138:139], v133
.LBB122_227:
	s_or_b64 exec, exec, s[14:15]
	v_mov_b32_e32 v131, v130
	v_mov_b32_e32 v133, v130
.LBB122_228:
	s_or_b64 exec, exec, s[2:3]
.LBB122_229:
	s_andn2_saveexec_b64 s[0:1], s[0:1]
	s_cbranch_execz .LBB122_231
; %bb.230:
	v_mov_b32_e32 v138, v96
	v_mov_b32_e32 v139, v97
	v_mov_b32_e32 v140, v94
	v_mov_b32_e32 v141, v95
	ds_write2_b64 v132, v[138:139], v[140:141] offset0:14 offset1:15
	v_mov_b32_e32 v138, v92
	v_mov_b32_e32 v139, v93
	v_mov_b32_e32 v140, v90
	v_mov_b32_e32 v141, v91
	ds_write2_b64 v132, v[138:139], v[140:141] offset0:16 offset1:17
	;; [unrolled: 5-line block ×23, first 2 shown]
	v_mov_b32_e32 v138, v0
	v_mov_b32_e32 v139, v1
	v_mov_b32_e32 v133, 13
	ds_write2_b64 v132, v[138:139], v[126:127] offset0:60 offset1:61
.LBB122_231:
	s_or_b64 exec, exec, s[0:1]
	v_cmp_lt_i32_e32 vcc, 13, v133
	s_waitcnt lgkmcnt(0)
	s_barrier
	s_and_saveexec_b64 s[0:1], vcc
	s_cbranch_execz .LBB122_233
; %bb.232:
	ds_read2_b64 v[138:141], v132 offset0:14 offset1:15
	ds_read2_b64 v[142:145], v132 offset0:16 offset1:17
	;; [unrolled: 1-line block ×3, first 2 shown]
	v_mul_f64 v[98:99], v[128:129], v[98:99]
	s_waitcnt lgkmcnt(0)
	v_fma_f64 v[96:97], -v[98:99], v[138:139], v[96:97]
	v_fma_f64 v[94:95], -v[98:99], v[140:141], v[94:95]
	ds_read2_b64 v[138:141], v132 offset0:20 offset1:21
	v_fma_f64 v[92:93], -v[98:99], v[142:143], v[92:93]
	v_fma_f64 v[90:91], -v[98:99], v[144:145], v[90:91]
	v_fma_f64 v[88:89], -v[98:99], v[146:147], v[88:89]
	ds_read2_b64 v[142:145], v132 offset0:22 offset1:23
	v_fma_f64 v[86:87], -v[98:99], v[148:149], v[86:87]
	ds_read2_b64 v[146:149], v132 offset0:24 offset1:25
	s_waitcnt lgkmcnt(0)
	v_fma_f64 v[84:85], -v[98:99], v[138:139], v[84:85]
	v_fma_f64 v[82:83], -v[98:99], v[140:141], v[82:83]
	v_fma_f64 v[80:81], -v[98:99], v[142:143], v[80:81]
	ds_read2_b64 v[138:141], v132 offset0:26 offset1:27
	v_fma_f64 v[78:79], -v[98:99], v[144:145], v[78:79]
	ds_read2_b64 v[142:145], v132 offset0:28 offset1:29
	v_fma_f64 v[76:77], -v[98:99], v[146:147], v[76:77]
	v_fma_f64 v[74:75], -v[98:99], v[148:149], v[74:75]
	ds_read2_b64 v[146:149], v132 offset0:30 offset1:31
	s_waitcnt lgkmcnt(0)
	v_fma_f64 v[72:73], -v[98:99], v[138:139], v[72:73]
	v_fma_f64 v[70:71], -v[98:99], v[140:141], v[70:71]
	ds_read2_b64 v[138:141], v132 offset0:32 offset1:33
	v_fma_f64 v[68:69], -v[98:99], v[142:143], v[68:69]
	v_fma_f64 v[66:67], -v[98:99], v[144:145], v[66:67]
	v_fma_f64 v[64:65], -v[98:99], v[146:147], v[64:65]
	ds_read2_b64 v[142:145], v132 offset0:34 offset1:35
	v_fma_f64 v[62:63], -v[98:99], v[148:149], v[62:63]
	ds_read2_b64 v[146:149], v132 offset0:36 offset1:37
	s_waitcnt lgkmcnt(0)
	v_fma_f64 v[60:61], -v[98:99], v[138:139], v[60:61]
	v_fma_f64 v[58:59], -v[98:99], v[140:141], v[58:59]
	v_fma_f64 v[56:57], -v[98:99], v[142:143], v[56:57]
	ds_read2_b64 v[138:141], v132 offset0:38 offset1:39
	v_fma_f64 v[54:55], -v[98:99], v[144:145], v[54:55]
	ds_read2_b64 v[142:145], v132 offset0:40 offset1:41
	v_fma_f64 v[52:53], -v[98:99], v[146:147], v[52:53]
	v_fma_f64 v[50:51], -v[98:99], v[148:149], v[50:51]
	ds_read2_b64 v[146:149], v132 offset0:42 offset1:43
	;; [unrolled: 20-line block ×3, first 2 shown]
	s_waitcnt lgkmcnt(0)
	v_fma_f64 v[24:25], -v[98:99], v[138:139], v[24:25]
	v_fma_f64 v[22:23], -v[98:99], v[140:141], v[22:23]
	ds_read2_b64 v[138:141], v132 offset0:56 offset1:57
	v_fma_f64 v[20:21], -v[98:99], v[142:143], v[20:21]
	v_fma_f64 v[18:19], -v[98:99], v[144:145], v[18:19]
	;; [unrolled: 1-line block ×3, first 2 shown]
	ds_read2_b64 v[142:145], v132 offset0:58 offset1:59
	v_fma_f64 v[14:15], -v[98:99], v[148:149], v[14:15]
	ds_read2_b64 v[146:149], v132 offset0:60 offset1:61
	s_waitcnt lgkmcnt(0)
	v_fma_f64 v[12:13], -v[98:99], v[138:139], v[12:13]
	v_fma_f64 v[10:11], -v[98:99], v[140:141], v[10:11]
	;; [unrolled: 1-line block ×6, first 2 shown]
.LBB122_233:
	s_or_b64 exec, exec, s[0:1]
	v_lshl_add_u32 v128, v133, 3, v132
	s_barrier
	ds_write_b64 v128, v[96:97]
	s_waitcnt lgkmcnt(0)
	s_barrier
	ds_read_b64 v[128:129], v132 offset:112
	s_cmp_lt_i32 s18, 16
	v_mov_b32_e32 v130, 14
	s_cbranch_scc1 .LBB122_236
; %bb.234:
	v_add_u32_e32 v137, 0x78, v132
	s_mov_b32 s0, 15
	v_mov_b32_e32 v130, 14
.LBB122_235:                            ; =>This Inner Loop Header: Depth=1
	ds_read_b64 v[138:139], v137
	v_mov_b32_e32 v140, s0
	s_add_i32 s0, s0, 1
	v_add_u32_e32 v137, 8, v137
	s_cmp_lg_u32 s18, s0
	s_waitcnt lgkmcnt(0)
	v_cmp_lt_f64_e64 vcc, |v[128:129]|, |v[138:139]|
	v_cndmask_b32_e32 v129, v129, v139, vcc
	v_cndmask_b32_e32 v128, v128, v138, vcc
	;; [unrolled: 1-line block ×3, first 2 shown]
	s_cbranch_scc1 .LBB122_235
.LBB122_236:
	s_waitcnt lgkmcnt(0)
	v_cmp_eq_f64_e32 vcc, 0, v[128:129]
	s_and_saveexec_b64 s[0:1], vcc
	s_xor_b64 s[0:1], exec, s[0:1]
; %bb.237:
	v_cmp_ne_u32_e32 vcc, 0, v136
	v_cndmask_b32_e32 v136, 15, v136, vcc
; %bb.238:
	s_andn2_saveexec_b64 s[0:1], s[0:1]
; %bb.239:
	v_div_scale_f64 v[138:139], s[2:3], v[128:129], v[128:129], 1.0
	v_rcp_f64_e32 v[140:141], v[138:139]
	v_div_scale_f64 v[142:143], vcc, 1.0, v[128:129], 1.0
	v_fma_f64 v[144:145], -v[138:139], v[140:141], 1.0
	v_fmac_f64_e32 v[140:141], v[140:141], v[144:145]
	v_fma_f64 v[144:145], -v[138:139], v[140:141], 1.0
	v_fmac_f64_e32 v[140:141], v[140:141], v[144:145]
	v_mul_f64 v[144:145], v[142:143], v[140:141]
	v_fma_f64 v[138:139], -v[138:139], v[144:145], v[142:143]
	v_div_fmas_f64 v[138:139], v[138:139], v[140:141], v[144:145]
	v_div_fixup_f64 v[128:129], v[138:139], v[128:129], 1.0
; %bb.240:
	s_or_b64 exec, exec, s[0:1]
	v_cmp_ne_u32_e32 vcc, v133, v130
	s_and_saveexec_b64 s[0:1], vcc
	s_xor_b64 s[0:1], exec, s[0:1]
	s_cbranch_execz .LBB122_246
; %bb.241:
	v_cmp_eq_u32_e32 vcc, 14, v133
	s_and_saveexec_b64 s[2:3], vcc
	s_cbranch_execz .LBB122_245
; %bb.242:
	v_cmp_ne_u32_e32 vcc, 14, v130
	s_xor_b64 s[14:15], s[6:7], -1
	s_and_b64 s[16:17], s[14:15], vcc
	s_and_saveexec_b64 s[14:15], s[16:17]
	s_cbranch_execz .LBB122_244
; %bb.243:
	v_ashrrev_i32_e32 v131, 31, v130
	v_lshlrev_b64 v[138:139], 2, v[130:131]
	v_add_co_u32_e32 v138, vcc, v4, v138
	v_addc_co_u32_e32 v139, vcc, v5, v139, vcc
	flat_load_dword v131, v[138:139]
	flat_load_dword v133, v[4:5] offset:56
	s_waitcnt vmcnt(0) lgkmcnt(0)
	flat_store_dword v[4:5], v131 offset:56
	flat_store_dword v[138:139], v133
.LBB122_244:
	s_or_b64 exec, exec, s[14:15]
	v_mov_b32_e32 v131, v130
	v_mov_b32_e32 v133, v130
.LBB122_245:
	s_or_b64 exec, exec, s[2:3]
.LBB122_246:
	s_andn2_saveexec_b64 s[0:1], s[0:1]
	s_cbranch_execz .LBB122_248
; %bb.247:
	v_mov_b32_e32 v133, 14
	ds_write2_b64 v132, v[94:95], v[92:93] offset0:15 offset1:16
	ds_write2_b64 v132, v[90:91], v[88:89] offset0:17 offset1:18
	ds_write2_b64 v132, v[86:87], v[84:85] offset0:19 offset1:20
	ds_write2_b64 v132, v[82:83], v[80:81] offset0:21 offset1:22
	ds_write2_b64 v132, v[78:79], v[76:77] offset0:23 offset1:24
	ds_write2_b64 v132, v[74:75], v[72:73] offset0:25 offset1:26
	ds_write2_b64 v132, v[70:71], v[68:69] offset0:27 offset1:28
	ds_write2_b64 v132, v[66:67], v[64:65] offset0:29 offset1:30
	ds_write2_b64 v132, v[62:63], v[60:61] offset0:31 offset1:32
	ds_write2_b64 v132, v[58:59], v[56:57] offset0:33 offset1:34
	ds_write2_b64 v132, v[54:55], v[52:53] offset0:35 offset1:36
	ds_write2_b64 v132, v[50:51], v[48:49] offset0:37 offset1:38
	ds_write2_b64 v132, v[46:47], v[44:45] offset0:39 offset1:40
	ds_write2_b64 v132, v[42:43], v[40:41] offset0:41 offset1:42
	ds_write2_b64 v132, v[38:39], v[36:37] offset0:43 offset1:44
	ds_write2_b64 v132, v[34:35], v[32:33] offset0:45 offset1:46
	ds_write2_b64 v132, v[30:31], v[28:29] offset0:47 offset1:48
	ds_write2_b64 v132, v[26:27], v[24:25] offset0:49 offset1:50
	ds_write2_b64 v132, v[22:23], v[20:21] offset0:51 offset1:52
	ds_write2_b64 v132, v[18:19], v[16:17] offset0:53 offset1:54
	ds_write2_b64 v132, v[14:15], v[12:13] offset0:55 offset1:56
	ds_write2_b64 v132, v[10:11], v[8:9] offset0:57 offset1:58
	ds_write2_b64 v132, v[6:7], v[0:1] offset0:59 offset1:60
	ds_write_b64 v132, v[126:127] offset:488
.LBB122_248:
	s_or_b64 exec, exec, s[0:1]
	v_cmp_lt_i32_e32 vcc, 14, v133
	s_waitcnt lgkmcnt(0)
	s_barrier
	s_and_saveexec_b64 s[0:1], vcc
	s_cbranch_execz .LBB122_250
; %bb.249:
	ds_read2_b64 v[138:141], v132 offset0:15 offset1:16
	ds_read2_b64 v[142:145], v132 offset0:17 offset1:18
	v_mul_f64 v[96:97], v[128:129], v[96:97]
	ds_read2_b64 v[146:149], v132 offset0:19 offset1:20
	ds_read_b64 v[128:129], v132 offset:488
	s_waitcnt lgkmcnt(0)
	v_fma_f64 v[94:95], -v[96:97], v[138:139], v[94:95]
	v_fma_f64 v[92:93], -v[96:97], v[140:141], v[92:93]
	ds_read2_b64 v[138:141], v132 offset0:21 offset1:22
	v_fma_f64 v[90:91], -v[96:97], v[142:143], v[90:91]
	v_fma_f64 v[88:89], -v[96:97], v[144:145], v[88:89]
	ds_read2_b64 v[142:145], v132 offset0:23 offset1:24
	v_fma_f64 v[86:87], -v[96:97], v[146:147], v[86:87]
	v_fma_f64 v[84:85], -v[96:97], v[148:149], v[84:85]
	ds_read2_b64 v[146:149], v132 offset0:25 offset1:26
	s_waitcnt lgkmcnt(0)
	v_fma_f64 v[82:83], -v[96:97], v[138:139], v[82:83]
	v_fma_f64 v[80:81], -v[96:97], v[140:141], v[80:81]
	;; [unrolled: 1-line block ×3, first 2 shown]
	ds_read2_b64 v[138:141], v132 offset0:27 offset1:28
	v_fma_f64 v[76:77], -v[96:97], v[144:145], v[76:77]
	ds_read2_b64 v[142:145], v132 offset0:29 offset1:30
	v_fma_f64 v[74:75], -v[96:97], v[146:147], v[74:75]
	v_fma_f64 v[72:73], -v[96:97], v[148:149], v[72:73]
	s_waitcnt lgkmcnt(0)
	v_fma_f64 v[70:71], -v[96:97], v[138:139], v[70:71]
	ds_read2_b64 v[146:149], v132 offset0:31 offset1:32
	v_fma_f64 v[68:69], -v[96:97], v[140:141], v[68:69]
	ds_read2_b64 v[138:141], v132 offset0:33 offset1:34
	v_fma_f64 v[66:67], -v[96:97], v[142:143], v[66:67]
	v_fma_f64 v[64:65], -v[96:97], v[144:145], v[64:65]
	ds_read2_b64 v[142:145], v132 offset0:35 offset1:36
	s_waitcnt lgkmcnt(0)
	v_fma_f64 v[62:63], -v[96:97], v[146:147], v[62:63]
	v_fma_f64 v[60:61], -v[96:97], v[148:149], v[60:61]
	ds_read2_b64 v[146:149], v132 offset0:37 offset1:38
	v_fma_f64 v[58:59], -v[96:97], v[138:139], v[58:59]
	v_fma_f64 v[56:57], -v[96:97], v[140:141], v[56:57]
	;; [unrolled: 1-line block ×3, first 2 shown]
	ds_read2_b64 v[138:141], v132 offset0:39 offset1:40
	v_fma_f64 v[52:53], -v[96:97], v[144:145], v[52:53]
	ds_read2_b64 v[142:145], v132 offset0:41 offset1:42
	s_waitcnt lgkmcnt(0)
	v_fma_f64 v[50:51], -v[96:97], v[146:147], v[50:51]
	v_fma_f64 v[48:49], -v[96:97], v[148:149], v[48:49]
	;; [unrolled: 1-line block ×3, first 2 shown]
	ds_read2_b64 v[146:149], v132 offset0:43 offset1:44
	v_fma_f64 v[44:45], -v[96:97], v[140:141], v[44:45]
	ds_read2_b64 v[138:141], v132 offset0:45 offset1:46
	v_fma_f64 v[42:43], -v[96:97], v[142:143], v[42:43]
	v_fma_f64 v[40:41], -v[96:97], v[144:145], v[40:41]
	ds_read2_b64 v[142:145], v132 offset0:47 offset1:48
	s_waitcnt lgkmcnt(0)
	v_fma_f64 v[38:39], -v[96:97], v[146:147], v[38:39]
	v_fma_f64 v[36:37], -v[96:97], v[148:149], v[36:37]
	ds_read2_b64 v[146:149], v132 offset0:49 offset1:50
	v_fma_f64 v[34:35], -v[96:97], v[138:139], v[34:35]
	v_fma_f64 v[32:33], -v[96:97], v[140:141], v[32:33]
	;; [unrolled: 1-line block ×3, first 2 shown]
	ds_read2_b64 v[138:141], v132 offset0:51 offset1:52
	v_fma_f64 v[28:29], -v[96:97], v[144:145], v[28:29]
	ds_read2_b64 v[142:145], v132 offset0:53 offset1:54
	s_waitcnt lgkmcnt(0)
	v_fma_f64 v[26:27], -v[96:97], v[146:147], v[26:27]
	v_fma_f64 v[24:25], -v[96:97], v[148:149], v[24:25]
	;; [unrolled: 1-line block ×3, first 2 shown]
	ds_read2_b64 v[146:149], v132 offset0:55 offset1:56
	v_fma_f64 v[20:21], -v[96:97], v[140:141], v[20:21]
	ds_read2_b64 v[138:141], v132 offset0:57 offset1:58
	v_fma_f64 v[18:19], -v[96:97], v[142:143], v[18:19]
	v_fma_f64 v[16:17], -v[96:97], v[144:145], v[16:17]
	ds_read2_b64 v[142:145], v132 offset0:59 offset1:60
	s_waitcnt lgkmcnt(0)
	v_fma_f64 v[14:15], -v[96:97], v[146:147], v[14:15]
	v_fma_f64 v[12:13], -v[96:97], v[148:149], v[12:13]
	;; [unrolled: 1-line block ×7, first 2 shown]
.LBB122_250:
	s_or_b64 exec, exec, s[0:1]
	v_lshl_add_u32 v128, v133, 3, v132
	s_barrier
	ds_write_b64 v128, v[94:95]
	s_waitcnt lgkmcnt(0)
	s_barrier
	ds_read_b64 v[128:129], v132 offset:120
	s_cmp_lt_i32 s18, 17
	v_mov_b32_e32 v130, 15
	s_cbranch_scc1 .LBB122_253
; %bb.251:
	v_add_u32_e32 v137, 0x80, v132
	s_mov_b32 s0, 16
	v_mov_b32_e32 v130, 15
.LBB122_252:                            ; =>This Inner Loop Header: Depth=1
	ds_read_b64 v[138:139], v137
	v_mov_b32_e32 v140, s0
	s_add_i32 s0, s0, 1
	v_add_u32_e32 v137, 8, v137
	s_cmp_lg_u32 s18, s0
	s_waitcnt lgkmcnt(0)
	v_cmp_lt_f64_e64 vcc, |v[128:129]|, |v[138:139]|
	v_cndmask_b32_e32 v129, v129, v139, vcc
	v_cndmask_b32_e32 v128, v128, v138, vcc
	;; [unrolled: 1-line block ×3, first 2 shown]
	s_cbranch_scc1 .LBB122_252
.LBB122_253:
	s_waitcnt lgkmcnt(0)
	v_cmp_eq_f64_e32 vcc, 0, v[128:129]
	s_and_saveexec_b64 s[0:1], vcc
	s_xor_b64 s[0:1], exec, s[0:1]
; %bb.254:
	v_cmp_ne_u32_e32 vcc, 0, v136
	v_cndmask_b32_e32 v136, 16, v136, vcc
; %bb.255:
	s_andn2_saveexec_b64 s[0:1], s[0:1]
; %bb.256:
	v_div_scale_f64 v[138:139], s[2:3], v[128:129], v[128:129], 1.0
	v_rcp_f64_e32 v[140:141], v[138:139]
	v_div_scale_f64 v[142:143], vcc, 1.0, v[128:129], 1.0
	v_fma_f64 v[144:145], -v[138:139], v[140:141], 1.0
	v_fmac_f64_e32 v[140:141], v[140:141], v[144:145]
	v_fma_f64 v[144:145], -v[138:139], v[140:141], 1.0
	v_fmac_f64_e32 v[140:141], v[140:141], v[144:145]
	v_mul_f64 v[144:145], v[142:143], v[140:141]
	v_fma_f64 v[138:139], -v[138:139], v[144:145], v[142:143]
	v_div_fmas_f64 v[138:139], v[138:139], v[140:141], v[144:145]
	v_div_fixup_f64 v[128:129], v[138:139], v[128:129], 1.0
; %bb.257:
	s_or_b64 exec, exec, s[0:1]
	v_cmp_ne_u32_e32 vcc, v133, v130
	s_and_saveexec_b64 s[0:1], vcc
	s_xor_b64 s[0:1], exec, s[0:1]
	s_cbranch_execz .LBB122_263
; %bb.258:
	v_cmp_eq_u32_e32 vcc, 15, v133
	s_and_saveexec_b64 s[2:3], vcc
	s_cbranch_execz .LBB122_262
; %bb.259:
	v_cmp_ne_u32_e32 vcc, 15, v130
	s_xor_b64 s[14:15], s[6:7], -1
	s_and_b64 s[16:17], s[14:15], vcc
	s_and_saveexec_b64 s[14:15], s[16:17]
	s_cbranch_execz .LBB122_261
; %bb.260:
	v_ashrrev_i32_e32 v131, 31, v130
	v_lshlrev_b64 v[138:139], 2, v[130:131]
	v_add_co_u32_e32 v138, vcc, v4, v138
	v_addc_co_u32_e32 v139, vcc, v5, v139, vcc
	flat_load_dword v131, v[138:139]
	flat_load_dword v133, v[4:5] offset:60
	s_waitcnt vmcnt(0) lgkmcnt(0)
	flat_store_dword v[4:5], v131 offset:60
	flat_store_dword v[138:139], v133
.LBB122_261:
	s_or_b64 exec, exec, s[14:15]
	v_mov_b32_e32 v131, v130
	v_mov_b32_e32 v133, v130
.LBB122_262:
	s_or_b64 exec, exec, s[2:3]
.LBB122_263:
	s_andn2_saveexec_b64 s[0:1], s[0:1]
	s_cbranch_execz .LBB122_265
; %bb.264:
	v_mov_b32_e32 v138, v92
	v_mov_b32_e32 v139, v93
	v_mov_b32_e32 v140, v90
	v_mov_b32_e32 v141, v91
	ds_write2_b64 v132, v[138:139], v[140:141] offset0:16 offset1:17
	v_mov_b32_e32 v138, v88
	v_mov_b32_e32 v139, v89
	v_mov_b32_e32 v140, v86
	v_mov_b32_e32 v141, v87
	ds_write2_b64 v132, v[138:139], v[140:141] offset0:18 offset1:19
	;; [unrolled: 5-line block ×22, first 2 shown]
	v_mov_b32_e32 v138, v0
	v_mov_b32_e32 v139, v1
	;; [unrolled: 1-line block ×3, first 2 shown]
	ds_write2_b64 v132, v[138:139], v[126:127] offset0:60 offset1:61
.LBB122_265:
	s_or_b64 exec, exec, s[0:1]
	v_cmp_lt_i32_e32 vcc, 15, v133
	s_waitcnt lgkmcnt(0)
	s_barrier
	s_and_saveexec_b64 s[0:1], vcc
	s_cbranch_execz .LBB122_267
; %bb.266:
	ds_read2_b64 v[138:141], v132 offset0:16 offset1:17
	ds_read2_b64 v[142:145], v132 offset0:18 offset1:19
	v_mul_f64 v[94:95], v[128:129], v[94:95]
	ds_read2_b64 v[146:149], v132 offset0:20 offset1:21
	s_waitcnt lgkmcnt(0)
	v_fma_f64 v[92:93], -v[94:95], v[138:139], v[92:93]
	v_fma_f64 v[90:91], -v[94:95], v[140:141], v[90:91]
	ds_read2_b64 v[138:141], v132 offset0:22 offset1:23
	v_fma_f64 v[88:89], -v[94:95], v[142:143], v[88:89]
	v_fma_f64 v[86:87], -v[94:95], v[144:145], v[86:87]
	ds_read2_b64 v[142:145], v132 offset0:24 offset1:25
	;; [unrolled: 3-line block ×3, first 2 shown]
	s_waitcnt lgkmcnt(0)
	v_fma_f64 v[80:81], -v[94:95], v[138:139], v[80:81]
	v_fma_f64 v[78:79], -v[94:95], v[140:141], v[78:79]
	;; [unrolled: 1-line block ×3, first 2 shown]
	ds_read2_b64 v[138:141], v132 offset0:28 offset1:29
	v_fma_f64 v[74:75], -v[94:95], v[144:145], v[74:75]
	ds_read2_b64 v[142:145], v132 offset0:30 offset1:31
	v_fma_f64 v[72:73], -v[94:95], v[146:147], v[72:73]
	v_fma_f64 v[70:71], -v[94:95], v[148:149], v[70:71]
	s_waitcnt lgkmcnt(0)
	v_fma_f64 v[68:69], -v[94:95], v[138:139], v[68:69]
	ds_read2_b64 v[146:149], v132 offset0:32 offset1:33
	v_fma_f64 v[66:67], -v[94:95], v[140:141], v[66:67]
	ds_read2_b64 v[138:141], v132 offset0:34 offset1:35
	v_fma_f64 v[64:65], -v[94:95], v[142:143], v[64:65]
	v_fma_f64 v[62:63], -v[94:95], v[144:145], v[62:63]
	ds_read2_b64 v[142:145], v132 offset0:36 offset1:37
	s_waitcnt lgkmcnt(0)
	v_fma_f64 v[60:61], -v[94:95], v[146:147], v[60:61]
	v_fma_f64 v[58:59], -v[94:95], v[148:149], v[58:59]
	ds_read2_b64 v[146:149], v132 offset0:38 offset1:39
	v_fma_f64 v[56:57], -v[94:95], v[138:139], v[56:57]
	v_fma_f64 v[54:55], -v[94:95], v[140:141], v[54:55]
	;; [unrolled: 1-line block ×3, first 2 shown]
	ds_read2_b64 v[138:141], v132 offset0:40 offset1:41
	v_fma_f64 v[50:51], -v[94:95], v[144:145], v[50:51]
	ds_read2_b64 v[142:145], v132 offset0:42 offset1:43
	s_waitcnt lgkmcnt(0)
	v_fma_f64 v[48:49], -v[94:95], v[146:147], v[48:49]
	v_fma_f64 v[46:47], -v[94:95], v[148:149], v[46:47]
	;; [unrolled: 1-line block ×3, first 2 shown]
	ds_read2_b64 v[146:149], v132 offset0:44 offset1:45
	v_fma_f64 v[42:43], -v[94:95], v[140:141], v[42:43]
	ds_read2_b64 v[138:141], v132 offset0:46 offset1:47
	v_fma_f64 v[40:41], -v[94:95], v[142:143], v[40:41]
	v_fma_f64 v[38:39], -v[94:95], v[144:145], v[38:39]
	ds_read2_b64 v[142:145], v132 offset0:48 offset1:49
	s_waitcnt lgkmcnt(0)
	v_fma_f64 v[36:37], -v[94:95], v[146:147], v[36:37]
	v_fma_f64 v[34:35], -v[94:95], v[148:149], v[34:35]
	ds_read2_b64 v[146:149], v132 offset0:50 offset1:51
	v_fma_f64 v[32:33], -v[94:95], v[138:139], v[32:33]
	v_fma_f64 v[30:31], -v[94:95], v[140:141], v[30:31]
	;; [unrolled: 1-line block ×3, first 2 shown]
	ds_read2_b64 v[138:141], v132 offset0:52 offset1:53
	v_fma_f64 v[26:27], -v[94:95], v[144:145], v[26:27]
	ds_read2_b64 v[142:145], v132 offset0:54 offset1:55
	s_waitcnt lgkmcnt(0)
	v_fma_f64 v[24:25], -v[94:95], v[146:147], v[24:25]
	v_fma_f64 v[22:23], -v[94:95], v[148:149], v[22:23]
	;; [unrolled: 1-line block ×4, first 2 shown]
	ds_read2_b64 v[138:141], v132 offset0:56 offset1:57
	ds_read2_b64 v[146:149], v132 offset0:58 offset1:59
	v_fma_f64 v[16:17], -v[94:95], v[142:143], v[16:17]
	v_fma_f64 v[14:15], -v[94:95], v[144:145], v[14:15]
	ds_read2_b64 v[142:145], v132 offset0:60 offset1:61
	s_waitcnt lgkmcnt(0)
	v_fma_f64 v[12:13], -v[94:95], v[138:139], v[12:13]
	v_fma_f64 v[10:11], -v[94:95], v[140:141], v[10:11]
	;; [unrolled: 1-line block ×6, first 2 shown]
.LBB122_267:
	s_or_b64 exec, exec, s[0:1]
	v_lshl_add_u32 v128, v133, 3, v132
	s_barrier
	ds_write_b64 v128, v[92:93]
	s_waitcnt lgkmcnt(0)
	s_barrier
	ds_read_b64 v[128:129], v132 offset:128
	s_cmp_lt_i32 s18, 18
	v_mov_b32_e32 v130, 16
	s_cbranch_scc1 .LBB122_270
; %bb.268:
	v_add_u32_e32 v137, 0x88, v132
	s_mov_b32 s0, 17
	v_mov_b32_e32 v130, 16
.LBB122_269:                            ; =>This Inner Loop Header: Depth=1
	ds_read_b64 v[138:139], v137
	v_mov_b32_e32 v140, s0
	s_add_i32 s0, s0, 1
	v_add_u32_e32 v137, 8, v137
	s_cmp_lg_u32 s18, s0
	s_waitcnt lgkmcnt(0)
	v_cmp_lt_f64_e64 vcc, |v[128:129]|, |v[138:139]|
	v_cndmask_b32_e32 v129, v129, v139, vcc
	v_cndmask_b32_e32 v128, v128, v138, vcc
	;; [unrolled: 1-line block ×3, first 2 shown]
	s_cbranch_scc1 .LBB122_269
.LBB122_270:
	s_waitcnt lgkmcnt(0)
	v_cmp_eq_f64_e32 vcc, 0, v[128:129]
	s_and_saveexec_b64 s[0:1], vcc
	s_xor_b64 s[0:1], exec, s[0:1]
; %bb.271:
	v_cmp_ne_u32_e32 vcc, 0, v136
	v_cndmask_b32_e32 v136, 17, v136, vcc
; %bb.272:
	s_andn2_saveexec_b64 s[0:1], s[0:1]
; %bb.273:
	v_div_scale_f64 v[138:139], s[2:3], v[128:129], v[128:129], 1.0
	v_rcp_f64_e32 v[140:141], v[138:139]
	v_div_scale_f64 v[142:143], vcc, 1.0, v[128:129], 1.0
	v_fma_f64 v[144:145], -v[138:139], v[140:141], 1.0
	v_fmac_f64_e32 v[140:141], v[140:141], v[144:145]
	v_fma_f64 v[144:145], -v[138:139], v[140:141], 1.0
	v_fmac_f64_e32 v[140:141], v[140:141], v[144:145]
	v_mul_f64 v[144:145], v[142:143], v[140:141]
	v_fma_f64 v[138:139], -v[138:139], v[144:145], v[142:143]
	v_div_fmas_f64 v[138:139], v[138:139], v[140:141], v[144:145]
	v_div_fixup_f64 v[128:129], v[138:139], v[128:129], 1.0
; %bb.274:
	s_or_b64 exec, exec, s[0:1]
	v_cmp_ne_u32_e32 vcc, v133, v130
	s_and_saveexec_b64 s[0:1], vcc
	s_xor_b64 s[0:1], exec, s[0:1]
	s_cbranch_execz .LBB122_280
; %bb.275:
	v_cmp_eq_u32_e32 vcc, 16, v133
	s_and_saveexec_b64 s[2:3], vcc
	s_cbranch_execz .LBB122_279
; %bb.276:
	v_cmp_ne_u32_e32 vcc, 16, v130
	s_xor_b64 s[14:15], s[6:7], -1
	s_and_b64 s[16:17], s[14:15], vcc
	s_and_saveexec_b64 s[14:15], s[16:17]
	s_cbranch_execz .LBB122_278
; %bb.277:
	v_ashrrev_i32_e32 v131, 31, v130
	v_lshlrev_b64 v[138:139], 2, v[130:131]
	v_add_co_u32_e32 v138, vcc, v4, v138
	v_addc_co_u32_e32 v139, vcc, v5, v139, vcc
	flat_load_dword v131, v[138:139]
	flat_load_dword v133, v[4:5] offset:64
	s_waitcnt vmcnt(0) lgkmcnt(0)
	flat_store_dword v[4:5], v131 offset:64
	flat_store_dword v[138:139], v133
.LBB122_278:
	s_or_b64 exec, exec, s[14:15]
	v_mov_b32_e32 v131, v130
	v_mov_b32_e32 v133, v130
.LBB122_279:
	s_or_b64 exec, exec, s[2:3]
.LBB122_280:
	s_andn2_saveexec_b64 s[0:1], s[0:1]
	s_cbranch_execz .LBB122_282
; %bb.281:
	v_mov_b32_e32 v133, 16
	ds_write2_b64 v132, v[90:91], v[88:89] offset0:17 offset1:18
	ds_write2_b64 v132, v[86:87], v[84:85] offset0:19 offset1:20
	ds_write2_b64 v132, v[82:83], v[80:81] offset0:21 offset1:22
	ds_write2_b64 v132, v[78:79], v[76:77] offset0:23 offset1:24
	ds_write2_b64 v132, v[74:75], v[72:73] offset0:25 offset1:26
	ds_write2_b64 v132, v[70:71], v[68:69] offset0:27 offset1:28
	ds_write2_b64 v132, v[66:67], v[64:65] offset0:29 offset1:30
	ds_write2_b64 v132, v[62:63], v[60:61] offset0:31 offset1:32
	ds_write2_b64 v132, v[58:59], v[56:57] offset0:33 offset1:34
	ds_write2_b64 v132, v[54:55], v[52:53] offset0:35 offset1:36
	ds_write2_b64 v132, v[50:51], v[48:49] offset0:37 offset1:38
	ds_write2_b64 v132, v[46:47], v[44:45] offset0:39 offset1:40
	ds_write2_b64 v132, v[42:43], v[40:41] offset0:41 offset1:42
	ds_write2_b64 v132, v[38:39], v[36:37] offset0:43 offset1:44
	ds_write2_b64 v132, v[34:35], v[32:33] offset0:45 offset1:46
	ds_write2_b64 v132, v[30:31], v[28:29] offset0:47 offset1:48
	ds_write2_b64 v132, v[26:27], v[24:25] offset0:49 offset1:50
	ds_write2_b64 v132, v[22:23], v[20:21] offset0:51 offset1:52
	ds_write2_b64 v132, v[18:19], v[16:17] offset0:53 offset1:54
	ds_write2_b64 v132, v[14:15], v[12:13] offset0:55 offset1:56
	ds_write2_b64 v132, v[10:11], v[8:9] offset0:57 offset1:58
	ds_write2_b64 v132, v[6:7], v[0:1] offset0:59 offset1:60
	ds_write_b64 v132, v[126:127] offset:488
.LBB122_282:
	s_or_b64 exec, exec, s[0:1]
	v_cmp_lt_i32_e32 vcc, 16, v133
	s_waitcnt lgkmcnt(0)
	s_barrier
	s_and_saveexec_b64 s[0:1], vcc
	s_cbranch_execz .LBB122_284
; %bb.283:
	ds_read2_b64 v[138:141], v132 offset0:17 offset1:18
	ds_read2_b64 v[142:145], v132 offset0:19 offset1:20
	v_mul_f64 v[92:93], v[128:129], v[92:93]
	ds_read2_b64 v[146:149], v132 offset0:21 offset1:22
	ds_read_b64 v[128:129], v132 offset:488
	s_waitcnt lgkmcnt(0)
	v_fma_f64 v[90:91], -v[92:93], v[138:139], v[90:91]
	v_fma_f64 v[88:89], -v[92:93], v[140:141], v[88:89]
	ds_read2_b64 v[138:141], v132 offset0:23 offset1:24
	v_fma_f64 v[86:87], -v[92:93], v[142:143], v[86:87]
	v_fma_f64 v[84:85], -v[92:93], v[144:145], v[84:85]
	;; [unrolled: 1-line block ×3, first 2 shown]
	ds_read2_b64 v[142:145], v132 offset0:25 offset1:26
	v_fma_f64 v[80:81], -v[92:93], v[148:149], v[80:81]
	ds_read2_b64 v[146:149], v132 offset0:27 offset1:28
	s_waitcnt lgkmcnt(0)
	v_fma_f64 v[78:79], -v[92:93], v[138:139], v[78:79]
	v_fma_f64 v[76:77], -v[92:93], v[140:141], v[76:77]
	ds_read2_b64 v[138:141], v132 offset0:29 offset1:30
	v_fma_f64 v[74:75], -v[92:93], v[142:143], v[74:75]
	v_fma_f64 v[72:73], -v[92:93], v[144:145], v[72:73]
	ds_read2_b64 v[142:145], v132 offset0:31 offset1:32
	v_fma_f64 v[70:71], -v[92:93], v[146:147], v[70:71]
	v_fma_f64 v[68:69], -v[92:93], v[148:149], v[68:69]
	s_waitcnt lgkmcnt(0)
	v_fma_f64 v[66:67], -v[92:93], v[138:139], v[66:67]
	ds_read2_b64 v[146:149], v132 offset0:33 offset1:34
	v_fma_f64 v[64:65], -v[92:93], v[140:141], v[64:65]
	ds_read2_b64 v[138:141], v132 offset0:35 offset1:36
	v_fma_f64 v[62:63], -v[92:93], v[142:143], v[62:63]
	v_fma_f64 v[60:61], -v[92:93], v[144:145], v[60:61]
	s_waitcnt lgkmcnt(0)
	v_fma_f64 v[58:59], -v[92:93], v[146:147], v[58:59]
	ds_read2_b64 v[142:145], v132 offset0:37 offset1:38
	v_fma_f64 v[56:57], -v[92:93], v[148:149], v[56:57]
	ds_read2_b64 v[146:149], v132 offset0:39 offset1:40
	v_fma_f64 v[54:55], -v[92:93], v[138:139], v[54:55]
	v_fma_f64 v[52:53], -v[92:93], v[140:141], v[52:53]
	ds_read2_b64 v[138:141], v132 offset0:41 offset1:42
	s_waitcnt lgkmcnt(0)
	v_fma_f64 v[50:51], -v[92:93], v[142:143], v[50:51]
	v_fma_f64 v[48:49], -v[92:93], v[144:145], v[48:49]
	ds_read2_b64 v[142:145], v132 offset0:43 offset1:44
	v_fma_f64 v[46:47], -v[92:93], v[146:147], v[46:47]
	v_fma_f64 v[44:45], -v[92:93], v[148:149], v[44:45]
	;; [unrolled: 1-line block ×3, first 2 shown]
	ds_read2_b64 v[146:149], v132 offset0:45 offset1:46
	v_fma_f64 v[40:41], -v[92:93], v[140:141], v[40:41]
	ds_read2_b64 v[138:141], v132 offset0:47 offset1:48
	s_waitcnt lgkmcnt(0)
	v_fma_f64 v[38:39], -v[92:93], v[142:143], v[38:39]
	v_fma_f64 v[36:37], -v[92:93], v[144:145], v[36:37]
	;; [unrolled: 1-line block ×3, first 2 shown]
	ds_read2_b64 v[142:145], v132 offset0:49 offset1:50
	v_fma_f64 v[32:33], -v[92:93], v[148:149], v[32:33]
	ds_read2_b64 v[146:149], v132 offset0:51 offset1:52
	v_fma_f64 v[30:31], -v[92:93], v[138:139], v[30:31]
	v_fma_f64 v[28:29], -v[92:93], v[140:141], v[28:29]
	ds_read2_b64 v[138:141], v132 offset0:53 offset1:54
	s_waitcnt lgkmcnt(0)
	v_fma_f64 v[26:27], -v[92:93], v[142:143], v[26:27]
	v_fma_f64 v[24:25], -v[92:93], v[144:145], v[24:25]
	ds_read2_b64 v[142:145], v132 offset0:55 offset1:56
	v_fma_f64 v[22:23], -v[92:93], v[146:147], v[22:23]
	v_fma_f64 v[20:21], -v[92:93], v[148:149], v[20:21]
	v_fma_f64 v[18:19], -v[92:93], v[138:139], v[18:19]
	v_fma_f64 v[16:17], -v[92:93], v[140:141], v[16:17]
	ds_read2_b64 v[138:141], v132 offset0:57 offset1:58
	ds_read2_b64 v[146:149], v132 offset0:59 offset1:60
	s_waitcnt lgkmcnt(0)
	v_fma_f64 v[14:15], -v[92:93], v[142:143], v[14:15]
	v_fma_f64 v[12:13], -v[92:93], v[144:145], v[12:13]
	;; [unrolled: 1-line block ×7, first 2 shown]
.LBB122_284:
	s_or_b64 exec, exec, s[0:1]
	v_lshl_add_u32 v128, v133, 3, v132
	s_barrier
	ds_write_b64 v128, v[90:91]
	s_waitcnt lgkmcnt(0)
	s_barrier
	ds_read_b64 v[128:129], v132 offset:136
	s_cmp_lt_i32 s18, 19
	v_mov_b32_e32 v130, 17
	s_cbranch_scc1 .LBB122_287
; %bb.285:
	v_add_u32_e32 v137, 0x90, v132
	s_mov_b32 s0, 18
	v_mov_b32_e32 v130, 17
.LBB122_286:                            ; =>This Inner Loop Header: Depth=1
	ds_read_b64 v[138:139], v137
	v_mov_b32_e32 v140, s0
	s_add_i32 s0, s0, 1
	v_add_u32_e32 v137, 8, v137
	s_cmp_lg_u32 s18, s0
	s_waitcnt lgkmcnt(0)
	v_cmp_lt_f64_e64 vcc, |v[128:129]|, |v[138:139]|
	v_cndmask_b32_e32 v129, v129, v139, vcc
	v_cndmask_b32_e32 v128, v128, v138, vcc
	;; [unrolled: 1-line block ×3, first 2 shown]
	s_cbranch_scc1 .LBB122_286
.LBB122_287:
	s_waitcnt lgkmcnt(0)
	v_cmp_eq_f64_e32 vcc, 0, v[128:129]
	s_and_saveexec_b64 s[0:1], vcc
	s_xor_b64 s[0:1], exec, s[0:1]
; %bb.288:
	v_cmp_ne_u32_e32 vcc, 0, v136
	v_cndmask_b32_e32 v136, 18, v136, vcc
; %bb.289:
	s_andn2_saveexec_b64 s[0:1], s[0:1]
; %bb.290:
	v_div_scale_f64 v[138:139], s[2:3], v[128:129], v[128:129], 1.0
	v_rcp_f64_e32 v[140:141], v[138:139]
	v_div_scale_f64 v[142:143], vcc, 1.0, v[128:129], 1.0
	v_fma_f64 v[144:145], -v[138:139], v[140:141], 1.0
	v_fmac_f64_e32 v[140:141], v[140:141], v[144:145]
	v_fma_f64 v[144:145], -v[138:139], v[140:141], 1.0
	v_fmac_f64_e32 v[140:141], v[140:141], v[144:145]
	v_mul_f64 v[144:145], v[142:143], v[140:141]
	v_fma_f64 v[138:139], -v[138:139], v[144:145], v[142:143]
	v_div_fmas_f64 v[138:139], v[138:139], v[140:141], v[144:145]
	v_div_fixup_f64 v[128:129], v[138:139], v[128:129], 1.0
; %bb.291:
	s_or_b64 exec, exec, s[0:1]
	v_cmp_ne_u32_e32 vcc, v133, v130
	s_and_saveexec_b64 s[0:1], vcc
	s_xor_b64 s[0:1], exec, s[0:1]
	s_cbranch_execz .LBB122_297
; %bb.292:
	v_cmp_eq_u32_e32 vcc, 17, v133
	s_and_saveexec_b64 s[2:3], vcc
	s_cbranch_execz .LBB122_296
; %bb.293:
	v_cmp_ne_u32_e32 vcc, 17, v130
	s_xor_b64 s[14:15], s[6:7], -1
	s_and_b64 s[16:17], s[14:15], vcc
	s_and_saveexec_b64 s[14:15], s[16:17]
	s_cbranch_execz .LBB122_295
; %bb.294:
	v_ashrrev_i32_e32 v131, 31, v130
	v_lshlrev_b64 v[138:139], 2, v[130:131]
	v_add_co_u32_e32 v138, vcc, v4, v138
	v_addc_co_u32_e32 v139, vcc, v5, v139, vcc
	flat_load_dword v131, v[138:139]
	flat_load_dword v133, v[4:5] offset:68
	s_waitcnt vmcnt(0) lgkmcnt(0)
	flat_store_dword v[4:5], v131 offset:68
	flat_store_dword v[138:139], v133
.LBB122_295:
	s_or_b64 exec, exec, s[14:15]
	v_mov_b32_e32 v131, v130
	v_mov_b32_e32 v133, v130
.LBB122_296:
	s_or_b64 exec, exec, s[2:3]
.LBB122_297:
	s_andn2_saveexec_b64 s[0:1], s[0:1]
	s_cbranch_execz .LBB122_299
; %bb.298:
	v_mov_b32_e32 v138, v88
	v_mov_b32_e32 v139, v89
	v_mov_b32_e32 v140, v86
	v_mov_b32_e32 v141, v87
	ds_write2_b64 v132, v[138:139], v[140:141] offset0:18 offset1:19
	v_mov_b32_e32 v138, v84
	v_mov_b32_e32 v139, v85
	v_mov_b32_e32 v140, v82
	v_mov_b32_e32 v141, v83
	ds_write2_b64 v132, v[138:139], v[140:141] offset0:20 offset1:21
	;; [unrolled: 5-line block ×21, first 2 shown]
	v_mov_b32_e32 v138, v0
	v_mov_b32_e32 v139, v1
	;; [unrolled: 1-line block ×3, first 2 shown]
	ds_write2_b64 v132, v[138:139], v[126:127] offset0:60 offset1:61
.LBB122_299:
	s_or_b64 exec, exec, s[0:1]
	v_cmp_lt_i32_e32 vcc, 17, v133
	s_waitcnt lgkmcnt(0)
	s_barrier
	s_and_saveexec_b64 s[0:1], vcc
	s_cbranch_execz .LBB122_301
; %bb.300:
	ds_read2_b64 v[138:141], v132 offset0:18 offset1:19
	ds_read2_b64 v[142:145], v132 offset0:20 offset1:21
	v_mul_f64 v[90:91], v[128:129], v[90:91]
	ds_read2_b64 v[146:149], v132 offset0:22 offset1:23
	s_waitcnt lgkmcnt(0)
	v_fma_f64 v[88:89], -v[90:91], v[138:139], v[88:89]
	v_fma_f64 v[86:87], -v[90:91], v[140:141], v[86:87]
	ds_read2_b64 v[138:141], v132 offset0:24 offset1:25
	v_fma_f64 v[84:85], -v[90:91], v[142:143], v[84:85]
	v_fma_f64 v[82:83], -v[90:91], v[144:145], v[82:83]
	;; [unrolled: 1-line block ×3, first 2 shown]
	ds_read2_b64 v[142:145], v132 offset0:26 offset1:27
	v_fma_f64 v[78:79], -v[90:91], v[148:149], v[78:79]
	ds_read2_b64 v[146:149], v132 offset0:28 offset1:29
	s_waitcnt lgkmcnt(0)
	v_fma_f64 v[76:77], -v[90:91], v[138:139], v[76:77]
	v_fma_f64 v[74:75], -v[90:91], v[140:141], v[74:75]
	ds_read2_b64 v[138:141], v132 offset0:30 offset1:31
	v_fma_f64 v[72:73], -v[90:91], v[142:143], v[72:73]
	v_fma_f64 v[70:71], -v[90:91], v[144:145], v[70:71]
	ds_read2_b64 v[142:145], v132 offset0:32 offset1:33
	v_fma_f64 v[68:69], -v[90:91], v[146:147], v[68:69]
	v_fma_f64 v[66:67], -v[90:91], v[148:149], v[66:67]
	s_waitcnt lgkmcnt(0)
	v_fma_f64 v[64:65], -v[90:91], v[138:139], v[64:65]
	ds_read2_b64 v[146:149], v132 offset0:34 offset1:35
	v_fma_f64 v[62:63], -v[90:91], v[140:141], v[62:63]
	ds_read2_b64 v[138:141], v132 offset0:36 offset1:37
	v_fma_f64 v[60:61], -v[90:91], v[142:143], v[60:61]
	v_fma_f64 v[58:59], -v[90:91], v[144:145], v[58:59]
	s_waitcnt lgkmcnt(0)
	v_fma_f64 v[56:57], -v[90:91], v[146:147], v[56:57]
	ds_read2_b64 v[142:145], v132 offset0:38 offset1:39
	v_fma_f64 v[54:55], -v[90:91], v[148:149], v[54:55]
	ds_read2_b64 v[146:149], v132 offset0:40 offset1:41
	v_fma_f64 v[52:53], -v[90:91], v[138:139], v[52:53]
	v_fma_f64 v[50:51], -v[90:91], v[140:141], v[50:51]
	ds_read2_b64 v[138:141], v132 offset0:42 offset1:43
	s_waitcnt lgkmcnt(0)
	v_fma_f64 v[48:49], -v[90:91], v[142:143], v[48:49]
	v_fma_f64 v[46:47], -v[90:91], v[144:145], v[46:47]
	ds_read2_b64 v[142:145], v132 offset0:44 offset1:45
	v_fma_f64 v[44:45], -v[90:91], v[146:147], v[44:45]
	v_fma_f64 v[42:43], -v[90:91], v[148:149], v[42:43]
	;; [unrolled: 1-line block ×3, first 2 shown]
	ds_read2_b64 v[146:149], v132 offset0:46 offset1:47
	v_fma_f64 v[38:39], -v[90:91], v[140:141], v[38:39]
	ds_read2_b64 v[138:141], v132 offset0:48 offset1:49
	s_waitcnt lgkmcnt(0)
	v_fma_f64 v[36:37], -v[90:91], v[142:143], v[36:37]
	v_fma_f64 v[34:35], -v[90:91], v[144:145], v[34:35]
	;; [unrolled: 1-line block ×3, first 2 shown]
	ds_read2_b64 v[142:145], v132 offset0:50 offset1:51
	v_fma_f64 v[30:31], -v[90:91], v[148:149], v[30:31]
	ds_read2_b64 v[146:149], v132 offset0:52 offset1:53
	v_fma_f64 v[28:29], -v[90:91], v[138:139], v[28:29]
	v_fma_f64 v[26:27], -v[90:91], v[140:141], v[26:27]
	ds_read2_b64 v[138:141], v132 offset0:54 offset1:55
	s_waitcnt lgkmcnt(0)
	v_fma_f64 v[24:25], -v[90:91], v[142:143], v[24:25]
	v_fma_f64 v[22:23], -v[90:91], v[144:145], v[22:23]
	ds_read2_b64 v[142:145], v132 offset0:56 offset1:57
	v_fma_f64 v[20:21], -v[90:91], v[146:147], v[20:21]
	v_fma_f64 v[18:19], -v[90:91], v[148:149], v[18:19]
	;; [unrolled: 1-line block ×3, first 2 shown]
	ds_read2_b64 v[146:149], v132 offset0:58 offset1:59
	v_fma_f64 v[14:15], -v[90:91], v[140:141], v[14:15]
	ds_read2_b64 v[138:141], v132 offset0:60 offset1:61
	s_waitcnt lgkmcnt(0)
	v_fma_f64 v[12:13], -v[90:91], v[142:143], v[12:13]
	v_fma_f64 v[10:11], -v[90:91], v[144:145], v[10:11]
	;; [unrolled: 1-line block ×6, first 2 shown]
.LBB122_301:
	s_or_b64 exec, exec, s[0:1]
	v_lshl_add_u32 v128, v133, 3, v132
	s_barrier
	ds_write_b64 v128, v[88:89]
	s_waitcnt lgkmcnt(0)
	s_barrier
	ds_read_b64 v[128:129], v132 offset:144
	s_cmp_lt_i32 s18, 20
	v_mov_b32_e32 v130, 18
	s_cbranch_scc1 .LBB122_304
; %bb.302:
	v_add_u32_e32 v137, 0x98, v132
	s_mov_b32 s0, 19
	v_mov_b32_e32 v130, 18
.LBB122_303:                            ; =>This Inner Loop Header: Depth=1
	ds_read_b64 v[138:139], v137
	v_mov_b32_e32 v140, s0
	s_add_i32 s0, s0, 1
	v_add_u32_e32 v137, 8, v137
	s_cmp_lg_u32 s18, s0
	s_waitcnt lgkmcnt(0)
	v_cmp_lt_f64_e64 vcc, |v[128:129]|, |v[138:139]|
	v_cndmask_b32_e32 v129, v129, v139, vcc
	v_cndmask_b32_e32 v128, v128, v138, vcc
	;; [unrolled: 1-line block ×3, first 2 shown]
	s_cbranch_scc1 .LBB122_303
.LBB122_304:
	s_waitcnt lgkmcnt(0)
	v_cmp_eq_f64_e32 vcc, 0, v[128:129]
	s_and_saveexec_b64 s[0:1], vcc
	s_xor_b64 s[0:1], exec, s[0:1]
; %bb.305:
	v_cmp_ne_u32_e32 vcc, 0, v136
	v_cndmask_b32_e32 v136, 19, v136, vcc
; %bb.306:
	s_andn2_saveexec_b64 s[0:1], s[0:1]
; %bb.307:
	v_div_scale_f64 v[138:139], s[2:3], v[128:129], v[128:129], 1.0
	v_rcp_f64_e32 v[140:141], v[138:139]
	v_div_scale_f64 v[142:143], vcc, 1.0, v[128:129], 1.0
	v_fma_f64 v[144:145], -v[138:139], v[140:141], 1.0
	v_fmac_f64_e32 v[140:141], v[140:141], v[144:145]
	v_fma_f64 v[144:145], -v[138:139], v[140:141], 1.0
	v_fmac_f64_e32 v[140:141], v[140:141], v[144:145]
	v_mul_f64 v[144:145], v[142:143], v[140:141]
	v_fma_f64 v[138:139], -v[138:139], v[144:145], v[142:143]
	v_div_fmas_f64 v[138:139], v[138:139], v[140:141], v[144:145]
	v_div_fixup_f64 v[128:129], v[138:139], v[128:129], 1.0
; %bb.308:
	s_or_b64 exec, exec, s[0:1]
	v_cmp_ne_u32_e32 vcc, v133, v130
	s_and_saveexec_b64 s[0:1], vcc
	s_xor_b64 s[0:1], exec, s[0:1]
	s_cbranch_execz .LBB122_314
; %bb.309:
	v_cmp_eq_u32_e32 vcc, 18, v133
	s_and_saveexec_b64 s[2:3], vcc
	s_cbranch_execz .LBB122_313
; %bb.310:
	v_cmp_ne_u32_e32 vcc, 18, v130
	s_xor_b64 s[14:15], s[6:7], -1
	s_and_b64 s[16:17], s[14:15], vcc
	s_and_saveexec_b64 s[14:15], s[16:17]
	s_cbranch_execz .LBB122_312
; %bb.311:
	v_ashrrev_i32_e32 v131, 31, v130
	v_lshlrev_b64 v[138:139], 2, v[130:131]
	v_add_co_u32_e32 v138, vcc, v4, v138
	v_addc_co_u32_e32 v139, vcc, v5, v139, vcc
	flat_load_dword v131, v[138:139]
	flat_load_dword v133, v[4:5] offset:72
	s_waitcnt vmcnt(0) lgkmcnt(0)
	flat_store_dword v[4:5], v131 offset:72
	flat_store_dword v[138:139], v133
.LBB122_312:
	s_or_b64 exec, exec, s[14:15]
	v_mov_b32_e32 v131, v130
	v_mov_b32_e32 v133, v130
.LBB122_313:
	s_or_b64 exec, exec, s[2:3]
.LBB122_314:
	s_andn2_saveexec_b64 s[0:1], s[0:1]
	s_cbranch_execz .LBB122_316
; %bb.315:
	v_mov_b32_e32 v133, 18
	ds_write2_b64 v132, v[86:87], v[84:85] offset0:19 offset1:20
	ds_write2_b64 v132, v[82:83], v[80:81] offset0:21 offset1:22
	;; [unrolled: 1-line block ×21, first 2 shown]
	ds_write_b64 v132, v[126:127] offset:488
.LBB122_316:
	s_or_b64 exec, exec, s[0:1]
	v_cmp_lt_i32_e32 vcc, 18, v133
	s_waitcnt lgkmcnt(0)
	s_barrier
	s_and_saveexec_b64 s[0:1], vcc
	s_cbranch_execz .LBB122_318
; %bb.317:
	ds_read2_b64 v[138:141], v132 offset0:19 offset1:20
	ds_read2_b64 v[142:145], v132 offset0:21 offset1:22
	;; [unrolled: 1-line block ×3, first 2 shown]
	v_mul_f64 v[88:89], v[128:129], v[88:89]
	ds_read_b64 v[128:129], v132 offset:488
	s_waitcnt lgkmcnt(0)
	v_fma_f64 v[86:87], -v[88:89], v[138:139], v[86:87]
	v_fma_f64 v[84:85], -v[88:89], v[140:141], v[84:85]
	ds_read2_b64 v[138:141], v132 offset0:25 offset1:26
	v_fma_f64 v[82:83], -v[88:89], v[142:143], v[82:83]
	v_fma_f64 v[80:81], -v[88:89], v[144:145], v[80:81]
	v_fma_f64 v[78:79], -v[88:89], v[146:147], v[78:79]
	ds_read2_b64 v[142:145], v132 offset0:27 offset1:28
	v_fma_f64 v[76:77], -v[88:89], v[148:149], v[76:77]
	ds_read2_b64 v[146:149], v132 offset0:29 offset1:30
	s_waitcnt lgkmcnt(0)
	v_fma_f64 v[74:75], -v[88:89], v[138:139], v[74:75]
	v_fma_f64 v[72:73], -v[88:89], v[140:141], v[72:73]
	v_fma_f64 v[70:71], -v[88:89], v[142:143], v[70:71]
	ds_read2_b64 v[138:141], v132 offset0:31 offset1:32
	v_fma_f64 v[68:69], -v[88:89], v[144:145], v[68:69]
	ds_read2_b64 v[142:145], v132 offset0:33 offset1:34
	v_fma_f64 v[66:67], -v[88:89], v[146:147], v[66:67]
	v_fma_f64 v[64:65], -v[88:89], v[148:149], v[64:65]
	ds_read2_b64 v[146:149], v132 offset0:35 offset1:36
	s_waitcnt lgkmcnt(0)
	v_fma_f64 v[62:63], -v[88:89], v[138:139], v[62:63]
	v_fma_f64 v[60:61], -v[88:89], v[140:141], v[60:61]
	ds_read2_b64 v[138:141], v132 offset0:37 offset1:38
	v_fma_f64 v[58:59], -v[88:89], v[142:143], v[58:59]
	v_fma_f64 v[56:57], -v[88:89], v[144:145], v[56:57]
	v_fma_f64 v[54:55], -v[88:89], v[146:147], v[54:55]
	ds_read2_b64 v[142:145], v132 offset0:39 offset1:40
	v_fma_f64 v[52:53], -v[88:89], v[148:149], v[52:53]
	ds_read2_b64 v[146:149], v132 offset0:41 offset1:42
	s_waitcnt lgkmcnt(0)
	v_fma_f64 v[50:51], -v[88:89], v[138:139], v[50:51]
	v_fma_f64 v[48:49], -v[88:89], v[140:141], v[48:49]
	v_fma_f64 v[46:47], -v[88:89], v[142:143], v[46:47]
	ds_read2_b64 v[138:141], v132 offset0:43 offset1:44
	v_fma_f64 v[44:45], -v[88:89], v[144:145], v[44:45]
	ds_read2_b64 v[142:145], v132 offset0:45 offset1:46
	v_fma_f64 v[42:43], -v[88:89], v[146:147], v[42:43]
	v_fma_f64 v[40:41], -v[88:89], v[148:149], v[40:41]
	ds_read2_b64 v[146:149], v132 offset0:47 offset1:48
	;; [unrolled: 20-line block ×3, first 2 shown]
	s_waitcnt lgkmcnt(0)
	v_fma_f64 v[14:15], -v[88:89], v[138:139], v[14:15]
	v_fma_f64 v[12:13], -v[88:89], v[140:141], v[12:13]
	;; [unrolled: 1-line block ×7, first 2 shown]
.LBB122_318:
	s_or_b64 exec, exec, s[0:1]
	v_lshl_add_u32 v128, v133, 3, v132
	s_barrier
	ds_write_b64 v128, v[86:87]
	s_waitcnt lgkmcnt(0)
	s_barrier
	ds_read_b64 v[128:129], v132 offset:152
	s_cmp_lt_i32 s18, 21
	v_mov_b32_e32 v130, 19
	s_cbranch_scc1 .LBB122_321
; %bb.319:
	v_add_u32_e32 v137, 0xa0, v132
	s_mov_b32 s0, 20
	v_mov_b32_e32 v130, 19
.LBB122_320:                            ; =>This Inner Loop Header: Depth=1
	ds_read_b64 v[138:139], v137
	v_mov_b32_e32 v140, s0
	s_add_i32 s0, s0, 1
	v_add_u32_e32 v137, 8, v137
	s_cmp_lg_u32 s18, s0
	s_waitcnt lgkmcnt(0)
	v_cmp_lt_f64_e64 vcc, |v[128:129]|, |v[138:139]|
	v_cndmask_b32_e32 v129, v129, v139, vcc
	v_cndmask_b32_e32 v128, v128, v138, vcc
	;; [unrolled: 1-line block ×3, first 2 shown]
	s_cbranch_scc1 .LBB122_320
.LBB122_321:
	s_waitcnt lgkmcnt(0)
	v_cmp_eq_f64_e32 vcc, 0, v[128:129]
	s_and_saveexec_b64 s[0:1], vcc
	s_xor_b64 s[0:1], exec, s[0:1]
; %bb.322:
	v_cmp_ne_u32_e32 vcc, 0, v136
	v_cndmask_b32_e32 v136, 20, v136, vcc
; %bb.323:
	s_andn2_saveexec_b64 s[0:1], s[0:1]
; %bb.324:
	v_div_scale_f64 v[138:139], s[2:3], v[128:129], v[128:129], 1.0
	v_rcp_f64_e32 v[140:141], v[138:139]
	v_div_scale_f64 v[142:143], vcc, 1.0, v[128:129], 1.0
	v_fma_f64 v[144:145], -v[138:139], v[140:141], 1.0
	v_fmac_f64_e32 v[140:141], v[140:141], v[144:145]
	v_fma_f64 v[144:145], -v[138:139], v[140:141], 1.0
	v_fmac_f64_e32 v[140:141], v[140:141], v[144:145]
	v_mul_f64 v[144:145], v[142:143], v[140:141]
	v_fma_f64 v[138:139], -v[138:139], v[144:145], v[142:143]
	v_div_fmas_f64 v[138:139], v[138:139], v[140:141], v[144:145]
	v_div_fixup_f64 v[128:129], v[138:139], v[128:129], 1.0
; %bb.325:
	s_or_b64 exec, exec, s[0:1]
	v_cmp_ne_u32_e32 vcc, v133, v130
	s_and_saveexec_b64 s[0:1], vcc
	s_xor_b64 s[0:1], exec, s[0:1]
	s_cbranch_execz .LBB122_331
; %bb.326:
	v_cmp_eq_u32_e32 vcc, 19, v133
	s_and_saveexec_b64 s[2:3], vcc
	s_cbranch_execz .LBB122_330
; %bb.327:
	v_cmp_ne_u32_e32 vcc, 19, v130
	s_xor_b64 s[14:15], s[6:7], -1
	s_and_b64 s[16:17], s[14:15], vcc
	s_and_saveexec_b64 s[14:15], s[16:17]
	s_cbranch_execz .LBB122_329
; %bb.328:
	v_ashrrev_i32_e32 v131, 31, v130
	v_lshlrev_b64 v[138:139], 2, v[130:131]
	v_add_co_u32_e32 v138, vcc, v4, v138
	v_addc_co_u32_e32 v139, vcc, v5, v139, vcc
	flat_load_dword v131, v[138:139]
	flat_load_dword v133, v[4:5] offset:76
	s_waitcnt vmcnt(0) lgkmcnt(0)
	flat_store_dword v[4:5], v131 offset:76
	flat_store_dword v[138:139], v133
.LBB122_329:
	s_or_b64 exec, exec, s[14:15]
	v_mov_b32_e32 v131, v130
	v_mov_b32_e32 v133, v130
.LBB122_330:
	s_or_b64 exec, exec, s[2:3]
.LBB122_331:
	s_andn2_saveexec_b64 s[0:1], s[0:1]
	s_cbranch_execz .LBB122_333
; %bb.332:
	v_mov_b32_e32 v138, v84
	v_mov_b32_e32 v139, v85
	v_mov_b32_e32 v140, v82
	v_mov_b32_e32 v141, v83
	ds_write2_b64 v132, v[138:139], v[140:141] offset0:20 offset1:21
	v_mov_b32_e32 v138, v80
	v_mov_b32_e32 v139, v81
	v_mov_b32_e32 v140, v78
	v_mov_b32_e32 v141, v79
	ds_write2_b64 v132, v[138:139], v[140:141] offset0:22 offset1:23
	;; [unrolled: 5-line block ×20, first 2 shown]
	v_mov_b32_e32 v138, v0
	v_mov_b32_e32 v139, v1
	;; [unrolled: 1-line block ×3, first 2 shown]
	ds_write2_b64 v132, v[138:139], v[126:127] offset0:60 offset1:61
.LBB122_333:
	s_or_b64 exec, exec, s[0:1]
	v_cmp_lt_i32_e32 vcc, 19, v133
	s_waitcnt lgkmcnt(0)
	s_barrier
	s_and_saveexec_b64 s[0:1], vcc
	s_cbranch_execz .LBB122_335
; %bb.334:
	ds_read2_b64 v[138:141], v132 offset0:20 offset1:21
	ds_read2_b64 v[142:145], v132 offset0:22 offset1:23
	;; [unrolled: 1-line block ×3, first 2 shown]
	v_mul_f64 v[86:87], v[128:129], v[86:87]
	s_waitcnt lgkmcnt(0)
	v_fma_f64 v[84:85], -v[86:87], v[138:139], v[84:85]
	v_fma_f64 v[82:83], -v[86:87], v[140:141], v[82:83]
	ds_read2_b64 v[138:141], v132 offset0:26 offset1:27
	v_fma_f64 v[80:81], -v[86:87], v[142:143], v[80:81]
	v_fma_f64 v[78:79], -v[86:87], v[144:145], v[78:79]
	;; [unrolled: 1-line block ×3, first 2 shown]
	ds_read2_b64 v[142:145], v132 offset0:28 offset1:29
	v_fma_f64 v[74:75], -v[86:87], v[148:149], v[74:75]
	ds_read2_b64 v[146:149], v132 offset0:30 offset1:31
	s_waitcnt lgkmcnt(0)
	v_fma_f64 v[72:73], -v[86:87], v[138:139], v[72:73]
	v_fma_f64 v[70:71], -v[86:87], v[140:141], v[70:71]
	;; [unrolled: 1-line block ×3, first 2 shown]
	ds_read2_b64 v[138:141], v132 offset0:32 offset1:33
	v_fma_f64 v[66:67], -v[86:87], v[144:145], v[66:67]
	ds_read2_b64 v[142:145], v132 offset0:34 offset1:35
	v_fma_f64 v[64:65], -v[86:87], v[146:147], v[64:65]
	v_fma_f64 v[62:63], -v[86:87], v[148:149], v[62:63]
	ds_read2_b64 v[146:149], v132 offset0:36 offset1:37
	s_waitcnt lgkmcnt(0)
	v_fma_f64 v[60:61], -v[86:87], v[138:139], v[60:61]
	v_fma_f64 v[58:59], -v[86:87], v[140:141], v[58:59]
	ds_read2_b64 v[138:141], v132 offset0:38 offset1:39
	v_fma_f64 v[56:57], -v[86:87], v[142:143], v[56:57]
	v_fma_f64 v[54:55], -v[86:87], v[144:145], v[54:55]
	;; [unrolled: 1-line block ×3, first 2 shown]
	ds_read2_b64 v[142:145], v132 offset0:40 offset1:41
	v_fma_f64 v[50:51], -v[86:87], v[148:149], v[50:51]
	ds_read2_b64 v[146:149], v132 offset0:42 offset1:43
	s_waitcnt lgkmcnt(0)
	v_fma_f64 v[48:49], -v[86:87], v[138:139], v[48:49]
	v_fma_f64 v[46:47], -v[86:87], v[140:141], v[46:47]
	;; [unrolled: 1-line block ×3, first 2 shown]
	ds_read2_b64 v[138:141], v132 offset0:44 offset1:45
	v_fma_f64 v[42:43], -v[86:87], v[144:145], v[42:43]
	ds_read2_b64 v[142:145], v132 offset0:46 offset1:47
	v_fma_f64 v[40:41], -v[86:87], v[146:147], v[40:41]
	v_fma_f64 v[38:39], -v[86:87], v[148:149], v[38:39]
	ds_read2_b64 v[146:149], v132 offset0:48 offset1:49
	s_waitcnt lgkmcnt(0)
	v_fma_f64 v[36:37], -v[86:87], v[138:139], v[36:37]
	v_fma_f64 v[34:35], -v[86:87], v[140:141], v[34:35]
	ds_read2_b64 v[138:141], v132 offset0:50 offset1:51
	v_fma_f64 v[32:33], -v[86:87], v[142:143], v[32:33]
	v_fma_f64 v[30:31], -v[86:87], v[144:145], v[30:31]
	;; [unrolled: 1-line block ×3, first 2 shown]
	ds_read2_b64 v[142:145], v132 offset0:52 offset1:53
	v_fma_f64 v[26:27], -v[86:87], v[148:149], v[26:27]
	ds_read2_b64 v[146:149], v132 offset0:54 offset1:55
	s_waitcnt lgkmcnt(0)
	v_fma_f64 v[24:25], -v[86:87], v[138:139], v[24:25]
	v_fma_f64 v[22:23], -v[86:87], v[140:141], v[22:23]
	;; [unrolled: 1-line block ×4, first 2 shown]
	ds_read2_b64 v[138:141], v132 offset0:56 offset1:57
	ds_read2_b64 v[142:145], v132 offset0:58 offset1:59
	v_fma_f64 v[16:17], -v[86:87], v[146:147], v[16:17]
	v_fma_f64 v[14:15], -v[86:87], v[148:149], v[14:15]
	ds_read2_b64 v[146:149], v132 offset0:60 offset1:61
	s_waitcnt lgkmcnt(0)
	v_fma_f64 v[12:13], -v[86:87], v[138:139], v[12:13]
	v_fma_f64 v[10:11], -v[86:87], v[140:141], v[10:11]
	;; [unrolled: 1-line block ×6, first 2 shown]
.LBB122_335:
	s_or_b64 exec, exec, s[0:1]
	v_lshl_add_u32 v128, v133, 3, v132
	s_barrier
	ds_write_b64 v128, v[84:85]
	s_waitcnt lgkmcnt(0)
	s_barrier
	ds_read_b64 v[128:129], v132 offset:160
	s_cmp_lt_i32 s18, 22
	v_mov_b32_e32 v130, 20
	s_cbranch_scc1 .LBB122_338
; %bb.336:
	v_add_u32_e32 v137, 0xa8, v132
	s_mov_b32 s0, 21
	v_mov_b32_e32 v130, 20
.LBB122_337:                            ; =>This Inner Loop Header: Depth=1
	ds_read_b64 v[138:139], v137
	v_mov_b32_e32 v140, s0
	s_add_i32 s0, s0, 1
	v_add_u32_e32 v137, 8, v137
	s_cmp_lg_u32 s18, s0
	s_waitcnt lgkmcnt(0)
	v_cmp_lt_f64_e64 vcc, |v[128:129]|, |v[138:139]|
	v_cndmask_b32_e32 v129, v129, v139, vcc
	v_cndmask_b32_e32 v128, v128, v138, vcc
	v_cndmask_b32_e32 v130, v130, v140, vcc
	s_cbranch_scc1 .LBB122_337
.LBB122_338:
	s_waitcnt lgkmcnt(0)
	v_cmp_eq_f64_e32 vcc, 0, v[128:129]
	s_and_saveexec_b64 s[0:1], vcc
	s_xor_b64 s[0:1], exec, s[0:1]
; %bb.339:
	v_cmp_ne_u32_e32 vcc, 0, v136
	v_cndmask_b32_e32 v136, 21, v136, vcc
; %bb.340:
	s_andn2_saveexec_b64 s[0:1], s[0:1]
; %bb.341:
	v_div_scale_f64 v[138:139], s[2:3], v[128:129], v[128:129], 1.0
	v_rcp_f64_e32 v[140:141], v[138:139]
	v_div_scale_f64 v[142:143], vcc, 1.0, v[128:129], 1.0
	v_fma_f64 v[144:145], -v[138:139], v[140:141], 1.0
	v_fmac_f64_e32 v[140:141], v[140:141], v[144:145]
	v_fma_f64 v[144:145], -v[138:139], v[140:141], 1.0
	v_fmac_f64_e32 v[140:141], v[140:141], v[144:145]
	v_mul_f64 v[144:145], v[142:143], v[140:141]
	v_fma_f64 v[138:139], -v[138:139], v[144:145], v[142:143]
	v_div_fmas_f64 v[138:139], v[138:139], v[140:141], v[144:145]
	v_div_fixup_f64 v[128:129], v[138:139], v[128:129], 1.0
; %bb.342:
	s_or_b64 exec, exec, s[0:1]
	v_cmp_ne_u32_e32 vcc, v133, v130
	s_and_saveexec_b64 s[0:1], vcc
	s_xor_b64 s[0:1], exec, s[0:1]
	s_cbranch_execz .LBB122_348
; %bb.343:
	v_cmp_eq_u32_e32 vcc, 20, v133
	s_and_saveexec_b64 s[2:3], vcc
	s_cbranch_execz .LBB122_347
; %bb.344:
	v_cmp_ne_u32_e32 vcc, 20, v130
	s_xor_b64 s[14:15], s[6:7], -1
	s_and_b64 s[16:17], s[14:15], vcc
	s_and_saveexec_b64 s[14:15], s[16:17]
	s_cbranch_execz .LBB122_346
; %bb.345:
	v_ashrrev_i32_e32 v131, 31, v130
	v_lshlrev_b64 v[138:139], 2, v[130:131]
	v_add_co_u32_e32 v138, vcc, v4, v138
	v_addc_co_u32_e32 v139, vcc, v5, v139, vcc
	flat_load_dword v131, v[138:139]
	flat_load_dword v133, v[4:5] offset:80
	s_waitcnt vmcnt(0) lgkmcnt(0)
	flat_store_dword v[4:5], v131 offset:80
	flat_store_dword v[138:139], v133
.LBB122_346:
	s_or_b64 exec, exec, s[14:15]
	v_mov_b32_e32 v131, v130
	v_mov_b32_e32 v133, v130
.LBB122_347:
	s_or_b64 exec, exec, s[2:3]
.LBB122_348:
	s_andn2_saveexec_b64 s[0:1], s[0:1]
	s_cbranch_execz .LBB122_350
; %bb.349:
	v_mov_b32_e32 v133, 20
	ds_write2_b64 v132, v[82:83], v[80:81] offset0:21 offset1:22
	ds_write2_b64 v132, v[78:79], v[76:77] offset0:23 offset1:24
	;; [unrolled: 1-line block ×20, first 2 shown]
	ds_write_b64 v132, v[126:127] offset:488
.LBB122_350:
	s_or_b64 exec, exec, s[0:1]
	v_cmp_lt_i32_e32 vcc, 20, v133
	s_waitcnt lgkmcnt(0)
	s_barrier
	s_and_saveexec_b64 s[0:1], vcc
	s_cbranch_execz .LBB122_352
; %bb.351:
	ds_read2_b64 v[138:141], v132 offset0:21 offset1:22
	ds_read2_b64 v[142:145], v132 offset0:23 offset1:24
	v_mul_f64 v[84:85], v[128:129], v[84:85]
	ds_read2_b64 v[146:149], v132 offset0:25 offset1:26
	ds_read_b64 v[128:129], v132 offset:488
	s_waitcnt lgkmcnt(0)
	v_fma_f64 v[82:83], -v[84:85], v[138:139], v[82:83]
	v_fma_f64 v[80:81], -v[84:85], v[140:141], v[80:81]
	ds_read2_b64 v[138:141], v132 offset0:27 offset1:28
	v_fma_f64 v[78:79], -v[84:85], v[142:143], v[78:79]
	v_fma_f64 v[76:77], -v[84:85], v[144:145], v[76:77]
	ds_read2_b64 v[142:145], v132 offset0:29 offset1:30
	;; [unrolled: 3-line block ×3, first 2 shown]
	s_waitcnt lgkmcnt(0)
	v_fma_f64 v[70:71], -v[84:85], v[138:139], v[70:71]
	v_fma_f64 v[68:69], -v[84:85], v[140:141], v[68:69]
	;; [unrolled: 1-line block ×3, first 2 shown]
	ds_read2_b64 v[138:141], v132 offset0:33 offset1:34
	v_fma_f64 v[64:65], -v[84:85], v[144:145], v[64:65]
	ds_read2_b64 v[142:145], v132 offset0:35 offset1:36
	v_fma_f64 v[62:63], -v[84:85], v[146:147], v[62:63]
	v_fma_f64 v[60:61], -v[84:85], v[148:149], v[60:61]
	s_waitcnt lgkmcnt(0)
	v_fma_f64 v[58:59], -v[84:85], v[138:139], v[58:59]
	ds_read2_b64 v[146:149], v132 offset0:37 offset1:38
	v_fma_f64 v[56:57], -v[84:85], v[140:141], v[56:57]
	ds_read2_b64 v[138:141], v132 offset0:39 offset1:40
	v_fma_f64 v[54:55], -v[84:85], v[142:143], v[54:55]
	v_fma_f64 v[52:53], -v[84:85], v[144:145], v[52:53]
	ds_read2_b64 v[142:145], v132 offset0:41 offset1:42
	s_waitcnt lgkmcnt(0)
	v_fma_f64 v[50:51], -v[84:85], v[146:147], v[50:51]
	v_fma_f64 v[48:49], -v[84:85], v[148:149], v[48:49]
	ds_read2_b64 v[146:149], v132 offset0:43 offset1:44
	v_fma_f64 v[46:47], -v[84:85], v[138:139], v[46:47]
	v_fma_f64 v[44:45], -v[84:85], v[140:141], v[44:45]
	;; [unrolled: 1-line block ×3, first 2 shown]
	ds_read2_b64 v[138:141], v132 offset0:45 offset1:46
	v_fma_f64 v[40:41], -v[84:85], v[144:145], v[40:41]
	ds_read2_b64 v[142:145], v132 offset0:47 offset1:48
	s_waitcnt lgkmcnt(0)
	v_fma_f64 v[38:39], -v[84:85], v[146:147], v[38:39]
	v_fma_f64 v[36:37], -v[84:85], v[148:149], v[36:37]
	;; [unrolled: 1-line block ×3, first 2 shown]
	ds_read2_b64 v[146:149], v132 offset0:49 offset1:50
	v_fma_f64 v[32:33], -v[84:85], v[140:141], v[32:33]
	ds_read2_b64 v[138:141], v132 offset0:51 offset1:52
	v_fma_f64 v[30:31], -v[84:85], v[142:143], v[30:31]
	v_fma_f64 v[28:29], -v[84:85], v[144:145], v[28:29]
	ds_read2_b64 v[142:145], v132 offset0:53 offset1:54
	s_waitcnt lgkmcnt(0)
	v_fma_f64 v[26:27], -v[84:85], v[146:147], v[26:27]
	v_fma_f64 v[24:25], -v[84:85], v[148:149], v[24:25]
	ds_read2_b64 v[146:149], v132 offset0:55 offset1:56
	v_fma_f64 v[22:23], -v[84:85], v[138:139], v[22:23]
	v_fma_f64 v[20:21], -v[84:85], v[140:141], v[20:21]
	;; [unrolled: 1-line block ×4, first 2 shown]
	ds_read2_b64 v[138:141], v132 offset0:57 offset1:58
	ds_read2_b64 v[142:145], v132 offset0:59 offset1:60
	s_waitcnt lgkmcnt(0)
	v_fma_f64 v[14:15], -v[84:85], v[146:147], v[14:15]
	v_fma_f64 v[12:13], -v[84:85], v[148:149], v[12:13]
	;; [unrolled: 1-line block ×7, first 2 shown]
.LBB122_352:
	s_or_b64 exec, exec, s[0:1]
	v_lshl_add_u32 v128, v133, 3, v132
	s_barrier
	ds_write_b64 v128, v[82:83]
	s_waitcnt lgkmcnt(0)
	s_barrier
	ds_read_b64 v[128:129], v132 offset:168
	s_cmp_lt_i32 s18, 23
	v_mov_b32_e32 v130, 21
	s_cbranch_scc1 .LBB122_355
; %bb.353:
	v_add_u32_e32 v137, 0xb0, v132
	s_mov_b32 s0, 22
	v_mov_b32_e32 v130, 21
.LBB122_354:                            ; =>This Inner Loop Header: Depth=1
	ds_read_b64 v[138:139], v137
	v_mov_b32_e32 v140, s0
	s_add_i32 s0, s0, 1
	v_add_u32_e32 v137, 8, v137
	s_cmp_lg_u32 s18, s0
	s_waitcnt lgkmcnt(0)
	v_cmp_lt_f64_e64 vcc, |v[128:129]|, |v[138:139]|
	v_cndmask_b32_e32 v129, v129, v139, vcc
	v_cndmask_b32_e32 v128, v128, v138, vcc
	;; [unrolled: 1-line block ×3, first 2 shown]
	s_cbranch_scc1 .LBB122_354
.LBB122_355:
	s_waitcnt lgkmcnt(0)
	v_cmp_eq_f64_e32 vcc, 0, v[128:129]
	s_and_saveexec_b64 s[0:1], vcc
	s_xor_b64 s[0:1], exec, s[0:1]
; %bb.356:
	v_cmp_ne_u32_e32 vcc, 0, v136
	v_cndmask_b32_e32 v136, 22, v136, vcc
; %bb.357:
	s_andn2_saveexec_b64 s[0:1], s[0:1]
; %bb.358:
	v_div_scale_f64 v[138:139], s[2:3], v[128:129], v[128:129], 1.0
	v_rcp_f64_e32 v[140:141], v[138:139]
	v_div_scale_f64 v[142:143], vcc, 1.0, v[128:129], 1.0
	v_fma_f64 v[144:145], -v[138:139], v[140:141], 1.0
	v_fmac_f64_e32 v[140:141], v[140:141], v[144:145]
	v_fma_f64 v[144:145], -v[138:139], v[140:141], 1.0
	v_fmac_f64_e32 v[140:141], v[140:141], v[144:145]
	v_mul_f64 v[144:145], v[142:143], v[140:141]
	v_fma_f64 v[138:139], -v[138:139], v[144:145], v[142:143]
	v_div_fmas_f64 v[138:139], v[138:139], v[140:141], v[144:145]
	v_div_fixup_f64 v[128:129], v[138:139], v[128:129], 1.0
; %bb.359:
	s_or_b64 exec, exec, s[0:1]
	v_cmp_ne_u32_e32 vcc, v133, v130
	s_and_saveexec_b64 s[0:1], vcc
	s_xor_b64 s[0:1], exec, s[0:1]
	s_cbranch_execz .LBB122_365
; %bb.360:
	v_cmp_eq_u32_e32 vcc, 21, v133
	s_and_saveexec_b64 s[2:3], vcc
	s_cbranch_execz .LBB122_364
; %bb.361:
	v_cmp_ne_u32_e32 vcc, 21, v130
	s_xor_b64 s[14:15], s[6:7], -1
	s_and_b64 s[16:17], s[14:15], vcc
	s_and_saveexec_b64 s[14:15], s[16:17]
	s_cbranch_execz .LBB122_363
; %bb.362:
	v_ashrrev_i32_e32 v131, 31, v130
	v_lshlrev_b64 v[138:139], 2, v[130:131]
	v_add_co_u32_e32 v138, vcc, v4, v138
	v_addc_co_u32_e32 v139, vcc, v5, v139, vcc
	flat_load_dword v131, v[138:139]
	flat_load_dword v133, v[4:5] offset:84
	s_waitcnt vmcnt(0) lgkmcnt(0)
	flat_store_dword v[4:5], v131 offset:84
	flat_store_dword v[138:139], v133
.LBB122_363:
	s_or_b64 exec, exec, s[14:15]
	v_mov_b32_e32 v131, v130
	v_mov_b32_e32 v133, v130
.LBB122_364:
	s_or_b64 exec, exec, s[2:3]
.LBB122_365:
	s_andn2_saveexec_b64 s[0:1], s[0:1]
	s_cbranch_execz .LBB122_367
; %bb.366:
	v_mov_b32_e32 v138, v80
	v_mov_b32_e32 v139, v81
	v_mov_b32_e32 v140, v78
	v_mov_b32_e32 v141, v79
	ds_write2_b64 v132, v[138:139], v[140:141] offset0:22 offset1:23
	v_mov_b32_e32 v138, v76
	v_mov_b32_e32 v139, v77
	v_mov_b32_e32 v140, v74
	v_mov_b32_e32 v141, v75
	ds_write2_b64 v132, v[138:139], v[140:141] offset0:24 offset1:25
	;; [unrolled: 5-line block ×19, first 2 shown]
	v_mov_b32_e32 v138, v0
	v_mov_b32_e32 v139, v1
	;; [unrolled: 1-line block ×3, first 2 shown]
	ds_write2_b64 v132, v[138:139], v[126:127] offset0:60 offset1:61
.LBB122_367:
	s_or_b64 exec, exec, s[0:1]
	v_cmp_lt_i32_e32 vcc, 21, v133
	s_waitcnt lgkmcnt(0)
	s_barrier
	s_and_saveexec_b64 s[0:1], vcc
	s_cbranch_execz .LBB122_369
; %bb.368:
	ds_read2_b64 v[138:141], v132 offset0:22 offset1:23
	ds_read2_b64 v[142:145], v132 offset0:24 offset1:25
	v_mul_f64 v[82:83], v[128:129], v[82:83]
	ds_read2_b64 v[146:149], v132 offset0:26 offset1:27
	s_waitcnt lgkmcnt(0)
	v_fma_f64 v[80:81], -v[82:83], v[138:139], v[80:81]
	v_fma_f64 v[78:79], -v[82:83], v[140:141], v[78:79]
	ds_read2_b64 v[138:141], v132 offset0:28 offset1:29
	v_fma_f64 v[76:77], -v[82:83], v[142:143], v[76:77]
	v_fma_f64 v[74:75], -v[82:83], v[144:145], v[74:75]
	ds_read2_b64 v[142:145], v132 offset0:30 offset1:31
	;; [unrolled: 3-line block ×3, first 2 shown]
	s_waitcnt lgkmcnt(0)
	v_fma_f64 v[68:69], -v[82:83], v[138:139], v[68:69]
	v_fma_f64 v[66:67], -v[82:83], v[140:141], v[66:67]
	;; [unrolled: 1-line block ×3, first 2 shown]
	ds_read2_b64 v[138:141], v132 offset0:34 offset1:35
	v_fma_f64 v[62:63], -v[82:83], v[144:145], v[62:63]
	ds_read2_b64 v[142:145], v132 offset0:36 offset1:37
	v_fma_f64 v[60:61], -v[82:83], v[146:147], v[60:61]
	v_fma_f64 v[58:59], -v[82:83], v[148:149], v[58:59]
	s_waitcnt lgkmcnt(0)
	v_fma_f64 v[56:57], -v[82:83], v[138:139], v[56:57]
	ds_read2_b64 v[146:149], v132 offset0:38 offset1:39
	v_fma_f64 v[54:55], -v[82:83], v[140:141], v[54:55]
	ds_read2_b64 v[138:141], v132 offset0:40 offset1:41
	v_fma_f64 v[52:53], -v[82:83], v[142:143], v[52:53]
	v_fma_f64 v[50:51], -v[82:83], v[144:145], v[50:51]
	ds_read2_b64 v[142:145], v132 offset0:42 offset1:43
	s_waitcnt lgkmcnt(0)
	v_fma_f64 v[48:49], -v[82:83], v[146:147], v[48:49]
	v_fma_f64 v[46:47], -v[82:83], v[148:149], v[46:47]
	ds_read2_b64 v[146:149], v132 offset0:44 offset1:45
	v_fma_f64 v[44:45], -v[82:83], v[138:139], v[44:45]
	v_fma_f64 v[42:43], -v[82:83], v[140:141], v[42:43]
	;; [unrolled: 1-line block ×3, first 2 shown]
	ds_read2_b64 v[138:141], v132 offset0:46 offset1:47
	v_fma_f64 v[38:39], -v[82:83], v[144:145], v[38:39]
	ds_read2_b64 v[142:145], v132 offset0:48 offset1:49
	s_waitcnt lgkmcnt(0)
	v_fma_f64 v[36:37], -v[82:83], v[146:147], v[36:37]
	v_fma_f64 v[34:35], -v[82:83], v[148:149], v[34:35]
	;; [unrolled: 1-line block ×3, first 2 shown]
	ds_read2_b64 v[146:149], v132 offset0:50 offset1:51
	v_fma_f64 v[30:31], -v[82:83], v[140:141], v[30:31]
	ds_read2_b64 v[138:141], v132 offset0:52 offset1:53
	v_fma_f64 v[28:29], -v[82:83], v[142:143], v[28:29]
	v_fma_f64 v[26:27], -v[82:83], v[144:145], v[26:27]
	ds_read2_b64 v[142:145], v132 offset0:54 offset1:55
	s_waitcnt lgkmcnt(0)
	v_fma_f64 v[24:25], -v[82:83], v[146:147], v[24:25]
	v_fma_f64 v[22:23], -v[82:83], v[148:149], v[22:23]
	;; [unrolled: 1-line block ×4, first 2 shown]
	ds_read2_b64 v[138:141], v132 offset0:56 offset1:57
	v_fma_f64 v[16:17], -v[82:83], v[142:143], v[16:17]
	ds_read2_b64 v[146:149], v132 offset0:58 offset1:59
	v_fma_f64 v[14:15], -v[82:83], v[144:145], v[14:15]
	ds_read2_b64 v[142:145], v132 offset0:60 offset1:61
	s_waitcnt lgkmcnt(0)
	v_fma_f64 v[12:13], -v[82:83], v[138:139], v[12:13]
	v_fma_f64 v[10:11], -v[82:83], v[140:141], v[10:11]
	;; [unrolled: 1-line block ×6, first 2 shown]
.LBB122_369:
	s_or_b64 exec, exec, s[0:1]
	v_lshl_add_u32 v128, v133, 3, v132
	s_barrier
	ds_write_b64 v128, v[80:81]
	s_waitcnt lgkmcnt(0)
	s_barrier
	ds_read_b64 v[128:129], v132 offset:176
	s_cmp_lt_i32 s18, 24
	v_mov_b32_e32 v130, 22
	s_cbranch_scc1 .LBB122_372
; %bb.370:
	v_add_u32_e32 v137, 0xb8, v132
	s_mov_b32 s0, 23
	v_mov_b32_e32 v130, 22
.LBB122_371:                            ; =>This Inner Loop Header: Depth=1
	ds_read_b64 v[138:139], v137
	v_mov_b32_e32 v140, s0
	s_add_i32 s0, s0, 1
	v_add_u32_e32 v137, 8, v137
	s_cmp_lg_u32 s18, s0
	s_waitcnt lgkmcnt(0)
	v_cmp_lt_f64_e64 vcc, |v[128:129]|, |v[138:139]|
	v_cndmask_b32_e32 v129, v129, v139, vcc
	v_cndmask_b32_e32 v128, v128, v138, vcc
	;; [unrolled: 1-line block ×3, first 2 shown]
	s_cbranch_scc1 .LBB122_371
.LBB122_372:
	s_waitcnt lgkmcnt(0)
	v_cmp_eq_f64_e32 vcc, 0, v[128:129]
	s_and_saveexec_b64 s[0:1], vcc
	s_xor_b64 s[0:1], exec, s[0:1]
; %bb.373:
	v_cmp_ne_u32_e32 vcc, 0, v136
	v_cndmask_b32_e32 v136, 23, v136, vcc
; %bb.374:
	s_andn2_saveexec_b64 s[0:1], s[0:1]
; %bb.375:
	v_div_scale_f64 v[138:139], s[2:3], v[128:129], v[128:129], 1.0
	v_rcp_f64_e32 v[140:141], v[138:139]
	v_div_scale_f64 v[142:143], vcc, 1.0, v[128:129], 1.0
	v_fma_f64 v[144:145], -v[138:139], v[140:141], 1.0
	v_fmac_f64_e32 v[140:141], v[140:141], v[144:145]
	v_fma_f64 v[144:145], -v[138:139], v[140:141], 1.0
	v_fmac_f64_e32 v[140:141], v[140:141], v[144:145]
	v_mul_f64 v[144:145], v[142:143], v[140:141]
	v_fma_f64 v[138:139], -v[138:139], v[144:145], v[142:143]
	v_div_fmas_f64 v[138:139], v[138:139], v[140:141], v[144:145]
	v_div_fixup_f64 v[128:129], v[138:139], v[128:129], 1.0
; %bb.376:
	s_or_b64 exec, exec, s[0:1]
	v_cmp_ne_u32_e32 vcc, v133, v130
	s_and_saveexec_b64 s[0:1], vcc
	s_xor_b64 s[0:1], exec, s[0:1]
	s_cbranch_execz .LBB122_382
; %bb.377:
	v_cmp_eq_u32_e32 vcc, 22, v133
	s_and_saveexec_b64 s[2:3], vcc
	s_cbranch_execz .LBB122_381
; %bb.378:
	v_cmp_ne_u32_e32 vcc, 22, v130
	s_xor_b64 s[14:15], s[6:7], -1
	s_and_b64 s[16:17], s[14:15], vcc
	s_and_saveexec_b64 s[14:15], s[16:17]
	s_cbranch_execz .LBB122_380
; %bb.379:
	v_ashrrev_i32_e32 v131, 31, v130
	v_lshlrev_b64 v[138:139], 2, v[130:131]
	v_add_co_u32_e32 v138, vcc, v4, v138
	v_addc_co_u32_e32 v139, vcc, v5, v139, vcc
	flat_load_dword v131, v[138:139]
	flat_load_dword v133, v[4:5] offset:88
	s_waitcnt vmcnt(0) lgkmcnt(0)
	flat_store_dword v[4:5], v131 offset:88
	flat_store_dword v[138:139], v133
.LBB122_380:
	s_or_b64 exec, exec, s[14:15]
	v_mov_b32_e32 v131, v130
	v_mov_b32_e32 v133, v130
.LBB122_381:
	s_or_b64 exec, exec, s[2:3]
.LBB122_382:
	s_andn2_saveexec_b64 s[0:1], s[0:1]
	s_cbranch_execz .LBB122_384
; %bb.383:
	v_mov_b32_e32 v133, 22
	ds_write2_b64 v132, v[78:79], v[76:77] offset0:23 offset1:24
	ds_write2_b64 v132, v[74:75], v[72:73] offset0:25 offset1:26
	;; [unrolled: 1-line block ×19, first 2 shown]
	ds_write_b64 v132, v[126:127] offset:488
.LBB122_384:
	s_or_b64 exec, exec, s[0:1]
	v_cmp_lt_i32_e32 vcc, 22, v133
	s_waitcnt lgkmcnt(0)
	s_barrier
	s_and_saveexec_b64 s[0:1], vcc
	s_cbranch_execz .LBB122_386
; %bb.385:
	ds_read2_b64 v[138:141], v132 offset0:23 offset1:24
	ds_read2_b64 v[142:145], v132 offset0:25 offset1:26
	v_mul_f64 v[80:81], v[128:129], v[80:81]
	ds_read2_b64 v[146:149], v132 offset0:27 offset1:28
	ds_read_b64 v[128:129], v132 offset:488
	s_waitcnt lgkmcnt(0)
	v_fma_f64 v[78:79], -v[80:81], v[138:139], v[78:79]
	v_fma_f64 v[76:77], -v[80:81], v[140:141], v[76:77]
	ds_read2_b64 v[138:141], v132 offset0:29 offset1:30
	v_fma_f64 v[74:75], -v[80:81], v[142:143], v[74:75]
	v_fma_f64 v[72:73], -v[80:81], v[144:145], v[72:73]
	;; [unrolled: 1-line block ×3, first 2 shown]
	ds_read2_b64 v[142:145], v132 offset0:31 offset1:32
	v_fma_f64 v[68:69], -v[80:81], v[148:149], v[68:69]
	ds_read2_b64 v[146:149], v132 offset0:33 offset1:34
	s_waitcnt lgkmcnt(0)
	v_fma_f64 v[66:67], -v[80:81], v[138:139], v[66:67]
	v_fma_f64 v[64:65], -v[80:81], v[140:141], v[64:65]
	ds_read2_b64 v[138:141], v132 offset0:35 offset1:36
	v_fma_f64 v[62:63], -v[80:81], v[142:143], v[62:63]
	v_fma_f64 v[60:61], -v[80:81], v[144:145], v[60:61]
	ds_read2_b64 v[142:145], v132 offset0:37 offset1:38
	v_fma_f64 v[58:59], -v[80:81], v[146:147], v[58:59]
	v_fma_f64 v[56:57], -v[80:81], v[148:149], v[56:57]
	s_waitcnt lgkmcnt(0)
	v_fma_f64 v[54:55], -v[80:81], v[138:139], v[54:55]
	ds_read2_b64 v[146:149], v132 offset0:39 offset1:40
	v_fma_f64 v[52:53], -v[80:81], v[140:141], v[52:53]
	ds_read2_b64 v[138:141], v132 offset0:41 offset1:42
	v_fma_f64 v[50:51], -v[80:81], v[142:143], v[50:51]
	v_fma_f64 v[48:49], -v[80:81], v[144:145], v[48:49]
	s_waitcnt lgkmcnt(0)
	v_fma_f64 v[46:47], -v[80:81], v[146:147], v[46:47]
	ds_read2_b64 v[142:145], v132 offset0:43 offset1:44
	v_fma_f64 v[44:45], -v[80:81], v[148:149], v[44:45]
	ds_read2_b64 v[146:149], v132 offset0:45 offset1:46
	v_fma_f64 v[42:43], -v[80:81], v[138:139], v[42:43]
	v_fma_f64 v[40:41], -v[80:81], v[140:141], v[40:41]
	ds_read2_b64 v[138:141], v132 offset0:47 offset1:48
	s_waitcnt lgkmcnt(0)
	v_fma_f64 v[38:39], -v[80:81], v[142:143], v[38:39]
	v_fma_f64 v[36:37], -v[80:81], v[144:145], v[36:37]
	ds_read2_b64 v[142:145], v132 offset0:49 offset1:50
	v_fma_f64 v[34:35], -v[80:81], v[146:147], v[34:35]
	v_fma_f64 v[32:33], -v[80:81], v[148:149], v[32:33]
	;; [unrolled: 1-line block ×3, first 2 shown]
	ds_read2_b64 v[146:149], v132 offset0:51 offset1:52
	v_fma_f64 v[28:29], -v[80:81], v[140:141], v[28:29]
	ds_read2_b64 v[138:141], v132 offset0:53 offset1:54
	s_waitcnt lgkmcnt(0)
	v_fma_f64 v[26:27], -v[80:81], v[142:143], v[26:27]
	v_fma_f64 v[24:25], -v[80:81], v[144:145], v[24:25]
	;; [unrolled: 1-line block ×3, first 2 shown]
	ds_read2_b64 v[142:145], v132 offset0:55 offset1:56
	v_fma_f64 v[20:21], -v[80:81], v[148:149], v[20:21]
	v_fma_f64 v[18:19], -v[80:81], v[138:139], v[18:19]
	;; [unrolled: 1-line block ×3, first 2 shown]
	ds_read2_b64 v[138:141], v132 offset0:57 offset1:58
	ds_read2_b64 v[146:149], v132 offset0:59 offset1:60
	s_waitcnt lgkmcnt(0)
	v_fma_f64 v[14:15], -v[80:81], v[142:143], v[14:15]
	v_fma_f64 v[12:13], -v[80:81], v[144:145], v[12:13]
	;; [unrolled: 1-line block ×7, first 2 shown]
.LBB122_386:
	s_or_b64 exec, exec, s[0:1]
	v_lshl_add_u32 v128, v133, 3, v132
	s_barrier
	ds_write_b64 v128, v[78:79]
	s_waitcnt lgkmcnt(0)
	s_barrier
	ds_read_b64 v[128:129], v132 offset:184
	s_cmp_lt_i32 s18, 25
	v_mov_b32_e32 v130, 23
	s_cbranch_scc1 .LBB122_389
; %bb.387:
	v_add_u32_e32 v137, 0xc0, v132
	s_mov_b32 s0, 24
	v_mov_b32_e32 v130, 23
.LBB122_388:                            ; =>This Inner Loop Header: Depth=1
	ds_read_b64 v[138:139], v137
	v_mov_b32_e32 v140, s0
	s_add_i32 s0, s0, 1
	v_add_u32_e32 v137, 8, v137
	s_cmp_lg_u32 s18, s0
	s_waitcnt lgkmcnt(0)
	v_cmp_lt_f64_e64 vcc, |v[128:129]|, |v[138:139]|
	v_cndmask_b32_e32 v129, v129, v139, vcc
	v_cndmask_b32_e32 v128, v128, v138, vcc
	;; [unrolled: 1-line block ×3, first 2 shown]
	s_cbranch_scc1 .LBB122_388
.LBB122_389:
	s_waitcnt lgkmcnt(0)
	v_cmp_eq_f64_e32 vcc, 0, v[128:129]
	s_and_saveexec_b64 s[0:1], vcc
	s_xor_b64 s[0:1], exec, s[0:1]
; %bb.390:
	v_cmp_ne_u32_e32 vcc, 0, v136
	v_cndmask_b32_e32 v136, 24, v136, vcc
; %bb.391:
	s_andn2_saveexec_b64 s[0:1], s[0:1]
; %bb.392:
	v_div_scale_f64 v[138:139], s[2:3], v[128:129], v[128:129], 1.0
	v_rcp_f64_e32 v[140:141], v[138:139]
	v_div_scale_f64 v[142:143], vcc, 1.0, v[128:129], 1.0
	v_fma_f64 v[144:145], -v[138:139], v[140:141], 1.0
	v_fmac_f64_e32 v[140:141], v[140:141], v[144:145]
	v_fma_f64 v[144:145], -v[138:139], v[140:141], 1.0
	v_fmac_f64_e32 v[140:141], v[140:141], v[144:145]
	v_mul_f64 v[144:145], v[142:143], v[140:141]
	v_fma_f64 v[138:139], -v[138:139], v[144:145], v[142:143]
	v_div_fmas_f64 v[138:139], v[138:139], v[140:141], v[144:145]
	v_div_fixup_f64 v[128:129], v[138:139], v[128:129], 1.0
; %bb.393:
	s_or_b64 exec, exec, s[0:1]
	v_cmp_ne_u32_e32 vcc, v133, v130
	s_and_saveexec_b64 s[0:1], vcc
	s_xor_b64 s[0:1], exec, s[0:1]
	s_cbranch_execz .LBB122_399
; %bb.394:
	v_cmp_eq_u32_e32 vcc, 23, v133
	s_and_saveexec_b64 s[2:3], vcc
	s_cbranch_execz .LBB122_398
; %bb.395:
	v_cmp_ne_u32_e32 vcc, 23, v130
	s_xor_b64 s[14:15], s[6:7], -1
	s_and_b64 s[16:17], s[14:15], vcc
	s_and_saveexec_b64 s[14:15], s[16:17]
	s_cbranch_execz .LBB122_397
; %bb.396:
	v_ashrrev_i32_e32 v131, 31, v130
	v_lshlrev_b64 v[138:139], 2, v[130:131]
	v_add_co_u32_e32 v138, vcc, v4, v138
	v_addc_co_u32_e32 v139, vcc, v5, v139, vcc
	flat_load_dword v131, v[138:139]
	flat_load_dword v133, v[4:5] offset:92
	s_waitcnt vmcnt(0) lgkmcnt(0)
	flat_store_dword v[4:5], v131 offset:92
	flat_store_dword v[138:139], v133
.LBB122_397:
	s_or_b64 exec, exec, s[14:15]
	v_mov_b32_e32 v131, v130
	v_mov_b32_e32 v133, v130
.LBB122_398:
	s_or_b64 exec, exec, s[2:3]
.LBB122_399:
	s_andn2_saveexec_b64 s[0:1], s[0:1]
	s_cbranch_execz .LBB122_401
; %bb.400:
	v_mov_b32_e32 v138, v76
	v_mov_b32_e32 v139, v77
	v_mov_b32_e32 v140, v74
	v_mov_b32_e32 v141, v75
	ds_write2_b64 v132, v[138:139], v[140:141] offset0:24 offset1:25
	v_mov_b32_e32 v138, v72
	v_mov_b32_e32 v139, v73
	v_mov_b32_e32 v140, v70
	v_mov_b32_e32 v141, v71
	ds_write2_b64 v132, v[138:139], v[140:141] offset0:26 offset1:27
	;; [unrolled: 5-line block ×18, first 2 shown]
	v_mov_b32_e32 v138, v0
	v_mov_b32_e32 v139, v1
	;; [unrolled: 1-line block ×3, first 2 shown]
	ds_write2_b64 v132, v[138:139], v[126:127] offset0:60 offset1:61
.LBB122_401:
	s_or_b64 exec, exec, s[0:1]
	v_cmp_lt_i32_e32 vcc, 23, v133
	s_waitcnt lgkmcnt(0)
	s_barrier
	s_and_saveexec_b64 s[0:1], vcc
	s_cbranch_execz .LBB122_403
; %bb.402:
	ds_read2_b64 v[138:141], v132 offset0:24 offset1:25
	ds_read2_b64 v[142:145], v132 offset0:26 offset1:27
	v_mul_f64 v[78:79], v[128:129], v[78:79]
	ds_read2_b64 v[146:149], v132 offset0:28 offset1:29
	s_waitcnt lgkmcnt(0)
	v_fma_f64 v[76:77], -v[78:79], v[138:139], v[76:77]
	v_fma_f64 v[74:75], -v[78:79], v[140:141], v[74:75]
	ds_read2_b64 v[138:141], v132 offset0:30 offset1:31
	v_fma_f64 v[72:73], -v[78:79], v[142:143], v[72:73]
	v_fma_f64 v[70:71], -v[78:79], v[144:145], v[70:71]
	;; [unrolled: 1-line block ×3, first 2 shown]
	ds_read2_b64 v[142:145], v132 offset0:32 offset1:33
	v_fma_f64 v[66:67], -v[78:79], v[148:149], v[66:67]
	ds_read2_b64 v[146:149], v132 offset0:34 offset1:35
	s_waitcnt lgkmcnt(0)
	v_fma_f64 v[64:65], -v[78:79], v[138:139], v[64:65]
	v_fma_f64 v[62:63], -v[78:79], v[140:141], v[62:63]
	ds_read2_b64 v[138:141], v132 offset0:36 offset1:37
	v_fma_f64 v[60:61], -v[78:79], v[142:143], v[60:61]
	v_fma_f64 v[58:59], -v[78:79], v[144:145], v[58:59]
	ds_read2_b64 v[142:145], v132 offset0:38 offset1:39
	v_fma_f64 v[56:57], -v[78:79], v[146:147], v[56:57]
	v_fma_f64 v[54:55], -v[78:79], v[148:149], v[54:55]
	s_waitcnt lgkmcnt(0)
	v_fma_f64 v[52:53], -v[78:79], v[138:139], v[52:53]
	ds_read2_b64 v[146:149], v132 offset0:40 offset1:41
	v_fma_f64 v[50:51], -v[78:79], v[140:141], v[50:51]
	ds_read2_b64 v[138:141], v132 offset0:42 offset1:43
	v_fma_f64 v[48:49], -v[78:79], v[142:143], v[48:49]
	v_fma_f64 v[46:47], -v[78:79], v[144:145], v[46:47]
	s_waitcnt lgkmcnt(0)
	v_fma_f64 v[44:45], -v[78:79], v[146:147], v[44:45]
	ds_read2_b64 v[142:145], v132 offset0:44 offset1:45
	v_fma_f64 v[42:43], -v[78:79], v[148:149], v[42:43]
	ds_read2_b64 v[146:149], v132 offset0:46 offset1:47
	v_fma_f64 v[40:41], -v[78:79], v[138:139], v[40:41]
	v_fma_f64 v[38:39], -v[78:79], v[140:141], v[38:39]
	ds_read2_b64 v[138:141], v132 offset0:48 offset1:49
	s_waitcnt lgkmcnt(0)
	v_fma_f64 v[36:37], -v[78:79], v[142:143], v[36:37]
	v_fma_f64 v[34:35], -v[78:79], v[144:145], v[34:35]
	ds_read2_b64 v[142:145], v132 offset0:50 offset1:51
	v_fma_f64 v[32:33], -v[78:79], v[146:147], v[32:33]
	v_fma_f64 v[30:31], -v[78:79], v[148:149], v[30:31]
	;; [unrolled: 1-line block ×3, first 2 shown]
	ds_read2_b64 v[146:149], v132 offset0:52 offset1:53
	v_fma_f64 v[26:27], -v[78:79], v[140:141], v[26:27]
	ds_read2_b64 v[138:141], v132 offset0:54 offset1:55
	s_waitcnt lgkmcnt(0)
	v_fma_f64 v[24:25], -v[78:79], v[142:143], v[24:25]
	v_fma_f64 v[22:23], -v[78:79], v[144:145], v[22:23]
	;; [unrolled: 1-line block ×4, first 2 shown]
	ds_read2_b64 v[142:145], v132 offset0:56 offset1:57
	ds_read2_b64 v[146:149], v132 offset0:58 offset1:59
	v_fma_f64 v[16:17], -v[78:79], v[138:139], v[16:17]
	v_fma_f64 v[14:15], -v[78:79], v[140:141], v[14:15]
	ds_read2_b64 v[138:141], v132 offset0:60 offset1:61
	s_waitcnt lgkmcnt(0)
	v_fma_f64 v[12:13], -v[78:79], v[142:143], v[12:13]
	v_fma_f64 v[10:11], -v[78:79], v[144:145], v[10:11]
	;; [unrolled: 1-line block ×6, first 2 shown]
.LBB122_403:
	s_or_b64 exec, exec, s[0:1]
	v_lshl_add_u32 v128, v133, 3, v132
	s_barrier
	ds_write_b64 v128, v[76:77]
	s_waitcnt lgkmcnt(0)
	s_barrier
	ds_read_b64 v[128:129], v132 offset:192
	s_cmp_lt_i32 s18, 26
	v_mov_b32_e32 v130, 24
	s_cbranch_scc1 .LBB122_406
; %bb.404:
	v_add_u32_e32 v137, 0xc8, v132
	s_mov_b32 s0, 25
	v_mov_b32_e32 v130, 24
.LBB122_405:                            ; =>This Inner Loop Header: Depth=1
	ds_read_b64 v[138:139], v137
	v_mov_b32_e32 v140, s0
	s_add_i32 s0, s0, 1
	v_add_u32_e32 v137, 8, v137
	s_cmp_lg_u32 s18, s0
	s_waitcnt lgkmcnt(0)
	v_cmp_lt_f64_e64 vcc, |v[128:129]|, |v[138:139]|
	v_cndmask_b32_e32 v129, v129, v139, vcc
	v_cndmask_b32_e32 v128, v128, v138, vcc
	;; [unrolled: 1-line block ×3, first 2 shown]
	s_cbranch_scc1 .LBB122_405
.LBB122_406:
	s_waitcnt lgkmcnt(0)
	v_cmp_eq_f64_e32 vcc, 0, v[128:129]
	s_and_saveexec_b64 s[0:1], vcc
	s_xor_b64 s[0:1], exec, s[0:1]
; %bb.407:
	v_cmp_ne_u32_e32 vcc, 0, v136
	v_cndmask_b32_e32 v136, 25, v136, vcc
; %bb.408:
	s_andn2_saveexec_b64 s[0:1], s[0:1]
; %bb.409:
	v_div_scale_f64 v[138:139], s[2:3], v[128:129], v[128:129], 1.0
	v_rcp_f64_e32 v[140:141], v[138:139]
	v_div_scale_f64 v[142:143], vcc, 1.0, v[128:129], 1.0
	v_fma_f64 v[144:145], -v[138:139], v[140:141], 1.0
	v_fmac_f64_e32 v[140:141], v[140:141], v[144:145]
	v_fma_f64 v[144:145], -v[138:139], v[140:141], 1.0
	v_fmac_f64_e32 v[140:141], v[140:141], v[144:145]
	v_mul_f64 v[144:145], v[142:143], v[140:141]
	v_fma_f64 v[138:139], -v[138:139], v[144:145], v[142:143]
	v_div_fmas_f64 v[138:139], v[138:139], v[140:141], v[144:145]
	v_div_fixup_f64 v[128:129], v[138:139], v[128:129], 1.0
; %bb.410:
	s_or_b64 exec, exec, s[0:1]
	v_cmp_ne_u32_e32 vcc, v133, v130
	s_and_saveexec_b64 s[0:1], vcc
	s_xor_b64 s[0:1], exec, s[0:1]
	s_cbranch_execz .LBB122_416
; %bb.411:
	v_cmp_eq_u32_e32 vcc, 24, v133
	s_and_saveexec_b64 s[2:3], vcc
	s_cbranch_execz .LBB122_415
; %bb.412:
	v_cmp_ne_u32_e32 vcc, 24, v130
	s_xor_b64 s[14:15], s[6:7], -1
	s_and_b64 s[16:17], s[14:15], vcc
	s_and_saveexec_b64 s[14:15], s[16:17]
	s_cbranch_execz .LBB122_414
; %bb.413:
	v_ashrrev_i32_e32 v131, 31, v130
	v_lshlrev_b64 v[138:139], 2, v[130:131]
	v_add_co_u32_e32 v138, vcc, v4, v138
	v_addc_co_u32_e32 v139, vcc, v5, v139, vcc
	flat_load_dword v131, v[138:139]
	flat_load_dword v133, v[4:5] offset:96
	s_waitcnt vmcnt(0) lgkmcnt(0)
	flat_store_dword v[4:5], v131 offset:96
	flat_store_dword v[138:139], v133
.LBB122_414:
	s_or_b64 exec, exec, s[14:15]
	v_mov_b32_e32 v131, v130
	v_mov_b32_e32 v133, v130
.LBB122_415:
	s_or_b64 exec, exec, s[2:3]
.LBB122_416:
	s_andn2_saveexec_b64 s[0:1], s[0:1]
	s_cbranch_execz .LBB122_418
; %bb.417:
	v_mov_b32_e32 v133, 24
	ds_write2_b64 v132, v[74:75], v[72:73] offset0:25 offset1:26
	ds_write2_b64 v132, v[70:71], v[68:69] offset0:27 offset1:28
	;; [unrolled: 1-line block ×18, first 2 shown]
	ds_write_b64 v132, v[126:127] offset:488
.LBB122_418:
	s_or_b64 exec, exec, s[0:1]
	v_cmp_lt_i32_e32 vcc, 24, v133
	s_waitcnt lgkmcnt(0)
	s_barrier
	s_and_saveexec_b64 s[0:1], vcc
	s_cbranch_execz .LBB122_420
; %bb.419:
	ds_read2_b64 v[138:141], v132 offset0:25 offset1:26
	ds_read2_b64 v[142:145], v132 offset0:27 offset1:28
	;; [unrolled: 1-line block ×3, first 2 shown]
	v_mul_f64 v[76:77], v[128:129], v[76:77]
	ds_read_b64 v[128:129], v132 offset:488
	s_waitcnt lgkmcnt(0)
	v_fma_f64 v[74:75], -v[76:77], v[138:139], v[74:75]
	v_fma_f64 v[72:73], -v[76:77], v[140:141], v[72:73]
	ds_read2_b64 v[138:141], v132 offset0:31 offset1:32
	v_fma_f64 v[70:71], -v[76:77], v[142:143], v[70:71]
	v_fma_f64 v[68:69], -v[76:77], v[144:145], v[68:69]
	;; [unrolled: 1-line block ×3, first 2 shown]
	ds_read2_b64 v[142:145], v132 offset0:33 offset1:34
	v_fma_f64 v[64:65], -v[76:77], v[148:149], v[64:65]
	ds_read2_b64 v[146:149], v132 offset0:35 offset1:36
	s_waitcnt lgkmcnt(0)
	v_fma_f64 v[62:63], -v[76:77], v[138:139], v[62:63]
	v_fma_f64 v[60:61], -v[76:77], v[140:141], v[60:61]
	;; [unrolled: 1-line block ×3, first 2 shown]
	ds_read2_b64 v[138:141], v132 offset0:37 offset1:38
	v_fma_f64 v[56:57], -v[76:77], v[144:145], v[56:57]
	ds_read2_b64 v[142:145], v132 offset0:39 offset1:40
	v_fma_f64 v[54:55], -v[76:77], v[146:147], v[54:55]
	v_fma_f64 v[52:53], -v[76:77], v[148:149], v[52:53]
	ds_read2_b64 v[146:149], v132 offset0:41 offset1:42
	s_waitcnt lgkmcnt(0)
	v_fma_f64 v[50:51], -v[76:77], v[138:139], v[50:51]
	v_fma_f64 v[48:49], -v[76:77], v[140:141], v[48:49]
	ds_read2_b64 v[138:141], v132 offset0:43 offset1:44
	v_fma_f64 v[46:47], -v[76:77], v[142:143], v[46:47]
	v_fma_f64 v[44:45], -v[76:77], v[144:145], v[44:45]
	;; [unrolled: 1-line block ×3, first 2 shown]
	ds_read2_b64 v[142:145], v132 offset0:45 offset1:46
	v_fma_f64 v[40:41], -v[76:77], v[148:149], v[40:41]
	ds_read2_b64 v[146:149], v132 offset0:47 offset1:48
	s_waitcnt lgkmcnt(0)
	v_fma_f64 v[38:39], -v[76:77], v[138:139], v[38:39]
	v_fma_f64 v[36:37], -v[76:77], v[140:141], v[36:37]
	;; [unrolled: 1-line block ×3, first 2 shown]
	ds_read2_b64 v[138:141], v132 offset0:49 offset1:50
	v_fma_f64 v[32:33], -v[76:77], v[144:145], v[32:33]
	ds_read2_b64 v[142:145], v132 offset0:51 offset1:52
	v_fma_f64 v[30:31], -v[76:77], v[146:147], v[30:31]
	v_fma_f64 v[28:29], -v[76:77], v[148:149], v[28:29]
	ds_read2_b64 v[146:149], v132 offset0:53 offset1:54
	s_waitcnt lgkmcnt(0)
	v_fma_f64 v[26:27], -v[76:77], v[138:139], v[26:27]
	v_fma_f64 v[24:25], -v[76:77], v[140:141], v[24:25]
	ds_read2_b64 v[138:141], v132 offset0:55 offset1:56
	v_fma_f64 v[22:23], -v[76:77], v[142:143], v[22:23]
	v_fma_f64 v[20:21], -v[76:77], v[144:145], v[20:21]
	;; [unrolled: 1-line block ×4, first 2 shown]
	ds_read2_b64 v[142:145], v132 offset0:57 offset1:58
	ds_read2_b64 v[146:149], v132 offset0:59 offset1:60
	s_waitcnt lgkmcnt(0)
	v_fma_f64 v[14:15], -v[76:77], v[138:139], v[14:15]
	v_fma_f64 v[12:13], -v[76:77], v[140:141], v[12:13]
	;; [unrolled: 1-line block ×7, first 2 shown]
.LBB122_420:
	s_or_b64 exec, exec, s[0:1]
	v_lshl_add_u32 v128, v133, 3, v132
	s_barrier
	ds_write_b64 v128, v[74:75]
	s_waitcnt lgkmcnt(0)
	s_barrier
	ds_read_b64 v[128:129], v132 offset:200
	s_cmp_lt_i32 s18, 27
	v_mov_b32_e32 v130, 25
	s_cbranch_scc1 .LBB122_423
; %bb.421:
	v_add_u32_e32 v137, 0xd0, v132
	s_mov_b32 s0, 26
	v_mov_b32_e32 v130, 25
.LBB122_422:                            ; =>This Inner Loop Header: Depth=1
	ds_read_b64 v[138:139], v137
	v_mov_b32_e32 v140, s0
	s_add_i32 s0, s0, 1
	v_add_u32_e32 v137, 8, v137
	s_cmp_lg_u32 s18, s0
	s_waitcnt lgkmcnt(0)
	v_cmp_lt_f64_e64 vcc, |v[128:129]|, |v[138:139]|
	v_cndmask_b32_e32 v129, v129, v139, vcc
	v_cndmask_b32_e32 v128, v128, v138, vcc
	;; [unrolled: 1-line block ×3, first 2 shown]
	s_cbranch_scc1 .LBB122_422
.LBB122_423:
	s_waitcnt lgkmcnt(0)
	v_cmp_eq_f64_e32 vcc, 0, v[128:129]
	s_and_saveexec_b64 s[0:1], vcc
	s_xor_b64 s[0:1], exec, s[0:1]
; %bb.424:
	v_cmp_ne_u32_e32 vcc, 0, v136
	v_cndmask_b32_e32 v136, 26, v136, vcc
; %bb.425:
	s_andn2_saveexec_b64 s[0:1], s[0:1]
; %bb.426:
	v_div_scale_f64 v[138:139], s[2:3], v[128:129], v[128:129], 1.0
	v_rcp_f64_e32 v[140:141], v[138:139]
	v_div_scale_f64 v[142:143], vcc, 1.0, v[128:129], 1.0
	v_fma_f64 v[144:145], -v[138:139], v[140:141], 1.0
	v_fmac_f64_e32 v[140:141], v[140:141], v[144:145]
	v_fma_f64 v[144:145], -v[138:139], v[140:141], 1.0
	v_fmac_f64_e32 v[140:141], v[140:141], v[144:145]
	v_mul_f64 v[144:145], v[142:143], v[140:141]
	v_fma_f64 v[138:139], -v[138:139], v[144:145], v[142:143]
	v_div_fmas_f64 v[138:139], v[138:139], v[140:141], v[144:145]
	v_div_fixup_f64 v[128:129], v[138:139], v[128:129], 1.0
; %bb.427:
	s_or_b64 exec, exec, s[0:1]
	v_cmp_ne_u32_e32 vcc, v133, v130
	s_and_saveexec_b64 s[0:1], vcc
	s_xor_b64 s[0:1], exec, s[0:1]
	s_cbranch_execz .LBB122_433
; %bb.428:
	v_cmp_eq_u32_e32 vcc, 25, v133
	s_and_saveexec_b64 s[2:3], vcc
	s_cbranch_execz .LBB122_432
; %bb.429:
	v_cmp_ne_u32_e32 vcc, 25, v130
	s_xor_b64 s[14:15], s[6:7], -1
	s_and_b64 s[16:17], s[14:15], vcc
	s_and_saveexec_b64 s[14:15], s[16:17]
	s_cbranch_execz .LBB122_431
; %bb.430:
	v_ashrrev_i32_e32 v131, 31, v130
	v_lshlrev_b64 v[138:139], 2, v[130:131]
	v_add_co_u32_e32 v138, vcc, v4, v138
	v_addc_co_u32_e32 v139, vcc, v5, v139, vcc
	flat_load_dword v131, v[138:139]
	flat_load_dword v133, v[4:5] offset:100
	s_waitcnt vmcnt(0) lgkmcnt(0)
	flat_store_dword v[4:5], v131 offset:100
	flat_store_dword v[138:139], v133
.LBB122_431:
	s_or_b64 exec, exec, s[14:15]
	v_mov_b32_e32 v131, v130
	v_mov_b32_e32 v133, v130
.LBB122_432:
	s_or_b64 exec, exec, s[2:3]
.LBB122_433:
	s_andn2_saveexec_b64 s[0:1], s[0:1]
	s_cbranch_execz .LBB122_435
; %bb.434:
	v_mov_b32_e32 v138, v72
	v_mov_b32_e32 v139, v73
	v_mov_b32_e32 v140, v70
	v_mov_b32_e32 v141, v71
	ds_write2_b64 v132, v[138:139], v[140:141] offset0:26 offset1:27
	v_mov_b32_e32 v138, v68
	v_mov_b32_e32 v139, v69
	v_mov_b32_e32 v140, v66
	v_mov_b32_e32 v141, v67
	ds_write2_b64 v132, v[138:139], v[140:141] offset0:28 offset1:29
	;; [unrolled: 5-line block ×17, first 2 shown]
	v_mov_b32_e32 v138, v0
	v_mov_b32_e32 v139, v1
	;; [unrolled: 1-line block ×3, first 2 shown]
	ds_write2_b64 v132, v[138:139], v[126:127] offset0:60 offset1:61
.LBB122_435:
	s_or_b64 exec, exec, s[0:1]
	v_cmp_lt_i32_e32 vcc, 25, v133
	s_waitcnt lgkmcnt(0)
	s_barrier
	s_and_saveexec_b64 s[0:1], vcc
	s_cbranch_execz .LBB122_437
; %bb.436:
	ds_read2_b64 v[138:141], v132 offset0:26 offset1:27
	ds_read2_b64 v[142:145], v132 offset0:28 offset1:29
	;; [unrolled: 1-line block ×3, first 2 shown]
	v_mul_f64 v[74:75], v[128:129], v[74:75]
	s_waitcnt lgkmcnt(0)
	v_fma_f64 v[72:73], -v[74:75], v[138:139], v[72:73]
	v_fma_f64 v[70:71], -v[74:75], v[140:141], v[70:71]
	ds_read2_b64 v[138:141], v132 offset0:32 offset1:33
	v_fma_f64 v[68:69], -v[74:75], v[142:143], v[68:69]
	v_fma_f64 v[66:67], -v[74:75], v[144:145], v[66:67]
	v_fma_f64 v[64:65], -v[74:75], v[146:147], v[64:65]
	ds_read2_b64 v[142:145], v132 offset0:34 offset1:35
	v_fma_f64 v[62:63], -v[74:75], v[148:149], v[62:63]
	ds_read2_b64 v[146:149], v132 offset0:36 offset1:37
	s_waitcnt lgkmcnt(0)
	v_fma_f64 v[60:61], -v[74:75], v[138:139], v[60:61]
	v_fma_f64 v[58:59], -v[74:75], v[140:141], v[58:59]
	;; [unrolled: 1-line block ×3, first 2 shown]
	ds_read2_b64 v[138:141], v132 offset0:38 offset1:39
	v_fma_f64 v[54:55], -v[74:75], v[144:145], v[54:55]
	ds_read2_b64 v[142:145], v132 offset0:40 offset1:41
	v_fma_f64 v[52:53], -v[74:75], v[146:147], v[52:53]
	v_fma_f64 v[50:51], -v[74:75], v[148:149], v[50:51]
	ds_read2_b64 v[146:149], v132 offset0:42 offset1:43
	s_waitcnt lgkmcnt(0)
	v_fma_f64 v[48:49], -v[74:75], v[138:139], v[48:49]
	v_fma_f64 v[46:47], -v[74:75], v[140:141], v[46:47]
	ds_read2_b64 v[138:141], v132 offset0:44 offset1:45
	v_fma_f64 v[44:45], -v[74:75], v[142:143], v[44:45]
	v_fma_f64 v[42:43], -v[74:75], v[144:145], v[42:43]
	;; [unrolled: 1-line block ×3, first 2 shown]
	ds_read2_b64 v[142:145], v132 offset0:46 offset1:47
	v_fma_f64 v[38:39], -v[74:75], v[148:149], v[38:39]
	ds_read2_b64 v[146:149], v132 offset0:48 offset1:49
	s_waitcnt lgkmcnt(0)
	v_fma_f64 v[36:37], -v[74:75], v[138:139], v[36:37]
	v_fma_f64 v[34:35], -v[74:75], v[140:141], v[34:35]
	;; [unrolled: 1-line block ×3, first 2 shown]
	ds_read2_b64 v[138:141], v132 offset0:50 offset1:51
	v_fma_f64 v[30:31], -v[74:75], v[144:145], v[30:31]
	ds_read2_b64 v[142:145], v132 offset0:52 offset1:53
	v_fma_f64 v[28:29], -v[74:75], v[146:147], v[28:29]
	v_fma_f64 v[26:27], -v[74:75], v[148:149], v[26:27]
	ds_read2_b64 v[146:149], v132 offset0:54 offset1:55
	s_waitcnt lgkmcnt(0)
	v_fma_f64 v[24:25], -v[74:75], v[138:139], v[24:25]
	v_fma_f64 v[22:23], -v[74:75], v[140:141], v[22:23]
	ds_read2_b64 v[138:141], v132 offset0:56 offset1:57
	v_fma_f64 v[20:21], -v[74:75], v[142:143], v[20:21]
	v_fma_f64 v[18:19], -v[74:75], v[144:145], v[18:19]
	;; [unrolled: 1-line block ×3, first 2 shown]
	ds_read2_b64 v[142:145], v132 offset0:58 offset1:59
	v_fma_f64 v[14:15], -v[74:75], v[148:149], v[14:15]
	ds_read2_b64 v[146:149], v132 offset0:60 offset1:61
	s_waitcnt lgkmcnt(0)
	v_fma_f64 v[12:13], -v[74:75], v[138:139], v[12:13]
	v_fma_f64 v[10:11], -v[74:75], v[140:141], v[10:11]
	;; [unrolled: 1-line block ×6, first 2 shown]
.LBB122_437:
	s_or_b64 exec, exec, s[0:1]
	v_lshl_add_u32 v128, v133, 3, v132
	s_barrier
	ds_write_b64 v128, v[72:73]
	s_waitcnt lgkmcnt(0)
	s_barrier
	ds_read_b64 v[128:129], v132 offset:208
	s_cmp_lt_i32 s18, 28
	v_mov_b32_e32 v130, 26
	s_cbranch_scc1 .LBB122_440
; %bb.438:
	v_add_u32_e32 v137, 0xd8, v132
	s_mov_b32 s0, 27
	v_mov_b32_e32 v130, 26
.LBB122_439:                            ; =>This Inner Loop Header: Depth=1
	ds_read_b64 v[138:139], v137
	v_mov_b32_e32 v140, s0
	s_add_i32 s0, s0, 1
	v_add_u32_e32 v137, 8, v137
	s_cmp_lg_u32 s18, s0
	s_waitcnt lgkmcnt(0)
	v_cmp_lt_f64_e64 vcc, |v[128:129]|, |v[138:139]|
	v_cndmask_b32_e32 v129, v129, v139, vcc
	v_cndmask_b32_e32 v128, v128, v138, vcc
	;; [unrolled: 1-line block ×3, first 2 shown]
	s_cbranch_scc1 .LBB122_439
.LBB122_440:
	s_waitcnt lgkmcnt(0)
	v_cmp_eq_f64_e32 vcc, 0, v[128:129]
	s_and_saveexec_b64 s[0:1], vcc
	s_xor_b64 s[0:1], exec, s[0:1]
; %bb.441:
	v_cmp_ne_u32_e32 vcc, 0, v136
	v_cndmask_b32_e32 v136, 27, v136, vcc
; %bb.442:
	s_andn2_saveexec_b64 s[0:1], s[0:1]
; %bb.443:
	v_div_scale_f64 v[138:139], s[2:3], v[128:129], v[128:129], 1.0
	v_rcp_f64_e32 v[140:141], v[138:139]
	v_div_scale_f64 v[142:143], vcc, 1.0, v[128:129], 1.0
	v_fma_f64 v[144:145], -v[138:139], v[140:141], 1.0
	v_fmac_f64_e32 v[140:141], v[140:141], v[144:145]
	v_fma_f64 v[144:145], -v[138:139], v[140:141], 1.0
	v_fmac_f64_e32 v[140:141], v[140:141], v[144:145]
	v_mul_f64 v[144:145], v[142:143], v[140:141]
	v_fma_f64 v[138:139], -v[138:139], v[144:145], v[142:143]
	v_div_fmas_f64 v[138:139], v[138:139], v[140:141], v[144:145]
	v_div_fixup_f64 v[128:129], v[138:139], v[128:129], 1.0
; %bb.444:
	s_or_b64 exec, exec, s[0:1]
	v_cmp_ne_u32_e32 vcc, v133, v130
	s_and_saveexec_b64 s[0:1], vcc
	s_xor_b64 s[0:1], exec, s[0:1]
	s_cbranch_execz .LBB122_450
; %bb.445:
	v_cmp_eq_u32_e32 vcc, 26, v133
	s_and_saveexec_b64 s[2:3], vcc
	s_cbranch_execz .LBB122_449
; %bb.446:
	v_cmp_ne_u32_e32 vcc, 26, v130
	s_xor_b64 s[14:15], s[6:7], -1
	s_and_b64 s[16:17], s[14:15], vcc
	s_and_saveexec_b64 s[14:15], s[16:17]
	s_cbranch_execz .LBB122_448
; %bb.447:
	v_ashrrev_i32_e32 v131, 31, v130
	v_lshlrev_b64 v[138:139], 2, v[130:131]
	v_add_co_u32_e32 v138, vcc, v4, v138
	v_addc_co_u32_e32 v139, vcc, v5, v139, vcc
	flat_load_dword v131, v[138:139]
	flat_load_dword v133, v[4:5] offset:104
	s_waitcnt vmcnt(0) lgkmcnt(0)
	flat_store_dword v[4:5], v131 offset:104
	flat_store_dword v[138:139], v133
.LBB122_448:
	s_or_b64 exec, exec, s[14:15]
	v_mov_b32_e32 v131, v130
	v_mov_b32_e32 v133, v130
.LBB122_449:
	s_or_b64 exec, exec, s[2:3]
.LBB122_450:
	s_andn2_saveexec_b64 s[0:1], s[0:1]
	s_cbranch_execz .LBB122_452
; %bb.451:
	v_mov_b32_e32 v133, 26
	ds_write2_b64 v132, v[70:71], v[68:69] offset0:27 offset1:28
	ds_write2_b64 v132, v[66:67], v[64:65] offset0:29 offset1:30
	;; [unrolled: 1-line block ×17, first 2 shown]
	ds_write_b64 v132, v[126:127] offset:488
.LBB122_452:
	s_or_b64 exec, exec, s[0:1]
	v_cmp_lt_i32_e32 vcc, 26, v133
	s_waitcnt lgkmcnt(0)
	s_barrier
	s_and_saveexec_b64 s[0:1], vcc
	s_cbranch_execz .LBB122_454
; %bb.453:
	ds_read2_b64 v[138:141], v132 offset0:27 offset1:28
	ds_read2_b64 v[142:145], v132 offset0:29 offset1:30
	v_mul_f64 v[72:73], v[128:129], v[72:73]
	ds_read2_b64 v[146:149], v132 offset0:31 offset1:32
	ds_read_b64 v[128:129], v132 offset:488
	s_waitcnt lgkmcnt(0)
	v_fma_f64 v[70:71], -v[72:73], v[138:139], v[70:71]
	v_fma_f64 v[68:69], -v[72:73], v[140:141], v[68:69]
	ds_read2_b64 v[138:141], v132 offset0:33 offset1:34
	v_fma_f64 v[66:67], -v[72:73], v[142:143], v[66:67]
	v_fma_f64 v[64:65], -v[72:73], v[144:145], v[64:65]
	ds_read2_b64 v[142:145], v132 offset0:35 offset1:36
	;; [unrolled: 3-line block ×3, first 2 shown]
	s_waitcnt lgkmcnt(0)
	v_fma_f64 v[58:59], -v[72:73], v[138:139], v[58:59]
	v_fma_f64 v[56:57], -v[72:73], v[140:141], v[56:57]
	;; [unrolled: 1-line block ×3, first 2 shown]
	ds_read2_b64 v[138:141], v132 offset0:39 offset1:40
	v_fma_f64 v[52:53], -v[72:73], v[144:145], v[52:53]
	ds_read2_b64 v[142:145], v132 offset0:41 offset1:42
	v_fma_f64 v[50:51], -v[72:73], v[146:147], v[50:51]
	v_fma_f64 v[48:49], -v[72:73], v[148:149], v[48:49]
	s_waitcnt lgkmcnt(0)
	v_fma_f64 v[46:47], -v[72:73], v[138:139], v[46:47]
	ds_read2_b64 v[146:149], v132 offset0:43 offset1:44
	v_fma_f64 v[44:45], -v[72:73], v[140:141], v[44:45]
	ds_read2_b64 v[138:141], v132 offset0:45 offset1:46
	v_fma_f64 v[42:43], -v[72:73], v[142:143], v[42:43]
	v_fma_f64 v[40:41], -v[72:73], v[144:145], v[40:41]
	ds_read2_b64 v[142:145], v132 offset0:47 offset1:48
	s_waitcnt lgkmcnt(0)
	v_fma_f64 v[38:39], -v[72:73], v[146:147], v[38:39]
	v_fma_f64 v[36:37], -v[72:73], v[148:149], v[36:37]
	ds_read2_b64 v[146:149], v132 offset0:49 offset1:50
	v_fma_f64 v[34:35], -v[72:73], v[138:139], v[34:35]
	v_fma_f64 v[32:33], -v[72:73], v[140:141], v[32:33]
	;; [unrolled: 1-line block ×3, first 2 shown]
	ds_read2_b64 v[138:141], v132 offset0:51 offset1:52
	v_fma_f64 v[28:29], -v[72:73], v[144:145], v[28:29]
	ds_read2_b64 v[142:145], v132 offset0:53 offset1:54
	s_waitcnt lgkmcnt(0)
	v_fma_f64 v[26:27], -v[72:73], v[146:147], v[26:27]
	v_fma_f64 v[24:25], -v[72:73], v[148:149], v[24:25]
	;; [unrolled: 1-line block ×3, first 2 shown]
	ds_read2_b64 v[146:149], v132 offset0:55 offset1:56
	v_fma_f64 v[20:21], -v[72:73], v[140:141], v[20:21]
	ds_read2_b64 v[138:141], v132 offset0:57 offset1:58
	v_fma_f64 v[18:19], -v[72:73], v[142:143], v[18:19]
	v_fma_f64 v[16:17], -v[72:73], v[144:145], v[16:17]
	ds_read2_b64 v[142:145], v132 offset0:59 offset1:60
	s_waitcnt lgkmcnt(0)
	v_fma_f64 v[14:15], -v[72:73], v[146:147], v[14:15]
	v_fma_f64 v[12:13], -v[72:73], v[148:149], v[12:13]
	;; [unrolled: 1-line block ×7, first 2 shown]
.LBB122_454:
	s_or_b64 exec, exec, s[0:1]
	v_lshl_add_u32 v128, v133, 3, v132
	s_barrier
	ds_write_b64 v128, v[70:71]
	s_waitcnt lgkmcnt(0)
	s_barrier
	ds_read_b64 v[128:129], v132 offset:216
	s_cmp_lt_i32 s18, 29
	v_mov_b32_e32 v130, 27
	s_cbranch_scc1 .LBB122_457
; %bb.455:
	v_add_u32_e32 v137, 0xe0, v132
	s_mov_b32 s0, 28
	v_mov_b32_e32 v130, 27
.LBB122_456:                            ; =>This Inner Loop Header: Depth=1
	ds_read_b64 v[138:139], v137
	v_mov_b32_e32 v140, s0
	s_add_i32 s0, s0, 1
	v_add_u32_e32 v137, 8, v137
	s_cmp_lg_u32 s18, s0
	s_waitcnt lgkmcnt(0)
	v_cmp_lt_f64_e64 vcc, |v[128:129]|, |v[138:139]|
	v_cndmask_b32_e32 v129, v129, v139, vcc
	v_cndmask_b32_e32 v128, v128, v138, vcc
	v_cndmask_b32_e32 v130, v130, v140, vcc
	s_cbranch_scc1 .LBB122_456
.LBB122_457:
	s_waitcnt lgkmcnt(0)
	v_cmp_eq_f64_e32 vcc, 0, v[128:129]
	s_and_saveexec_b64 s[0:1], vcc
	s_xor_b64 s[0:1], exec, s[0:1]
; %bb.458:
	v_cmp_ne_u32_e32 vcc, 0, v136
	v_cndmask_b32_e32 v136, 28, v136, vcc
; %bb.459:
	s_andn2_saveexec_b64 s[0:1], s[0:1]
; %bb.460:
	v_div_scale_f64 v[138:139], s[2:3], v[128:129], v[128:129], 1.0
	v_rcp_f64_e32 v[140:141], v[138:139]
	v_div_scale_f64 v[142:143], vcc, 1.0, v[128:129], 1.0
	v_fma_f64 v[144:145], -v[138:139], v[140:141], 1.0
	v_fmac_f64_e32 v[140:141], v[140:141], v[144:145]
	v_fma_f64 v[144:145], -v[138:139], v[140:141], 1.0
	v_fmac_f64_e32 v[140:141], v[140:141], v[144:145]
	v_mul_f64 v[144:145], v[142:143], v[140:141]
	v_fma_f64 v[138:139], -v[138:139], v[144:145], v[142:143]
	v_div_fmas_f64 v[138:139], v[138:139], v[140:141], v[144:145]
	v_div_fixup_f64 v[128:129], v[138:139], v[128:129], 1.0
; %bb.461:
	s_or_b64 exec, exec, s[0:1]
	v_cmp_ne_u32_e32 vcc, v133, v130
	s_and_saveexec_b64 s[0:1], vcc
	s_xor_b64 s[0:1], exec, s[0:1]
	s_cbranch_execz .LBB122_467
; %bb.462:
	v_cmp_eq_u32_e32 vcc, 27, v133
	s_and_saveexec_b64 s[2:3], vcc
	s_cbranch_execz .LBB122_466
; %bb.463:
	v_cmp_ne_u32_e32 vcc, 27, v130
	s_xor_b64 s[14:15], s[6:7], -1
	s_and_b64 s[16:17], s[14:15], vcc
	s_and_saveexec_b64 s[14:15], s[16:17]
	s_cbranch_execz .LBB122_465
; %bb.464:
	v_ashrrev_i32_e32 v131, 31, v130
	v_lshlrev_b64 v[138:139], 2, v[130:131]
	v_add_co_u32_e32 v138, vcc, v4, v138
	v_addc_co_u32_e32 v139, vcc, v5, v139, vcc
	flat_load_dword v131, v[138:139]
	flat_load_dword v133, v[4:5] offset:108
	s_waitcnt vmcnt(0) lgkmcnt(0)
	flat_store_dword v[4:5], v131 offset:108
	flat_store_dword v[138:139], v133
.LBB122_465:
	s_or_b64 exec, exec, s[14:15]
	v_mov_b32_e32 v131, v130
	v_mov_b32_e32 v133, v130
.LBB122_466:
	s_or_b64 exec, exec, s[2:3]
.LBB122_467:
	s_andn2_saveexec_b64 s[0:1], s[0:1]
	s_cbranch_execz .LBB122_469
; %bb.468:
	v_mov_b32_e32 v138, v68
	v_mov_b32_e32 v139, v69
	v_mov_b32_e32 v140, v66
	v_mov_b32_e32 v141, v67
	ds_write2_b64 v132, v[138:139], v[140:141] offset0:28 offset1:29
	v_mov_b32_e32 v138, v64
	v_mov_b32_e32 v139, v65
	v_mov_b32_e32 v140, v62
	v_mov_b32_e32 v141, v63
	ds_write2_b64 v132, v[138:139], v[140:141] offset0:30 offset1:31
	;; [unrolled: 5-line block ×16, first 2 shown]
	v_mov_b32_e32 v138, v0
	v_mov_b32_e32 v139, v1
	;; [unrolled: 1-line block ×3, first 2 shown]
	ds_write2_b64 v132, v[138:139], v[126:127] offset0:60 offset1:61
.LBB122_469:
	s_or_b64 exec, exec, s[0:1]
	v_cmp_lt_i32_e32 vcc, 27, v133
	s_waitcnt lgkmcnt(0)
	s_barrier
	s_and_saveexec_b64 s[0:1], vcc
	s_cbranch_execz .LBB122_471
; %bb.470:
	ds_read2_b64 v[138:141], v132 offset0:28 offset1:29
	ds_read2_b64 v[142:145], v132 offset0:30 offset1:31
	v_mul_f64 v[70:71], v[128:129], v[70:71]
	ds_read2_b64 v[146:149], v132 offset0:32 offset1:33
	s_waitcnt lgkmcnt(0)
	v_fma_f64 v[68:69], -v[70:71], v[138:139], v[68:69]
	v_fma_f64 v[66:67], -v[70:71], v[140:141], v[66:67]
	ds_read2_b64 v[138:141], v132 offset0:34 offset1:35
	v_fma_f64 v[64:65], -v[70:71], v[142:143], v[64:65]
	v_fma_f64 v[62:63], -v[70:71], v[144:145], v[62:63]
	ds_read2_b64 v[142:145], v132 offset0:36 offset1:37
	;; [unrolled: 3-line block ×3, first 2 shown]
	s_waitcnt lgkmcnt(0)
	v_fma_f64 v[56:57], -v[70:71], v[138:139], v[56:57]
	v_fma_f64 v[54:55], -v[70:71], v[140:141], v[54:55]
	;; [unrolled: 1-line block ×3, first 2 shown]
	ds_read2_b64 v[138:141], v132 offset0:40 offset1:41
	v_fma_f64 v[50:51], -v[70:71], v[144:145], v[50:51]
	ds_read2_b64 v[142:145], v132 offset0:42 offset1:43
	v_fma_f64 v[48:49], -v[70:71], v[146:147], v[48:49]
	v_fma_f64 v[46:47], -v[70:71], v[148:149], v[46:47]
	s_waitcnt lgkmcnt(0)
	v_fma_f64 v[44:45], -v[70:71], v[138:139], v[44:45]
	ds_read2_b64 v[146:149], v132 offset0:44 offset1:45
	v_fma_f64 v[42:43], -v[70:71], v[140:141], v[42:43]
	ds_read2_b64 v[138:141], v132 offset0:46 offset1:47
	v_fma_f64 v[40:41], -v[70:71], v[142:143], v[40:41]
	v_fma_f64 v[38:39], -v[70:71], v[144:145], v[38:39]
	ds_read2_b64 v[142:145], v132 offset0:48 offset1:49
	s_waitcnt lgkmcnt(0)
	v_fma_f64 v[36:37], -v[70:71], v[146:147], v[36:37]
	v_fma_f64 v[34:35], -v[70:71], v[148:149], v[34:35]
	ds_read2_b64 v[146:149], v132 offset0:50 offset1:51
	v_fma_f64 v[32:33], -v[70:71], v[138:139], v[32:33]
	v_fma_f64 v[30:31], -v[70:71], v[140:141], v[30:31]
	v_fma_f64 v[28:29], -v[70:71], v[142:143], v[28:29]
	ds_read2_b64 v[138:141], v132 offset0:52 offset1:53
	v_fma_f64 v[26:27], -v[70:71], v[144:145], v[26:27]
	ds_read2_b64 v[142:145], v132 offset0:54 offset1:55
	s_waitcnt lgkmcnt(0)
	v_fma_f64 v[24:25], -v[70:71], v[146:147], v[24:25]
	v_fma_f64 v[22:23], -v[70:71], v[148:149], v[22:23]
	;; [unrolled: 1-line block ×4, first 2 shown]
	ds_read2_b64 v[138:141], v132 offset0:56 offset1:57
	ds_read2_b64 v[146:149], v132 offset0:58 offset1:59
	v_fma_f64 v[16:17], -v[70:71], v[142:143], v[16:17]
	v_fma_f64 v[14:15], -v[70:71], v[144:145], v[14:15]
	ds_read2_b64 v[142:145], v132 offset0:60 offset1:61
	s_waitcnt lgkmcnt(0)
	v_fma_f64 v[12:13], -v[70:71], v[138:139], v[12:13]
	v_fma_f64 v[10:11], -v[70:71], v[140:141], v[10:11]
	;; [unrolled: 1-line block ×6, first 2 shown]
.LBB122_471:
	s_or_b64 exec, exec, s[0:1]
	v_lshl_add_u32 v128, v133, 3, v132
	s_barrier
	ds_write_b64 v128, v[68:69]
	s_waitcnt lgkmcnt(0)
	s_barrier
	ds_read_b64 v[128:129], v132 offset:224
	s_cmp_lt_i32 s18, 30
	v_mov_b32_e32 v130, 28
	s_cbranch_scc1 .LBB122_474
; %bb.472:
	v_add_u32_e32 v137, 0xe8, v132
	s_mov_b32 s0, 29
	v_mov_b32_e32 v130, 28
.LBB122_473:                            ; =>This Inner Loop Header: Depth=1
	ds_read_b64 v[138:139], v137
	v_mov_b32_e32 v140, s0
	s_add_i32 s0, s0, 1
	v_add_u32_e32 v137, 8, v137
	s_cmp_lg_u32 s18, s0
	s_waitcnt lgkmcnt(0)
	v_cmp_lt_f64_e64 vcc, |v[128:129]|, |v[138:139]|
	v_cndmask_b32_e32 v129, v129, v139, vcc
	v_cndmask_b32_e32 v128, v128, v138, vcc
	;; [unrolled: 1-line block ×3, first 2 shown]
	s_cbranch_scc1 .LBB122_473
.LBB122_474:
	s_waitcnt lgkmcnt(0)
	v_cmp_eq_f64_e32 vcc, 0, v[128:129]
	s_and_saveexec_b64 s[0:1], vcc
	s_xor_b64 s[0:1], exec, s[0:1]
; %bb.475:
	v_cmp_ne_u32_e32 vcc, 0, v136
	v_cndmask_b32_e32 v136, 29, v136, vcc
; %bb.476:
	s_andn2_saveexec_b64 s[0:1], s[0:1]
; %bb.477:
	v_div_scale_f64 v[138:139], s[2:3], v[128:129], v[128:129], 1.0
	v_rcp_f64_e32 v[140:141], v[138:139]
	v_div_scale_f64 v[142:143], vcc, 1.0, v[128:129], 1.0
	v_fma_f64 v[144:145], -v[138:139], v[140:141], 1.0
	v_fmac_f64_e32 v[140:141], v[140:141], v[144:145]
	v_fma_f64 v[144:145], -v[138:139], v[140:141], 1.0
	v_fmac_f64_e32 v[140:141], v[140:141], v[144:145]
	v_mul_f64 v[144:145], v[142:143], v[140:141]
	v_fma_f64 v[138:139], -v[138:139], v[144:145], v[142:143]
	v_div_fmas_f64 v[138:139], v[138:139], v[140:141], v[144:145]
	v_div_fixup_f64 v[128:129], v[138:139], v[128:129], 1.0
; %bb.478:
	s_or_b64 exec, exec, s[0:1]
	v_cmp_ne_u32_e32 vcc, v133, v130
	s_and_saveexec_b64 s[0:1], vcc
	s_xor_b64 s[0:1], exec, s[0:1]
	s_cbranch_execz .LBB122_484
; %bb.479:
	v_cmp_eq_u32_e32 vcc, 28, v133
	s_and_saveexec_b64 s[2:3], vcc
	s_cbranch_execz .LBB122_483
; %bb.480:
	v_cmp_ne_u32_e32 vcc, 28, v130
	s_xor_b64 s[14:15], s[6:7], -1
	s_and_b64 s[16:17], s[14:15], vcc
	s_and_saveexec_b64 s[14:15], s[16:17]
	s_cbranch_execz .LBB122_482
; %bb.481:
	v_ashrrev_i32_e32 v131, 31, v130
	v_lshlrev_b64 v[138:139], 2, v[130:131]
	v_add_co_u32_e32 v138, vcc, v4, v138
	v_addc_co_u32_e32 v139, vcc, v5, v139, vcc
	flat_load_dword v131, v[138:139]
	flat_load_dword v133, v[4:5] offset:112
	s_waitcnt vmcnt(0) lgkmcnt(0)
	flat_store_dword v[4:5], v131 offset:112
	flat_store_dword v[138:139], v133
.LBB122_482:
	s_or_b64 exec, exec, s[14:15]
	v_mov_b32_e32 v131, v130
	v_mov_b32_e32 v133, v130
.LBB122_483:
	s_or_b64 exec, exec, s[2:3]
.LBB122_484:
	s_andn2_saveexec_b64 s[0:1], s[0:1]
	s_cbranch_execz .LBB122_486
; %bb.485:
	v_mov_b32_e32 v133, 28
	ds_write2_b64 v132, v[66:67], v[64:65] offset0:29 offset1:30
	ds_write2_b64 v132, v[62:63], v[60:61] offset0:31 offset1:32
	;; [unrolled: 1-line block ×16, first 2 shown]
	ds_write_b64 v132, v[126:127] offset:488
.LBB122_486:
	s_or_b64 exec, exec, s[0:1]
	v_cmp_lt_i32_e32 vcc, 28, v133
	s_waitcnt lgkmcnt(0)
	s_barrier
	s_and_saveexec_b64 s[0:1], vcc
	s_cbranch_execz .LBB122_488
; %bb.487:
	ds_read2_b64 v[138:141], v132 offset0:29 offset1:30
	ds_read2_b64 v[142:145], v132 offset0:31 offset1:32
	v_mul_f64 v[68:69], v[128:129], v[68:69]
	ds_read2_b64 v[146:149], v132 offset0:33 offset1:34
	ds_read_b64 v[128:129], v132 offset:488
	s_waitcnt lgkmcnt(0)
	v_fma_f64 v[66:67], -v[68:69], v[138:139], v[66:67]
	v_fma_f64 v[64:65], -v[68:69], v[140:141], v[64:65]
	ds_read2_b64 v[138:141], v132 offset0:35 offset1:36
	v_fma_f64 v[62:63], -v[68:69], v[142:143], v[62:63]
	v_fma_f64 v[60:61], -v[68:69], v[144:145], v[60:61]
	;; [unrolled: 1-line block ×3, first 2 shown]
	ds_read2_b64 v[142:145], v132 offset0:37 offset1:38
	v_fma_f64 v[56:57], -v[68:69], v[148:149], v[56:57]
	ds_read2_b64 v[146:149], v132 offset0:39 offset1:40
	s_waitcnt lgkmcnt(0)
	v_fma_f64 v[54:55], -v[68:69], v[138:139], v[54:55]
	v_fma_f64 v[52:53], -v[68:69], v[140:141], v[52:53]
	ds_read2_b64 v[138:141], v132 offset0:41 offset1:42
	v_fma_f64 v[50:51], -v[68:69], v[142:143], v[50:51]
	v_fma_f64 v[48:49], -v[68:69], v[144:145], v[48:49]
	ds_read2_b64 v[142:145], v132 offset0:43 offset1:44
	v_fma_f64 v[46:47], -v[68:69], v[146:147], v[46:47]
	v_fma_f64 v[44:45], -v[68:69], v[148:149], v[44:45]
	s_waitcnt lgkmcnt(0)
	v_fma_f64 v[42:43], -v[68:69], v[138:139], v[42:43]
	ds_read2_b64 v[146:149], v132 offset0:45 offset1:46
	v_fma_f64 v[40:41], -v[68:69], v[140:141], v[40:41]
	ds_read2_b64 v[138:141], v132 offset0:47 offset1:48
	v_fma_f64 v[38:39], -v[68:69], v[142:143], v[38:39]
	v_fma_f64 v[36:37], -v[68:69], v[144:145], v[36:37]
	s_waitcnt lgkmcnt(0)
	v_fma_f64 v[34:35], -v[68:69], v[146:147], v[34:35]
	ds_read2_b64 v[142:145], v132 offset0:49 offset1:50
	v_fma_f64 v[32:33], -v[68:69], v[148:149], v[32:33]
	ds_read2_b64 v[146:149], v132 offset0:51 offset1:52
	v_fma_f64 v[30:31], -v[68:69], v[138:139], v[30:31]
	v_fma_f64 v[28:29], -v[68:69], v[140:141], v[28:29]
	ds_read2_b64 v[138:141], v132 offset0:53 offset1:54
	s_waitcnt lgkmcnt(0)
	v_fma_f64 v[26:27], -v[68:69], v[142:143], v[26:27]
	v_fma_f64 v[24:25], -v[68:69], v[144:145], v[24:25]
	ds_read2_b64 v[142:145], v132 offset0:55 offset1:56
	v_fma_f64 v[22:23], -v[68:69], v[146:147], v[22:23]
	v_fma_f64 v[20:21], -v[68:69], v[148:149], v[20:21]
	;; [unrolled: 1-line block ×4, first 2 shown]
	ds_read2_b64 v[138:141], v132 offset0:57 offset1:58
	ds_read2_b64 v[146:149], v132 offset0:59 offset1:60
	s_waitcnt lgkmcnt(0)
	v_fma_f64 v[14:15], -v[68:69], v[142:143], v[14:15]
	v_fma_f64 v[12:13], -v[68:69], v[144:145], v[12:13]
	;; [unrolled: 1-line block ×7, first 2 shown]
.LBB122_488:
	s_or_b64 exec, exec, s[0:1]
	v_lshl_add_u32 v128, v133, 3, v132
	s_barrier
	ds_write_b64 v128, v[66:67]
	s_waitcnt lgkmcnt(0)
	s_barrier
	ds_read_b64 v[128:129], v132 offset:232
	s_cmp_lt_i32 s18, 31
	v_mov_b32_e32 v130, 29
	s_cbranch_scc1 .LBB122_491
; %bb.489:
	v_add_u32_e32 v137, 0xf0, v132
	s_mov_b32 s0, 30
	v_mov_b32_e32 v130, 29
.LBB122_490:                            ; =>This Inner Loop Header: Depth=1
	ds_read_b64 v[138:139], v137
	v_mov_b32_e32 v140, s0
	s_add_i32 s0, s0, 1
	v_add_u32_e32 v137, 8, v137
	s_cmp_lg_u32 s18, s0
	s_waitcnt lgkmcnt(0)
	v_cmp_lt_f64_e64 vcc, |v[128:129]|, |v[138:139]|
	v_cndmask_b32_e32 v129, v129, v139, vcc
	v_cndmask_b32_e32 v128, v128, v138, vcc
	;; [unrolled: 1-line block ×3, first 2 shown]
	s_cbranch_scc1 .LBB122_490
.LBB122_491:
	s_waitcnt lgkmcnt(0)
	v_cmp_eq_f64_e32 vcc, 0, v[128:129]
	s_and_saveexec_b64 s[0:1], vcc
	s_xor_b64 s[0:1], exec, s[0:1]
; %bb.492:
	v_cmp_ne_u32_e32 vcc, 0, v136
	v_cndmask_b32_e32 v136, 30, v136, vcc
; %bb.493:
	s_andn2_saveexec_b64 s[0:1], s[0:1]
; %bb.494:
	v_div_scale_f64 v[138:139], s[2:3], v[128:129], v[128:129], 1.0
	v_rcp_f64_e32 v[140:141], v[138:139]
	v_div_scale_f64 v[142:143], vcc, 1.0, v[128:129], 1.0
	v_fma_f64 v[144:145], -v[138:139], v[140:141], 1.0
	v_fmac_f64_e32 v[140:141], v[140:141], v[144:145]
	v_fma_f64 v[144:145], -v[138:139], v[140:141], 1.0
	v_fmac_f64_e32 v[140:141], v[140:141], v[144:145]
	v_mul_f64 v[144:145], v[142:143], v[140:141]
	v_fma_f64 v[138:139], -v[138:139], v[144:145], v[142:143]
	v_div_fmas_f64 v[138:139], v[138:139], v[140:141], v[144:145]
	v_div_fixup_f64 v[128:129], v[138:139], v[128:129], 1.0
; %bb.495:
	s_or_b64 exec, exec, s[0:1]
	v_cmp_ne_u32_e32 vcc, v133, v130
	s_and_saveexec_b64 s[0:1], vcc
	s_xor_b64 s[0:1], exec, s[0:1]
	s_cbranch_execz .LBB122_501
; %bb.496:
	v_cmp_eq_u32_e32 vcc, 29, v133
	s_and_saveexec_b64 s[2:3], vcc
	s_cbranch_execz .LBB122_500
; %bb.497:
	v_cmp_ne_u32_e32 vcc, 29, v130
	s_xor_b64 s[14:15], s[6:7], -1
	s_and_b64 s[16:17], s[14:15], vcc
	s_and_saveexec_b64 s[14:15], s[16:17]
	s_cbranch_execz .LBB122_499
; %bb.498:
	v_ashrrev_i32_e32 v131, 31, v130
	v_lshlrev_b64 v[138:139], 2, v[130:131]
	v_add_co_u32_e32 v138, vcc, v4, v138
	v_addc_co_u32_e32 v139, vcc, v5, v139, vcc
	flat_load_dword v131, v[138:139]
	flat_load_dword v133, v[4:5] offset:116
	s_waitcnt vmcnt(0) lgkmcnt(0)
	flat_store_dword v[4:5], v131 offset:116
	flat_store_dword v[138:139], v133
.LBB122_499:
	s_or_b64 exec, exec, s[14:15]
	v_mov_b32_e32 v131, v130
	v_mov_b32_e32 v133, v130
.LBB122_500:
	s_or_b64 exec, exec, s[2:3]
.LBB122_501:
	s_andn2_saveexec_b64 s[0:1], s[0:1]
	s_cbranch_execz .LBB122_503
; %bb.502:
	v_mov_b32_e32 v138, v64
	v_mov_b32_e32 v139, v65
	v_mov_b32_e32 v140, v62
	v_mov_b32_e32 v141, v63
	ds_write2_b64 v132, v[138:139], v[140:141] offset0:30 offset1:31
	v_mov_b32_e32 v138, v60
	v_mov_b32_e32 v139, v61
	v_mov_b32_e32 v140, v58
	v_mov_b32_e32 v141, v59
	ds_write2_b64 v132, v[138:139], v[140:141] offset0:32 offset1:33
	;; [unrolled: 5-line block ×15, first 2 shown]
	v_mov_b32_e32 v138, v0
	v_mov_b32_e32 v139, v1
	;; [unrolled: 1-line block ×3, first 2 shown]
	ds_write2_b64 v132, v[138:139], v[126:127] offset0:60 offset1:61
.LBB122_503:
	s_or_b64 exec, exec, s[0:1]
	v_cmp_lt_i32_e32 vcc, 29, v133
	s_waitcnt lgkmcnt(0)
	s_barrier
	s_and_saveexec_b64 s[0:1], vcc
	s_cbranch_execz .LBB122_505
; %bb.504:
	ds_read2_b64 v[138:141], v132 offset0:30 offset1:31
	ds_read2_b64 v[142:145], v132 offset0:32 offset1:33
	v_mul_f64 v[66:67], v[128:129], v[66:67]
	ds_read2_b64 v[146:149], v132 offset0:34 offset1:35
	s_waitcnt lgkmcnt(0)
	v_fma_f64 v[64:65], -v[66:67], v[138:139], v[64:65]
	v_fma_f64 v[62:63], -v[66:67], v[140:141], v[62:63]
	ds_read2_b64 v[138:141], v132 offset0:36 offset1:37
	v_fma_f64 v[60:61], -v[66:67], v[142:143], v[60:61]
	v_fma_f64 v[58:59], -v[66:67], v[144:145], v[58:59]
	;; [unrolled: 1-line block ×3, first 2 shown]
	ds_read2_b64 v[142:145], v132 offset0:38 offset1:39
	v_fma_f64 v[54:55], -v[66:67], v[148:149], v[54:55]
	ds_read2_b64 v[146:149], v132 offset0:40 offset1:41
	s_waitcnt lgkmcnt(0)
	v_fma_f64 v[52:53], -v[66:67], v[138:139], v[52:53]
	v_fma_f64 v[50:51], -v[66:67], v[140:141], v[50:51]
	ds_read2_b64 v[138:141], v132 offset0:42 offset1:43
	v_fma_f64 v[48:49], -v[66:67], v[142:143], v[48:49]
	v_fma_f64 v[46:47], -v[66:67], v[144:145], v[46:47]
	ds_read2_b64 v[142:145], v132 offset0:44 offset1:45
	v_fma_f64 v[44:45], -v[66:67], v[146:147], v[44:45]
	v_fma_f64 v[42:43], -v[66:67], v[148:149], v[42:43]
	s_waitcnt lgkmcnt(0)
	v_fma_f64 v[40:41], -v[66:67], v[138:139], v[40:41]
	ds_read2_b64 v[146:149], v132 offset0:46 offset1:47
	v_fma_f64 v[38:39], -v[66:67], v[140:141], v[38:39]
	ds_read2_b64 v[138:141], v132 offset0:48 offset1:49
	v_fma_f64 v[36:37], -v[66:67], v[142:143], v[36:37]
	v_fma_f64 v[34:35], -v[66:67], v[144:145], v[34:35]
	s_waitcnt lgkmcnt(0)
	v_fma_f64 v[32:33], -v[66:67], v[146:147], v[32:33]
	ds_read2_b64 v[142:145], v132 offset0:50 offset1:51
	v_fma_f64 v[30:31], -v[66:67], v[148:149], v[30:31]
	ds_read2_b64 v[146:149], v132 offset0:52 offset1:53
	v_fma_f64 v[28:29], -v[66:67], v[138:139], v[28:29]
	v_fma_f64 v[26:27], -v[66:67], v[140:141], v[26:27]
	ds_read2_b64 v[138:141], v132 offset0:54 offset1:55
	s_waitcnt lgkmcnt(0)
	v_fma_f64 v[24:25], -v[66:67], v[142:143], v[24:25]
	v_fma_f64 v[22:23], -v[66:67], v[144:145], v[22:23]
	ds_read2_b64 v[142:145], v132 offset0:56 offset1:57
	v_fma_f64 v[20:21], -v[66:67], v[146:147], v[20:21]
	v_fma_f64 v[18:19], -v[66:67], v[148:149], v[18:19]
	;; [unrolled: 1-line block ×3, first 2 shown]
	ds_read2_b64 v[146:149], v132 offset0:58 offset1:59
	v_fma_f64 v[14:15], -v[66:67], v[140:141], v[14:15]
	ds_read2_b64 v[138:141], v132 offset0:60 offset1:61
	s_waitcnt lgkmcnt(0)
	v_fma_f64 v[12:13], -v[66:67], v[142:143], v[12:13]
	v_fma_f64 v[10:11], -v[66:67], v[144:145], v[10:11]
	;; [unrolled: 1-line block ×6, first 2 shown]
.LBB122_505:
	s_or_b64 exec, exec, s[0:1]
	v_lshl_add_u32 v128, v133, 3, v132
	s_barrier
	ds_write_b64 v128, v[64:65]
	s_waitcnt lgkmcnt(0)
	s_barrier
	ds_read_b64 v[128:129], v132 offset:240
	s_cmp_lt_i32 s18, 32
	v_mov_b32_e32 v130, 30
	s_cbranch_scc1 .LBB122_508
; %bb.506:
	v_add_u32_e32 v137, 0xf8, v132
	s_mov_b32 s0, 31
	v_mov_b32_e32 v130, 30
.LBB122_507:                            ; =>This Inner Loop Header: Depth=1
	ds_read_b64 v[138:139], v137
	v_mov_b32_e32 v140, s0
	s_add_i32 s0, s0, 1
	v_add_u32_e32 v137, 8, v137
	s_cmp_lg_u32 s18, s0
	s_waitcnt lgkmcnt(0)
	v_cmp_lt_f64_e64 vcc, |v[128:129]|, |v[138:139]|
	v_cndmask_b32_e32 v129, v129, v139, vcc
	v_cndmask_b32_e32 v128, v128, v138, vcc
	;; [unrolled: 1-line block ×3, first 2 shown]
	s_cbranch_scc1 .LBB122_507
.LBB122_508:
	s_waitcnt lgkmcnt(0)
	v_cmp_eq_f64_e32 vcc, 0, v[128:129]
	s_and_saveexec_b64 s[0:1], vcc
	s_xor_b64 s[0:1], exec, s[0:1]
; %bb.509:
	v_cmp_ne_u32_e32 vcc, 0, v136
	v_cndmask_b32_e32 v136, 31, v136, vcc
; %bb.510:
	s_andn2_saveexec_b64 s[0:1], s[0:1]
; %bb.511:
	v_div_scale_f64 v[138:139], s[2:3], v[128:129], v[128:129], 1.0
	v_rcp_f64_e32 v[140:141], v[138:139]
	v_div_scale_f64 v[142:143], vcc, 1.0, v[128:129], 1.0
	v_fma_f64 v[144:145], -v[138:139], v[140:141], 1.0
	v_fmac_f64_e32 v[140:141], v[140:141], v[144:145]
	v_fma_f64 v[144:145], -v[138:139], v[140:141], 1.0
	v_fmac_f64_e32 v[140:141], v[140:141], v[144:145]
	v_mul_f64 v[144:145], v[142:143], v[140:141]
	v_fma_f64 v[138:139], -v[138:139], v[144:145], v[142:143]
	v_div_fmas_f64 v[138:139], v[138:139], v[140:141], v[144:145]
	v_div_fixup_f64 v[128:129], v[138:139], v[128:129], 1.0
; %bb.512:
	s_or_b64 exec, exec, s[0:1]
	v_cmp_ne_u32_e32 vcc, v133, v130
	s_and_saveexec_b64 s[0:1], vcc
	s_xor_b64 s[0:1], exec, s[0:1]
	s_cbranch_execz .LBB122_518
; %bb.513:
	v_cmp_eq_u32_e32 vcc, 30, v133
	s_and_saveexec_b64 s[2:3], vcc
	s_cbranch_execz .LBB122_517
; %bb.514:
	v_cmp_ne_u32_e32 vcc, 30, v130
	s_xor_b64 s[14:15], s[6:7], -1
	s_and_b64 s[16:17], s[14:15], vcc
	s_and_saveexec_b64 s[14:15], s[16:17]
	s_cbranch_execz .LBB122_516
; %bb.515:
	v_ashrrev_i32_e32 v131, 31, v130
	v_lshlrev_b64 v[138:139], 2, v[130:131]
	v_add_co_u32_e32 v138, vcc, v4, v138
	v_addc_co_u32_e32 v139, vcc, v5, v139, vcc
	flat_load_dword v131, v[138:139]
	flat_load_dword v133, v[4:5] offset:120
	s_waitcnt vmcnt(0) lgkmcnt(0)
	flat_store_dword v[4:5], v131 offset:120
	flat_store_dword v[138:139], v133
.LBB122_516:
	s_or_b64 exec, exec, s[14:15]
	v_mov_b32_e32 v131, v130
	v_mov_b32_e32 v133, v130
.LBB122_517:
	s_or_b64 exec, exec, s[2:3]
.LBB122_518:
	s_andn2_saveexec_b64 s[0:1], s[0:1]
	s_cbranch_execz .LBB122_520
; %bb.519:
	v_mov_b32_e32 v133, 30
	ds_write2_b64 v132, v[62:63], v[60:61] offset0:31 offset1:32
	ds_write2_b64 v132, v[58:59], v[56:57] offset0:33 offset1:34
	;; [unrolled: 1-line block ×15, first 2 shown]
	ds_write_b64 v132, v[126:127] offset:488
.LBB122_520:
	s_or_b64 exec, exec, s[0:1]
	v_cmp_lt_i32_e32 vcc, 30, v133
	s_waitcnt lgkmcnt(0)
	s_barrier
	s_and_saveexec_b64 s[0:1], vcc
	s_cbranch_execz .LBB122_522
; %bb.521:
	ds_read2_b64 v[138:141], v132 offset0:31 offset1:32
	ds_read2_b64 v[142:145], v132 offset0:33 offset1:34
	ds_read2_b64 v[146:149], v132 offset0:35 offset1:36
	v_mul_f64 v[64:65], v[128:129], v[64:65]
	ds_read_b64 v[128:129], v132 offset:488
	s_waitcnt lgkmcnt(0)
	v_fma_f64 v[62:63], -v[64:65], v[138:139], v[62:63]
	v_fma_f64 v[60:61], -v[64:65], v[140:141], v[60:61]
	ds_read2_b64 v[138:141], v132 offset0:37 offset1:38
	v_fma_f64 v[58:59], -v[64:65], v[142:143], v[58:59]
	v_fma_f64 v[56:57], -v[64:65], v[144:145], v[56:57]
	;; [unrolled: 1-line block ×3, first 2 shown]
	ds_read2_b64 v[142:145], v132 offset0:39 offset1:40
	v_fma_f64 v[52:53], -v[64:65], v[148:149], v[52:53]
	ds_read2_b64 v[146:149], v132 offset0:41 offset1:42
	s_waitcnt lgkmcnt(0)
	v_fma_f64 v[50:51], -v[64:65], v[138:139], v[50:51]
	v_fma_f64 v[48:49], -v[64:65], v[140:141], v[48:49]
	v_fma_f64 v[46:47], -v[64:65], v[142:143], v[46:47]
	ds_read2_b64 v[138:141], v132 offset0:43 offset1:44
	v_fma_f64 v[44:45], -v[64:65], v[144:145], v[44:45]
	ds_read2_b64 v[142:145], v132 offset0:45 offset1:46
	v_fma_f64 v[42:43], -v[64:65], v[146:147], v[42:43]
	v_fma_f64 v[40:41], -v[64:65], v[148:149], v[40:41]
	ds_read2_b64 v[146:149], v132 offset0:47 offset1:48
	s_waitcnt lgkmcnt(0)
	v_fma_f64 v[38:39], -v[64:65], v[138:139], v[38:39]
	v_fma_f64 v[36:37], -v[64:65], v[140:141], v[36:37]
	ds_read2_b64 v[138:141], v132 offset0:49 offset1:50
	v_fma_f64 v[34:35], -v[64:65], v[142:143], v[34:35]
	v_fma_f64 v[32:33], -v[64:65], v[144:145], v[32:33]
	;; [unrolled: 1-line block ×3, first 2 shown]
	ds_read2_b64 v[142:145], v132 offset0:51 offset1:52
	v_fma_f64 v[28:29], -v[64:65], v[148:149], v[28:29]
	ds_read2_b64 v[146:149], v132 offset0:53 offset1:54
	s_waitcnt lgkmcnt(0)
	v_fma_f64 v[26:27], -v[64:65], v[138:139], v[26:27]
	v_fma_f64 v[24:25], -v[64:65], v[140:141], v[24:25]
	;; [unrolled: 1-line block ×3, first 2 shown]
	ds_read2_b64 v[138:141], v132 offset0:55 offset1:56
	v_fma_f64 v[20:21], -v[64:65], v[144:145], v[20:21]
	ds_read2_b64 v[142:145], v132 offset0:57 offset1:58
	v_fma_f64 v[18:19], -v[64:65], v[146:147], v[18:19]
	v_fma_f64 v[16:17], -v[64:65], v[148:149], v[16:17]
	ds_read2_b64 v[146:149], v132 offset0:59 offset1:60
	s_waitcnt lgkmcnt(0)
	v_fma_f64 v[14:15], -v[64:65], v[138:139], v[14:15]
	v_fma_f64 v[12:13], -v[64:65], v[140:141], v[12:13]
	;; [unrolled: 1-line block ×7, first 2 shown]
.LBB122_522:
	s_or_b64 exec, exec, s[0:1]
	v_lshl_add_u32 v128, v133, 3, v132
	s_barrier
	ds_write_b64 v128, v[62:63]
	s_waitcnt lgkmcnt(0)
	s_barrier
	ds_read_b64 v[128:129], v132 offset:248
	s_cmp_lt_i32 s18, 33
	v_mov_b32_e32 v130, 31
	s_cbranch_scc1 .LBB122_525
; %bb.523:
	v_add_u32_e32 v137, 0x100, v132
	s_mov_b32 s0, 32
	v_mov_b32_e32 v130, 31
.LBB122_524:                            ; =>This Inner Loop Header: Depth=1
	ds_read_b64 v[138:139], v137
	v_mov_b32_e32 v140, s0
	s_add_i32 s0, s0, 1
	v_add_u32_e32 v137, 8, v137
	s_cmp_lg_u32 s18, s0
	s_waitcnt lgkmcnt(0)
	v_cmp_lt_f64_e64 vcc, |v[128:129]|, |v[138:139]|
	v_cndmask_b32_e32 v129, v129, v139, vcc
	v_cndmask_b32_e32 v128, v128, v138, vcc
	;; [unrolled: 1-line block ×3, first 2 shown]
	s_cbranch_scc1 .LBB122_524
.LBB122_525:
	s_waitcnt lgkmcnt(0)
	v_cmp_eq_f64_e32 vcc, 0, v[128:129]
	s_and_saveexec_b64 s[0:1], vcc
	s_xor_b64 s[0:1], exec, s[0:1]
; %bb.526:
	v_cmp_ne_u32_e32 vcc, 0, v136
	v_cndmask_b32_e32 v136, 32, v136, vcc
; %bb.527:
	s_andn2_saveexec_b64 s[0:1], s[0:1]
; %bb.528:
	v_div_scale_f64 v[138:139], s[2:3], v[128:129], v[128:129], 1.0
	v_rcp_f64_e32 v[140:141], v[138:139]
	v_div_scale_f64 v[142:143], vcc, 1.0, v[128:129], 1.0
	v_fma_f64 v[144:145], -v[138:139], v[140:141], 1.0
	v_fmac_f64_e32 v[140:141], v[140:141], v[144:145]
	v_fma_f64 v[144:145], -v[138:139], v[140:141], 1.0
	v_fmac_f64_e32 v[140:141], v[140:141], v[144:145]
	v_mul_f64 v[144:145], v[142:143], v[140:141]
	v_fma_f64 v[138:139], -v[138:139], v[144:145], v[142:143]
	v_div_fmas_f64 v[138:139], v[138:139], v[140:141], v[144:145]
	v_div_fixup_f64 v[128:129], v[138:139], v[128:129], 1.0
; %bb.529:
	s_or_b64 exec, exec, s[0:1]
	v_cmp_ne_u32_e32 vcc, v133, v130
	s_and_saveexec_b64 s[0:1], vcc
	s_xor_b64 s[0:1], exec, s[0:1]
	s_cbranch_execz .LBB122_535
; %bb.530:
	v_cmp_eq_u32_e32 vcc, 31, v133
	s_and_saveexec_b64 s[2:3], vcc
	s_cbranch_execz .LBB122_534
; %bb.531:
	v_cmp_ne_u32_e32 vcc, 31, v130
	s_xor_b64 s[14:15], s[6:7], -1
	s_and_b64 s[16:17], s[14:15], vcc
	s_and_saveexec_b64 s[14:15], s[16:17]
	s_cbranch_execz .LBB122_533
; %bb.532:
	v_ashrrev_i32_e32 v131, 31, v130
	v_lshlrev_b64 v[138:139], 2, v[130:131]
	v_add_co_u32_e32 v138, vcc, v4, v138
	v_addc_co_u32_e32 v139, vcc, v5, v139, vcc
	flat_load_dword v131, v[138:139]
	flat_load_dword v133, v[4:5] offset:124
	s_waitcnt vmcnt(0) lgkmcnt(0)
	flat_store_dword v[4:5], v131 offset:124
	flat_store_dword v[138:139], v133
.LBB122_533:
	s_or_b64 exec, exec, s[14:15]
	v_mov_b32_e32 v131, v130
	v_mov_b32_e32 v133, v130
.LBB122_534:
	s_or_b64 exec, exec, s[2:3]
.LBB122_535:
	s_andn2_saveexec_b64 s[0:1], s[0:1]
	s_cbranch_execz .LBB122_537
; %bb.536:
	v_mov_b32_e32 v138, v60
	v_mov_b32_e32 v139, v61
	v_mov_b32_e32 v140, v58
	v_mov_b32_e32 v141, v59
	ds_write2_b64 v132, v[138:139], v[140:141] offset0:32 offset1:33
	v_mov_b32_e32 v138, v56
	v_mov_b32_e32 v139, v57
	v_mov_b32_e32 v140, v54
	v_mov_b32_e32 v141, v55
	ds_write2_b64 v132, v[138:139], v[140:141] offset0:34 offset1:35
	;; [unrolled: 5-line block ×14, first 2 shown]
	v_mov_b32_e32 v138, v0
	v_mov_b32_e32 v139, v1
	;; [unrolled: 1-line block ×3, first 2 shown]
	ds_write2_b64 v132, v[138:139], v[126:127] offset0:60 offset1:61
.LBB122_537:
	s_or_b64 exec, exec, s[0:1]
	v_cmp_lt_i32_e32 vcc, 31, v133
	s_waitcnt lgkmcnt(0)
	s_barrier
	s_and_saveexec_b64 s[0:1], vcc
	s_cbranch_execz .LBB122_539
; %bb.538:
	ds_read2_b64 v[138:141], v132 offset0:32 offset1:33
	ds_read2_b64 v[142:145], v132 offset0:34 offset1:35
	;; [unrolled: 1-line block ×3, first 2 shown]
	v_mul_f64 v[62:63], v[128:129], v[62:63]
	s_waitcnt lgkmcnt(0)
	v_fma_f64 v[60:61], -v[62:63], v[138:139], v[60:61]
	v_fma_f64 v[58:59], -v[62:63], v[140:141], v[58:59]
	ds_read2_b64 v[138:141], v132 offset0:38 offset1:39
	v_fma_f64 v[56:57], -v[62:63], v[142:143], v[56:57]
	v_fma_f64 v[54:55], -v[62:63], v[144:145], v[54:55]
	;; [unrolled: 1-line block ×3, first 2 shown]
	ds_read2_b64 v[142:145], v132 offset0:40 offset1:41
	v_fma_f64 v[50:51], -v[62:63], v[148:149], v[50:51]
	ds_read2_b64 v[146:149], v132 offset0:42 offset1:43
	s_waitcnt lgkmcnt(0)
	v_fma_f64 v[48:49], -v[62:63], v[138:139], v[48:49]
	v_fma_f64 v[46:47], -v[62:63], v[140:141], v[46:47]
	;; [unrolled: 1-line block ×3, first 2 shown]
	ds_read2_b64 v[138:141], v132 offset0:44 offset1:45
	v_fma_f64 v[42:43], -v[62:63], v[144:145], v[42:43]
	ds_read2_b64 v[142:145], v132 offset0:46 offset1:47
	v_fma_f64 v[40:41], -v[62:63], v[146:147], v[40:41]
	v_fma_f64 v[38:39], -v[62:63], v[148:149], v[38:39]
	ds_read2_b64 v[146:149], v132 offset0:48 offset1:49
	s_waitcnt lgkmcnt(0)
	v_fma_f64 v[36:37], -v[62:63], v[138:139], v[36:37]
	v_fma_f64 v[34:35], -v[62:63], v[140:141], v[34:35]
	ds_read2_b64 v[138:141], v132 offset0:50 offset1:51
	v_fma_f64 v[32:33], -v[62:63], v[142:143], v[32:33]
	v_fma_f64 v[30:31], -v[62:63], v[144:145], v[30:31]
	;; [unrolled: 1-line block ×3, first 2 shown]
	ds_read2_b64 v[142:145], v132 offset0:52 offset1:53
	v_fma_f64 v[26:27], -v[62:63], v[148:149], v[26:27]
	ds_read2_b64 v[146:149], v132 offset0:54 offset1:55
	s_waitcnt lgkmcnt(0)
	v_fma_f64 v[24:25], -v[62:63], v[138:139], v[24:25]
	v_fma_f64 v[22:23], -v[62:63], v[140:141], v[22:23]
	;; [unrolled: 1-line block ×4, first 2 shown]
	ds_read2_b64 v[138:141], v132 offset0:56 offset1:57
	ds_read2_b64 v[142:145], v132 offset0:58 offset1:59
	v_fma_f64 v[16:17], -v[62:63], v[146:147], v[16:17]
	v_fma_f64 v[14:15], -v[62:63], v[148:149], v[14:15]
	ds_read2_b64 v[146:149], v132 offset0:60 offset1:61
	s_waitcnt lgkmcnt(0)
	v_fma_f64 v[12:13], -v[62:63], v[138:139], v[12:13]
	v_fma_f64 v[10:11], -v[62:63], v[140:141], v[10:11]
	;; [unrolled: 1-line block ×6, first 2 shown]
.LBB122_539:
	s_or_b64 exec, exec, s[0:1]
	v_lshl_add_u32 v128, v133, 3, v132
	s_barrier
	ds_write_b64 v128, v[60:61]
	s_waitcnt lgkmcnt(0)
	s_barrier
	ds_read_b64 v[128:129], v132 offset:256
	s_cmp_lt_i32 s18, 34
	v_mov_b32_e32 v130, 32
	s_cbranch_scc1 .LBB122_542
; %bb.540:
	v_add_u32_e32 v137, 0x108, v132
	s_mov_b32 s0, 33
	v_mov_b32_e32 v130, 32
.LBB122_541:                            ; =>This Inner Loop Header: Depth=1
	ds_read_b64 v[138:139], v137
	v_mov_b32_e32 v140, s0
	s_add_i32 s0, s0, 1
	v_add_u32_e32 v137, 8, v137
	s_cmp_lg_u32 s18, s0
	s_waitcnt lgkmcnt(0)
	v_cmp_lt_f64_e64 vcc, |v[128:129]|, |v[138:139]|
	v_cndmask_b32_e32 v129, v129, v139, vcc
	v_cndmask_b32_e32 v128, v128, v138, vcc
	;; [unrolled: 1-line block ×3, first 2 shown]
	s_cbranch_scc1 .LBB122_541
.LBB122_542:
	s_waitcnt lgkmcnt(0)
	v_cmp_eq_f64_e32 vcc, 0, v[128:129]
	s_and_saveexec_b64 s[0:1], vcc
	s_xor_b64 s[0:1], exec, s[0:1]
; %bb.543:
	v_cmp_ne_u32_e32 vcc, 0, v136
	v_cndmask_b32_e32 v136, 33, v136, vcc
; %bb.544:
	s_andn2_saveexec_b64 s[0:1], s[0:1]
; %bb.545:
	v_div_scale_f64 v[138:139], s[2:3], v[128:129], v[128:129], 1.0
	v_rcp_f64_e32 v[140:141], v[138:139]
	v_div_scale_f64 v[142:143], vcc, 1.0, v[128:129], 1.0
	v_fma_f64 v[144:145], -v[138:139], v[140:141], 1.0
	v_fmac_f64_e32 v[140:141], v[140:141], v[144:145]
	v_fma_f64 v[144:145], -v[138:139], v[140:141], 1.0
	v_fmac_f64_e32 v[140:141], v[140:141], v[144:145]
	v_mul_f64 v[144:145], v[142:143], v[140:141]
	v_fma_f64 v[138:139], -v[138:139], v[144:145], v[142:143]
	v_div_fmas_f64 v[138:139], v[138:139], v[140:141], v[144:145]
	v_div_fixup_f64 v[128:129], v[138:139], v[128:129], 1.0
; %bb.546:
	s_or_b64 exec, exec, s[0:1]
	v_cmp_ne_u32_e32 vcc, v133, v130
	s_and_saveexec_b64 s[0:1], vcc
	s_xor_b64 s[0:1], exec, s[0:1]
	s_cbranch_execz .LBB122_552
; %bb.547:
	v_cmp_eq_u32_e32 vcc, 32, v133
	s_and_saveexec_b64 s[2:3], vcc
	s_cbranch_execz .LBB122_551
; %bb.548:
	v_cmp_ne_u32_e32 vcc, 32, v130
	s_xor_b64 s[14:15], s[6:7], -1
	s_and_b64 s[16:17], s[14:15], vcc
	s_and_saveexec_b64 s[14:15], s[16:17]
	s_cbranch_execz .LBB122_550
; %bb.549:
	v_ashrrev_i32_e32 v131, 31, v130
	v_lshlrev_b64 v[138:139], 2, v[130:131]
	v_add_co_u32_e32 v138, vcc, v4, v138
	v_addc_co_u32_e32 v139, vcc, v5, v139, vcc
	flat_load_dword v131, v[138:139]
	flat_load_dword v133, v[4:5] offset:128
	s_waitcnt vmcnt(0) lgkmcnt(0)
	flat_store_dword v[4:5], v131 offset:128
	flat_store_dword v[138:139], v133
.LBB122_550:
	s_or_b64 exec, exec, s[14:15]
	v_mov_b32_e32 v131, v130
	v_mov_b32_e32 v133, v130
.LBB122_551:
	s_or_b64 exec, exec, s[2:3]
.LBB122_552:
	s_andn2_saveexec_b64 s[0:1], s[0:1]
	s_cbranch_execz .LBB122_554
; %bb.553:
	v_mov_b32_e32 v133, 32
	ds_write2_b64 v132, v[58:59], v[56:57] offset0:33 offset1:34
	ds_write2_b64 v132, v[54:55], v[52:53] offset0:35 offset1:36
	;; [unrolled: 1-line block ×14, first 2 shown]
	ds_write_b64 v132, v[126:127] offset:488
.LBB122_554:
	s_or_b64 exec, exec, s[0:1]
	v_cmp_lt_i32_e32 vcc, 32, v133
	s_waitcnt lgkmcnt(0)
	s_barrier
	s_and_saveexec_b64 s[0:1], vcc
	s_cbranch_execz .LBB122_556
; %bb.555:
	ds_read2_b64 v[138:141], v132 offset0:33 offset1:34
	ds_read2_b64 v[142:145], v132 offset0:35 offset1:36
	v_mul_f64 v[60:61], v[128:129], v[60:61]
	ds_read2_b64 v[146:149], v132 offset0:37 offset1:38
	ds_read_b64 v[128:129], v132 offset:488
	s_waitcnt lgkmcnt(0)
	v_fma_f64 v[58:59], -v[60:61], v[138:139], v[58:59]
	v_fma_f64 v[56:57], -v[60:61], v[140:141], v[56:57]
	ds_read2_b64 v[138:141], v132 offset0:39 offset1:40
	v_fma_f64 v[54:55], -v[60:61], v[142:143], v[54:55]
	v_fma_f64 v[52:53], -v[60:61], v[144:145], v[52:53]
	ds_read2_b64 v[142:145], v132 offset0:41 offset1:42
	;; [unrolled: 3-line block ×3, first 2 shown]
	s_waitcnt lgkmcnt(0)
	v_fma_f64 v[46:47], -v[60:61], v[138:139], v[46:47]
	v_fma_f64 v[44:45], -v[60:61], v[140:141], v[44:45]
	;; [unrolled: 1-line block ×3, first 2 shown]
	ds_read2_b64 v[138:141], v132 offset0:45 offset1:46
	v_fma_f64 v[40:41], -v[60:61], v[144:145], v[40:41]
	ds_read2_b64 v[142:145], v132 offset0:47 offset1:48
	v_fma_f64 v[38:39], -v[60:61], v[146:147], v[38:39]
	v_fma_f64 v[36:37], -v[60:61], v[148:149], v[36:37]
	s_waitcnt lgkmcnt(0)
	v_fma_f64 v[34:35], -v[60:61], v[138:139], v[34:35]
	ds_read2_b64 v[146:149], v132 offset0:49 offset1:50
	v_fma_f64 v[32:33], -v[60:61], v[140:141], v[32:33]
	ds_read2_b64 v[138:141], v132 offset0:51 offset1:52
	v_fma_f64 v[30:31], -v[60:61], v[142:143], v[30:31]
	v_fma_f64 v[28:29], -v[60:61], v[144:145], v[28:29]
	ds_read2_b64 v[142:145], v132 offset0:53 offset1:54
	s_waitcnt lgkmcnt(0)
	v_fma_f64 v[26:27], -v[60:61], v[146:147], v[26:27]
	v_fma_f64 v[24:25], -v[60:61], v[148:149], v[24:25]
	ds_read2_b64 v[146:149], v132 offset0:55 offset1:56
	v_fma_f64 v[22:23], -v[60:61], v[138:139], v[22:23]
	v_fma_f64 v[20:21], -v[60:61], v[140:141], v[20:21]
	;; [unrolled: 1-line block ×4, first 2 shown]
	ds_read2_b64 v[138:141], v132 offset0:57 offset1:58
	ds_read2_b64 v[142:145], v132 offset0:59 offset1:60
	s_waitcnt lgkmcnt(0)
	v_fma_f64 v[14:15], -v[60:61], v[146:147], v[14:15]
	v_fma_f64 v[12:13], -v[60:61], v[148:149], v[12:13]
	;; [unrolled: 1-line block ×7, first 2 shown]
.LBB122_556:
	s_or_b64 exec, exec, s[0:1]
	v_lshl_add_u32 v128, v133, 3, v132
	s_barrier
	ds_write_b64 v128, v[58:59]
	s_waitcnt lgkmcnt(0)
	s_barrier
	ds_read_b64 v[128:129], v132 offset:264
	s_cmp_lt_i32 s18, 35
	v_mov_b32_e32 v130, 33
	s_cbranch_scc1 .LBB122_559
; %bb.557:
	v_add_u32_e32 v137, 0x110, v132
	s_mov_b32 s0, 34
	v_mov_b32_e32 v130, 33
.LBB122_558:                            ; =>This Inner Loop Header: Depth=1
	ds_read_b64 v[138:139], v137
	v_mov_b32_e32 v140, s0
	s_add_i32 s0, s0, 1
	v_add_u32_e32 v137, 8, v137
	s_cmp_lg_u32 s18, s0
	s_waitcnt lgkmcnt(0)
	v_cmp_lt_f64_e64 vcc, |v[128:129]|, |v[138:139]|
	v_cndmask_b32_e32 v129, v129, v139, vcc
	v_cndmask_b32_e32 v128, v128, v138, vcc
	;; [unrolled: 1-line block ×3, first 2 shown]
	s_cbranch_scc1 .LBB122_558
.LBB122_559:
	s_waitcnt lgkmcnt(0)
	v_cmp_eq_f64_e32 vcc, 0, v[128:129]
	s_and_saveexec_b64 s[0:1], vcc
	s_xor_b64 s[0:1], exec, s[0:1]
; %bb.560:
	v_cmp_ne_u32_e32 vcc, 0, v136
	v_cndmask_b32_e32 v136, 34, v136, vcc
; %bb.561:
	s_andn2_saveexec_b64 s[0:1], s[0:1]
; %bb.562:
	v_div_scale_f64 v[138:139], s[2:3], v[128:129], v[128:129], 1.0
	v_rcp_f64_e32 v[140:141], v[138:139]
	v_div_scale_f64 v[142:143], vcc, 1.0, v[128:129], 1.0
	v_fma_f64 v[144:145], -v[138:139], v[140:141], 1.0
	v_fmac_f64_e32 v[140:141], v[140:141], v[144:145]
	v_fma_f64 v[144:145], -v[138:139], v[140:141], 1.0
	v_fmac_f64_e32 v[140:141], v[140:141], v[144:145]
	v_mul_f64 v[144:145], v[142:143], v[140:141]
	v_fma_f64 v[138:139], -v[138:139], v[144:145], v[142:143]
	v_div_fmas_f64 v[138:139], v[138:139], v[140:141], v[144:145]
	v_div_fixup_f64 v[128:129], v[138:139], v[128:129], 1.0
; %bb.563:
	s_or_b64 exec, exec, s[0:1]
	v_cmp_ne_u32_e32 vcc, v133, v130
	s_and_saveexec_b64 s[0:1], vcc
	s_xor_b64 s[0:1], exec, s[0:1]
	s_cbranch_execz .LBB122_569
; %bb.564:
	v_cmp_eq_u32_e32 vcc, 33, v133
	s_and_saveexec_b64 s[2:3], vcc
	s_cbranch_execz .LBB122_568
; %bb.565:
	v_cmp_ne_u32_e32 vcc, 33, v130
	s_xor_b64 s[14:15], s[6:7], -1
	s_and_b64 s[16:17], s[14:15], vcc
	s_and_saveexec_b64 s[14:15], s[16:17]
	s_cbranch_execz .LBB122_567
; %bb.566:
	v_ashrrev_i32_e32 v131, 31, v130
	v_lshlrev_b64 v[138:139], 2, v[130:131]
	v_add_co_u32_e32 v138, vcc, v4, v138
	v_addc_co_u32_e32 v139, vcc, v5, v139, vcc
	flat_load_dword v131, v[138:139]
	flat_load_dword v133, v[4:5] offset:132
	s_waitcnt vmcnt(0) lgkmcnt(0)
	flat_store_dword v[4:5], v131 offset:132
	flat_store_dword v[138:139], v133
.LBB122_567:
	s_or_b64 exec, exec, s[14:15]
	v_mov_b32_e32 v131, v130
	v_mov_b32_e32 v133, v130
.LBB122_568:
	s_or_b64 exec, exec, s[2:3]
.LBB122_569:
	s_andn2_saveexec_b64 s[0:1], s[0:1]
	s_cbranch_execz .LBB122_571
; %bb.570:
	v_mov_b32_e32 v138, v56
	v_mov_b32_e32 v139, v57
	v_mov_b32_e32 v140, v54
	v_mov_b32_e32 v141, v55
	ds_write2_b64 v132, v[138:139], v[140:141] offset0:34 offset1:35
	v_mov_b32_e32 v138, v52
	v_mov_b32_e32 v139, v53
	v_mov_b32_e32 v140, v50
	v_mov_b32_e32 v141, v51
	ds_write2_b64 v132, v[138:139], v[140:141] offset0:36 offset1:37
	;; [unrolled: 5-line block ×13, first 2 shown]
	v_mov_b32_e32 v138, v0
	v_mov_b32_e32 v139, v1
	;; [unrolled: 1-line block ×3, first 2 shown]
	ds_write2_b64 v132, v[138:139], v[126:127] offset0:60 offset1:61
.LBB122_571:
	s_or_b64 exec, exec, s[0:1]
	v_cmp_lt_i32_e32 vcc, 33, v133
	s_waitcnt lgkmcnt(0)
	s_barrier
	s_and_saveexec_b64 s[0:1], vcc
	s_cbranch_execz .LBB122_573
; %bb.572:
	ds_read2_b64 v[138:141], v132 offset0:34 offset1:35
	ds_read2_b64 v[142:145], v132 offset0:36 offset1:37
	v_mul_f64 v[58:59], v[128:129], v[58:59]
	ds_read2_b64 v[146:149], v132 offset0:38 offset1:39
	s_waitcnt lgkmcnt(0)
	v_fma_f64 v[56:57], -v[58:59], v[138:139], v[56:57]
	v_fma_f64 v[54:55], -v[58:59], v[140:141], v[54:55]
	ds_read2_b64 v[138:141], v132 offset0:40 offset1:41
	v_fma_f64 v[52:53], -v[58:59], v[142:143], v[52:53]
	v_fma_f64 v[50:51], -v[58:59], v[144:145], v[50:51]
	ds_read2_b64 v[142:145], v132 offset0:42 offset1:43
	;; [unrolled: 3-line block ×3, first 2 shown]
	s_waitcnt lgkmcnt(0)
	v_fma_f64 v[44:45], -v[58:59], v[138:139], v[44:45]
	v_fma_f64 v[42:43], -v[58:59], v[140:141], v[42:43]
	;; [unrolled: 1-line block ×3, first 2 shown]
	ds_read2_b64 v[138:141], v132 offset0:46 offset1:47
	v_fma_f64 v[38:39], -v[58:59], v[144:145], v[38:39]
	ds_read2_b64 v[142:145], v132 offset0:48 offset1:49
	v_fma_f64 v[36:37], -v[58:59], v[146:147], v[36:37]
	v_fma_f64 v[34:35], -v[58:59], v[148:149], v[34:35]
	s_waitcnt lgkmcnt(0)
	v_fma_f64 v[32:33], -v[58:59], v[138:139], v[32:33]
	ds_read2_b64 v[146:149], v132 offset0:50 offset1:51
	v_fma_f64 v[30:31], -v[58:59], v[140:141], v[30:31]
	ds_read2_b64 v[138:141], v132 offset0:52 offset1:53
	v_fma_f64 v[28:29], -v[58:59], v[142:143], v[28:29]
	v_fma_f64 v[26:27], -v[58:59], v[144:145], v[26:27]
	ds_read2_b64 v[142:145], v132 offset0:54 offset1:55
	s_waitcnt lgkmcnt(0)
	v_fma_f64 v[24:25], -v[58:59], v[146:147], v[24:25]
	v_fma_f64 v[22:23], -v[58:59], v[148:149], v[22:23]
	;; [unrolled: 1-line block ×4, first 2 shown]
	ds_read2_b64 v[138:141], v132 offset0:56 offset1:57
	v_fma_f64 v[16:17], -v[58:59], v[142:143], v[16:17]
	ds_read2_b64 v[146:149], v132 offset0:58 offset1:59
	v_fma_f64 v[14:15], -v[58:59], v[144:145], v[14:15]
	ds_read2_b64 v[142:145], v132 offset0:60 offset1:61
	s_waitcnt lgkmcnt(0)
	v_fma_f64 v[12:13], -v[58:59], v[138:139], v[12:13]
	v_fma_f64 v[10:11], -v[58:59], v[140:141], v[10:11]
	;; [unrolled: 1-line block ×6, first 2 shown]
.LBB122_573:
	s_or_b64 exec, exec, s[0:1]
	v_lshl_add_u32 v128, v133, 3, v132
	s_barrier
	ds_write_b64 v128, v[56:57]
	s_waitcnt lgkmcnt(0)
	s_barrier
	ds_read_b64 v[128:129], v132 offset:272
	s_cmp_lt_i32 s18, 36
	v_mov_b32_e32 v130, 34
	s_cbranch_scc1 .LBB122_576
; %bb.574:
	v_add_u32_e32 v137, 0x118, v132
	s_mov_b32 s0, 35
	v_mov_b32_e32 v130, 34
.LBB122_575:                            ; =>This Inner Loop Header: Depth=1
	ds_read_b64 v[138:139], v137
	v_mov_b32_e32 v140, s0
	s_add_i32 s0, s0, 1
	v_add_u32_e32 v137, 8, v137
	s_cmp_lg_u32 s18, s0
	s_waitcnt lgkmcnt(0)
	v_cmp_lt_f64_e64 vcc, |v[128:129]|, |v[138:139]|
	v_cndmask_b32_e32 v129, v129, v139, vcc
	v_cndmask_b32_e32 v128, v128, v138, vcc
	v_cndmask_b32_e32 v130, v130, v140, vcc
	s_cbranch_scc1 .LBB122_575
.LBB122_576:
	s_waitcnt lgkmcnt(0)
	v_cmp_eq_f64_e32 vcc, 0, v[128:129]
	s_and_saveexec_b64 s[0:1], vcc
	s_xor_b64 s[0:1], exec, s[0:1]
; %bb.577:
	v_cmp_ne_u32_e32 vcc, 0, v136
	v_cndmask_b32_e32 v136, 35, v136, vcc
; %bb.578:
	s_andn2_saveexec_b64 s[0:1], s[0:1]
; %bb.579:
	v_div_scale_f64 v[138:139], s[2:3], v[128:129], v[128:129], 1.0
	v_rcp_f64_e32 v[140:141], v[138:139]
	v_div_scale_f64 v[142:143], vcc, 1.0, v[128:129], 1.0
	v_fma_f64 v[144:145], -v[138:139], v[140:141], 1.0
	v_fmac_f64_e32 v[140:141], v[140:141], v[144:145]
	v_fma_f64 v[144:145], -v[138:139], v[140:141], 1.0
	v_fmac_f64_e32 v[140:141], v[140:141], v[144:145]
	v_mul_f64 v[144:145], v[142:143], v[140:141]
	v_fma_f64 v[138:139], -v[138:139], v[144:145], v[142:143]
	v_div_fmas_f64 v[138:139], v[138:139], v[140:141], v[144:145]
	v_div_fixup_f64 v[128:129], v[138:139], v[128:129], 1.0
; %bb.580:
	s_or_b64 exec, exec, s[0:1]
	v_cmp_ne_u32_e32 vcc, v133, v130
	s_and_saveexec_b64 s[0:1], vcc
	s_xor_b64 s[0:1], exec, s[0:1]
	s_cbranch_execz .LBB122_586
; %bb.581:
	v_cmp_eq_u32_e32 vcc, 34, v133
	s_and_saveexec_b64 s[2:3], vcc
	s_cbranch_execz .LBB122_585
; %bb.582:
	v_cmp_ne_u32_e32 vcc, 34, v130
	s_xor_b64 s[14:15], s[6:7], -1
	s_and_b64 s[16:17], s[14:15], vcc
	s_and_saveexec_b64 s[14:15], s[16:17]
	s_cbranch_execz .LBB122_584
; %bb.583:
	v_ashrrev_i32_e32 v131, 31, v130
	v_lshlrev_b64 v[138:139], 2, v[130:131]
	v_add_co_u32_e32 v138, vcc, v4, v138
	v_addc_co_u32_e32 v139, vcc, v5, v139, vcc
	flat_load_dword v131, v[138:139]
	flat_load_dword v133, v[4:5] offset:136
	s_waitcnt vmcnt(0) lgkmcnt(0)
	flat_store_dword v[4:5], v131 offset:136
	flat_store_dword v[138:139], v133
.LBB122_584:
	s_or_b64 exec, exec, s[14:15]
	v_mov_b32_e32 v131, v130
	v_mov_b32_e32 v133, v130
.LBB122_585:
	s_or_b64 exec, exec, s[2:3]
.LBB122_586:
	s_andn2_saveexec_b64 s[0:1], s[0:1]
	s_cbranch_execz .LBB122_588
; %bb.587:
	v_mov_b32_e32 v133, 34
	ds_write2_b64 v132, v[54:55], v[52:53] offset0:35 offset1:36
	ds_write2_b64 v132, v[50:51], v[48:49] offset0:37 offset1:38
	;; [unrolled: 1-line block ×13, first 2 shown]
	ds_write_b64 v132, v[126:127] offset:488
.LBB122_588:
	s_or_b64 exec, exec, s[0:1]
	v_cmp_lt_i32_e32 vcc, 34, v133
	s_waitcnt lgkmcnt(0)
	s_barrier
	s_and_saveexec_b64 s[0:1], vcc
	s_cbranch_execz .LBB122_590
; %bb.589:
	ds_read2_b64 v[138:141], v132 offset0:35 offset1:36
	ds_read2_b64 v[142:145], v132 offset0:37 offset1:38
	v_mul_f64 v[56:57], v[128:129], v[56:57]
	ds_read2_b64 v[146:149], v132 offset0:39 offset1:40
	ds_read_b64 v[128:129], v132 offset:488
	s_waitcnt lgkmcnt(0)
	v_fma_f64 v[54:55], -v[56:57], v[138:139], v[54:55]
	v_fma_f64 v[52:53], -v[56:57], v[140:141], v[52:53]
	ds_read2_b64 v[138:141], v132 offset0:41 offset1:42
	v_fma_f64 v[50:51], -v[56:57], v[142:143], v[50:51]
	v_fma_f64 v[48:49], -v[56:57], v[144:145], v[48:49]
	;; [unrolled: 1-line block ×3, first 2 shown]
	ds_read2_b64 v[142:145], v132 offset0:43 offset1:44
	v_fma_f64 v[44:45], -v[56:57], v[148:149], v[44:45]
	ds_read2_b64 v[146:149], v132 offset0:45 offset1:46
	s_waitcnt lgkmcnt(0)
	v_fma_f64 v[42:43], -v[56:57], v[138:139], v[42:43]
	v_fma_f64 v[40:41], -v[56:57], v[140:141], v[40:41]
	ds_read2_b64 v[138:141], v132 offset0:47 offset1:48
	v_fma_f64 v[38:39], -v[56:57], v[142:143], v[38:39]
	v_fma_f64 v[36:37], -v[56:57], v[144:145], v[36:37]
	ds_read2_b64 v[142:145], v132 offset0:49 offset1:50
	v_fma_f64 v[34:35], -v[56:57], v[146:147], v[34:35]
	v_fma_f64 v[32:33], -v[56:57], v[148:149], v[32:33]
	s_waitcnt lgkmcnt(0)
	v_fma_f64 v[30:31], -v[56:57], v[138:139], v[30:31]
	ds_read2_b64 v[146:149], v132 offset0:51 offset1:52
	v_fma_f64 v[28:29], -v[56:57], v[140:141], v[28:29]
	ds_read2_b64 v[138:141], v132 offset0:53 offset1:54
	v_fma_f64 v[26:27], -v[56:57], v[142:143], v[26:27]
	v_fma_f64 v[24:25], -v[56:57], v[144:145], v[24:25]
	s_waitcnt lgkmcnt(0)
	v_fma_f64 v[22:23], -v[56:57], v[146:147], v[22:23]
	ds_read2_b64 v[142:145], v132 offset0:55 offset1:56
	v_fma_f64 v[20:21], -v[56:57], v[148:149], v[20:21]
	v_fma_f64 v[18:19], -v[56:57], v[138:139], v[18:19]
	;; [unrolled: 1-line block ×3, first 2 shown]
	ds_read2_b64 v[138:141], v132 offset0:57 offset1:58
	ds_read2_b64 v[146:149], v132 offset0:59 offset1:60
	s_waitcnt lgkmcnt(0)
	v_fma_f64 v[14:15], -v[56:57], v[142:143], v[14:15]
	v_fma_f64 v[12:13], -v[56:57], v[144:145], v[12:13]
	;; [unrolled: 1-line block ×7, first 2 shown]
.LBB122_590:
	s_or_b64 exec, exec, s[0:1]
	v_lshl_add_u32 v128, v133, 3, v132
	s_barrier
	ds_write_b64 v128, v[54:55]
	s_waitcnt lgkmcnt(0)
	s_barrier
	ds_read_b64 v[128:129], v132 offset:280
	s_cmp_lt_i32 s18, 37
	v_mov_b32_e32 v130, 35
	s_cbranch_scc1 .LBB122_593
; %bb.591:
	v_add_u32_e32 v137, 0x120, v132
	s_mov_b32 s0, 36
	v_mov_b32_e32 v130, 35
.LBB122_592:                            ; =>This Inner Loop Header: Depth=1
	ds_read_b64 v[138:139], v137
	v_mov_b32_e32 v140, s0
	s_add_i32 s0, s0, 1
	v_add_u32_e32 v137, 8, v137
	s_cmp_lg_u32 s18, s0
	s_waitcnt lgkmcnt(0)
	v_cmp_lt_f64_e64 vcc, |v[128:129]|, |v[138:139]|
	v_cndmask_b32_e32 v129, v129, v139, vcc
	v_cndmask_b32_e32 v128, v128, v138, vcc
	;; [unrolled: 1-line block ×3, first 2 shown]
	s_cbranch_scc1 .LBB122_592
.LBB122_593:
	s_waitcnt lgkmcnt(0)
	v_cmp_eq_f64_e32 vcc, 0, v[128:129]
	s_and_saveexec_b64 s[0:1], vcc
	s_xor_b64 s[0:1], exec, s[0:1]
; %bb.594:
	v_cmp_ne_u32_e32 vcc, 0, v136
	v_cndmask_b32_e32 v136, 36, v136, vcc
; %bb.595:
	s_andn2_saveexec_b64 s[0:1], s[0:1]
; %bb.596:
	v_div_scale_f64 v[138:139], s[2:3], v[128:129], v[128:129], 1.0
	v_rcp_f64_e32 v[140:141], v[138:139]
	v_div_scale_f64 v[142:143], vcc, 1.0, v[128:129], 1.0
	v_fma_f64 v[144:145], -v[138:139], v[140:141], 1.0
	v_fmac_f64_e32 v[140:141], v[140:141], v[144:145]
	v_fma_f64 v[144:145], -v[138:139], v[140:141], 1.0
	v_fmac_f64_e32 v[140:141], v[140:141], v[144:145]
	v_mul_f64 v[144:145], v[142:143], v[140:141]
	v_fma_f64 v[138:139], -v[138:139], v[144:145], v[142:143]
	v_div_fmas_f64 v[138:139], v[138:139], v[140:141], v[144:145]
	v_div_fixup_f64 v[128:129], v[138:139], v[128:129], 1.0
; %bb.597:
	s_or_b64 exec, exec, s[0:1]
	v_cmp_ne_u32_e32 vcc, v133, v130
	s_and_saveexec_b64 s[0:1], vcc
	s_xor_b64 s[0:1], exec, s[0:1]
	s_cbranch_execz .LBB122_603
; %bb.598:
	v_cmp_eq_u32_e32 vcc, 35, v133
	s_and_saveexec_b64 s[2:3], vcc
	s_cbranch_execz .LBB122_602
; %bb.599:
	v_cmp_ne_u32_e32 vcc, 35, v130
	s_xor_b64 s[14:15], s[6:7], -1
	s_and_b64 s[16:17], s[14:15], vcc
	s_and_saveexec_b64 s[14:15], s[16:17]
	s_cbranch_execz .LBB122_601
; %bb.600:
	v_ashrrev_i32_e32 v131, 31, v130
	v_lshlrev_b64 v[138:139], 2, v[130:131]
	v_add_co_u32_e32 v138, vcc, v4, v138
	v_addc_co_u32_e32 v139, vcc, v5, v139, vcc
	flat_load_dword v131, v[138:139]
	flat_load_dword v133, v[4:5] offset:140
	s_waitcnt vmcnt(0) lgkmcnt(0)
	flat_store_dword v[4:5], v131 offset:140
	flat_store_dword v[138:139], v133
.LBB122_601:
	s_or_b64 exec, exec, s[14:15]
	v_mov_b32_e32 v131, v130
	v_mov_b32_e32 v133, v130
.LBB122_602:
	s_or_b64 exec, exec, s[2:3]
.LBB122_603:
	s_andn2_saveexec_b64 s[0:1], s[0:1]
	s_cbranch_execz .LBB122_605
; %bb.604:
	v_mov_b32_e32 v138, v52
	v_mov_b32_e32 v139, v53
	v_mov_b32_e32 v140, v50
	v_mov_b32_e32 v141, v51
	ds_write2_b64 v132, v[138:139], v[140:141] offset0:36 offset1:37
	v_mov_b32_e32 v138, v48
	v_mov_b32_e32 v139, v49
	v_mov_b32_e32 v140, v46
	v_mov_b32_e32 v141, v47
	ds_write2_b64 v132, v[138:139], v[140:141] offset0:38 offset1:39
	;; [unrolled: 5-line block ×12, first 2 shown]
	v_mov_b32_e32 v138, v0
	v_mov_b32_e32 v139, v1
	;; [unrolled: 1-line block ×3, first 2 shown]
	ds_write2_b64 v132, v[138:139], v[126:127] offset0:60 offset1:61
.LBB122_605:
	s_or_b64 exec, exec, s[0:1]
	v_cmp_lt_i32_e32 vcc, 35, v133
	s_waitcnt lgkmcnt(0)
	s_barrier
	s_and_saveexec_b64 s[0:1], vcc
	s_cbranch_execz .LBB122_607
; %bb.606:
	ds_read2_b64 v[138:141], v132 offset0:36 offset1:37
	ds_read2_b64 v[142:145], v132 offset0:38 offset1:39
	v_mul_f64 v[54:55], v[128:129], v[54:55]
	ds_read2_b64 v[146:149], v132 offset0:40 offset1:41
	s_waitcnt lgkmcnt(0)
	v_fma_f64 v[52:53], -v[54:55], v[138:139], v[52:53]
	v_fma_f64 v[50:51], -v[54:55], v[140:141], v[50:51]
	ds_read2_b64 v[138:141], v132 offset0:42 offset1:43
	v_fma_f64 v[48:49], -v[54:55], v[142:143], v[48:49]
	v_fma_f64 v[46:47], -v[54:55], v[144:145], v[46:47]
	;; [unrolled: 1-line block ×3, first 2 shown]
	ds_read2_b64 v[142:145], v132 offset0:44 offset1:45
	v_fma_f64 v[42:43], -v[54:55], v[148:149], v[42:43]
	ds_read2_b64 v[146:149], v132 offset0:46 offset1:47
	s_waitcnt lgkmcnt(0)
	v_fma_f64 v[40:41], -v[54:55], v[138:139], v[40:41]
	v_fma_f64 v[38:39], -v[54:55], v[140:141], v[38:39]
	ds_read2_b64 v[138:141], v132 offset0:48 offset1:49
	v_fma_f64 v[36:37], -v[54:55], v[142:143], v[36:37]
	v_fma_f64 v[34:35], -v[54:55], v[144:145], v[34:35]
	ds_read2_b64 v[142:145], v132 offset0:50 offset1:51
	v_fma_f64 v[32:33], -v[54:55], v[146:147], v[32:33]
	v_fma_f64 v[30:31], -v[54:55], v[148:149], v[30:31]
	s_waitcnt lgkmcnt(0)
	v_fma_f64 v[28:29], -v[54:55], v[138:139], v[28:29]
	ds_read2_b64 v[146:149], v132 offset0:52 offset1:53
	v_fma_f64 v[26:27], -v[54:55], v[140:141], v[26:27]
	ds_read2_b64 v[138:141], v132 offset0:54 offset1:55
	v_fma_f64 v[24:25], -v[54:55], v[142:143], v[24:25]
	v_fma_f64 v[22:23], -v[54:55], v[144:145], v[22:23]
	s_waitcnt lgkmcnt(0)
	v_fma_f64 v[20:21], -v[54:55], v[146:147], v[20:21]
	v_fma_f64 v[18:19], -v[54:55], v[148:149], v[18:19]
	ds_read2_b64 v[142:145], v132 offset0:56 offset1:57
	ds_read2_b64 v[146:149], v132 offset0:58 offset1:59
	v_fma_f64 v[16:17], -v[54:55], v[138:139], v[16:17]
	v_fma_f64 v[14:15], -v[54:55], v[140:141], v[14:15]
	ds_read2_b64 v[138:141], v132 offset0:60 offset1:61
	s_waitcnt lgkmcnt(0)
	v_fma_f64 v[12:13], -v[54:55], v[142:143], v[12:13]
	v_fma_f64 v[10:11], -v[54:55], v[144:145], v[10:11]
	;; [unrolled: 1-line block ×6, first 2 shown]
.LBB122_607:
	s_or_b64 exec, exec, s[0:1]
	v_lshl_add_u32 v128, v133, 3, v132
	s_barrier
	ds_write_b64 v128, v[52:53]
	s_waitcnt lgkmcnt(0)
	s_barrier
	ds_read_b64 v[128:129], v132 offset:288
	s_cmp_lt_i32 s18, 38
	v_mov_b32_e32 v130, 36
	s_cbranch_scc1 .LBB122_610
; %bb.608:
	v_add_u32_e32 v137, 0x128, v132
	s_mov_b32 s0, 37
	v_mov_b32_e32 v130, 36
.LBB122_609:                            ; =>This Inner Loop Header: Depth=1
	ds_read_b64 v[138:139], v137
	v_mov_b32_e32 v140, s0
	s_add_i32 s0, s0, 1
	v_add_u32_e32 v137, 8, v137
	s_cmp_lg_u32 s18, s0
	s_waitcnt lgkmcnt(0)
	v_cmp_lt_f64_e64 vcc, |v[128:129]|, |v[138:139]|
	v_cndmask_b32_e32 v129, v129, v139, vcc
	v_cndmask_b32_e32 v128, v128, v138, vcc
	;; [unrolled: 1-line block ×3, first 2 shown]
	s_cbranch_scc1 .LBB122_609
.LBB122_610:
	s_waitcnt lgkmcnt(0)
	v_cmp_eq_f64_e32 vcc, 0, v[128:129]
	s_and_saveexec_b64 s[0:1], vcc
	s_xor_b64 s[0:1], exec, s[0:1]
; %bb.611:
	v_cmp_ne_u32_e32 vcc, 0, v136
	v_cndmask_b32_e32 v136, 37, v136, vcc
; %bb.612:
	s_andn2_saveexec_b64 s[0:1], s[0:1]
; %bb.613:
	v_div_scale_f64 v[138:139], s[2:3], v[128:129], v[128:129], 1.0
	v_rcp_f64_e32 v[140:141], v[138:139]
	v_div_scale_f64 v[142:143], vcc, 1.0, v[128:129], 1.0
	v_fma_f64 v[144:145], -v[138:139], v[140:141], 1.0
	v_fmac_f64_e32 v[140:141], v[140:141], v[144:145]
	v_fma_f64 v[144:145], -v[138:139], v[140:141], 1.0
	v_fmac_f64_e32 v[140:141], v[140:141], v[144:145]
	v_mul_f64 v[144:145], v[142:143], v[140:141]
	v_fma_f64 v[138:139], -v[138:139], v[144:145], v[142:143]
	v_div_fmas_f64 v[138:139], v[138:139], v[140:141], v[144:145]
	v_div_fixup_f64 v[128:129], v[138:139], v[128:129], 1.0
; %bb.614:
	s_or_b64 exec, exec, s[0:1]
	v_cmp_ne_u32_e32 vcc, v133, v130
	s_and_saveexec_b64 s[0:1], vcc
	s_xor_b64 s[0:1], exec, s[0:1]
	s_cbranch_execz .LBB122_620
; %bb.615:
	v_cmp_eq_u32_e32 vcc, 36, v133
	s_and_saveexec_b64 s[2:3], vcc
	s_cbranch_execz .LBB122_619
; %bb.616:
	v_cmp_ne_u32_e32 vcc, 36, v130
	s_xor_b64 s[14:15], s[6:7], -1
	s_and_b64 s[16:17], s[14:15], vcc
	s_and_saveexec_b64 s[14:15], s[16:17]
	s_cbranch_execz .LBB122_618
; %bb.617:
	v_ashrrev_i32_e32 v131, 31, v130
	v_lshlrev_b64 v[138:139], 2, v[130:131]
	v_add_co_u32_e32 v138, vcc, v4, v138
	v_addc_co_u32_e32 v139, vcc, v5, v139, vcc
	flat_load_dword v131, v[138:139]
	flat_load_dword v133, v[4:5] offset:144
	s_waitcnt vmcnt(0) lgkmcnt(0)
	flat_store_dword v[4:5], v131 offset:144
	flat_store_dword v[138:139], v133
.LBB122_618:
	s_or_b64 exec, exec, s[14:15]
	v_mov_b32_e32 v131, v130
	v_mov_b32_e32 v133, v130
.LBB122_619:
	s_or_b64 exec, exec, s[2:3]
.LBB122_620:
	s_andn2_saveexec_b64 s[0:1], s[0:1]
	s_cbranch_execz .LBB122_622
; %bb.621:
	v_mov_b32_e32 v133, 36
	ds_write2_b64 v132, v[50:51], v[48:49] offset0:37 offset1:38
	ds_write2_b64 v132, v[46:47], v[44:45] offset0:39 offset1:40
	;; [unrolled: 1-line block ×12, first 2 shown]
	ds_write_b64 v132, v[126:127] offset:488
.LBB122_622:
	s_or_b64 exec, exec, s[0:1]
	v_cmp_lt_i32_e32 vcc, 36, v133
	s_waitcnt lgkmcnt(0)
	s_barrier
	s_and_saveexec_b64 s[0:1], vcc
	s_cbranch_execz .LBB122_624
; %bb.623:
	ds_read2_b64 v[138:141], v132 offset0:37 offset1:38
	ds_read2_b64 v[142:145], v132 offset0:39 offset1:40
	;; [unrolled: 1-line block ×3, first 2 shown]
	v_mul_f64 v[52:53], v[128:129], v[52:53]
	ds_read_b64 v[128:129], v132 offset:488
	s_waitcnt lgkmcnt(0)
	v_fma_f64 v[50:51], -v[52:53], v[138:139], v[50:51]
	v_fma_f64 v[48:49], -v[52:53], v[140:141], v[48:49]
	ds_read2_b64 v[138:141], v132 offset0:43 offset1:44
	v_fma_f64 v[46:47], -v[52:53], v[142:143], v[46:47]
	v_fma_f64 v[44:45], -v[52:53], v[144:145], v[44:45]
	v_fma_f64 v[42:43], -v[52:53], v[146:147], v[42:43]
	ds_read2_b64 v[142:145], v132 offset0:45 offset1:46
	v_fma_f64 v[40:41], -v[52:53], v[148:149], v[40:41]
	ds_read2_b64 v[146:149], v132 offset0:47 offset1:48
	s_waitcnt lgkmcnt(0)
	v_fma_f64 v[38:39], -v[52:53], v[138:139], v[38:39]
	v_fma_f64 v[36:37], -v[52:53], v[140:141], v[36:37]
	;; [unrolled: 1-line block ×3, first 2 shown]
	ds_read2_b64 v[138:141], v132 offset0:49 offset1:50
	v_fma_f64 v[32:33], -v[52:53], v[144:145], v[32:33]
	ds_read2_b64 v[142:145], v132 offset0:51 offset1:52
	v_fma_f64 v[30:31], -v[52:53], v[146:147], v[30:31]
	v_fma_f64 v[28:29], -v[52:53], v[148:149], v[28:29]
	ds_read2_b64 v[146:149], v132 offset0:53 offset1:54
	s_waitcnt lgkmcnt(0)
	v_fma_f64 v[26:27], -v[52:53], v[138:139], v[26:27]
	v_fma_f64 v[24:25], -v[52:53], v[140:141], v[24:25]
	ds_read2_b64 v[138:141], v132 offset0:55 offset1:56
	v_fma_f64 v[22:23], -v[52:53], v[142:143], v[22:23]
	v_fma_f64 v[20:21], -v[52:53], v[144:145], v[20:21]
	;; [unrolled: 1-line block ×4, first 2 shown]
	ds_read2_b64 v[142:145], v132 offset0:57 offset1:58
	ds_read2_b64 v[146:149], v132 offset0:59 offset1:60
	s_waitcnt lgkmcnt(0)
	v_fma_f64 v[14:15], -v[52:53], v[138:139], v[14:15]
	v_fma_f64 v[12:13], -v[52:53], v[140:141], v[12:13]
	;; [unrolled: 1-line block ×7, first 2 shown]
.LBB122_624:
	s_or_b64 exec, exec, s[0:1]
	v_lshl_add_u32 v128, v133, 3, v132
	s_barrier
	ds_write_b64 v128, v[50:51]
	s_waitcnt lgkmcnt(0)
	s_barrier
	ds_read_b64 v[128:129], v132 offset:296
	s_cmp_lt_i32 s18, 39
	v_mov_b32_e32 v130, 37
	s_cbranch_scc1 .LBB122_627
; %bb.625:
	v_add_u32_e32 v137, 0x130, v132
	s_mov_b32 s0, 38
	v_mov_b32_e32 v130, 37
.LBB122_626:                            ; =>This Inner Loop Header: Depth=1
	ds_read_b64 v[138:139], v137
	v_mov_b32_e32 v140, s0
	s_add_i32 s0, s0, 1
	v_add_u32_e32 v137, 8, v137
	s_cmp_lg_u32 s18, s0
	s_waitcnt lgkmcnt(0)
	v_cmp_lt_f64_e64 vcc, |v[128:129]|, |v[138:139]|
	v_cndmask_b32_e32 v129, v129, v139, vcc
	v_cndmask_b32_e32 v128, v128, v138, vcc
	;; [unrolled: 1-line block ×3, first 2 shown]
	s_cbranch_scc1 .LBB122_626
.LBB122_627:
	s_waitcnt lgkmcnt(0)
	v_cmp_eq_f64_e32 vcc, 0, v[128:129]
	s_and_saveexec_b64 s[0:1], vcc
	s_xor_b64 s[0:1], exec, s[0:1]
; %bb.628:
	v_cmp_ne_u32_e32 vcc, 0, v136
	v_cndmask_b32_e32 v136, 38, v136, vcc
; %bb.629:
	s_andn2_saveexec_b64 s[0:1], s[0:1]
; %bb.630:
	v_div_scale_f64 v[138:139], s[2:3], v[128:129], v[128:129], 1.0
	v_rcp_f64_e32 v[140:141], v[138:139]
	v_div_scale_f64 v[142:143], vcc, 1.0, v[128:129], 1.0
	v_fma_f64 v[144:145], -v[138:139], v[140:141], 1.0
	v_fmac_f64_e32 v[140:141], v[140:141], v[144:145]
	v_fma_f64 v[144:145], -v[138:139], v[140:141], 1.0
	v_fmac_f64_e32 v[140:141], v[140:141], v[144:145]
	v_mul_f64 v[144:145], v[142:143], v[140:141]
	v_fma_f64 v[138:139], -v[138:139], v[144:145], v[142:143]
	v_div_fmas_f64 v[138:139], v[138:139], v[140:141], v[144:145]
	v_div_fixup_f64 v[128:129], v[138:139], v[128:129], 1.0
; %bb.631:
	s_or_b64 exec, exec, s[0:1]
	v_cmp_ne_u32_e32 vcc, v133, v130
	s_and_saveexec_b64 s[0:1], vcc
	s_xor_b64 s[0:1], exec, s[0:1]
	s_cbranch_execz .LBB122_637
; %bb.632:
	v_cmp_eq_u32_e32 vcc, 37, v133
	s_and_saveexec_b64 s[2:3], vcc
	s_cbranch_execz .LBB122_636
; %bb.633:
	v_cmp_ne_u32_e32 vcc, 37, v130
	s_xor_b64 s[14:15], s[6:7], -1
	s_and_b64 s[16:17], s[14:15], vcc
	s_and_saveexec_b64 s[14:15], s[16:17]
	s_cbranch_execz .LBB122_635
; %bb.634:
	v_ashrrev_i32_e32 v131, 31, v130
	v_lshlrev_b64 v[138:139], 2, v[130:131]
	v_add_co_u32_e32 v138, vcc, v4, v138
	v_addc_co_u32_e32 v139, vcc, v5, v139, vcc
	flat_load_dword v131, v[138:139]
	flat_load_dword v133, v[4:5] offset:148
	s_waitcnt vmcnt(0) lgkmcnt(0)
	flat_store_dword v[4:5], v131 offset:148
	flat_store_dword v[138:139], v133
.LBB122_635:
	s_or_b64 exec, exec, s[14:15]
	v_mov_b32_e32 v131, v130
	v_mov_b32_e32 v133, v130
.LBB122_636:
	s_or_b64 exec, exec, s[2:3]
.LBB122_637:
	s_andn2_saveexec_b64 s[0:1], s[0:1]
	s_cbranch_execz .LBB122_639
; %bb.638:
	v_mov_b32_e32 v138, v48
	v_mov_b32_e32 v139, v49
	v_mov_b32_e32 v140, v46
	v_mov_b32_e32 v141, v47
	ds_write2_b64 v132, v[138:139], v[140:141] offset0:38 offset1:39
	v_mov_b32_e32 v138, v44
	v_mov_b32_e32 v139, v45
	v_mov_b32_e32 v140, v42
	v_mov_b32_e32 v141, v43
	ds_write2_b64 v132, v[138:139], v[140:141] offset0:40 offset1:41
	;; [unrolled: 5-line block ×11, first 2 shown]
	v_mov_b32_e32 v138, v0
	v_mov_b32_e32 v139, v1
	;; [unrolled: 1-line block ×3, first 2 shown]
	ds_write2_b64 v132, v[138:139], v[126:127] offset0:60 offset1:61
.LBB122_639:
	s_or_b64 exec, exec, s[0:1]
	v_cmp_lt_i32_e32 vcc, 37, v133
	s_waitcnt lgkmcnt(0)
	s_barrier
	s_and_saveexec_b64 s[0:1], vcc
	s_cbranch_execz .LBB122_641
; %bb.640:
	ds_read2_b64 v[138:141], v132 offset0:38 offset1:39
	ds_read2_b64 v[142:145], v132 offset0:40 offset1:41
	;; [unrolled: 1-line block ×3, first 2 shown]
	v_mul_f64 v[50:51], v[128:129], v[50:51]
	s_waitcnt lgkmcnt(0)
	v_fma_f64 v[48:49], -v[50:51], v[138:139], v[48:49]
	v_fma_f64 v[46:47], -v[50:51], v[140:141], v[46:47]
	ds_read2_b64 v[138:141], v132 offset0:44 offset1:45
	v_fma_f64 v[44:45], -v[50:51], v[142:143], v[44:45]
	v_fma_f64 v[42:43], -v[50:51], v[144:145], v[42:43]
	;; [unrolled: 1-line block ×3, first 2 shown]
	ds_read2_b64 v[142:145], v132 offset0:46 offset1:47
	v_fma_f64 v[38:39], -v[50:51], v[148:149], v[38:39]
	ds_read2_b64 v[146:149], v132 offset0:48 offset1:49
	s_waitcnt lgkmcnt(0)
	v_fma_f64 v[36:37], -v[50:51], v[138:139], v[36:37]
	v_fma_f64 v[34:35], -v[50:51], v[140:141], v[34:35]
	;; [unrolled: 1-line block ×3, first 2 shown]
	ds_read2_b64 v[138:141], v132 offset0:50 offset1:51
	v_fma_f64 v[30:31], -v[50:51], v[144:145], v[30:31]
	ds_read2_b64 v[142:145], v132 offset0:52 offset1:53
	v_fma_f64 v[28:29], -v[50:51], v[146:147], v[28:29]
	v_fma_f64 v[26:27], -v[50:51], v[148:149], v[26:27]
	ds_read2_b64 v[146:149], v132 offset0:54 offset1:55
	s_waitcnt lgkmcnt(0)
	v_fma_f64 v[24:25], -v[50:51], v[138:139], v[24:25]
	v_fma_f64 v[22:23], -v[50:51], v[140:141], v[22:23]
	ds_read2_b64 v[138:141], v132 offset0:56 offset1:57
	v_fma_f64 v[20:21], -v[50:51], v[142:143], v[20:21]
	v_fma_f64 v[18:19], -v[50:51], v[144:145], v[18:19]
	;; [unrolled: 1-line block ×3, first 2 shown]
	ds_read2_b64 v[142:145], v132 offset0:58 offset1:59
	v_fma_f64 v[14:15], -v[50:51], v[148:149], v[14:15]
	ds_read2_b64 v[146:149], v132 offset0:60 offset1:61
	s_waitcnt lgkmcnt(0)
	v_fma_f64 v[12:13], -v[50:51], v[138:139], v[12:13]
	v_fma_f64 v[10:11], -v[50:51], v[140:141], v[10:11]
	v_fma_f64 v[8:9], -v[50:51], v[142:143], v[8:9]
	v_fma_f64 v[6:7], -v[50:51], v[144:145], v[6:7]
	v_fma_f64 v[0:1], -v[50:51], v[146:147], v[0:1]
	v_fma_f64 v[126:127], -v[50:51], v[148:149], v[126:127]
.LBB122_641:
	s_or_b64 exec, exec, s[0:1]
	v_lshl_add_u32 v128, v133, 3, v132
	s_barrier
	ds_write_b64 v128, v[48:49]
	s_waitcnt lgkmcnt(0)
	s_barrier
	ds_read_b64 v[128:129], v132 offset:304
	s_cmp_lt_i32 s18, 40
	v_mov_b32_e32 v130, 38
	s_cbranch_scc1 .LBB122_644
; %bb.642:
	v_add_u32_e32 v137, 0x138, v132
	s_mov_b32 s0, 39
	v_mov_b32_e32 v130, 38
.LBB122_643:                            ; =>This Inner Loop Header: Depth=1
	ds_read_b64 v[138:139], v137
	v_mov_b32_e32 v140, s0
	s_add_i32 s0, s0, 1
	v_add_u32_e32 v137, 8, v137
	s_cmp_lg_u32 s18, s0
	s_waitcnt lgkmcnt(0)
	v_cmp_lt_f64_e64 vcc, |v[128:129]|, |v[138:139]|
	v_cndmask_b32_e32 v129, v129, v139, vcc
	v_cndmask_b32_e32 v128, v128, v138, vcc
	;; [unrolled: 1-line block ×3, first 2 shown]
	s_cbranch_scc1 .LBB122_643
.LBB122_644:
	s_waitcnt lgkmcnt(0)
	v_cmp_eq_f64_e32 vcc, 0, v[128:129]
	s_and_saveexec_b64 s[0:1], vcc
	s_xor_b64 s[0:1], exec, s[0:1]
; %bb.645:
	v_cmp_ne_u32_e32 vcc, 0, v136
	v_cndmask_b32_e32 v136, 39, v136, vcc
; %bb.646:
	s_andn2_saveexec_b64 s[0:1], s[0:1]
; %bb.647:
	v_div_scale_f64 v[138:139], s[2:3], v[128:129], v[128:129], 1.0
	v_rcp_f64_e32 v[140:141], v[138:139]
	v_div_scale_f64 v[142:143], vcc, 1.0, v[128:129], 1.0
	v_fma_f64 v[144:145], -v[138:139], v[140:141], 1.0
	v_fmac_f64_e32 v[140:141], v[140:141], v[144:145]
	v_fma_f64 v[144:145], -v[138:139], v[140:141], 1.0
	v_fmac_f64_e32 v[140:141], v[140:141], v[144:145]
	v_mul_f64 v[144:145], v[142:143], v[140:141]
	v_fma_f64 v[138:139], -v[138:139], v[144:145], v[142:143]
	v_div_fmas_f64 v[138:139], v[138:139], v[140:141], v[144:145]
	v_div_fixup_f64 v[128:129], v[138:139], v[128:129], 1.0
; %bb.648:
	s_or_b64 exec, exec, s[0:1]
	v_cmp_ne_u32_e32 vcc, v133, v130
	s_and_saveexec_b64 s[0:1], vcc
	s_xor_b64 s[0:1], exec, s[0:1]
	s_cbranch_execz .LBB122_654
; %bb.649:
	v_cmp_eq_u32_e32 vcc, 38, v133
	s_and_saveexec_b64 s[2:3], vcc
	s_cbranch_execz .LBB122_653
; %bb.650:
	v_cmp_ne_u32_e32 vcc, 38, v130
	s_xor_b64 s[14:15], s[6:7], -1
	s_and_b64 s[16:17], s[14:15], vcc
	s_and_saveexec_b64 s[14:15], s[16:17]
	s_cbranch_execz .LBB122_652
; %bb.651:
	v_ashrrev_i32_e32 v131, 31, v130
	v_lshlrev_b64 v[138:139], 2, v[130:131]
	v_add_co_u32_e32 v138, vcc, v4, v138
	v_addc_co_u32_e32 v139, vcc, v5, v139, vcc
	flat_load_dword v131, v[138:139]
	flat_load_dword v133, v[4:5] offset:152
	s_waitcnt vmcnt(0) lgkmcnt(0)
	flat_store_dword v[4:5], v131 offset:152
	flat_store_dword v[138:139], v133
.LBB122_652:
	s_or_b64 exec, exec, s[14:15]
	v_mov_b32_e32 v131, v130
	v_mov_b32_e32 v133, v130
.LBB122_653:
	s_or_b64 exec, exec, s[2:3]
.LBB122_654:
	s_andn2_saveexec_b64 s[0:1], s[0:1]
	s_cbranch_execz .LBB122_656
; %bb.655:
	v_mov_b32_e32 v133, 38
	ds_write2_b64 v132, v[46:47], v[44:45] offset0:39 offset1:40
	ds_write2_b64 v132, v[42:43], v[40:41] offset0:41 offset1:42
	;; [unrolled: 1-line block ×11, first 2 shown]
	ds_write_b64 v132, v[126:127] offset:488
.LBB122_656:
	s_or_b64 exec, exec, s[0:1]
	v_cmp_lt_i32_e32 vcc, 38, v133
	s_waitcnt lgkmcnt(0)
	s_barrier
	s_and_saveexec_b64 s[0:1], vcc
	s_cbranch_execz .LBB122_658
; %bb.657:
	ds_read2_b64 v[138:141], v132 offset0:39 offset1:40
	ds_read2_b64 v[142:145], v132 offset0:41 offset1:42
	v_mul_f64 v[48:49], v[128:129], v[48:49]
	ds_read2_b64 v[146:149], v132 offset0:43 offset1:44
	ds_read_b64 v[128:129], v132 offset:488
	s_waitcnt lgkmcnt(0)
	v_fma_f64 v[46:47], -v[48:49], v[138:139], v[46:47]
	v_fma_f64 v[44:45], -v[48:49], v[140:141], v[44:45]
	ds_read2_b64 v[138:141], v132 offset0:45 offset1:46
	v_fma_f64 v[42:43], -v[48:49], v[142:143], v[42:43]
	v_fma_f64 v[40:41], -v[48:49], v[144:145], v[40:41]
	ds_read2_b64 v[142:145], v132 offset0:47 offset1:48
	;; [unrolled: 3-line block ×3, first 2 shown]
	s_waitcnt lgkmcnt(0)
	v_fma_f64 v[34:35], -v[48:49], v[138:139], v[34:35]
	v_fma_f64 v[32:33], -v[48:49], v[140:141], v[32:33]
	;; [unrolled: 1-line block ×3, first 2 shown]
	ds_read2_b64 v[138:141], v132 offset0:51 offset1:52
	v_fma_f64 v[28:29], -v[48:49], v[144:145], v[28:29]
	ds_read2_b64 v[142:145], v132 offset0:53 offset1:54
	v_fma_f64 v[26:27], -v[48:49], v[146:147], v[26:27]
	v_fma_f64 v[24:25], -v[48:49], v[148:149], v[24:25]
	s_waitcnt lgkmcnt(0)
	v_fma_f64 v[22:23], -v[48:49], v[138:139], v[22:23]
	ds_read2_b64 v[146:149], v132 offset0:55 offset1:56
	v_fma_f64 v[20:21], -v[48:49], v[140:141], v[20:21]
	ds_read2_b64 v[138:141], v132 offset0:57 offset1:58
	v_fma_f64 v[18:19], -v[48:49], v[142:143], v[18:19]
	v_fma_f64 v[16:17], -v[48:49], v[144:145], v[16:17]
	ds_read2_b64 v[142:145], v132 offset0:59 offset1:60
	s_waitcnt lgkmcnt(0)
	v_fma_f64 v[14:15], -v[48:49], v[146:147], v[14:15]
	v_fma_f64 v[12:13], -v[48:49], v[148:149], v[12:13]
	;; [unrolled: 1-line block ×7, first 2 shown]
.LBB122_658:
	s_or_b64 exec, exec, s[0:1]
	v_lshl_add_u32 v128, v133, 3, v132
	s_barrier
	ds_write_b64 v128, v[46:47]
	s_waitcnt lgkmcnt(0)
	s_barrier
	ds_read_b64 v[128:129], v132 offset:312
	s_cmp_lt_i32 s18, 41
	v_mov_b32_e32 v130, 39
	s_cbranch_scc1 .LBB122_661
; %bb.659:
	v_add_u32_e32 v137, 0x140, v132
	s_mov_b32 s0, 40
	v_mov_b32_e32 v130, 39
.LBB122_660:                            ; =>This Inner Loop Header: Depth=1
	ds_read_b64 v[138:139], v137
	v_mov_b32_e32 v140, s0
	s_add_i32 s0, s0, 1
	v_add_u32_e32 v137, 8, v137
	s_cmp_lg_u32 s18, s0
	s_waitcnt lgkmcnt(0)
	v_cmp_lt_f64_e64 vcc, |v[128:129]|, |v[138:139]|
	v_cndmask_b32_e32 v129, v129, v139, vcc
	v_cndmask_b32_e32 v128, v128, v138, vcc
	;; [unrolled: 1-line block ×3, first 2 shown]
	s_cbranch_scc1 .LBB122_660
.LBB122_661:
	s_waitcnt lgkmcnt(0)
	v_cmp_eq_f64_e32 vcc, 0, v[128:129]
	s_and_saveexec_b64 s[0:1], vcc
	s_xor_b64 s[0:1], exec, s[0:1]
; %bb.662:
	v_cmp_ne_u32_e32 vcc, 0, v136
	v_cndmask_b32_e32 v136, 40, v136, vcc
; %bb.663:
	s_andn2_saveexec_b64 s[0:1], s[0:1]
; %bb.664:
	v_div_scale_f64 v[138:139], s[2:3], v[128:129], v[128:129], 1.0
	v_rcp_f64_e32 v[140:141], v[138:139]
	v_div_scale_f64 v[142:143], vcc, 1.0, v[128:129], 1.0
	v_fma_f64 v[144:145], -v[138:139], v[140:141], 1.0
	v_fmac_f64_e32 v[140:141], v[140:141], v[144:145]
	v_fma_f64 v[144:145], -v[138:139], v[140:141], 1.0
	v_fmac_f64_e32 v[140:141], v[140:141], v[144:145]
	v_mul_f64 v[144:145], v[142:143], v[140:141]
	v_fma_f64 v[138:139], -v[138:139], v[144:145], v[142:143]
	v_div_fmas_f64 v[138:139], v[138:139], v[140:141], v[144:145]
	v_div_fixup_f64 v[128:129], v[138:139], v[128:129], 1.0
; %bb.665:
	s_or_b64 exec, exec, s[0:1]
	v_cmp_ne_u32_e32 vcc, v133, v130
	s_and_saveexec_b64 s[0:1], vcc
	s_xor_b64 s[0:1], exec, s[0:1]
	s_cbranch_execz .LBB122_671
; %bb.666:
	v_cmp_eq_u32_e32 vcc, 39, v133
	s_and_saveexec_b64 s[2:3], vcc
	s_cbranch_execz .LBB122_670
; %bb.667:
	v_cmp_ne_u32_e32 vcc, 39, v130
	s_xor_b64 s[14:15], s[6:7], -1
	s_and_b64 s[16:17], s[14:15], vcc
	s_and_saveexec_b64 s[14:15], s[16:17]
	s_cbranch_execz .LBB122_669
; %bb.668:
	v_ashrrev_i32_e32 v131, 31, v130
	v_lshlrev_b64 v[138:139], 2, v[130:131]
	v_add_co_u32_e32 v138, vcc, v4, v138
	v_addc_co_u32_e32 v139, vcc, v5, v139, vcc
	flat_load_dword v131, v[138:139]
	flat_load_dword v133, v[4:5] offset:156
	s_waitcnt vmcnt(0) lgkmcnt(0)
	flat_store_dword v[4:5], v131 offset:156
	flat_store_dword v[138:139], v133
.LBB122_669:
	s_or_b64 exec, exec, s[14:15]
	v_mov_b32_e32 v131, v130
	v_mov_b32_e32 v133, v130
.LBB122_670:
	s_or_b64 exec, exec, s[2:3]
.LBB122_671:
	s_andn2_saveexec_b64 s[0:1], s[0:1]
	s_cbranch_execz .LBB122_673
; %bb.672:
	v_mov_b32_e32 v138, v44
	v_mov_b32_e32 v139, v45
	v_mov_b32_e32 v140, v42
	v_mov_b32_e32 v141, v43
	ds_write2_b64 v132, v[138:139], v[140:141] offset0:40 offset1:41
	v_mov_b32_e32 v138, v40
	v_mov_b32_e32 v139, v41
	v_mov_b32_e32 v140, v38
	v_mov_b32_e32 v141, v39
	ds_write2_b64 v132, v[138:139], v[140:141] offset0:42 offset1:43
	;; [unrolled: 5-line block ×10, first 2 shown]
	v_mov_b32_e32 v138, v0
	v_mov_b32_e32 v139, v1
	;; [unrolled: 1-line block ×3, first 2 shown]
	ds_write2_b64 v132, v[138:139], v[126:127] offset0:60 offset1:61
.LBB122_673:
	s_or_b64 exec, exec, s[0:1]
	v_cmp_lt_i32_e32 vcc, 39, v133
	s_waitcnt lgkmcnt(0)
	s_barrier
	s_and_saveexec_b64 s[0:1], vcc
	s_cbranch_execz .LBB122_675
; %bb.674:
	ds_read2_b64 v[138:141], v132 offset0:40 offset1:41
	ds_read2_b64 v[142:145], v132 offset0:42 offset1:43
	v_mul_f64 v[46:47], v[128:129], v[46:47]
	ds_read2_b64 v[146:149], v132 offset0:44 offset1:45
	s_waitcnt lgkmcnt(0)
	v_fma_f64 v[44:45], -v[46:47], v[138:139], v[44:45]
	v_fma_f64 v[42:43], -v[46:47], v[140:141], v[42:43]
	ds_read2_b64 v[138:141], v132 offset0:46 offset1:47
	v_fma_f64 v[40:41], -v[46:47], v[142:143], v[40:41]
	v_fma_f64 v[38:39], -v[46:47], v[144:145], v[38:39]
	ds_read2_b64 v[142:145], v132 offset0:48 offset1:49
	;; [unrolled: 3-line block ×3, first 2 shown]
	s_waitcnt lgkmcnt(0)
	v_fma_f64 v[32:33], -v[46:47], v[138:139], v[32:33]
	v_fma_f64 v[30:31], -v[46:47], v[140:141], v[30:31]
	;; [unrolled: 1-line block ×3, first 2 shown]
	ds_read2_b64 v[138:141], v132 offset0:52 offset1:53
	v_fma_f64 v[26:27], -v[46:47], v[144:145], v[26:27]
	ds_read2_b64 v[142:145], v132 offset0:54 offset1:55
	v_fma_f64 v[24:25], -v[46:47], v[146:147], v[24:25]
	v_fma_f64 v[22:23], -v[46:47], v[148:149], v[22:23]
	s_waitcnt lgkmcnt(0)
	v_fma_f64 v[20:21], -v[46:47], v[138:139], v[20:21]
	v_fma_f64 v[18:19], -v[46:47], v[140:141], v[18:19]
	ds_read2_b64 v[138:141], v132 offset0:56 offset1:57
	ds_read2_b64 v[146:149], v132 offset0:58 offset1:59
	v_fma_f64 v[16:17], -v[46:47], v[142:143], v[16:17]
	v_fma_f64 v[14:15], -v[46:47], v[144:145], v[14:15]
	ds_read2_b64 v[142:145], v132 offset0:60 offset1:61
	s_waitcnt lgkmcnt(0)
	v_fma_f64 v[12:13], -v[46:47], v[138:139], v[12:13]
	v_fma_f64 v[10:11], -v[46:47], v[140:141], v[10:11]
	;; [unrolled: 1-line block ×6, first 2 shown]
.LBB122_675:
	s_or_b64 exec, exec, s[0:1]
	v_lshl_add_u32 v128, v133, 3, v132
	s_barrier
	ds_write_b64 v128, v[44:45]
	s_waitcnt lgkmcnt(0)
	s_barrier
	ds_read_b64 v[128:129], v132 offset:320
	s_cmp_lt_i32 s18, 42
	v_mov_b32_e32 v130, 40
	s_cbranch_scc1 .LBB122_678
; %bb.676:
	v_add_u32_e32 v137, 0x148, v132
	s_mov_b32 s0, 41
	v_mov_b32_e32 v130, 40
.LBB122_677:                            ; =>This Inner Loop Header: Depth=1
	ds_read_b64 v[138:139], v137
	v_mov_b32_e32 v140, s0
	s_add_i32 s0, s0, 1
	v_add_u32_e32 v137, 8, v137
	s_cmp_lg_u32 s18, s0
	s_waitcnt lgkmcnt(0)
	v_cmp_lt_f64_e64 vcc, |v[128:129]|, |v[138:139]|
	v_cndmask_b32_e32 v129, v129, v139, vcc
	v_cndmask_b32_e32 v128, v128, v138, vcc
	;; [unrolled: 1-line block ×3, first 2 shown]
	s_cbranch_scc1 .LBB122_677
.LBB122_678:
	s_waitcnt lgkmcnt(0)
	v_cmp_eq_f64_e32 vcc, 0, v[128:129]
	s_and_saveexec_b64 s[0:1], vcc
	s_xor_b64 s[0:1], exec, s[0:1]
; %bb.679:
	v_cmp_ne_u32_e32 vcc, 0, v136
	v_cndmask_b32_e32 v136, 41, v136, vcc
; %bb.680:
	s_andn2_saveexec_b64 s[0:1], s[0:1]
; %bb.681:
	v_div_scale_f64 v[138:139], s[2:3], v[128:129], v[128:129], 1.0
	v_rcp_f64_e32 v[140:141], v[138:139]
	v_div_scale_f64 v[142:143], vcc, 1.0, v[128:129], 1.0
	v_fma_f64 v[144:145], -v[138:139], v[140:141], 1.0
	v_fmac_f64_e32 v[140:141], v[140:141], v[144:145]
	v_fma_f64 v[144:145], -v[138:139], v[140:141], 1.0
	v_fmac_f64_e32 v[140:141], v[140:141], v[144:145]
	v_mul_f64 v[144:145], v[142:143], v[140:141]
	v_fma_f64 v[138:139], -v[138:139], v[144:145], v[142:143]
	v_div_fmas_f64 v[138:139], v[138:139], v[140:141], v[144:145]
	v_div_fixup_f64 v[128:129], v[138:139], v[128:129], 1.0
; %bb.682:
	s_or_b64 exec, exec, s[0:1]
	v_cmp_ne_u32_e32 vcc, v133, v130
	s_and_saveexec_b64 s[0:1], vcc
	s_xor_b64 s[0:1], exec, s[0:1]
	s_cbranch_execz .LBB122_688
; %bb.683:
	v_cmp_eq_u32_e32 vcc, 40, v133
	s_and_saveexec_b64 s[2:3], vcc
	s_cbranch_execz .LBB122_687
; %bb.684:
	v_cmp_ne_u32_e32 vcc, 40, v130
	s_xor_b64 s[14:15], s[6:7], -1
	s_and_b64 s[16:17], s[14:15], vcc
	s_and_saveexec_b64 s[14:15], s[16:17]
	s_cbranch_execz .LBB122_686
; %bb.685:
	v_ashrrev_i32_e32 v131, 31, v130
	v_lshlrev_b64 v[138:139], 2, v[130:131]
	v_add_co_u32_e32 v138, vcc, v4, v138
	v_addc_co_u32_e32 v139, vcc, v5, v139, vcc
	flat_load_dword v131, v[138:139]
	flat_load_dword v133, v[4:5] offset:160
	s_waitcnt vmcnt(0) lgkmcnt(0)
	flat_store_dword v[4:5], v131 offset:160
	flat_store_dword v[138:139], v133
.LBB122_686:
	s_or_b64 exec, exec, s[14:15]
	v_mov_b32_e32 v131, v130
	v_mov_b32_e32 v133, v130
.LBB122_687:
	s_or_b64 exec, exec, s[2:3]
.LBB122_688:
	s_andn2_saveexec_b64 s[0:1], s[0:1]
	s_cbranch_execz .LBB122_690
; %bb.689:
	v_mov_b32_e32 v133, 40
	ds_write2_b64 v132, v[42:43], v[40:41] offset0:41 offset1:42
	ds_write2_b64 v132, v[38:39], v[36:37] offset0:43 offset1:44
	ds_write2_b64 v132, v[34:35], v[32:33] offset0:45 offset1:46
	ds_write2_b64 v132, v[30:31], v[28:29] offset0:47 offset1:48
	ds_write2_b64 v132, v[26:27], v[24:25] offset0:49 offset1:50
	ds_write2_b64 v132, v[22:23], v[20:21] offset0:51 offset1:52
	ds_write2_b64 v132, v[18:19], v[16:17] offset0:53 offset1:54
	ds_write2_b64 v132, v[14:15], v[12:13] offset0:55 offset1:56
	ds_write2_b64 v132, v[10:11], v[8:9] offset0:57 offset1:58
	ds_write2_b64 v132, v[6:7], v[0:1] offset0:59 offset1:60
	ds_write_b64 v132, v[126:127] offset:488
.LBB122_690:
	s_or_b64 exec, exec, s[0:1]
	v_cmp_lt_i32_e32 vcc, 40, v133
	s_waitcnt lgkmcnt(0)
	s_barrier
	s_and_saveexec_b64 s[0:1], vcc
	s_cbranch_execz .LBB122_692
; %bb.691:
	ds_read2_b64 v[138:141], v132 offset0:41 offset1:42
	ds_read2_b64 v[142:145], v132 offset0:43 offset1:44
	v_mul_f64 v[44:45], v[128:129], v[44:45]
	ds_read2_b64 v[146:149], v132 offset0:45 offset1:46
	ds_read_b64 v[128:129], v132 offset:488
	s_waitcnt lgkmcnt(0)
	v_fma_f64 v[42:43], -v[44:45], v[138:139], v[42:43]
	v_fma_f64 v[40:41], -v[44:45], v[140:141], v[40:41]
	ds_read2_b64 v[138:141], v132 offset0:47 offset1:48
	v_fma_f64 v[38:39], -v[44:45], v[142:143], v[38:39]
	v_fma_f64 v[36:37], -v[44:45], v[144:145], v[36:37]
	;; [unrolled: 1-line block ×3, first 2 shown]
	ds_read2_b64 v[142:145], v132 offset0:49 offset1:50
	v_fma_f64 v[32:33], -v[44:45], v[148:149], v[32:33]
	ds_read2_b64 v[146:149], v132 offset0:51 offset1:52
	s_waitcnt lgkmcnt(0)
	v_fma_f64 v[30:31], -v[44:45], v[138:139], v[30:31]
	v_fma_f64 v[28:29], -v[44:45], v[140:141], v[28:29]
	ds_read2_b64 v[138:141], v132 offset0:53 offset1:54
	v_fma_f64 v[26:27], -v[44:45], v[142:143], v[26:27]
	v_fma_f64 v[24:25], -v[44:45], v[144:145], v[24:25]
	ds_read2_b64 v[142:145], v132 offset0:55 offset1:56
	v_fma_f64 v[22:23], -v[44:45], v[146:147], v[22:23]
	v_fma_f64 v[20:21], -v[44:45], v[148:149], v[20:21]
	s_waitcnt lgkmcnt(0)
	v_fma_f64 v[18:19], -v[44:45], v[138:139], v[18:19]
	v_fma_f64 v[16:17], -v[44:45], v[140:141], v[16:17]
	ds_read2_b64 v[138:141], v132 offset0:57 offset1:58
	ds_read2_b64 v[146:149], v132 offset0:59 offset1:60
	v_fma_f64 v[14:15], -v[44:45], v[142:143], v[14:15]
	v_fma_f64 v[12:13], -v[44:45], v[144:145], v[12:13]
	;; [unrolled: 1-line block ×3, first 2 shown]
	s_waitcnt lgkmcnt(0)
	v_fma_f64 v[10:11], -v[44:45], v[138:139], v[10:11]
	v_fma_f64 v[8:9], -v[44:45], v[140:141], v[8:9]
	;; [unrolled: 1-line block ×4, first 2 shown]
.LBB122_692:
	s_or_b64 exec, exec, s[0:1]
	v_lshl_add_u32 v128, v133, 3, v132
	s_barrier
	ds_write_b64 v128, v[42:43]
	s_waitcnt lgkmcnt(0)
	s_barrier
	ds_read_b64 v[128:129], v132 offset:328
	s_cmp_lt_i32 s18, 43
	v_mov_b32_e32 v130, 41
	s_cbranch_scc1 .LBB122_695
; %bb.693:
	v_add_u32_e32 v137, 0x150, v132
	s_mov_b32 s0, 42
	v_mov_b32_e32 v130, 41
.LBB122_694:                            ; =>This Inner Loop Header: Depth=1
	ds_read_b64 v[138:139], v137
	v_mov_b32_e32 v140, s0
	s_add_i32 s0, s0, 1
	v_add_u32_e32 v137, 8, v137
	s_cmp_lg_u32 s18, s0
	s_waitcnt lgkmcnt(0)
	v_cmp_lt_f64_e64 vcc, |v[128:129]|, |v[138:139]|
	v_cndmask_b32_e32 v129, v129, v139, vcc
	v_cndmask_b32_e32 v128, v128, v138, vcc
	;; [unrolled: 1-line block ×3, first 2 shown]
	s_cbranch_scc1 .LBB122_694
.LBB122_695:
	s_waitcnt lgkmcnt(0)
	v_cmp_eq_f64_e32 vcc, 0, v[128:129]
	s_and_saveexec_b64 s[0:1], vcc
	s_xor_b64 s[0:1], exec, s[0:1]
; %bb.696:
	v_cmp_ne_u32_e32 vcc, 0, v136
	v_cndmask_b32_e32 v136, 42, v136, vcc
; %bb.697:
	s_andn2_saveexec_b64 s[0:1], s[0:1]
; %bb.698:
	v_div_scale_f64 v[138:139], s[2:3], v[128:129], v[128:129], 1.0
	v_rcp_f64_e32 v[140:141], v[138:139]
	v_div_scale_f64 v[142:143], vcc, 1.0, v[128:129], 1.0
	v_fma_f64 v[144:145], -v[138:139], v[140:141], 1.0
	v_fmac_f64_e32 v[140:141], v[140:141], v[144:145]
	v_fma_f64 v[144:145], -v[138:139], v[140:141], 1.0
	v_fmac_f64_e32 v[140:141], v[140:141], v[144:145]
	v_mul_f64 v[144:145], v[142:143], v[140:141]
	v_fma_f64 v[138:139], -v[138:139], v[144:145], v[142:143]
	v_div_fmas_f64 v[138:139], v[138:139], v[140:141], v[144:145]
	v_div_fixup_f64 v[128:129], v[138:139], v[128:129], 1.0
; %bb.699:
	s_or_b64 exec, exec, s[0:1]
	v_cmp_ne_u32_e32 vcc, v133, v130
	s_and_saveexec_b64 s[0:1], vcc
	s_xor_b64 s[0:1], exec, s[0:1]
	s_cbranch_execz .LBB122_705
; %bb.700:
	v_cmp_eq_u32_e32 vcc, 41, v133
	s_and_saveexec_b64 s[2:3], vcc
	s_cbranch_execz .LBB122_704
; %bb.701:
	v_cmp_ne_u32_e32 vcc, 41, v130
	s_xor_b64 s[14:15], s[6:7], -1
	s_and_b64 s[16:17], s[14:15], vcc
	s_and_saveexec_b64 s[14:15], s[16:17]
	s_cbranch_execz .LBB122_703
; %bb.702:
	v_ashrrev_i32_e32 v131, 31, v130
	v_lshlrev_b64 v[138:139], 2, v[130:131]
	v_add_co_u32_e32 v138, vcc, v4, v138
	v_addc_co_u32_e32 v139, vcc, v5, v139, vcc
	flat_load_dword v131, v[138:139]
	flat_load_dword v133, v[4:5] offset:164
	s_waitcnt vmcnt(0) lgkmcnt(0)
	flat_store_dword v[4:5], v131 offset:164
	flat_store_dword v[138:139], v133
.LBB122_703:
	s_or_b64 exec, exec, s[14:15]
	v_mov_b32_e32 v131, v130
	v_mov_b32_e32 v133, v130
.LBB122_704:
	s_or_b64 exec, exec, s[2:3]
.LBB122_705:
	s_andn2_saveexec_b64 s[0:1], s[0:1]
	s_cbranch_execz .LBB122_707
; %bb.706:
	v_mov_b32_e32 v138, v40
	v_mov_b32_e32 v139, v41
	v_mov_b32_e32 v140, v38
	v_mov_b32_e32 v141, v39
	ds_write2_b64 v132, v[138:139], v[140:141] offset0:42 offset1:43
	v_mov_b32_e32 v138, v36
	v_mov_b32_e32 v139, v37
	v_mov_b32_e32 v140, v34
	v_mov_b32_e32 v141, v35
	ds_write2_b64 v132, v[138:139], v[140:141] offset0:44 offset1:45
	;; [unrolled: 5-line block ×9, first 2 shown]
	v_mov_b32_e32 v138, v0
	v_mov_b32_e32 v139, v1
	;; [unrolled: 1-line block ×3, first 2 shown]
	ds_write2_b64 v132, v[138:139], v[126:127] offset0:60 offset1:61
.LBB122_707:
	s_or_b64 exec, exec, s[0:1]
	v_cmp_lt_i32_e32 vcc, 41, v133
	s_waitcnt lgkmcnt(0)
	s_barrier
	s_and_saveexec_b64 s[0:1], vcc
	s_cbranch_execz .LBB122_709
; %bb.708:
	ds_read2_b64 v[138:141], v132 offset0:42 offset1:43
	ds_read2_b64 v[142:145], v132 offset0:44 offset1:45
	v_mul_f64 v[42:43], v[128:129], v[42:43]
	ds_read2_b64 v[146:149], v132 offset0:46 offset1:47
	s_waitcnt lgkmcnt(0)
	v_fma_f64 v[40:41], -v[42:43], v[138:139], v[40:41]
	v_fma_f64 v[38:39], -v[42:43], v[140:141], v[38:39]
	ds_read2_b64 v[138:141], v132 offset0:48 offset1:49
	v_fma_f64 v[36:37], -v[42:43], v[142:143], v[36:37]
	v_fma_f64 v[34:35], -v[42:43], v[144:145], v[34:35]
	;; [unrolled: 1-line block ×3, first 2 shown]
	ds_read2_b64 v[142:145], v132 offset0:50 offset1:51
	v_fma_f64 v[30:31], -v[42:43], v[148:149], v[30:31]
	ds_read2_b64 v[146:149], v132 offset0:52 offset1:53
	s_waitcnt lgkmcnt(0)
	v_fma_f64 v[28:29], -v[42:43], v[138:139], v[28:29]
	v_fma_f64 v[26:27], -v[42:43], v[140:141], v[26:27]
	ds_read2_b64 v[138:141], v132 offset0:54 offset1:55
	v_fma_f64 v[24:25], -v[42:43], v[142:143], v[24:25]
	v_fma_f64 v[22:23], -v[42:43], v[144:145], v[22:23]
	ds_read2_b64 v[142:145], v132 offset0:56 offset1:57
	v_fma_f64 v[20:21], -v[42:43], v[146:147], v[20:21]
	v_fma_f64 v[18:19], -v[42:43], v[148:149], v[18:19]
	s_waitcnt lgkmcnt(0)
	v_fma_f64 v[16:17], -v[42:43], v[138:139], v[16:17]
	ds_read2_b64 v[146:149], v132 offset0:58 offset1:59
	v_fma_f64 v[14:15], -v[42:43], v[140:141], v[14:15]
	ds_read2_b64 v[138:141], v132 offset0:60 offset1:61
	v_fma_f64 v[12:13], -v[42:43], v[142:143], v[12:13]
	v_fma_f64 v[10:11], -v[42:43], v[144:145], v[10:11]
	s_waitcnt lgkmcnt(0)
	v_fma_f64 v[8:9], -v[42:43], v[146:147], v[8:9]
	v_fma_f64 v[6:7], -v[42:43], v[148:149], v[6:7]
	;; [unrolled: 1-line block ×4, first 2 shown]
.LBB122_709:
	s_or_b64 exec, exec, s[0:1]
	v_lshl_add_u32 v128, v133, 3, v132
	s_barrier
	ds_write_b64 v128, v[40:41]
	s_waitcnt lgkmcnt(0)
	s_barrier
	ds_read_b64 v[128:129], v132 offset:336
	s_cmp_lt_i32 s18, 44
	v_mov_b32_e32 v130, 42
	s_cbranch_scc1 .LBB122_712
; %bb.710:
	v_add_u32_e32 v137, 0x158, v132
	s_mov_b32 s0, 43
	v_mov_b32_e32 v130, 42
.LBB122_711:                            ; =>This Inner Loop Header: Depth=1
	ds_read_b64 v[138:139], v137
	v_mov_b32_e32 v140, s0
	s_add_i32 s0, s0, 1
	v_add_u32_e32 v137, 8, v137
	s_cmp_lg_u32 s18, s0
	s_waitcnt lgkmcnt(0)
	v_cmp_lt_f64_e64 vcc, |v[128:129]|, |v[138:139]|
	v_cndmask_b32_e32 v129, v129, v139, vcc
	v_cndmask_b32_e32 v128, v128, v138, vcc
	;; [unrolled: 1-line block ×3, first 2 shown]
	s_cbranch_scc1 .LBB122_711
.LBB122_712:
	s_waitcnt lgkmcnt(0)
	v_cmp_eq_f64_e32 vcc, 0, v[128:129]
	s_and_saveexec_b64 s[0:1], vcc
	s_xor_b64 s[0:1], exec, s[0:1]
; %bb.713:
	v_cmp_ne_u32_e32 vcc, 0, v136
	v_cndmask_b32_e32 v136, 43, v136, vcc
; %bb.714:
	s_andn2_saveexec_b64 s[0:1], s[0:1]
; %bb.715:
	v_div_scale_f64 v[138:139], s[2:3], v[128:129], v[128:129], 1.0
	v_rcp_f64_e32 v[140:141], v[138:139]
	v_div_scale_f64 v[142:143], vcc, 1.0, v[128:129], 1.0
	v_fma_f64 v[144:145], -v[138:139], v[140:141], 1.0
	v_fmac_f64_e32 v[140:141], v[140:141], v[144:145]
	v_fma_f64 v[144:145], -v[138:139], v[140:141], 1.0
	v_fmac_f64_e32 v[140:141], v[140:141], v[144:145]
	v_mul_f64 v[144:145], v[142:143], v[140:141]
	v_fma_f64 v[138:139], -v[138:139], v[144:145], v[142:143]
	v_div_fmas_f64 v[138:139], v[138:139], v[140:141], v[144:145]
	v_div_fixup_f64 v[128:129], v[138:139], v[128:129], 1.0
; %bb.716:
	s_or_b64 exec, exec, s[0:1]
	v_cmp_ne_u32_e32 vcc, v133, v130
	s_and_saveexec_b64 s[0:1], vcc
	s_xor_b64 s[0:1], exec, s[0:1]
	s_cbranch_execz .LBB122_722
; %bb.717:
	v_cmp_eq_u32_e32 vcc, 42, v133
	s_and_saveexec_b64 s[2:3], vcc
	s_cbranch_execz .LBB122_721
; %bb.718:
	v_cmp_ne_u32_e32 vcc, 42, v130
	s_xor_b64 s[14:15], s[6:7], -1
	s_and_b64 s[16:17], s[14:15], vcc
	s_and_saveexec_b64 s[14:15], s[16:17]
	s_cbranch_execz .LBB122_720
; %bb.719:
	v_ashrrev_i32_e32 v131, 31, v130
	v_lshlrev_b64 v[138:139], 2, v[130:131]
	v_add_co_u32_e32 v138, vcc, v4, v138
	v_addc_co_u32_e32 v139, vcc, v5, v139, vcc
	flat_load_dword v131, v[138:139]
	flat_load_dword v133, v[4:5] offset:168
	s_waitcnt vmcnt(0) lgkmcnt(0)
	flat_store_dword v[4:5], v131 offset:168
	flat_store_dword v[138:139], v133
.LBB122_720:
	s_or_b64 exec, exec, s[14:15]
	v_mov_b32_e32 v131, v130
	v_mov_b32_e32 v133, v130
.LBB122_721:
	s_or_b64 exec, exec, s[2:3]
.LBB122_722:
	s_andn2_saveexec_b64 s[0:1], s[0:1]
	s_cbranch_execz .LBB122_724
; %bb.723:
	v_mov_b32_e32 v133, 42
	ds_write2_b64 v132, v[38:39], v[36:37] offset0:43 offset1:44
	ds_write2_b64 v132, v[34:35], v[32:33] offset0:45 offset1:46
	;; [unrolled: 1-line block ×9, first 2 shown]
	ds_write_b64 v132, v[126:127] offset:488
.LBB122_724:
	s_or_b64 exec, exec, s[0:1]
	v_cmp_lt_i32_e32 vcc, 42, v133
	s_waitcnt lgkmcnt(0)
	s_barrier
	s_and_saveexec_b64 s[0:1], vcc
	s_cbranch_execz .LBB122_726
; %bb.725:
	ds_read2_b64 v[138:141], v132 offset0:43 offset1:44
	ds_read2_b64 v[142:145], v132 offset0:45 offset1:46
	;; [unrolled: 1-line block ×3, first 2 shown]
	v_mul_f64 v[40:41], v[128:129], v[40:41]
	ds_read_b64 v[128:129], v132 offset:488
	s_waitcnt lgkmcnt(0)
	v_fma_f64 v[38:39], -v[40:41], v[138:139], v[38:39]
	v_fma_f64 v[36:37], -v[40:41], v[140:141], v[36:37]
	ds_read2_b64 v[138:141], v132 offset0:49 offset1:50
	v_fma_f64 v[34:35], -v[40:41], v[142:143], v[34:35]
	v_fma_f64 v[32:33], -v[40:41], v[144:145], v[32:33]
	;; [unrolled: 1-line block ×3, first 2 shown]
	ds_read2_b64 v[142:145], v132 offset0:51 offset1:52
	v_fma_f64 v[28:29], -v[40:41], v[148:149], v[28:29]
	ds_read2_b64 v[146:149], v132 offset0:53 offset1:54
	s_waitcnt lgkmcnt(0)
	v_fma_f64 v[26:27], -v[40:41], v[138:139], v[26:27]
	v_fma_f64 v[24:25], -v[40:41], v[140:141], v[24:25]
	;; [unrolled: 1-line block ×3, first 2 shown]
	ds_read2_b64 v[138:141], v132 offset0:55 offset1:56
	v_fma_f64 v[20:21], -v[40:41], v[144:145], v[20:21]
	ds_read2_b64 v[142:145], v132 offset0:57 offset1:58
	v_fma_f64 v[18:19], -v[40:41], v[146:147], v[18:19]
	v_fma_f64 v[16:17], -v[40:41], v[148:149], v[16:17]
	ds_read2_b64 v[146:149], v132 offset0:59 offset1:60
	s_waitcnt lgkmcnt(0)
	v_fma_f64 v[14:15], -v[40:41], v[138:139], v[14:15]
	v_fma_f64 v[12:13], -v[40:41], v[140:141], v[12:13]
	;; [unrolled: 1-line block ×7, first 2 shown]
.LBB122_726:
	s_or_b64 exec, exec, s[0:1]
	v_lshl_add_u32 v128, v133, 3, v132
	s_barrier
	ds_write_b64 v128, v[38:39]
	s_waitcnt lgkmcnt(0)
	s_barrier
	ds_read_b64 v[128:129], v132 offset:344
	s_cmp_lt_i32 s18, 45
	v_mov_b32_e32 v130, 43
	s_cbranch_scc1 .LBB122_729
; %bb.727:
	v_add_u32_e32 v137, 0x160, v132
	s_mov_b32 s0, 44
	v_mov_b32_e32 v130, 43
.LBB122_728:                            ; =>This Inner Loop Header: Depth=1
	ds_read_b64 v[138:139], v137
	v_mov_b32_e32 v140, s0
	s_add_i32 s0, s0, 1
	v_add_u32_e32 v137, 8, v137
	s_cmp_lg_u32 s18, s0
	s_waitcnt lgkmcnt(0)
	v_cmp_lt_f64_e64 vcc, |v[128:129]|, |v[138:139]|
	v_cndmask_b32_e32 v129, v129, v139, vcc
	v_cndmask_b32_e32 v128, v128, v138, vcc
	;; [unrolled: 1-line block ×3, first 2 shown]
	s_cbranch_scc1 .LBB122_728
.LBB122_729:
	s_waitcnt lgkmcnt(0)
	v_cmp_eq_f64_e32 vcc, 0, v[128:129]
	s_and_saveexec_b64 s[0:1], vcc
	s_xor_b64 s[0:1], exec, s[0:1]
; %bb.730:
	v_cmp_ne_u32_e32 vcc, 0, v136
	v_cndmask_b32_e32 v136, 44, v136, vcc
; %bb.731:
	s_andn2_saveexec_b64 s[0:1], s[0:1]
; %bb.732:
	v_div_scale_f64 v[138:139], s[2:3], v[128:129], v[128:129], 1.0
	v_rcp_f64_e32 v[140:141], v[138:139]
	v_div_scale_f64 v[142:143], vcc, 1.0, v[128:129], 1.0
	v_fma_f64 v[144:145], -v[138:139], v[140:141], 1.0
	v_fmac_f64_e32 v[140:141], v[140:141], v[144:145]
	v_fma_f64 v[144:145], -v[138:139], v[140:141], 1.0
	v_fmac_f64_e32 v[140:141], v[140:141], v[144:145]
	v_mul_f64 v[144:145], v[142:143], v[140:141]
	v_fma_f64 v[138:139], -v[138:139], v[144:145], v[142:143]
	v_div_fmas_f64 v[138:139], v[138:139], v[140:141], v[144:145]
	v_div_fixup_f64 v[128:129], v[138:139], v[128:129], 1.0
; %bb.733:
	s_or_b64 exec, exec, s[0:1]
	v_cmp_ne_u32_e32 vcc, v133, v130
	s_and_saveexec_b64 s[0:1], vcc
	s_xor_b64 s[0:1], exec, s[0:1]
	s_cbranch_execz .LBB122_739
; %bb.734:
	v_cmp_eq_u32_e32 vcc, 43, v133
	s_and_saveexec_b64 s[2:3], vcc
	s_cbranch_execz .LBB122_738
; %bb.735:
	v_cmp_ne_u32_e32 vcc, 43, v130
	s_xor_b64 s[14:15], s[6:7], -1
	s_and_b64 s[16:17], s[14:15], vcc
	s_and_saveexec_b64 s[14:15], s[16:17]
	s_cbranch_execz .LBB122_737
; %bb.736:
	v_ashrrev_i32_e32 v131, 31, v130
	v_lshlrev_b64 v[138:139], 2, v[130:131]
	v_add_co_u32_e32 v138, vcc, v4, v138
	v_addc_co_u32_e32 v139, vcc, v5, v139, vcc
	flat_load_dword v131, v[138:139]
	flat_load_dword v133, v[4:5] offset:172
	s_waitcnt vmcnt(0) lgkmcnt(0)
	flat_store_dword v[4:5], v131 offset:172
	flat_store_dword v[138:139], v133
.LBB122_737:
	s_or_b64 exec, exec, s[14:15]
	v_mov_b32_e32 v131, v130
	v_mov_b32_e32 v133, v130
.LBB122_738:
	s_or_b64 exec, exec, s[2:3]
.LBB122_739:
	s_andn2_saveexec_b64 s[0:1], s[0:1]
	s_cbranch_execz .LBB122_741
; %bb.740:
	v_mov_b32_e32 v138, v36
	v_mov_b32_e32 v139, v37
	v_mov_b32_e32 v140, v34
	v_mov_b32_e32 v141, v35
	ds_write2_b64 v132, v[138:139], v[140:141] offset0:44 offset1:45
	v_mov_b32_e32 v138, v32
	v_mov_b32_e32 v139, v33
	v_mov_b32_e32 v140, v30
	v_mov_b32_e32 v141, v31
	ds_write2_b64 v132, v[138:139], v[140:141] offset0:46 offset1:47
	;; [unrolled: 5-line block ×8, first 2 shown]
	v_mov_b32_e32 v138, v0
	v_mov_b32_e32 v139, v1
	;; [unrolled: 1-line block ×3, first 2 shown]
	ds_write2_b64 v132, v[138:139], v[126:127] offset0:60 offset1:61
.LBB122_741:
	s_or_b64 exec, exec, s[0:1]
	v_cmp_lt_i32_e32 vcc, 43, v133
	s_waitcnt lgkmcnt(0)
	s_barrier
	s_and_saveexec_b64 s[0:1], vcc
	s_cbranch_execz .LBB122_743
; %bb.742:
	ds_read2_b64 v[138:141], v132 offset0:44 offset1:45
	ds_read2_b64 v[142:145], v132 offset0:46 offset1:47
	;; [unrolled: 1-line block ×3, first 2 shown]
	v_mul_f64 v[38:39], v[128:129], v[38:39]
	s_waitcnt lgkmcnt(0)
	v_fma_f64 v[36:37], -v[38:39], v[138:139], v[36:37]
	v_fma_f64 v[34:35], -v[38:39], v[140:141], v[34:35]
	ds_read2_b64 v[138:141], v132 offset0:50 offset1:51
	v_fma_f64 v[32:33], -v[38:39], v[142:143], v[32:33]
	v_fma_f64 v[30:31], -v[38:39], v[144:145], v[30:31]
	;; [unrolled: 1-line block ×3, first 2 shown]
	ds_read2_b64 v[142:145], v132 offset0:52 offset1:53
	v_fma_f64 v[26:27], -v[38:39], v[148:149], v[26:27]
	ds_read2_b64 v[146:149], v132 offset0:54 offset1:55
	s_waitcnt lgkmcnt(0)
	v_fma_f64 v[24:25], -v[38:39], v[138:139], v[24:25]
	v_fma_f64 v[22:23], -v[38:39], v[140:141], v[22:23]
	;; [unrolled: 1-line block ×4, first 2 shown]
	ds_read2_b64 v[138:141], v132 offset0:56 offset1:57
	ds_read2_b64 v[142:145], v132 offset0:58 offset1:59
	v_fma_f64 v[16:17], -v[38:39], v[146:147], v[16:17]
	v_fma_f64 v[14:15], -v[38:39], v[148:149], v[14:15]
	ds_read2_b64 v[146:149], v132 offset0:60 offset1:61
	s_waitcnt lgkmcnt(0)
	v_fma_f64 v[12:13], -v[38:39], v[138:139], v[12:13]
	v_fma_f64 v[10:11], -v[38:39], v[140:141], v[10:11]
	;; [unrolled: 1-line block ×6, first 2 shown]
.LBB122_743:
	s_or_b64 exec, exec, s[0:1]
	v_lshl_add_u32 v128, v133, 3, v132
	s_barrier
	ds_write_b64 v128, v[36:37]
	s_waitcnt lgkmcnt(0)
	s_barrier
	ds_read_b64 v[128:129], v132 offset:352
	s_cmp_lt_i32 s18, 46
	v_mov_b32_e32 v130, 44
	s_cbranch_scc1 .LBB122_746
; %bb.744:
	v_add_u32_e32 v137, 0x168, v132
	s_mov_b32 s0, 45
	v_mov_b32_e32 v130, 44
.LBB122_745:                            ; =>This Inner Loop Header: Depth=1
	ds_read_b64 v[138:139], v137
	v_mov_b32_e32 v140, s0
	s_add_i32 s0, s0, 1
	v_add_u32_e32 v137, 8, v137
	s_cmp_lg_u32 s18, s0
	s_waitcnt lgkmcnt(0)
	v_cmp_lt_f64_e64 vcc, |v[128:129]|, |v[138:139]|
	v_cndmask_b32_e32 v129, v129, v139, vcc
	v_cndmask_b32_e32 v128, v128, v138, vcc
	;; [unrolled: 1-line block ×3, first 2 shown]
	s_cbranch_scc1 .LBB122_745
.LBB122_746:
	s_waitcnt lgkmcnt(0)
	v_cmp_eq_f64_e32 vcc, 0, v[128:129]
	s_and_saveexec_b64 s[0:1], vcc
	s_xor_b64 s[0:1], exec, s[0:1]
; %bb.747:
	v_cmp_ne_u32_e32 vcc, 0, v136
	v_cndmask_b32_e32 v136, 45, v136, vcc
; %bb.748:
	s_andn2_saveexec_b64 s[0:1], s[0:1]
; %bb.749:
	v_div_scale_f64 v[138:139], s[2:3], v[128:129], v[128:129], 1.0
	v_rcp_f64_e32 v[140:141], v[138:139]
	v_div_scale_f64 v[142:143], vcc, 1.0, v[128:129], 1.0
	v_fma_f64 v[144:145], -v[138:139], v[140:141], 1.0
	v_fmac_f64_e32 v[140:141], v[140:141], v[144:145]
	v_fma_f64 v[144:145], -v[138:139], v[140:141], 1.0
	v_fmac_f64_e32 v[140:141], v[140:141], v[144:145]
	v_mul_f64 v[144:145], v[142:143], v[140:141]
	v_fma_f64 v[138:139], -v[138:139], v[144:145], v[142:143]
	v_div_fmas_f64 v[138:139], v[138:139], v[140:141], v[144:145]
	v_div_fixup_f64 v[128:129], v[138:139], v[128:129], 1.0
; %bb.750:
	s_or_b64 exec, exec, s[0:1]
	v_cmp_ne_u32_e32 vcc, v133, v130
	s_and_saveexec_b64 s[0:1], vcc
	s_xor_b64 s[0:1], exec, s[0:1]
	s_cbranch_execz .LBB122_756
; %bb.751:
	v_cmp_eq_u32_e32 vcc, 44, v133
	s_and_saveexec_b64 s[2:3], vcc
	s_cbranch_execz .LBB122_755
; %bb.752:
	v_cmp_ne_u32_e32 vcc, 44, v130
	s_xor_b64 s[14:15], s[6:7], -1
	s_and_b64 s[16:17], s[14:15], vcc
	s_and_saveexec_b64 s[14:15], s[16:17]
	s_cbranch_execz .LBB122_754
; %bb.753:
	v_ashrrev_i32_e32 v131, 31, v130
	v_lshlrev_b64 v[138:139], 2, v[130:131]
	v_add_co_u32_e32 v138, vcc, v4, v138
	v_addc_co_u32_e32 v139, vcc, v5, v139, vcc
	flat_load_dword v131, v[138:139]
	flat_load_dword v133, v[4:5] offset:176
	s_waitcnt vmcnt(0) lgkmcnt(0)
	flat_store_dword v[4:5], v131 offset:176
	flat_store_dword v[138:139], v133
.LBB122_754:
	s_or_b64 exec, exec, s[14:15]
	v_mov_b32_e32 v131, v130
	v_mov_b32_e32 v133, v130
.LBB122_755:
	s_or_b64 exec, exec, s[2:3]
.LBB122_756:
	s_andn2_saveexec_b64 s[0:1], s[0:1]
	s_cbranch_execz .LBB122_758
; %bb.757:
	v_mov_b32_e32 v133, 44
	ds_write2_b64 v132, v[34:35], v[32:33] offset0:45 offset1:46
	ds_write2_b64 v132, v[30:31], v[28:29] offset0:47 offset1:48
	;; [unrolled: 1-line block ×8, first 2 shown]
	ds_write_b64 v132, v[126:127] offset:488
.LBB122_758:
	s_or_b64 exec, exec, s[0:1]
	v_cmp_lt_i32_e32 vcc, 44, v133
	s_waitcnt lgkmcnt(0)
	s_barrier
	s_and_saveexec_b64 s[0:1], vcc
	s_cbranch_execz .LBB122_760
; %bb.759:
	ds_read2_b64 v[138:141], v132 offset0:45 offset1:46
	ds_read2_b64 v[142:145], v132 offset0:47 offset1:48
	v_mul_f64 v[36:37], v[128:129], v[36:37]
	ds_read2_b64 v[146:149], v132 offset0:49 offset1:50
	ds_read_b64 v[128:129], v132 offset:488
	s_waitcnt lgkmcnt(0)
	v_fma_f64 v[34:35], -v[36:37], v[138:139], v[34:35]
	v_fma_f64 v[32:33], -v[36:37], v[140:141], v[32:33]
	ds_read2_b64 v[138:141], v132 offset0:51 offset1:52
	v_fma_f64 v[30:31], -v[36:37], v[142:143], v[30:31]
	v_fma_f64 v[28:29], -v[36:37], v[144:145], v[28:29]
	ds_read2_b64 v[142:145], v132 offset0:53 offset1:54
	;; [unrolled: 3-line block ×3, first 2 shown]
	s_waitcnt lgkmcnt(0)
	v_fma_f64 v[22:23], -v[36:37], v[138:139], v[22:23]
	v_fma_f64 v[20:21], -v[36:37], v[140:141], v[20:21]
	;; [unrolled: 1-line block ×4, first 2 shown]
	ds_read2_b64 v[138:141], v132 offset0:57 offset1:58
	ds_read2_b64 v[142:145], v132 offset0:59 offset1:60
	v_fma_f64 v[14:15], -v[36:37], v[146:147], v[14:15]
	v_fma_f64 v[12:13], -v[36:37], v[148:149], v[12:13]
	v_fma_f64 v[126:127], -v[36:37], v[128:129], v[126:127]
	s_waitcnt lgkmcnt(0)
	v_fma_f64 v[10:11], -v[36:37], v[138:139], v[10:11]
	v_fma_f64 v[8:9], -v[36:37], v[140:141], v[8:9]
	;; [unrolled: 1-line block ×4, first 2 shown]
.LBB122_760:
	s_or_b64 exec, exec, s[0:1]
	v_lshl_add_u32 v128, v133, 3, v132
	s_barrier
	ds_write_b64 v128, v[34:35]
	s_waitcnt lgkmcnt(0)
	s_barrier
	ds_read_b64 v[128:129], v132 offset:360
	s_cmp_lt_i32 s18, 47
	v_mov_b32_e32 v130, 45
	s_cbranch_scc1 .LBB122_763
; %bb.761:
	v_add_u32_e32 v137, 0x170, v132
	s_mov_b32 s0, 46
	v_mov_b32_e32 v130, 45
.LBB122_762:                            ; =>This Inner Loop Header: Depth=1
	ds_read_b64 v[138:139], v137
	v_mov_b32_e32 v140, s0
	s_add_i32 s0, s0, 1
	v_add_u32_e32 v137, 8, v137
	s_cmp_lg_u32 s18, s0
	s_waitcnt lgkmcnt(0)
	v_cmp_lt_f64_e64 vcc, |v[128:129]|, |v[138:139]|
	v_cndmask_b32_e32 v129, v129, v139, vcc
	v_cndmask_b32_e32 v128, v128, v138, vcc
	;; [unrolled: 1-line block ×3, first 2 shown]
	s_cbranch_scc1 .LBB122_762
.LBB122_763:
	s_waitcnt lgkmcnt(0)
	v_cmp_eq_f64_e32 vcc, 0, v[128:129]
	s_and_saveexec_b64 s[0:1], vcc
	s_xor_b64 s[0:1], exec, s[0:1]
; %bb.764:
	v_cmp_ne_u32_e32 vcc, 0, v136
	v_cndmask_b32_e32 v136, 46, v136, vcc
; %bb.765:
	s_andn2_saveexec_b64 s[0:1], s[0:1]
; %bb.766:
	v_div_scale_f64 v[138:139], s[2:3], v[128:129], v[128:129], 1.0
	v_rcp_f64_e32 v[140:141], v[138:139]
	v_div_scale_f64 v[142:143], vcc, 1.0, v[128:129], 1.0
	v_fma_f64 v[144:145], -v[138:139], v[140:141], 1.0
	v_fmac_f64_e32 v[140:141], v[140:141], v[144:145]
	v_fma_f64 v[144:145], -v[138:139], v[140:141], 1.0
	v_fmac_f64_e32 v[140:141], v[140:141], v[144:145]
	v_mul_f64 v[144:145], v[142:143], v[140:141]
	v_fma_f64 v[138:139], -v[138:139], v[144:145], v[142:143]
	v_div_fmas_f64 v[138:139], v[138:139], v[140:141], v[144:145]
	v_div_fixup_f64 v[128:129], v[138:139], v[128:129], 1.0
; %bb.767:
	s_or_b64 exec, exec, s[0:1]
	v_cmp_ne_u32_e32 vcc, v133, v130
	s_and_saveexec_b64 s[0:1], vcc
	s_xor_b64 s[0:1], exec, s[0:1]
	s_cbranch_execz .LBB122_773
; %bb.768:
	v_cmp_eq_u32_e32 vcc, 45, v133
	s_and_saveexec_b64 s[2:3], vcc
	s_cbranch_execz .LBB122_772
; %bb.769:
	v_cmp_ne_u32_e32 vcc, 45, v130
	s_xor_b64 s[14:15], s[6:7], -1
	s_and_b64 s[16:17], s[14:15], vcc
	s_and_saveexec_b64 s[14:15], s[16:17]
	s_cbranch_execz .LBB122_771
; %bb.770:
	v_ashrrev_i32_e32 v131, 31, v130
	v_lshlrev_b64 v[138:139], 2, v[130:131]
	v_add_co_u32_e32 v138, vcc, v4, v138
	v_addc_co_u32_e32 v139, vcc, v5, v139, vcc
	flat_load_dword v131, v[138:139]
	flat_load_dword v133, v[4:5] offset:180
	s_waitcnt vmcnt(0) lgkmcnt(0)
	flat_store_dword v[4:5], v131 offset:180
	flat_store_dword v[138:139], v133
.LBB122_771:
	s_or_b64 exec, exec, s[14:15]
	v_mov_b32_e32 v131, v130
	v_mov_b32_e32 v133, v130
.LBB122_772:
	s_or_b64 exec, exec, s[2:3]
.LBB122_773:
	s_andn2_saveexec_b64 s[0:1], s[0:1]
	s_cbranch_execz .LBB122_775
; %bb.774:
	v_mov_b32_e32 v138, v32
	v_mov_b32_e32 v139, v33
	v_mov_b32_e32 v140, v30
	v_mov_b32_e32 v141, v31
	ds_write2_b64 v132, v[138:139], v[140:141] offset0:46 offset1:47
	v_mov_b32_e32 v138, v28
	v_mov_b32_e32 v139, v29
	v_mov_b32_e32 v140, v26
	v_mov_b32_e32 v141, v27
	ds_write2_b64 v132, v[138:139], v[140:141] offset0:48 offset1:49
	;; [unrolled: 5-line block ×7, first 2 shown]
	v_mov_b32_e32 v138, v0
	v_mov_b32_e32 v139, v1
	;; [unrolled: 1-line block ×3, first 2 shown]
	ds_write2_b64 v132, v[138:139], v[126:127] offset0:60 offset1:61
.LBB122_775:
	s_or_b64 exec, exec, s[0:1]
	v_cmp_lt_i32_e32 vcc, 45, v133
	s_waitcnt lgkmcnt(0)
	s_barrier
	s_and_saveexec_b64 s[0:1], vcc
	s_cbranch_execz .LBB122_777
; %bb.776:
	ds_read2_b64 v[138:141], v132 offset0:46 offset1:47
	ds_read2_b64 v[142:145], v132 offset0:48 offset1:49
	v_mul_f64 v[34:35], v[128:129], v[34:35]
	ds_read2_b64 v[146:149], v132 offset0:50 offset1:51
	s_waitcnt lgkmcnt(0)
	v_fma_f64 v[32:33], -v[34:35], v[138:139], v[32:33]
	v_fma_f64 v[30:31], -v[34:35], v[140:141], v[30:31]
	ds_read2_b64 v[138:141], v132 offset0:52 offset1:53
	v_fma_f64 v[28:29], -v[34:35], v[142:143], v[28:29]
	v_fma_f64 v[26:27], -v[34:35], v[144:145], v[26:27]
	ds_read2_b64 v[142:145], v132 offset0:54 offset1:55
	v_fma_f64 v[24:25], -v[34:35], v[146:147], v[24:25]
	v_fma_f64 v[22:23], -v[34:35], v[148:149], v[22:23]
	s_waitcnt lgkmcnt(0)
	v_fma_f64 v[20:21], -v[34:35], v[138:139], v[20:21]
	v_fma_f64 v[18:19], -v[34:35], v[140:141], v[18:19]
	ds_read2_b64 v[138:141], v132 offset0:56 offset1:57
	v_fma_f64 v[16:17], -v[34:35], v[142:143], v[16:17]
	ds_read2_b64 v[146:149], v132 offset0:58 offset1:59
	;; [unrolled: 2-line block ×3, first 2 shown]
	s_waitcnt lgkmcnt(0)
	v_fma_f64 v[12:13], -v[34:35], v[138:139], v[12:13]
	v_fma_f64 v[10:11], -v[34:35], v[140:141], v[10:11]
	;; [unrolled: 1-line block ×6, first 2 shown]
.LBB122_777:
	s_or_b64 exec, exec, s[0:1]
	v_lshl_add_u32 v128, v133, 3, v132
	s_barrier
	ds_write_b64 v128, v[32:33]
	s_waitcnt lgkmcnt(0)
	s_barrier
	ds_read_b64 v[128:129], v132 offset:368
	s_cmp_lt_i32 s18, 48
	v_mov_b32_e32 v130, 46
	s_cbranch_scc1 .LBB122_780
; %bb.778:
	v_add_u32_e32 v137, 0x178, v132
	s_mov_b32 s0, 47
	v_mov_b32_e32 v130, 46
.LBB122_779:                            ; =>This Inner Loop Header: Depth=1
	ds_read_b64 v[138:139], v137
	v_mov_b32_e32 v140, s0
	s_add_i32 s0, s0, 1
	v_add_u32_e32 v137, 8, v137
	s_cmp_lg_u32 s18, s0
	s_waitcnt lgkmcnt(0)
	v_cmp_lt_f64_e64 vcc, |v[128:129]|, |v[138:139]|
	v_cndmask_b32_e32 v129, v129, v139, vcc
	v_cndmask_b32_e32 v128, v128, v138, vcc
	;; [unrolled: 1-line block ×3, first 2 shown]
	s_cbranch_scc1 .LBB122_779
.LBB122_780:
	s_waitcnt lgkmcnt(0)
	v_cmp_eq_f64_e32 vcc, 0, v[128:129]
	s_and_saveexec_b64 s[0:1], vcc
	s_xor_b64 s[0:1], exec, s[0:1]
; %bb.781:
	v_cmp_ne_u32_e32 vcc, 0, v136
	v_cndmask_b32_e32 v136, 47, v136, vcc
; %bb.782:
	s_andn2_saveexec_b64 s[0:1], s[0:1]
; %bb.783:
	v_div_scale_f64 v[138:139], s[2:3], v[128:129], v[128:129], 1.0
	v_rcp_f64_e32 v[140:141], v[138:139]
	v_div_scale_f64 v[142:143], vcc, 1.0, v[128:129], 1.0
	v_fma_f64 v[144:145], -v[138:139], v[140:141], 1.0
	v_fmac_f64_e32 v[140:141], v[140:141], v[144:145]
	v_fma_f64 v[144:145], -v[138:139], v[140:141], 1.0
	v_fmac_f64_e32 v[140:141], v[140:141], v[144:145]
	v_mul_f64 v[144:145], v[142:143], v[140:141]
	v_fma_f64 v[138:139], -v[138:139], v[144:145], v[142:143]
	v_div_fmas_f64 v[138:139], v[138:139], v[140:141], v[144:145]
	v_div_fixup_f64 v[128:129], v[138:139], v[128:129], 1.0
; %bb.784:
	s_or_b64 exec, exec, s[0:1]
	v_cmp_ne_u32_e32 vcc, v133, v130
	s_and_saveexec_b64 s[0:1], vcc
	s_xor_b64 s[0:1], exec, s[0:1]
	s_cbranch_execz .LBB122_790
; %bb.785:
	v_cmp_eq_u32_e32 vcc, 46, v133
	s_and_saveexec_b64 s[2:3], vcc
	s_cbranch_execz .LBB122_789
; %bb.786:
	v_cmp_ne_u32_e32 vcc, 46, v130
	s_xor_b64 s[14:15], s[6:7], -1
	s_and_b64 s[16:17], s[14:15], vcc
	s_and_saveexec_b64 s[14:15], s[16:17]
	s_cbranch_execz .LBB122_788
; %bb.787:
	v_ashrrev_i32_e32 v131, 31, v130
	v_lshlrev_b64 v[138:139], 2, v[130:131]
	v_add_co_u32_e32 v138, vcc, v4, v138
	v_addc_co_u32_e32 v139, vcc, v5, v139, vcc
	flat_load_dword v131, v[138:139]
	flat_load_dword v133, v[4:5] offset:184
	s_waitcnt vmcnt(0) lgkmcnt(0)
	flat_store_dword v[4:5], v131 offset:184
	flat_store_dword v[138:139], v133
.LBB122_788:
	s_or_b64 exec, exec, s[14:15]
	v_mov_b32_e32 v131, v130
	v_mov_b32_e32 v133, v130
.LBB122_789:
	s_or_b64 exec, exec, s[2:3]
.LBB122_790:
	s_andn2_saveexec_b64 s[0:1], s[0:1]
	s_cbranch_execz .LBB122_792
; %bb.791:
	v_mov_b32_e32 v133, 46
	ds_write2_b64 v132, v[30:31], v[28:29] offset0:47 offset1:48
	ds_write2_b64 v132, v[26:27], v[24:25] offset0:49 offset1:50
	;; [unrolled: 1-line block ×7, first 2 shown]
	ds_write_b64 v132, v[126:127] offset:488
.LBB122_792:
	s_or_b64 exec, exec, s[0:1]
	v_cmp_lt_i32_e32 vcc, 46, v133
	s_waitcnt lgkmcnt(0)
	s_barrier
	s_and_saveexec_b64 s[0:1], vcc
	s_cbranch_execz .LBB122_794
; %bb.793:
	ds_read2_b64 v[138:141], v132 offset0:47 offset1:48
	ds_read2_b64 v[142:145], v132 offset0:49 offset1:50
	v_mul_f64 v[32:33], v[128:129], v[32:33]
	ds_read2_b64 v[146:149], v132 offset0:51 offset1:52
	ds_read_b64 v[128:129], v132 offset:488
	s_waitcnt lgkmcnt(0)
	v_fma_f64 v[30:31], -v[32:33], v[138:139], v[30:31]
	v_fma_f64 v[28:29], -v[32:33], v[140:141], v[28:29]
	ds_read2_b64 v[138:141], v132 offset0:53 offset1:54
	v_fma_f64 v[26:27], -v[32:33], v[142:143], v[26:27]
	v_fma_f64 v[24:25], -v[32:33], v[144:145], v[24:25]
	v_fma_f64 v[22:23], -v[32:33], v[146:147], v[22:23]
	ds_read2_b64 v[142:145], v132 offset0:55 offset1:56
	v_fma_f64 v[20:21], -v[32:33], v[148:149], v[20:21]
	s_waitcnt lgkmcnt(0)
	v_fma_f64 v[18:19], -v[32:33], v[138:139], v[18:19]
	v_fma_f64 v[16:17], -v[32:33], v[140:141], v[16:17]
	ds_read2_b64 v[138:141], v132 offset0:57 offset1:58
	ds_read2_b64 v[146:149], v132 offset0:59 offset1:60
	v_fma_f64 v[14:15], -v[32:33], v[142:143], v[14:15]
	v_fma_f64 v[12:13], -v[32:33], v[144:145], v[12:13]
	;; [unrolled: 1-line block ×3, first 2 shown]
	s_waitcnt lgkmcnt(0)
	v_fma_f64 v[10:11], -v[32:33], v[138:139], v[10:11]
	v_fma_f64 v[8:9], -v[32:33], v[140:141], v[8:9]
	;; [unrolled: 1-line block ×4, first 2 shown]
.LBB122_794:
	s_or_b64 exec, exec, s[0:1]
	v_lshl_add_u32 v128, v133, 3, v132
	s_barrier
	ds_write_b64 v128, v[30:31]
	s_waitcnt lgkmcnt(0)
	s_barrier
	ds_read_b64 v[128:129], v132 offset:376
	s_cmp_lt_i32 s18, 49
	v_mov_b32_e32 v130, 47
	s_cbranch_scc1 .LBB122_797
; %bb.795:
	v_add_u32_e32 v137, 0x180, v132
	s_mov_b32 s0, 48
	v_mov_b32_e32 v130, 47
.LBB122_796:                            ; =>This Inner Loop Header: Depth=1
	ds_read_b64 v[138:139], v137
	v_mov_b32_e32 v140, s0
	s_add_i32 s0, s0, 1
	v_add_u32_e32 v137, 8, v137
	s_cmp_lg_u32 s18, s0
	s_waitcnt lgkmcnt(0)
	v_cmp_lt_f64_e64 vcc, |v[128:129]|, |v[138:139]|
	v_cndmask_b32_e32 v129, v129, v139, vcc
	v_cndmask_b32_e32 v128, v128, v138, vcc
	;; [unrolled: 1-line block ×3, first 2 shown]
	s_cbranch_scc1 .LBB122_796
.LBB122_797:
	s_waitcnt lgkmcnt(0)
	v_cmp_eq_f64_e32 vcc, 0, v[128:129]
	s_and_saveexec_b64 s[0:1], vcc
	s_xor_b64 s[0:1], exec, s[0:1]
; %bb.798:
	v_cmp_ne_u32_e32 vcc, 0, v136
	v_cndmask_b32_e32 v136, 48, v136, vcc
; %bb.799:
	s_andn2_saveexec_b64 s[0:1], s[0:1]
; %bb.800:
	v_div_scale_f64 v[138:139], s[2:3], v[128:129], v[128:129], 1.0
	v_rcp_f64_e32 v[140:141], v[138:139]
	v_div_scale_f64 v[142:143], vcc, 1.0, v[128:129], 1.0
	v_fma_f64 v[144:145], -v[138:139], v[140:141], 1.0
	v_fmac_f64_e32 v[140:141], v[140:141], v[144:145]
	v_fma_f64 v[144:145], -v[138:139], v[140:141], 1.0
	v_fmac_f64_e32 v[140:141], v[140:141], v[144:145]
	v_mul_f64 v[144:145], v[142:143], v[140:141]
	v_fma_f64 v[138:139], -v[138:139], v[144:145], v[142:143]
	v_div_fmas_f64 v[138:139], v[138:139], v[140:141], v[144:145]
	v_div_fixup_f64 v[128:129], v[138:139], v[128:129], 1.0
; %bb.801:
	s_or_b64 exec, exec, s[0:1]
	v_cmp_ne_u32_e32 vcc, v133, v130
	s_and_saveexec_b64 s[0:1], vcc
	s_xor_b64 s[0:1], exec, s[0:1]
	s_cbranch_execz .LBB122_807
; %bb.802:
	v_cmp_eq_u32_e32 vcc, 47, v133
	s_and_saveexec_b64 s[2:3], vcc
	s_cbranch_execz .LBB122_806
; %bb.803:
	v_cmp_ne_u32_e32 vcc, 47, v130
	s_xor_b64 s[14:15], s[6:7], -1
	s_and_b64 s[16:17], s[14:15], vcc
	s_and_saveexec_b64 s[14:15], s[16:17]
	s_cbranch_execz .LBB122_805
; %bb.804:
	v_ashrrev_i32_e32 v131, 31, v130
	v_lshlrev_b64 v[138:139], 2, v[130:131]
	v_add_co_u32_e32 v138, vcc, v4, v138
	v_addc_co_u32_e32 v139, vcc, v5, v139, vcc
	flat_load_dword v131, v[138:139]
	flat_load_dword v133, v[4:5] offset:188
	s_waitcnt vmcnt(0) lgkmcnt(0)
	flat_store_dword v[4:5], v131 offset:188
	flat_store_dword v[138:139], v133
.LBB122_805:
	s_or_b64 exec, exec, s[14:15]
	v_mov_b32_e32 v131, v130
	v_mov_b32_e32 v133, v130
.LBB122_806:
	s_or_b64 exec, exec, s[2:3]
.LBB122_807:
	s_andn2_saveexec_b64 s[0:1], s[0:1]
	s_cbranch_execz .LBB122_809
; %bb.808:
	v_mov_b32_e32 v138, v28
	v_mov_b32_e32 v139, v29
	v_mov_b32_e32 v140, v26
	v_mov_b32_e32 v141, v27
	ds_write2_b64 v132, v[138:139], v[140:141] offset0:48 offset1:49
	v_mov_b32_e32 v138, v24
	v_mov_b32_e32 v139, v25
	v_mov_b32_e32 v140, v22
	v_mov_b32_e32 v141, v23
	ds_write2_b64 v132, v[138:139], v[140:141] offset0:50 offset1:51
	;; [unrolled: 5-line block ×6, first 2 shown]
	v_mov_b32_e32 v138, v0
	v_mov_b32_e32 v139, v1
	;; [unrolled: 1-line block ×3, first 2 shown]
	ds_write2_b64 v132, v[138:139], v[126:127] offset0:60 offset1:61
.LBB122_809:
	s_or_b64 exec, exec, s[0:1]
	v_cmp_lt_i32_e32 vcc, 47, v133
	s_waitcnt lgkmcnt(0)
	s_barrier
	s_and_saveexec_b64 s[0:1], vcc
	s_cbranch_execz .LBB122_811
; %bb.810:
	ds_read2_b64 v[138:141], v132 offset0:48 offset1:49
	ds_read2_b64 v[142:145], v132 offset0:50 offset1:51
	v_mul_f64 v[30:31], v[128:129], v[30:31]
	ds_read2_b64 v[146:149], v132 offset0:52 offset1:53
	s_waitcnt lgkmcnt(0)
	v_fma_f64 v[28:29], -v[30:31], v[138:139], v[28:29]
	v_fma_f64 v[26:27], -v[30:31], v[140:141], v[26:27]
	ds_read2_b64 v[138:141], v132 offset0:54 offset1:55
	v_fma_f64 v[24:25], -v[30:31], v[142:143], v[24:25]
	v_fma_f64 v[22:23], -v[30:31], v[144:145], v[22:23]
	v_fma_f64 v[20:21], -v[30:31], v[146:147], v[20:21]
	v_fma_f64 v[18:19], -v[30:31], v[148:149], v[18:19]
	ds_read2_b64 v[142:145], v132 offset0:56 offset1:57
	ds_read2_b64 v[146:149], v132 offset0:58 offset1:59
	s_waitcnt lgkmcnt(0)
	v_fma_f64 v[16:17], -v[30:31], v[138:139], v[16:17]
	v_fma_f64 v[14:15], -v[30:31], v[140:141], v[14:15]
	ds_read2_b64 v[138:141], v132 offset0:60 offset1:61
	v_fma_f64 v[12:13], -v[30:31], v[142:143], v[12:13]
	v_fma_f64 v[10:11], -v[30:31], v[144:145], v[10:11]
	;; [unrolled: 1-line block ×4, first 2 shown]
	s_waitcnt lgkmcnt(0)
	v_fma_f64 v[0:1], -v[30:31], v[138:139], v[0:1]
	v_fma_f64 v[126:127], -v[30:31], v[140:141], v[126:127]
.LBB122_811:
	s_or_b64 exec, exec, s[0:1]
	v_lshl_add_u32 v128, v133, 3, v132
	s_barrier
	ds_write_b64 v128, v[28:29]
	s_waitcnt lgkmcnt(0)
	s_barrier
	ds_read_b64 v[128:129], v132 offset:384
	s_cmp_lt_i32 s18, 50
	v_mov_b32_e32 v130, 48
	s_cbranch_scc1 .LBB122_814
; %bb.812:
	v_add_u32_e32 v137, 0x188, v132
	s_mov_b32 s0, 49
	v_mov_b32_e32 v130, 48
.LBB122_813:                            ; =>This Inner Loop Header: Depth=1
	ds_read_b64 v[138:139], v137
	v_mov_b32_e32 v140, s0
	s_add_i32 s0, s0, 1
	v_add_u32_e32 v137, 8, v137
	s_cmp_lg_u32 s18, s0
	s_waitcnt lgkmcnt(0)
	v_cmp_lt_f64_e64 vcc, |v[128:129]|, |v[138:139]|
	v_cndmask_b32_e32 v129, v129, v139, vcc
	v_cndmask_b32_e32 v128, v128, v138, vcc
	;; [unrolled: 1-line block ×3, first 2 shown]
	s_cbranch_scc1 .LBB122_813
.LBB122_814:
	s_waitcnt lgkmcnt(0)
	v_cmp_eq_f64_e32 vcc, 0, v[128:129]
	s_and_saveexec_b64 s[0:1], vcc
	s_xor_b64 s[0:1], exec, s[0:1]
; %bb.815:
	v_cmp_ne_u32_e32 vcc, 0, v136
	v_cndmask_b32_e32 v136, 49, v136, vcc
; %bb.816:
	s_andn2_saveexec_b64 s[0:1], s[0:1]
; %bb.817:
	v_div_scale_f64 v[138:139], s[2:3], v[128:129], v[128:129], 1.0
	v_rcp_f64_e32 v[140:141], v[138:139]
	v_div_scale_f64 v[142:143], vcc, 1.0, v[128:129], 1.0
	v_fma_f64 v[144:145], -v[138:139], v[140:141], 1.0
	v_fmac_f64_e32 v[140:141], v[140:141], v[144:145]
	v_fma_f64 v[144:145], -v[138:139], v[140:141], 1.0
	v_fmac_f64_e32 v[140:141], v[140:141], v[144:145]
	v_mul_f64 v[144:145], v[142:143], v[140:141]
	v_fma_f64 v[138:139], -v[138:139], v[144:145], v[142:143]
	v_div_fmas_f64 v[138:139], v[138:139], v[140:141], v[144:145]
	v_div_fixup_f64 v[128:129], v[138:139], v[128:129], 1.0
; %bb.818:
	s_or_b64 exec, exec, s[0:1]
	v_cmp_ne_u32_e32 vcc, v133, v130
	s_and_saveexec_b64 s[0:1], vcc
	s_xor_b64 s[0:1], exec, s[0:1]
	s_cbranch_execz .LBB122_824
; %bb.819:
	v_cmp_eq_u32_e32 vcc, 48, v133
	s_and_saveexec_b64 s[2:3], vcc
	s_cbranch_execz .LBB122_823
; %bb.820:
	v_cmp_ne_u32_e32 vcc, 48, v130
	s_xor_b64 s[14:15], s[6:7], -1
	s_and_b64 s[16:17], s[14:15], vcc
	s_and_saveexec_b64 s[14:15], s[16:17]
	s_cbranch_execz .LBB122_822
; %bb.821:
	v_ashrrev_i32_e32 v131, 31, v130
	v_lshlrev_b64 v[138:139], 2, v[130:131]
	v_add_co_u32_e32 v138, vcc, v4, v138
	v_addc_co_u32_e32 v139, vcc, v5, v139, vcc
	flat_load_dword v131, v[138:139]
	flat_load_dword v133, v[4:5] offset:192
	s_waitcnt vmcnt(0) lgkmcnt(0)
	flat_store_dword v[4:5], v131 offset:192
	flat_store_dword v[138:139], v133
.LBB122_822:
	s_or_b64 exec, exec, s[14:15]
	v_mov_b32_e32 v131, v130
	v_mov_b32_e32 v133, v130
.LBB122_823:
	s_or_b64 exec, exec, s[2:3]
.LBB122_824:
	s_andn2_saveexec_b64 s[0:1], s[0:1]
	s_cbranch_execz .LBB122_826
; %bb.825:
	v_mov_b32_e32 v133, 48
	ds_write2_b64 v132, v[26:27], v[24:25] offset0:49 offset1:50
	ds_write2_b64 v132, v[22:23], v[20:21] offset0:51 offset1:52
	;; [unrolled: 1-line block ×6, first 2 shown]
	ds_write_b64 v132, v[126:127] offset:488
.LBB122_826:
	s_or_b64 exec, exec, s[0:1]
	v_cmp_lt_i32_e32 vcc, 48, v133
	s_waitcnt lgkmcnt(0)
	s_barrier
	s_and_saveexec_b64 s[0:1], vcc
	s_cbranch_execz .LBB122_828
; %bb.827:
	ds_read2_b64 v[138:141], v132 offset0:49 offset1:50
	ds_read2_b64 v[142:145], v132 offset0:51 offset1:52
	;; [unrolled: 1-line block ×3, first 2 shown]
	v_mul_f64 v[28:29], v[128:129], v[28:29]
	ds_read_b64 v[128:129], v132 offset:488
	s_waitcnt lgkmcnt(0)
	v_fma_f64 v[26:27], -v[28:29], v[138:139], v[26:27]
	v_fma_f64 v[24:25], -v[28:29], v[140:141], v[24:25]
	ds_read2_b64 v[138:141], v132 offset0:55 offset1:56
	v_fma_f64 v[22:23], -v[28:29], v[142:143], v[22:23]
	v_fma_f64 v[20:21], -v[28:29], v[144:145], v[20:21]
	;; [unrolled: 1-line block ×4, first 2 shown]
	ds_read2_b64 v[142:145], v132 offset0:57 offset1:58
	ds_read2_b64 v[146:149], v132 offset0:59 offset1:60
	s_waitcnt lgkmcnt(0)
	v_fma_f64 v[14:15], -v[28:29], v[138:139], v[14:15]
	v_fma_f64 v[12:13], -v[28:29], v[140:141], v[12:13]
	;; [unrolled: 1-line block ×7, first 2 shown]
.LBB122_828:
	s_or_b64 exec, exec, s[0:1]
	v_lshl_add_u32 v128, v133, 3, v132
	s_barrier
	ds_write_b64 v128, v[26:27]
	s_waitcnt lgkmcnt(0)
	s_barrier
	ds_read_b64 v[128:129], v132 offset:392
	s_cmp_lt_i32 s18, 51
	v_mov_b32_e32 v130, 49
	s_cbranch_scc1 .LBB122_831
; %bb.829:
	v_add_u32_e32 v137, 0x190, v132
	s_mov_b32 s0, 50
	v_mov_b32_e32 v130, 49
.LBB122_830:                            ; =>This Inner Loop Header: Depth=1
	ds_read_b64 v[138:139], v137
	v_mov_b32_e32 v140, s0
	s_add_i32 s0, s0, 1
	v_add_u32_e32 v137, 8, v137
	s_cmp_lg_u32 s18, s0
	s_waitcnt lgkmcnt(0)
	v_cmp_lt_f64_e64 vcc, |v[128:129]|, |v[138:139]|
	v_cndmask_b32_e32 v129, v129, v139, vcc
	v_cndmask_b32_e32 v128, v128, v138, vcc
	;; [unrolled: 1-line block ×3, first 2 shown]
	s_cbranch_scc1 .LBB122_830
.LBB122_831:
	s_waitcnt lgkmcnt(0)
	v_cmp_eq_f64_e32 vcc, 0, v[128:129]
	s_and_saveexec_b64 s[0:1], vcc
	s_xor_b64 s[0:1], exec, s[0:1]
; %bb.832:
	v_cmp_ne_u32_e32 vcc, 0, v136
	v_cndmask_b32_e32 v136, 50, v136, vcc
; %bb.833:
	s_andn2_saveexec_b64 s[0:1], s[0:1]
; %bb.834:
	v_div_scale_f64 v[138:139], s[2:3], v[128:129], v[128:129], 1.0
	v_rcp_f64_e32 v[140:141], v[138:139]
	v_div_scale_f64 v[142:143], vcc, 1.0, v[128:129], 1.0
	v_fma_f64 v[144:145], -v[138:139], v[140:141], 1.0
	v_fmac_f64_e32 v[140:141], v[140:141], v[144:145]
	v_fma_f64 v[144:145], -v[138:139], v[140:141], 1.0
	v_fmac_f64_e32 v[140:141], v[140:141], v[144:145]
	v_mul_f64 v[144:145], v[142:143], v[140:141]
	v_fma_f64 v[138:139], -v[138:139], v[144:145], v[142:143]
	v_div_fmas_f64 v[138:139], v[138:139], v[140:141], v[144:145]
	v_div_fixup_f64 v[128:129], v[138:139], v[128:129], 1.0
; %bb.835:
	s_or_b64 exec, exec, s[0:1]
	v_cmp_ne_u32_e32 vcc, v133, v130
	s_and_saveexec_b64 s[0:1], vcc
	s_xor_b64 s[0:1], exec, s[0:1]
	s_cbranch_execz .LBB122_841
; %bb.836:
	v_cmp_eq_u32_e32 vcc, 49, v133
	s_and_saveexec_b64 s[2:3], vcc
	s_cbranch_execz .LBB122_840
; %bb.837:
	v_cmp_ne_u32_e32 vcc, 49, v130
	s_xor_b64 s[14:15], s[6:7], -1
	s_and_b64 s[16:17], s[14:15], vcc
	s_and_saveexec_b64 s[14:15], s[16:17]
	s_cbranch_execz .LBB122_839
; %bb.838:
	v_ashrrev_i32_e32 v131, 31, v130
	v_lshlrev_b64 v[138:139], 2, v[130:131]
	v_add_co_u32_e32 v138, vcc, v4, v138
	v_addc_co_u32_e32 v139, vcc, v5, v139, vcc
	flat_load_dword v131, v[138:139]
	flat_load_dword v133, v[4:5] offset:196
	s_waitcnt vmcnt(0) lgkmcnt(0)
	flat_store_dword v[4:5], v131 offset:196
	flat_store_dword v[138:139], v133
.LBB122_839:
	s_or_b64 exec, exec, s[14:15]
	v_mov_b32_e32 v131, v130
	v_mov_b32_e32 v133, v130
.LBB122_840:
	s_or_b64 exec, exec, s[2:3]
.LBB122_841:
	s_andn2_saveexec_b64 s[0:1], s[0:1]
	s_cbranch_execz .LBB122_843
; %bb.842:
	v_mov_b32_e32 v138, v24
	v_mov_b32_e32 v139, v25
	v_mov_b32_e32 v140, v22
	v_mov_b32_e32 v141, v23
	ds_write2_b64 v132, v[138:139], v[140:141] offset0:50 offset1:51
	v_mov_b32_e32 v138, v20
	v_mov_b32_e32 v139, v21
	v_mov_b32_e32 v140, v18
	v_mov_b32_e32 v141, v19
	ds_write2_b64 v132, v[138:139], v[140:141] offset0:52 offset1:53
	;; [unrolled: 5-line block ×5, first 2 shown]
	v_mov_b32_e32 v138, v0
	v_mov_b32_e32 v139, v1
	;; [unrolled: 1-line block ×3, first 2 shown]
	ds_write2_b64 v132, v[138:139], v[126:127] offset0:60 offset1:61
.LBB122_843:
	s_or_b64 exec, exec, s[0:1]
	v_cmp_lt_i32_e32 vcc, 49, v133
	s_waitcnt lgkmcnt(0)
	s_barrier
	s_and_saveexec_b64 s[0:1], vcc
	s_cbranch_execz .LBB122_845
; %bb.844:
	ds_read2_b64 v[138:141], v132 offset0:50 offset1:51
	ds_read2_b64 v[142:145], v132 offset0:52 offset1:53
	;; [unrolled: 1-line block ×3, first 2 shown]
	v_mul_f64 v[26:27], v[128:129], v[26:27]
	s_waitcnt lgkmcnt(0)
	v_fma_f64 v[24:25], -v[26:27], v[138:139], v[24:25]
	v_fma_f64 v[22:23], -v[26:27], v[140:141], v[22:23]
	ds_read2_b64 v[138:141], v132 offset0:56 offset1:57
	v_fma_f64 v[20:21], -v[26:27], v[142:143], v[20:21]
	v_fma_f64 v[18:19], -v[26:27], v[144:145], v[18:19]
	;; [unrolled: 1-line block ×3, first 2 shown]
	ds_read2_b64 v[142:145], v132 offset0:58 offset1:59
	v_fma_f64 v[14:15], -v[26:27], v[148:149], v[14:15]
	ds_read2_b64 v[146:149], v132 offset0:60 offset1:61
	s_waitcnt lgkmcnt(0)
	v_fma_f64 v[12:13], -v[26:27], v[138:139], v[12:13]
	v_fma_f64 v[10:11], -v[26:27], v[140:141], v[10:11]
	;; [unrolled: 1-line block ×6, first 2 shown]
.LBB122_845:
	s_or_b64 exec, exec, s[0:1]
	v_lshl_add_u32 v128, v133, 3, v132
	s_barrier
	ds_write_b64 v128, v[24:25]
	s_waitcnt lgkmcnt(0)
	s_barrier
	ds_read_b64 v[128:129], v132 offset:400
	s_cmp_lt_i32 s18, 52
	v_mov_b32_e32 v130, 50
	s_cbranch_scc1 .LBB122_848
; %bb.846:
	v_add_u32_e32 v137, 0x198, v132
	s_mov_b32 s0, 51
	v_mov_b32_e32 v130, 50
.LBB122_847:                            ; =>This Inner Loop Header: Depth=1
	ds_read_b64 v[138:139], v137
	v_mov_b32_e32 v140, s0
	s_add_i32 s0, s0, 1
	v_add_u32_e32 v137, 8, v137
	s_cmp_lg_u32 s18, s0
	s_waitcnt lgkmcnt(0)
	v_cmp_lt_f64_e64 vcc, |v[128:129]|, |v[138:139]|
	v_cndmask_b32_e32 v129, v129, v139, vcc
	v_cndmask_b32_e32 v128, v128, v138, vcc
	;; [unrolled: 1-line block ×3, first 2 shown]
	s_cbranch_scc1 .LBB122_847
.LBB122_848:
	s_waitcnt lgkmcnt(0)
	v_cmp_eq_f64_e32 vcc, 0, v[128:129]
	s_and_saveexec_b64 s[0:1], vcc
	s_xor_b64 s[0:1], exec, s[0:1]
; %bb.849:
	v_cmp_ne_u32_e32 vcc, 0, v136
	v_cndmask_b32_e32 v136, 51, v136, vcc
; %bb.850:
	s_andn2_saveexec_b64 s[0:1], s[0:1]
; %bb.851:
	v_div_scale_f64 v[138:139], s[2:3], v[128:129], v[128:129], 1.0
	v_rcp_f64_e32 v[140:141], v[138:139]
	v_div_scale_f64 v[142:143], vcc, 1.0, v[128:129], 1.0
	v_fma_f64 v[144:145], -v[138:139], v[140:141], 1.0
	v_fmac_f64_e32 v[140:141], v[140:141], v[144:145]
	v_fma_f64 v[144:145], -v[138:139], v[140:141], 1.0
	v_fmac_f64_e32 v[140:141], v[140:141], v[144:145]
	v_mul_f64 v[144:145], v[142:143], v[140:141]
	v_fma_f64 v[138:139], -v[138:139], v[144:145], v[142:143]
	v_div_fmas_f64 v[138:139], v[138:139], v[140:141], v[144:145]
	v_div_fixup_f64 v[128:129], v[138:139], v[128:129], 1.0
; %bb.852:
	s_or_b64 exec, exec, s[0:1]
	v_cmp_ne_u32_e32 vcc, v133, v130
	s_and_saveexec_b64 s[0:1], vcc
	s_xor_b64 s[0:1], exec, s[0:1]
	s_cbranch_execz .LBB122_858
; %bb.853:
	v_cmp_eq_u32_e32 vcc, 50, v133
	s_and_saveexec_b64 s[2:3], vcc
	s_cbranch_execz .LBB122_857
; %bb.854:
	v_cmp_ne_u32_e32 vcc, 50, v130
	s_xor_b64 s[14:15], s[6:7], -1
	s_and_b64 s[16:17], s[14:15], vcc
	s_and_saveexec_b64 s[14:15], s[16:17]
	s_cbranch_execz .LBB122_856
; %bb.855:
	v_ashrrev_i32_e32 v131, 31, v130
	v_lshlrev_b64 v[138:139], 2, v[130:131]
	v_add_co_u32_e32 v138, vcc, v4, v138
	v_addc_co_u32_e32 v139, vcc, v5, v139, vcc
	flat_load_dword v131, v[138:139]
	flat_load_dword v133, v[4:5] offset:200
	s_waitcnt vmcnt(0) lgkmcnt(0)
	flat_store_dword v[4:5], v131 offset:200
	flat_store_dword v[138:139], v133
.LBB122_856:
	s_or_b64 exec, exec, s[14:15]
	v_mov_b32_e32 v131, v130
	v_mov_b32_e32 v133, v130
.LBB122_857:
	s_or_b64 exec, exec, s[2:3]
.LBB122_858:
	s_andn2_saveexec_b64 s[0:1], s[0:1]
	s_cbranch_execz .LBB122_860
; %bb.859:
	v_mov_b32_e32 v133, 50
	ds_write2_b64 v132, v[22:23], v[20:21] offset0:51 offset1:52
	ds_write2_b64 v132, v[18:19], v[16:17] offset0:53 offset1:54
	;; [unrolled: 1-line block ×5, first 2 shown]
	ds_write_b64 v132, v[126:127] offset:488
.LBB122_860:
	s_or_b64 exec, exec, s[0:1]
	v_cmp_lt_i32_e32 vcc, 50, v133
	s_waitcnt lgkmcnt(0)
	s_barrier
	s_and_saveexec_b64 s[0:1], vcc
	s_cbranch_execz .LBB122_862
; %bb.861:
	ds_read2_b64 v[138:141], v132 offset0:51 offset1:52
	ds_read2_b64 v[142:145], v132 offset0:53 offset1:54
	v_mul_f64 v[24:25], v[128:129], v[24:25]
	ds_read2_b64 v[146:149], v132 offset0:55 offset1:56
	ds_read_b64 v[128:129], v132 offset:488
	s_waitcnt lgkmcnt(0)
	v_fma_f64 v[22:23], -v[24:25], v[138:139], v[22:23]
	v_fma_f64 v[20:21], -v[24:25], v[140:141], v[20:21]
	ds_read2_b64 v[138:141], v132 offset0:57 offset1:58
	v_fma_f64 v[18:19], -v[24:25], v[142:143], v[18:19]
	v_fma_f64 v[16:17], -v[24:25], v[144:145], v[16:17]
	ds_read2_b64 v[142:145], v132 offset0:59 offset1:60
	v_fma_f64 v[14:15], -v[24:25], v[146:147], v[14:15]
	v_fma_f64 v[12:13], -v[24:25], v[148:149], v[12:13]
	s_waitcnt lgkmcnt(0)
	v_fma_f64 v[10:11], -v[24:25], v[138:139], v[10:11]
	v_fma_f64 v[8:9], -v[24:25], v[140:141], v[8:9]
	;; [unrolled: 1-line block ×5, first 2 shown]
.LBB122_862:
	s_or_b64 exec, exec, s[0:1]
	v_lshl_add_u32 v128, v133, 3, v132
	s_barrier
	ds_write_b64 v128, v[22:23]
	s_waitcnt lgkmcnt(0)
	s_barrier
	ds_read_b64 v[128:129], v132 offset:408
	s_cmp_lt_i32 s18, 53
	v_mov_b32_e32 v130, 51
	s_cbranch_scc1 .LBB122_865
; %bb.863:
	v_add_u32_e32 v137, 0x1a0, v132
	s_mov_b32 s0, 52
	v_mov_b32_e32 v130, 51
.LBB122_864:                            ; =>This Inner Loop Header: Depth=1
	ds_read_b64 v[138:139], v137
	v_mov_b32_e32 v140, s0
	s_add_i32 s0, s0, 1
	v_add_u32_e32 v137, 8, v137
	s_cmp_lg_u32 s18, s0
	s_waitcnt lgkmcnt(0)
	v_cmp_lt_f64_e64 vcc, |v[128:129]|, |v[138:139]|
	v_cndmask_b32_e32 v129, v129, v139, vcc
	v_cndmask_b32_e32 v128, v128, v138, vcc
	;; [unrolled: 1-line block ×3, first 2 shown]
	s_cbranch_scc1 .LBB122_864
.LBB122_865:
	s_waitcnt lgkmcnt(0)
	v_cmp_eq_f64_e32 vcc, 0, v[128:129]
	s_and_saveexec_b64 s[0:1], vcc
	s_xor_b64 s[0:1], exec, s[0:1]
; %bb.866:
	v_cmp_ne_u32_e32 vcc, 0, v136
	v_cndmask_b32_e32 v136, 52, v136, vcc
; %bb.867:
	s_andn2_saveexec_b64 s[0:1], s[0:1]
; %bb.868:
	v_div_scale_f64 v[138:139], s[2:3], v[128:129], v[128:129], 1.0
	v_rcp_f64_e32 v[140:141], v[138:139]
	v_div_scale_f64 v[142:143], vcc, 1.0, v[128:129], 1.0
	v_fma_f64 v[144:145], -v[138:139], v[140:141], 1.0
	v_fmac_f64_e32 v[140:141], v[140:141], v[144:145]
	v_fma_f64 v[144:145], -v[138:139], v[140:141], 1.0
	v_fmac_f64_e32 v[140:141], v[140:141], v[144:145]
	v_mul_f64 v[144:145], v[142:143], v[140:141]
	v_fma_f64 v[138:139], -v[138:139], v[144:145], v[142:143]
	v_div_fmas_f64 v[138:139], v[138:139], v[140:141], v[144:145]
	v_div_fixup_f64 v[128:129], v[138:139], v[128:129], 1.0
; %bb.869:
	s_or_b64 exec, exec, s[0:1]
	v_cmp_ne_u32_e32 vcc, v133, v130
	s_and_saveexec_b64 s[0:1], vcc
	s_xor_b64 s[0:1], exec, s[0:1]
	s_cbranch_execz .LBB122_875
; %bb.870:
	v_cmp_eq_u32_e32 vcc, 51, v133
	s_and_saveexec_b64 s[2:3], vcc
	s_cbranch_execz .LBB122_874
; %bb.871:
	v_cmp_ne_u32_e32 vcc, 51, v130
	s_xor_b64 s[14:15], s[6:7], -1
	s_and_b64 s[16:17], s[14:15], vcc
	s_and_saveexec_b64 s[14:15], s[16:17]
	s_cbranch_execz .LBB122_873
; %bb.872:
	v_ashrrev_i32_e32 v131, 31, v130
	v_lshlrev_b64 v[138:139], 2, v[130:131]
	v_add_co_u32_e32 v138, vcc, v4, v138
	v_addc_co_u32_e32 v139, vcc, v5, v139, vcc
	flat_load_dword v131, v[138:139]
	flat_load_dword v133, v[4:5] offset:204
	s_waitcnt vmcnt(0) lgkmcnt(0)
	flat_store_dword v[4:5], v131 offset:204
	flat_store_dword v[138:139], v133
.LBB122_873:
	s_or_b64 exec, exec, s[14:15]
	v_mov_b32_e32 v131, v130
	v_mov_b32_e32 v133, v130
.LBB122_874:
	s_or_b64 exec, exec, s[2:3]
.LBB122_875:
	s_andn2_saveexec_b64 s[0:1], s[0:1]
	s_cbranch_execz .LBB122_877
; %bb.876:
	v_mov_b32_e32 v138, v20
	v_mov_b32_e32 v139, v21
	v_mov_b32_e32 v140, v18
	v_mov_b32_e32 v141, v19
	ds_write2_b64 v132, v[138:139], v[140:141] offset0:52 offset1:53
	v_mov_b32_e32 v138, v16
	v_mov_b32_e32 v139, v17
	v_mov_b32_e32 v140, v14
	v_mov_b32_e32 v141, v15
	ds_write2_b64 v132, v[138:139], v[140:141] offset0:54 offset1:55
	;; [unrolled: 5-line block ×4, first 2 shown]
	v_mov_b32_e32 v138, v0
	v_mov_b32_e32 v139, v1
	;; [unrolled: 1-line block ×3, first 2 shown]
	ds_write2_b64 v132, v[138:139], v[126:127] offset0:60 offset1:61
.LBB122_877:
	s_or_b64 exec, exec, s[0:1]
	v_cmp_lt_i32_e32 vcc, 51, v133
	s_waitcnt lgkmcnt(0)
	s_barrier
	s_and_saveexec_b64 s[0:1], vcc
	s_cbranch_execz .LBB122_879
; %bb.878:
	ds_read2_b64 v[138:141], v132 offset0:52 offset1:53
	ds_read2_b64 v[142:145], v132 offset0:54 offset1:55
	v_mul_f64 v[22:23], v[128:129], v[22:23]
	ds_read2_b64 v[146:149], v132 offset0:58 offset1:59
	s_waitcnt lgkmcnt(0)
	v_fma_f64 v[20:21], -v[22:23], v[138:139], v[20:21]
	v_fma_f64 v[18:19], -v[22:23], v[140:141], v[18:19]
	ds_read2_b64 v[138:141], v132 offset0:56 offset1:57
	v_fma_f64 v[16:17], -v[22:23], v[142:143], v[16:17]
	v_fma_f64 v[14:15], -v[22:23], v[144:145], v[14:15]
	ds_read2_b64 v[142:145], v132 offset0:60 offset1:61
	v_fma_f64 v[8:9], -v[22:23], v[146:147], v[8:9]
	s_waitcnt lgkmcnt(0)
	v_fma_f64 v[12:13], -v[22:23], v[138:139], v[12:13]
	v_fma_f64 v[10:11], -v[22:23], v[140:141], v[10:11]
	;; [unrolled: 1-line block ×5, first 2 shown]
.LBB122_879:
	s_or_b64 exec, exec, s[0:1]
	v_lshl_add_u32 v128, v133, 3, v132
	s_barrier
	ds_write_b64 v128, v[20:21]
	s_waitcnt lgkmcnt(0)
	s_barrier
	ds_read_b64 v[128:129], v132 offset:416
	s_cmp_lt_i32 s18, 54
	v_mov_b32_e32 v130, 52
	s_cbranch_scc1 .LBB122_882
; %bb.880:
	v_add_u32_e32 v137, 0x1a8, v132
	s_mov_b32 s0, 53
	v_mov_b32_e32 v130, 52
.LBB122_881:                            ; =>This Inner Loop Header: Depth=1
	ds_read_b64 v[138:139], v137
	v_mov_b32_e32 v140, s0
	s_add_i32 s0, s0, 1
	v_add_u32_e32 v137, 8, v137
	s_cmp_lg_u32 s18, s0
	s_waitcnt lgkmcnt(0)
	v_cmp_lt_f64_e64 vcc, |v[128:129]|, |v[138:139]|
	v_cndmask_b32_e32 v129, v129, v139, vcc
	v_cndmask_b32_e32 v128, v128, v138, vcc
	;; [unrolled: 1-line block ×3, first 2 shown]
	s_cbranch_scc1 .LBB122_881
.LBB122_882:
	s_waitcnt lgkmcnt(0)
	v_cmp_eq_f64_e32 vcc, 0, v[128:129]
	s_and_saveexec_b64 s[0:1], vcc
	s_xor_b64 s[0:1], exec, s[0:1]
; %bb.883:
	v_cmp_ne_u32_e32 vcc, 0, v136
	v_cndmask_b32_e32 v136, 53, v136, vcc
; %bb.884:
	s_andn2_saveexec_b64 s[0:1], s[0:1]
; %bb.885:
	v_div_scale_f64 v[138:139], s[2:3], v[128:129], v[128:129], 1.0
	v_rcp_f64_e32 v[140:141], v[138:139]
	v_div_scale_f64 v[142:143], vcc, 1.0, v[128:129], 1.0
	v_fma_f64 v[144:145], -v[138:139], v[140:141], 1.0
	v_fmac_f64_e32 v[140:141], v[140:141], v[144:145]
	v_fma_f64 v[144:145], -v[138:139], v[140:141], 1.0
	v_fmac_f64_e32 v[140:141], v[140:141], v[144:145]
	v_mul_f64 v[144:145], v[142:143], v[140:141]
	v_fma_f64 v[138:139], -v[138:139], v[144:145], v[142:143]
	v_div_fmas_f64 v[138:139], v[138:139], v[140:141], v[144:145]
	v_div_fixup_f64 v[128:129], v[138:139], v[128:129], 1.0
; %bb.886:
	s_or_b64 exec, exec, s[0:1]
	v_cmp_ne_u32_e32 vcc, v133, v130
	s_and_saveexec_b64 s[0:1], vcc
	s_xor_b64 s[0:1], exec, s[0:1]
	s_cbranch_execz .LBB122_892
; %bb.887:
	v_cmp_eq_u32_e32 vcc, 52, v133
	s_and_saveexec_b64 s[2:3], vcc
	s_cbranch_execz .LBB122_891
; %bb.888:
	v_cmp_ne_u32_e32 vcc, 52, v130
	s_xor_b64 s[14:15], s[6:7], -1
	s_and_b64 s[16:17], s[14:15], vcc
	s_and_saveexec_b64 s[14:15], s[16:17]
	s_cbranch_execz .LBB122_890
; %bb.889:
	v_ashrrev_i32_e32 v131, 31, v130
	v_lshlrev_b64 v[138:139], 2, v[130:131]
	v_add_co_u32_e32 v138, vcc, v4, v138
	v_addc_co_u32_e32 v139, vcc, v5, v139, vcc
	flat_load_dword v131, v[138:139]
	flat_load_dword v133, v[4:5] offset:208
	s_waitcnt vmcnt(0) lgkmcnt(0)
	flat_store_dword v[4:5], v131 offset:208
	flat_store_dword v[138:139], v133
.LBB122_890:
	s_or_b64 exec, exec, s[14:15]
	v_mov_b32_e32 v131, v130
	v_mov_b32_e32 v133, v130
.LBB122_891:
	s_or_b64 exec, exec, s[2:3]
.LBB122_892:
	s_andn2_saveexec_b64 s[0:1], s[0:1]
	s_cbranch_execz .LBB122_894
; %bb.893:
	v_mov_b32_e32 v133, 52
	ds_write2_b64 v132, v[18:19], v[16:17] offset0:53 offset1:54
	ds_write2_b64 v132, v[14:15], v[12:13] offset0:55 offset1:56
	;; [unrolled: 1-line block ×4, first 2 shown]
	ds_write_b64 v132, v[126:127] offset:488
.LBB122_894:
	s_or_b64 exec, exec, s[0:1]
	v_cmp_lt_i32_e32 vcc, 52, v133
	s_waitcnt lgkmcnt(0)
	s_barrier
	s_and_saveexec_b64 s[0:1], vcc
	s_cbranch_execz .LBB122_896
; %bb.895:
	ds_read2_b64 v[138:141], v132 offset0:53 offset1:54
	ds_read2_b64 v[142:145], v132 offset0:55 offset1:56
	v_mul_f64 v[20:21], v[128:129], v[20:21]
	ds_read_b64 v[128:129], v132 offset:488
	ds_read2_b64 v[146:149], v132 offset0:59 offset1:60
	s_waitcnt lgkmcnt(0)
	v_fma_f64 v[18:19], -v[20:21], v[138:139], v[18:19]
	v_fma_f64 v[16:17], -v[20:21], v[140:141], v[16:17]
	ds_read2_b64 v[138:141], v132 offset0:57 offset1:58
	v_fma_f64 v[14:15], -v[20:21], v[142:143], v[14:15]
	v_fma_f64 v[12:13], -v[20:21], v[144:145], v[12:13]
	;; [unrolled: 1-line block ×4, first 2 shown]
	s_waitcnt lgkmcnt(0)
	v_fma_f64 v[10:11], -v[20:21], v[138:139], v[10:11]
	v_fma_f64 v[8:9], -v[20:21], v[140:141], v[8:9]
	;; [unrolled: 1-line block ×3, first 2 shown]
.LBB122_896:
	s_or_b64 exec, exec, s[0:1]
	v_lshl_add_u32 v128, v133, 3, v132
	s_barrier
	ds_write_b64 v128, v[18:19]
	s_waitcnt lgkmcnt(0)
	s_barrier
	ds_read_b64 v[128:129], v132 offset:424
	s_cmp_lt_i32 s18, 55
	v_mov_b32_e32 v130, 53
	s_cbranch_scc1 .LBB122_899
; %bb.897:
	v_add_u32_e32 v137, 0x1b0, v132
	s_mov_b32 s0, 54
	v_mov_b32_e32 v130, 53
.LBB122_898:                            ; =>This Inner Loop Header: Depth=1
	ds_read_b64 v[138:139], v137
	v_mov_b32_e32 v140, s0
	s_add_i32 s0, s0, 1
	v_add_u32_e32 v137, 8, v137
	s_cmp_lg_u32 s18, s0
	s_waitcnt lgkmcnt(0)
	v_cmp_lt_f64_e64 vcc, |v[128:129]|, |v[138:139]|
	v_cndmask_b32_e32 v129, v129, v139, vcc
	v_cndmask_b32_e32 v128, v128, v138, vcc
	;; [unrolled: 1-line block ×3, first 2 shown]
	s_cbranch_scc1 .LBB122_898
.LBB122_899:
	s_waitcnt lgkmcnt(0)
	v_cmp_eq_f64_e32 vcc, 0, v[128:129]
	s_and_saveexec_b64 s[0:1], vcc
	s_xor_b64 s[0:1], exec, s[0:1]
; %bb.900:
	v_cmp_ne_u32_e32 vcc, 0, v136
	v_cndmask_b32_e32 v136, 54, v136, vcc
; %bb.901:
	s_andn2_saveexec_b64 s[0:1], s[0:1]
; %bb.902:
	v_div_scale_f64 v[138:139], s[2:3], v[128:129], v[128:129], 1.0
	v_rcp_f64_e32 v[140:141], v[138:139]
	v_div_scale_f64 v[142:143], vcc, 1.0, v[128:129], 1.0
	v_fma_f64 v[144:145], -v[138:139], v[140:141], 1.0
	v_fmac_f64_e32 v[140:141], v[140:141], v[144:145]
	v_fma_f64 v[144:145], -v[138:139], v[140:141], 1.0
	v_fmac_f64_e32 v[140:141], v[140:141], v[144:145]
	v_mul_f64 v[144:145], v[142:143], v[140:141]
	v_fma_f64 v[138:139], -v[138:139], v[144:145], v[142:143]
	v_div_fmas_f64 v[138:139], v[138:139], v[140:141], v[144:145]
	v_div_fixup_f64 v[128:129], v[138:139], v[128:129], 1.0
; %bb.903:
	s_or_b64 exec, exec, s[0:1]
	v_cmp_ne_u32_e32 vcc, v133, v130
	s_and_saveexec_b64 s[0:1], vcc
	s_xor_b64 s[0:1], exec, s[0:1]
	s_cbranch_execz .LBB122_909
; %bb.904:
	v_cmp_eq_u32_e32 vcc, 53, v133
	s_and_saveexec_b64 s[2:3], vcc
	s_cbranch_execz .LBB122_908
; %bb.905:
	v_cmp_ne_u32_e32 vcc, 53, v130
	s_xor_b64 s[14:15], s[6:7], -1
	s_and_b64 s[16:17], s[14:15], vcc
	s_and_saveexec_b64 s[14:15], s[16:17]
	s_cbranch_execz .LBB122_907
; %bb.906:
	v_ashrrev_i32_e32 v131, 31, v130
	v_lshlrev_b64 v[138:139], 2, v[130:131]
	v_add_co_u32_e32 v138, vcc, v4, v138
	v_addc_co_u32_e32 v139, vcc, v5, v139, vcc
	flat_load_dword v131, v[138:139]
	flat_load_dword v133, v[4:5] offset:212
	s_waitcnt vmcnt(0) lgkmcnt(0)
	flat_store_dword v[4:5], v131 offset:212
	flat_store_dword v[138:139], v133
.LBB122_907:
	s_or_b64 exec, exec, s[14:15]
	v_mov_b32_e32 v131, v130
	v_mov_b32_e32 v133, v130
.LBB122_908:
	s_or_b64 exec, exec, s[2:3]
.LBB122_909:
	s_andn2_saveexec_b64 s[0:1], s[0:1]
	s_cbranch_execz .LBB122_911
; %bb.910:
	v_mov_b32_e32 v138, v16
	v_mov_b32_e32 v139, v17
	v_mov_b32_e32 v140, v14
	v_mov_b32_e32 v141, v15
	ds_write2_b64 v132, v[138:139], v[140:141] offset0:54 offset1:55
	v_mov_b32_e32 v138, v12
	v_mov_b32_e32 v139, v13
	v_mov_b32_e32 v140, v10
	v_mov_b32_e32 v141, v11
	ds_write2_b64 v132, v[138:139], v[140:141] offset0:56 offset1:57
	;; [unrolled: 5-line block ×3, first 2 shown]
	v_mov_b32_e32 v138, v0
	v_mov_b32_e32 v139, v1
	v_mov_b32_e32 v133, 53
	ds_write2_b64 v132, v[138:139], v[126:127] offset0:60 offset1:61
.LBB122_911:
	s_or_b64 exec, exec, s[0:1]
	v_cmp_lt_i32_e32 vcc, 53, v133
	s_waitcnt lgkmcnt(0)
	s_barrier
	s_and_saveexec_b64 s[0:1], vcc
	s_cbranch_execz .LBB122_913
; %bb.912:
	ds_read2_b64 v[138:141], v132 offset0:54 offset1:55
	ds_read2_b64 v[142:145], v132 offset0:56 offset1:57
	v_mul_f64 v[18:19], v[128:129], v[18:19]
	ds_read2_b64 v[146:149], v132 offset0:58 offset1:59
	s_waitcnt lgkmcnt(0)
	v_fma_f64 v[16:17], -v[18:19], v[138:139], v[16:17]
	v_fma_f64 v[14:15], -v[18:19], v[140:141], v[14:15]
	ds_read2_b64 v[138:141], v132 offset0:60 offset1:61
	v_fma_f64 v[12:13], -v[18:19], v[142:143], v[12:13]
	v_fma_f64 v[10:11], -v[18:19], v[144:145], v[10:11]
	;; [unrolled: 1-line block ×4, first 2 shown]
	s_waitcnt lgkmcnt(0)
	v_fma_f64 v[0:1], -v[18:19], v[138:139], v[0:1]
	v_fma_f64 v[126:127], -v[18:19], v[140:141], v[126:127]
.LBB122_913:
	s_or_b64 exec, exec, s[0:1]
	v_lshl_add_u32 v128, v133, 3, v132
	s_barrier
	ds_write_b64 v128, v[16:17]
	s_waitcnt lgkmcnt(0)
	s_barrier
	ds_read_b64 v[128:129], v132 offset:432
	s_cmp_lt_i32 s18, 56
	v_mov_b32_e32 v130, 54
	s_cbranch_scc1 .LBB122_916
; %bb.914:
	v_add_u32_e32 v137, 0x1b8, v132
	s_mov_b32 s0, 55
	v_mov_b32_e32 v130, 54
.LBB122_915:                            ; =>This Inner Loop Header: Depth=1
	ds_read_b64 v[138:139], v137
	v_mov_b32_e32 v140, s0
	s_add_i32 s0, s0, 1
	v_add_u32_e32 v137, 8, v137
	s_cmp_lg_u32 s18, s0
	s_waitcnt lgkmcnt(0)
	v_cmp_lt_f64_e64 vcc, |v[128:129]|, |v[138:139]|
	v_cndmask_b32_e32 v129, v129, v139, vcc
	v_cndmask_b32_e32 v128, v128, v138, vcc
	v_cndmask_b32_e32 v130, v130, v140, vcc
	s_cbranch_scc1 .LBB122_915
.LBB122_916:
	s_waitcnt lgkmcnt(0)
	v_cmp_eq_f64_e32 vcc, 0, v[128:129]
	s_and_saveexec_b64 s[0:1], vcc
	s_xor_b64 s[0:1], exec, s[0:1]
; %bb.917:
	v_cmp_ne_u32_e32 vcc, 0, v136
	v_cndmask_b32_e32 v136, 55, v136, vcc
; %bb.918:
	s_andn2_saveexec_b64 s[0:1], s[0:1]
; %bb.919:
	v_div_scale_f64 v[138:139], s[2:3], v[128:129], v[128:129], 1.0
	v_rcp_f64_e32 v[140:141], v[138:139]
	v_div_scale_f64 v[142:143], vcc, 1.0, v[128:129], 1.0
	v_fma_f64 v[144:145], -v[138:139], v[140:141], 1.0
	v_fmac_f64_e32 v[140:141], v[140:141], v[144:145]
	v_fma_f64 v[144:145], -v[138:139], v[140:141], 1.0
	v_fmac_f64_e32 v[140:141], v[140:141], v[144:145]
	v_mul_f64 v[144:145], v[142:143], v[140:141]
	v_fma_f64 v[138:139], -v[138:139], v[144:145], v[142:143]
	v_div_fmas_f64 v[138:139], v[138:139], v[140:141], v[144:145]
	v_div_fixup_f64 v[128:129], v[138:139], v[128:129], 1.0
; %bb.920:
	s_or_b64 exec, exec, s[0:1]
	v_cmp_ne_u32_e32 vcc, v133, v130
	s_and_saveexec_b64 s[0:1], vcc
	s_xor_b64 s[0:1], exec, s[0:1]
	s_cbranch_execz .LBB122_926
; %bb.921:
	v_cmp_eq_u32_e32 vcc, 54, v133
	s_and_saveexec_b64 s[2:3], vcc
	s_cbranch_execz .LBB122_925
; %bb.922:
	v_cmp_ne_u32_e32 vcc, 54, v130
	s_xor_b64 s[14:15], s[6:7], -1
	s_and_b64 s[16:17], s[14:15], vcc
	s_and_saveexec_b64 s[14:15], s[16:17]
	s_cbranch_execz .LBB122_924
; %bb.923:
	v_ashrrev_i32_e32 v131, 31, v130
	v_lshlrev_b64 v[138:139], 2, v[130:131]
	v_add_co_u32_e32 v138, vcc, v4, v138
	v_addc_co_u32_e32 v139, vcc, v5, v139, vcc
	flat_load_dword v131, v[138:139]
	flat_load_dword v133, v[4:5] offset:216
	s_waitcnt vmcnt(0) lgkmcnt(0)
	flat_store_dword v[4:5], v131 offset:216
	flat_store_dword v[138:139], v133
.LBB122_924:
	s_or_b64 exec, exec, s[14:15]
	v_mov_b32_e32 v131, v130
	v_mov_b32_e32 v133, v130
.LBB122_925:
	s_or_b64 exec, exec, s[2:3]
.LBB122_926:
	s_andn2_saveexec_b64 s[0:1], s[0:1]
	s_cbranch_execz .LBB122_928
; %bb.927:
	v_mov_b32_e32 v133, 54
	ds_write2_b64 v132, v[14:15], v[12:13] offset0:55 offset1:56
	ds_write2_b64 v132, v[10:11], v[8:9] offset0:57 offset1:58
	;; [unrolled: 1-line block ×3, first 2 shown]
	ds_write_b64 v132, v[126:127] offset:488
.LBB122_928:
	s_or_b64 exec, exec, s[0:1]
	v_cmp_lt_i32_e32 vcc, 54, v133
	s_waitcnt lgkmcnt(0)
	s_barrier
	s_and_saveexec_b64 s[0:1], vcc
	s_cbranch_execz .LBB122_930
; %bb.929:
	ds_read2_b64 v[138:141], v132 offset0:55 offset1:56
	ds_read2_b64 v[142:145], v132 offset0:57 offset1:58
	v_mul_f64 v[16:17], v[128:129], v[16:17]
	ds_read2_b64 v[146:149], v132 offset0:59 offset1:60
	ds_read_b64 v[128:129], v132 offset:488
	s_waitcnt lgkmcnt(0)
	v_fma_f64 v[14:15], -v[16:17], v[138:139], v[14:15]
	v_fma_f64 v[12:13], -v[16:17], v[140:141], v[12:13]
	;; [unrolled: 1-line block ×7, first 2 shown]
.LBB122_930:
	s_or_b64 exec, exec, s[0:1]
	v_lshl_add_u32 v128, v133, 3, v132
	s_barrier
	ds_write_b64 v128, v[14:15]
	s_waitcnt lgkmcnt(0)
	s_barrier
	ds_read_b64 v[128:129], v132 offset:440
	s_cmp_lt_i32 s18, 57
	v_mov_b32_e32 v130, 55
	s_cbranch_scc1 .LBB122_933
; %bb.931:
	v_add_u32_e32 v137, 0x1c0, v132
	s_mov_b32 s0, 56
	v_mov_b32_e32 v130, 55
.LBB122_932:                            ; =>This Inner Loop Header: Depth=1
	ds_read_b64 v[138:139], v137
	v_mov_b32_e32 v140, s0
	s_add_i32 s0, s0, 1
	v_add_u32_e32 v137, 8, v137
	s_cmp_lg_u32 s18, s0
	s_waitcnt lgkmcnt(0)
	v_cmp_lt_f64_e64 vcc, |v[128:129]|, |v[138:139]|
	v_cndmask_b32_e32 v129, v129, v139, vcc
	v_cndmask_b32_e32 v128, v128, v138, vcc
	;; [unrolled: 1-line block ×3, first 2 shown]
	s_cbranch_scc1 .LBB122_932
.LBB122_933:
	s_waitcnt lgkmcnt(0)
	v_cmp_eq_f64_e32 vcc, 0, v[128:129]
	s_and_saveexec_b64 s[0:1], vcc
	s_xor_b64 s[0:1], exec, s[0:1]
; %bb.934:
	v_cmp_ne_u32_e32 vcc, 0, v136
	v_cndmask_b32_e32 v136, 56, v136, vcc
; %bb.935:
	s_andn2_saveexec_b64 s[0:1], s[0:1]
; %bb.936:
	v_div_scale_f64 v[138:139], s[2:3], v[128:129], v[128:129], 1.0
	v_rcp_f64_e32 v[140:141], v[138:139]
	v_div_scale_f64 v[142:143], vcc, 1.0, v[128:129], 1.0
	v_fma_f64 v[144:145], -v[138:139], v[140:141], 1.0
	v_fmac_f64_e32 v[140:141], v[140:141], v[144:145]
	v_fma_f64 v[144:145], -v[138:139], v[140:141], 1.0
	v_fmac_f64_e32 v[140:141], v[140:141], v[144:145]
	v_mul_f64 v[144:145], v[142:143], v[140:141]
	v_fma_f64 v[138:139], -v[138:139], v[144:145], v[142:143]
	v_div_fmas_f64 v[138:139], v[138:139], v[140:141], v[144:145]
	v_div_fixup_f64 v[128:129], v[138:139], v[128:129], 1.0
; %bb.937:
	s_or_b64 exec, exec, s[0:1]
	v_cmp_ne_u32_e32 vcc, v133, v130
	s_and_saveexec_b64 s[0:1], vcc
	s_xor_b64 s[0:1], exec, s[0:1]
	s_cbranch_execz .LBB122_943
; %bb.938:
	v_cmp_eq_u32_e32 vcc, 55, v133
	s_and_saveexec_b64 s[2:3], vcc
	s_cbranch_execz .LBB122_942
; %bb.939:
	v_cmp_ne_u32_e32 vcc, 55, v130
	s_xor_b64 s[14:15], s[6:7], -1
	s_and_b64 s[16:17], s[14:15], vcc
	s_and_saveexec_b64 s[14:15], s[16:17]
	s_cbranch_execz .LBB122_941
; %bb.940:
	v_ashrrev_i32_e32 v131, 31, v130
	v_lshlrev_b64 v[138:139], 2, v[130:131]
	v_add_co_u32_e32 v138, vcc, v4, v138
	v_addc_co_u32_e32 v139, vcc, v5, v139, vcc
	flat_load_dword v131, v[138:139]
	flat_load_dword v133, v[4:5] offset:220
	s_waitcnt vmcnt(0) lgkmcnt(0)
	flat_store_dword v[4:5], v131 offset:220
	flat_store_dword v[138:139], v133
.LBB122_941:
	s_or_b64 exec, exec, s[14:15]
	v_mov_b32_e32 v131, v130
	v_mov_b32_e32 v133, v130
.LBB122_942:
	s_or_b64 exec, exec, s[2:3]
.LBB122_943:
	s_andn2_saveexec_b64 s[0:1], s[0:1]
	s_cbranch_execz .LBB122_945
; %bb.944:
	v_mov_b32_e32 v138, v12
	v_mov_b32_e32 v139, v13
	;; [unrolled: 1-line block ×4, first 2 shown]
	ds_write2_b64 v132, v[138:139], v[140:141] offset0:56 offset1:57
	v_mov_b32_e32 v138, v8
	v_mov_b32_e32 v139, v9
	;; [unrolled: 1-line block ×4, first 2 shown]
	ds_write2_b64 v132, v[138:139], v[140:141] offset0:58 offset1:59
	v_mov_b32_e32 v138, v0
	v_mov_b32_e32 v139, v1
	;; [unrolled: 1-line block ×3, first 2 shown]
	ds_write2_b64 v132, v[138:139], v[126:127] offset0:60 offset1:61
.LBB122_945:
	s_or_b64 exec, exec, s[0:1]
	v_cmp_lt_i32_e32 vcc, 55, v133
	s_waitcnt lgkmcnt(0)
	s_barrier
	s_and_saveexec_b64 s[0:1], vcc
	s_cbranch_execz .LBB122_947
; %bb.946:
	ds_read2_b64 v[138:141], v132 offset0:56 offset1:57
	ds_read2_b64 v[142:145], v132 offset0:58 offset1:59
	;; [unrolled: 1-line block ×3, first 2 shown]
	v_mul_f64 v[14:15], v[128:129], v[14:15]
	s_waitcnt lgkmcnt(0)
	v_fma_f64 v[12:13], -v[14:15], v[138:139], v[12:13]
	v_fma_f64 v[10:11], -v[14:15], v[140:141], v[10:11]
	;; [unrolled: 1-line block ×6, first 2 shown]
.LBB122_947:
	s_or_b64 exec, exec, s[0:1]
	v_lshl_add_u32 v128, v133, 3, v132
	s_barrier
	ds_write_b64 v128, v[12:13]
	s_waitcnt lgkmcnt(0)
	s_barrier
	ds_read_b64 v[128:129], v132 offset:448
	s_cmp_lt_i32 s18, 58
	v_mov_b32_e32 v130, 56
	s_cbranch_scc1 .LBB122_950
; %bb.948:
	v_add_u32_e32 v137, 0x1c8, v132
	s_mov_b32 s0, 57
	v_mov_b32_e32 v130, 56
.LBB122_949:                            ; =>This Inner Loop Header: Depth=1
	ds_read_b64 v[138:139], v137
	v_mov_b32_e32 v140, s0
	s_add_i32 s0, s0, 1
	v_add_u32_e32 v137, 8, v137
	s_cmp_lg_u32 s18, s0
	s_waitcnt lgkmcnt(0)
	v_cmp_lt_f64_e64 vcc, |v[128:129]|, |v[138:139]|
	v_cndmask_b32_e32 v129, v129, v139, vcc
	v_cndmask_b32_e32 v128, v128, v138, vcc
	;; [unrolled: 1-line block ×3, first 2 shown]
	s_cbranch_scc1 .LBB122_949
.LBB122_950:
	s_waitcnt lgkmcnt(0)
	v_cmp_eq_f64_e32 vcc, 0, v[128:129]
	s_and_saveexec_b64 s[0:1], vcc
	s_xor_b64 s[0:1], exec, s[0:1]
; %bb.951:
	v_cmp_ne_u32_e32 vcc, 0, v136
	v_cndmask_b32_e32 v136, 57, v136, vcc
; %bb.952:
	s_andn2_saveexec_b64 s[0:1], s[0:1]
; %bb.953:
	v_div_scale_f64 v[138:139], s[2:3], v[128:129], v[128:129], 1.0
	v_rcp_f64_e32 v[140:141], v[138:139]
	v_div_scale_f64 v[142:143], vcc, 1.0, v[128:129], 1.0
	v_fma_f64 v[144:145], -v[138:139], v[140:141], 1.0
	v_fmac_f64_e32 v[140:141], v[140:141], v[144:145]
	v_fma_f64 v[144:145], -v[138:139], v[140:141], 1.0
	v_fmac_f64_e32 v[140:141], v[140:141], v[144:145]
	v_mul_f64 v[144:145], v[142:143], v[140:141]
	v_fma_f64 v[138:139], -v[138:139], v[144:145], v[142:143]
	v_div_fmas_f64 v[138:139], v[138:139], v[140:141], v[144:145]
	v_div_fixup_f64 v[128:129], v[138:139], v[128:129], 1.0
; %bb.954:
	s_or_b64 exec, exec, s[0:1]
	v_cmp_ne_u32_e32 vcc, v133, v130
	s_and_saveexec_b64 s[0:1], vcc
	s_xor_b64 s[0:1], exec, s[0:1]
	s_cbranch_execz .LBB122_960
; %bb.955:
	v_cmp_eq_u32_e32 vcc, 56, v133
	s_and_saveexec_b64 s[2:3], vcc
	s_cbranch_execz .LBB122_959
; %bb.956:
	v_cmp_ne_u32_e32 vcc, 56, v130
	s_xor_b64 s[14:15], s[6:7], -1
	s_and_b64 s[16:17], s[14:15], vcc
	s_and_saveexec_b64 s[14:15], s[16:17]
	s_cbranch_execz .LBB122_958
; %bb.957:
	v_ashrrev_i32_e32 v131, 31, v130
	v_lshlrev_b64 v[138:139], 2, v[130:131]
	v_add_co_u32_e32 v138, vcc, v4, v138
	v_addc_co_u32_e32 v139, vcc, v5, v139, vcc
	flat_load_dword v131, v[138:139]
	flat_load_dword v133, v[4:5] offset:224
	s_waitcnt vmcnt(0) lgkmcnt(0)
	flat_store_dword v[4:5], v131 offset:224
	flat_store_dword v[138:139], v133
.LBB122_958:
	s_or_b64 exec, exec, s[14:15]
	v_mov_b32_e32 v131, v130
	v_mov_b32_e32 v133, v130
.LBB122_959:
	s_or_b64 exec, exec, s[2:3]
.LBB122_960:
	s_andn2_saveexec_b64 s[0:1], s[0:1]
	s_cbranch_execz .LBB122_962
; %bb.961:
	v_mov_b32_e32 v133, 56
	ds_write2_b64 v132, v[10:11], v[8:9] offset0:57 offset1:58
	ds_write2_b64 v132, v[6:7], v[0:1] offset0:59 offset1:60
	ds_write_b64 v132, v[126:127] offset:488
.LBB122_962:
	s_or_b64 exec, exec, s[0:1]
	v_cmp_lt_i32_e32 vcc, 56, v133
	s_waitcnt lgkmcnt(0)
	s_barrier
	s_and_saveexec_b64 s[0:1], vcc
	s_cbranch_execz .LBB122_964
; %bb.963:
	ds_read2_b64 v[138:141], v132 offset0:57 offset1:58
	ds_read2_b64 v[142:145], v132 offset0:59 offset1:60
	v_mul_f64 v[12:13], v[128:129], v[12:13]
	ds_read_b64 v[128:129], v132 offset:488
	s_waitcnt lgkmcnt(0)
	v_fma_f64 v[10:11], -v[12:13], v[138:139], v[10:11]
	v_fma_f64 v[8:9], -v[12:13], v[140:141], v[8:9]
	v_fma_f64 v[6:7], -v[12:13], v[142:143], v[6:7]
	v_fma_f64 v[0:1], -v[12:13], v[144:145], v[0:1]
	v_fma_f64 v[126:127], -v[12:13], v[128:129], v[126:127]
.LBB122_964:
	s_or_b64 exec, exec, s[0:1]
	v_lshl_add_u32 v128, v133, 3, v132
	s_barrier
	ds_write_b64 v128, v[10:11]
	s_waitcnt lgkmcnt(0)
	s_barrier
	ds_read_b64 v[128:129], v132 offset:456
	s_cmp_lt_i32 s18, 59
	v_mov_b32_e32 v130, 57
	s_cbranch_scc1 .LBB122_967
; %bb.965:
	v_add_u32_e32 v137, 0x1d0, v132
	s_mov_b32 s0, 58
	v_mov_b32_e32 v130, 57
.LBB122_966:                            ; =>This Inner Loop Header: Depth=1
	ds_read_b64 v[138:139], v137
	v_mov_b32_e32 v140, s0
	s_add_i32 s0, s0, 1
	v_add_u32_e32 v137, 8, v137
	s_cmp_lg_u32 s18, s0
	s_waitcnt lgkmcnt(0)
	v_cmp_lt_f64_e64 vcc, |v[128:129]|, |v[138:139]|
	v_cndmask_b32_e32 v129, v129, v139, vcc
	v_cndmask_b32_e32 v128, v128, v138, vcc
	;; [unrolled: 1-line block ×3, first 2 shown]
	s_cbranch_scc1 .LBB122_966
.LBB122_967:
	s_waitcnt lgkmcnt(0)
	v_cmp_eq_f64_e32 vcc, 0, v[128:129]
	s_and_saveexec_b64 s[0:1], vcc
	s_xor_b64 s[0:1], exec, s[0:1]
; %bb.968:
	v_cmp_ne_u32_e32 vcc, 0, v136
	v_cndmask_b32_e32 v136, 58, v136, vcc
; %bb.969:
	s_andn2_saveexec_b64 s[0:1], s[0:1]
; %bb.970:
	v_div_scale_f64 v[138:139], s[2:3], v[128:129], v[128:129], 1.0
	v_rcp_f64_e32 v[140:141], v[138:139]
	v_div_scale_f64 v[142:143], vcc, 1.0, v[128:129], 1.0
	v_fma_f64 v[144:145], -v[138:139], v[140:141], 1.0
	v_fmac_f64_e32 v[140:141], v[140:141], v[144:145]
	v_fma_f64 v[144:145], -v[138:139], v[140:141], 1.0
	v_fmac_f64_e32 v[140:141], v[140:141], v[144:145]
	v_mul_f64 v[144:145], v[142:143], v[140:141]
	v_fma_f64 v[138:139], -v[138:139], v[144:145], v[142:143]
	v_div_fmas_f64 v[138:139], v[138:139], v[140:141], v[144:145]
	v_div_fixup_f64 v[128:129], v[138:139], v[128:129], 1.0
; %bb.971:
	s_or_b64 exec, exec, s[0:1]
	v_cmp_ne_u32_e32 vcc, v133, v130
	s_and_saveexec_b64 s[0:1], vcc
	s_xor_b64 s[0:1], exec, s[0:1]
	s_cbranch_execz .LBB122_977
; %bb.972:
	v_cmp_eq_u32_e32 vcc, 57, v133
	s_and_saveexec_b64 s[2:3], vcc
	s_cbranch_execz .LBB122_976
; %bb.973:
	v_cmp_ne_u32_e32 vcc, 57, v130
	s_xor_b64 s[14:15], s[6:7], -1
	s_and_b64 s[16:17], s[14:15], vcc
	s_and_saveexec_b64 s[14:15], s[16:17]
	s_cbranch_execz .LBB122_975
; %bb.974:
	v_ashrrev_i32_e32 v131, 31, v130
	v_lshlrev_b64 v[138:139], 2, v[130:131]
	v_add_co_u32_e32 v138, vcc, v4, v138
	v_addc_co_u32_e32 v139, vcc, v5, v139, vcc
	flat_load_dword v131, v[138:139]
	flat_load_dword v133, v[4:5] offset:228
	s_waitcnt vmcnt(0) lgkmcnt(0)
	flat_store_dword v[4:5], v131 offset:228
	flat_store_dword v[138:139], v133
.LBB122_975:
	s_or_b64 exec, exec, s[14:15]
	v_mov_b32_e32 v131, v130
	v_mov_b32_e32 v133, v130
.LBB122_976:
	s_or_b64 exec, exec, s[2:3]
.LBB122_977:
	s_andn2_saveexec_b64 s[0:1], s[0:1]
	s_cbranch_execz .LBB122_979
; %bb.978:
	v_mov_b32_e32 v138, v8
	v_mov_b32_e32 v139, v9
	;; [unrolled: 1-line block ×4, first 2 shown]
	ds_write2_b64 v132, v[138:139], v[140:141] offset0:58 offset1:59
	v_mov_b32_e32 v138, v0
	v_mov_b32_e32 v139, v1
	;; [unrolled: 1-line block ×3, first 2 shown]
	ds_write2_b64 v132, v[138:139], v[126:127] offset0:60 offset1:61
.LBB122_979:
	s_or_b64 exec, exec, s[0:1]
	v_cmp_lt_i32_e32 vcc, 57, v133
	s_waitcnt lgkmcnt(0)
	s_barrier
	s_and_saveexec_b64 s[0:1], vcc
	s_cbranch_execz .LBB122_981
; %bb.980:
	ds_read2_b64 v[138:141], v132 offset0:58 offset1:59
	ds_read2_b64 v[142:145], v132 offset0:60 offset1:61
	v_mul_f64 v[10:11], v[128:129], v[10:11]
	s_waitcnt lgkmcnt(0)
	v_fma_f64 v[8:9], -v[10:11], v[138:139], v[8:9]
	v_fma_f64 v[6:7], -v[10:11], v[140:141], v[6:7]
	;; [unrolled: 1-line block ×4, first 2 shown]
.LBB122_981:
	s_or_b64 exec, exec, s[0:1]
	v_lshl_add_u32 v128, v133, 3, v132
	s_barrier
	ds_write_b64 v128, v[8:9]
	s_waitcnt lgkmcnt(0)
	s_barrier
	ds_read_b64 v[128:129], v132 offset:464
	s_cmp_lt_i32 s18, 60
	v_mov_b32_e32 v130, 58
	s_cbranch_scc1 .LBB122_984
; %bb.982:
	v_add_u32_e32 v137, 0x1d8, v132
	s_mov_b32 s0, 59
	v_mov_b32_e32 v130, 58
.LBB122_983:                            ; =>This Inner Loop Header: Depth=1
	ds_read_b64 v[138:139], v137
	v_mov_b32_e32 v140, s0
	s_add_i32 s0, s0, 1
	v_add_u32_e32 v137, 8, v137
	s_cmp_lg_u32 s18, s0
	s_waitcnt lgkmcnt(0)
	v_cmp_lt_f64_e64 vcc, |v[128:129]|, |v[138:139]|
	v_cndmask_b32_e32 v129, v129, v139, vcc
	v_cndmask_b32_e32 v128, v128, v138, vcc
	;; [unrolled: 1-line block ×3, first 2 shown]
	s_cbranch_scc1 .LBB122_983
.LBB122_984:
	s_waitcnt lgkmcnt(0)
	v_cmp_eq_f64_e32 vcc, 0, v[128:129]
	s_and_saveexec_b64 s[0:1], vcc
	s_xor_b64 s[0:1], exec, s[0:1]
; %bb.985:
	v_cmp_ne_u32_e32 vcc, 0, v136
	v_cndmask_b32_e32 v136, 59, v136, vcc
; %bb.986:
	s_andn2_saveexec_b64 s[0:1], s[0:1]
; %bb.987:
	v_div_scale_f64 v[138:139], s[2:3], v[128:129], v[128:129], 1.0
	v_rcp_f64_e32 v[140:141], v[138:139]
	v_div_scale_f64 v[142:143], vcc, 1.0, v[128:129], 1.0
	v_fma_f64 v[144:145], -v[138:139], v[140:141], 1.0
	v_fmac_f64_e32 v[140:141], v[140:141], v[144:145]
	v_fma_f64 v[144:145], -v[138:139], v[140:141], 1.0
	v_fmac_f64_e32 v[140:141], v[140:141], v[144:145]
	v_mul_f64 v[144:145], v[142:143], v[140:141]
	v_fma_f64 v[138:139], -v[138:139], v[144:145], v[142:143]
	v_div_fmas_f64 v[138:139], v[138:139], v[140:141], v[144:145]
	v_div_fixup_f64 v[128:129], v[138:139], v[128:129], 1.0
; %bb.988:
	s_or_b64 exec, exec, s[0:1]
	v_cmp_ne_u32_e32 vcc, v133, v130
	s_and_saveexec_b64 s[0:1], vcc
	s_xor_b64 s[0:1], exec, s[0:1]
	s_cbranch_execz .LBB122_994
; %bb.989:
	v_cmp_eq_u32_e32 vcc, 58, v133
	s_and_saveexec_b64 s[2:3], vcc
	s_cbranch_execz .LBB122_993
; %bb.990:
	v_cmp_ne_u32_e32 vcc, 58, v130
	s_xor_b64 s[14:15], s[6:7], -1
	s_and_b64 s[16:17], s[14:15], vcc
	s_and_saveexec_b64 s[14:15], s[16:17]
	s_cbranch_execz .LBB122_992
; %bb.991:
	v_ashrrev_i32_e32 v131, 31, v130
	v_lshlrev_b64 v[138:139], 2, v[130:131]
	v_add_co_u32_e32 v138, vcc, v4, v138
	v_addc_co_u32_e32 v139, vcc, v5, v139, vcc
	flat_load_dword v131, v[138:139]
	flat_load_dword v133, v[4:5] offset:232
	s_waitcnt vmcnt(0) lgkmcnt(0)
	flat_store_dword v[4:5], v131 offset:232
	flat_store_dword v[138:139], v133
.LBB122_992:
	s_or_b64 exec, exec, s[14:15]
	v_mov_b32_e32 v131, v130
	v_mov_b32_e32 v133, v130
.LBB122_993:
	s_or_b64 exec, exec, s[2:3]
.LBB122_994:
	s_andn2_saveexec_b64 s[0:1], s[0:1]
	s_cbranch_execz .LBB122_996
; %bb.995:
	v_mov_b32_e32 v133, 58
	ds_write2_b64 v132, v[6:7], v[0:1] offset0:59 offset1:60
	ds_write_b64 v132, v[126:127] offset:488
.LBB122_996:
	s_or_b64 exec, exec, s[0:1]
	v_cmp_lt_i32_e32 vcc, 58, v133
	s_waitcnt lgkmcnt(0)
	s_barrier
	s_and_saveexec_b64 s[0:1], vcc
	s_cbranch_execz .LBB122_998
; %bb.997:
	ds_read2_b64 v[138:141], v132 offset0:59 offset1:60
	ds_read_b64 v[142:143], v132 offset:488
	v_mul_f64 v[8:9], v[128:129], v[8:9]
	s_waitcnt lgkmcnt(0)
	v_fma_f64 v[6:7], -v[8:9], v[138:139], v[6:7]
	v_fma_f64 v[0:1], -v[8:9], v[140:141], v[0:1]
	;; [unrolled: 1-line block ×3, first 2 shown]
.LBB122_998:
	s_or_b64 exec, exec, s[0:1]
	v_lshl_add_u32 v128, v133, 3, v132
	s_barrier
	ds_write_b64 v128, v[6:7]
	s_waitcnt lgkmcnt(0)
	s_barrier
	ds_read_b64 v[128:129], v132 offset:472
	s_cmp_lt_i32 s18, 61
	v_mov_b32_e32 v130, 59
	s_cbranch_scc1 .LBB122_1001
; %bb.999:
	v_add_u32_e32 v137, 0x1e0, v132
	s_mov_b32 s0, 60
	v_mov_b32_e32 v130, 59
.LBB122_1000:                           ; =>This Inner Loop Header: Depth=1
	ds_read_b64 v[138:139], v137
	v_mov_b32_e32 v140, s0
	s_add_i32 s0, s0, 1
	v_add_u32_e32 v137, 8, v137
	s_cmp_lg_u32 s18, s0
	s_waitcnt lgkmcnt(0)
	v_cmp_lt_f64_e64 vcc, |v[128:129]|, |v[138:139]|
	v_cndmask_b32_e32 v129, v129, v139, vcc
	v_cndmask_b32_e32 v128, v128, v138, vcc
	;; [unrolled: 1-line block ×3, first 2 shown]
	s_cbranch_scc1 .LBB122_1000
.LBB122_1001:
	s_waitcnt lgkmcnt(0)
	v_cmp_eq_f64_e32 vcc, 0, v[128:129]
	s_and_saveexec_b64 s[0:1], vcc
	s_xor_b64 s[0:1], exec, s[0:1]
; %bb.1002:
	v_cmp_ne_u32_e32 vcc, 0, v136
	v_cndmask_b32_e32 v136, 60, v136, vcc
; %bb.1003:
	s_andn2_saveexec_b64 s[0:1], s[0:1]
; %bb.1004:
	v_div_scale_f64 v[138:139], s[2:3], v[128:129], v[128:129], 1.0
	v_rcp_f64_e32 v[140:141], v[138:139]
	v_div_scale_f64 v[142:143], vcc, 1.0, v[128:129], 1.0
	v_fma_f64 v[144:145], -v[138:139], v[140:141], 1.0
	v_fmac_f64_e32 v[140:141], v[140:141], v[144:145]
	v_fma_f64 v[144:145], -v[138:139], v[140:141], 1.0
	v_fmac_f64_e32 v[140:141], v[140:141], v[144:145]
	v_mul_f64 v[144:145], v[142:143], v[140:141]
	v_fma_f64 v[138:139], -v[138:139], v[144:145], v[142:143]
	v_div_fmas_f64 v[138:139], v[138:139], v[140:141], v[144:145]
	v_div_fixup_f64 v[128:129], v[138:139], v[128:129], 1.0
; %bb.1005:
	s_or_b64 exec, exec, s[0:1]
	v_cmp_ne_u32_e32 vcc, v133, v130
	s_and_saveexec_b64 s[0:1], vcc
	s_xor_b64 s[0:1], exec, s[0:1]
	s_cbranch_execz .LBB122_1011
; %bb.1006:
	v_cmp_eq_u32_e32 vcc, 59, v133
	s_and_saveexec_b64 s[2:3], vcc
	s_cbranch_execz .LBB122_1010
; %bb.1007:
	v_cmp_ne_u32_e32 vcc, 59, v130
	s_xor_b64 s[14:15], s[6:7], -1
	s_and_b64 s[16:17], s[14:15], vcc
	s_and_saveexec_b64 s[14:15], s[16:17]
	s_cbranch_execz .LBB122_1009
; %bb.1008:
	v_ashrrev_i32_e32 v131, 31, v130
	v_lshlrev_b64 v[138:139], 2, v[130:131]
	v_add_co_u32_e32 v138, vcc, v4, v138
	v_addc_co_u32_e32 v139, vcc, v5, v139, vcc
	flat_load_dword v131, v[138:139]
	flat_load_dword v133, v[4:5] offset:236
	s_waitcnt vmcnt(0) lgkmcnt(0)
	flat_store_dword v[4:5], v131 offset:236
	flat_store_dword v[138:139], v133
.LBB122_1009:
	s_or_b64 exec, exec, s[14:15]
	v_mov_b32_e32 v131, v130
	v_mov_b32_e32 v133, v130
.LBB122_1010:
	s_or_b64 exec, exec, s[2:3]
.LBB122_1011:
	s_andn2_saveexec_b64 s[0:1], s[0:1]
	s_cbranch_execz .LBB122_1013
; %bb.1012:
	v_mov_b32_e32 v138, v0
	v_mov_b32_e32 v139, v1
	;; [unrolled: 1-line block ×3, first 2 shown]
	ds_write2_b64 v132, v[138:139], v[126:127] offset0:60 offset1:61
.LBB122_1013:
	s_or_b64 exec, exec, s[0:1]
	v_cmp_lt_i32_e32 vcc, 59, v133
	s_waitcnt lgkmcnt(0)
	s_barrier
	s_and_saveexec_b64 s[0:1], vcc
	s_cbranch_execz .LBB122_1015
; %bb.1014:
	ds_read2_b64 v[138:141], v132 offset0:60 offset1:61
	v_mul_f64 v[6:7], v[128:129], v[6:7]
	s_waitcnt lgkmcnt(0)
	v_fma_f64 v[0:1], -v[6:7], v[138:139], v[0:1]
	v_fma_f64 v[126:127], -v[6:7], v[140:141], v[126:127]
.LBB122_1015:
	s_or_b64 exec, exec, s[0:1]
	v_lshl_add_u32 v128, v133, 3, v132
	s_barrier
	ds_write_b64 v128, v[0:1]
	s_waitcnt lgkmcnt(0)
	s_barrier
	ds_read_b64 v[128:129], v132 offset:480
	s_cmp_lt_i32 s18, 62
	v_mov_b32_e32 v130, 60
	s_cbranch_scc1 .LBB122_1018
; %bb.1016:
	v_add_u32_e32 v137, 0x1e8, v132
	s_mov_b32 s0, 61
	v_mov_b32_e32 v130, 60
.LBB122_1017:                           ; =>This Inner Loop Header: Depth=1
	ds_read_b64 v[138:139], v137
	v_mov_b32_e32 v140, s0
	s_add_i32 s0, s0, 1
	v_add_u32_e32 v137, 8, v137
	s_cmp_lg_u32 s18, s0
	s_waitcnt lgkmcnt(0)
	v_cmp_lt_f64_e64 vcc, |v[128:129]|, |v[138:139]|
	v_cndmask_b32_e32 v129, v129, v139, vcc
	v_cndmask_b32_e32 v128, v128, v138, vcc
	;; [unrolled: 1-line block ×3, first 2 shown]
	s_cbranch_scc1 .LBB122_1017
.LBB122_1018:
	s_waitcnt lgkmcnt(0)
	v_cmp_eq_f64_e32 vcc, 0, v[128:129]
	s_and_saveexec_b64 s[0:1], vcc
	s_xor_b64 s[0:1], exec, s[0:1]
; %bb.1019:
	v_cmp_ne_u32_e32 vcc, 0, v136
	v_cndmask_b32_e32 v136, 61, v136, vcc
; %bb.1020:
	s_andn2_saveexec_b64 s[0:1], s[0:1]
; %bb.1021:
	v_div_scale_f64 v[138:139], s[2:3], v[128:129], v[128:129], 1.0
	v_rcp_f64_e32 v[140:141], v[138:139]
	v_div_scale_f64 v[142:143], vcc, 1.0, v[128:129], 1.0
	v_fma_f64 v[144:145], -v[138:139], v[140:141], 1.0
	v_fmac_f64_e32 v[140:141], v[140:141], v[144:145]
	v_fma_f64 v[144:145], -v[138:139], v[140:141], 1.0
	v_fmac_f64_e32 v[140:141], v[140:141], v[144:145]
	v_mul_f64 v[144:145], v[142:143], v[140:141]
	v_fma_f64 v[138:139], -v[138:139], v[144:145], v[142:143]
	v_div_fmas_f64 v[138:139], v[138:139], v[140:141], v[144:145]
	v_div_fixup_f64 v[128:129], v[138:139], v[128:129], 1.0
; %bb.1022:
	s_or_b64 exec, exec, s[0:1]
	v_cmp_ne_u32_e32 vcc, v133, v130
	s_and_saveexec_b64 s[0:1], vcc
	s_xor_b64 s[0:1], exec, s[0:1]
	s_cbranch_execz .LBB122_1028
; %bb.1023:
	v_cmp_eq_u32_e32 vcc, 60, v133
	s_and_saveexec_b64 s[2:3], vcc
	s_cbranch_execz .LBB122_1027
; %bb.1024:
	v_cmp_ne_u32_e32 vcc, 60, v130
	s_xor_b64 s[14:15], s[6:7], -1
	s_and_b64 s[16:17], s[14:15], vcc
	s_and_saveexec_b64 s[14:15], s[16:17]
	s_cbranch_execz .LBB122_1026
; %bb.1025:
	v_ashrrev_i32_e32 v131, 31, v130
	v_lshlrev_b64 v[138:139], 2, v[130:131]
	v_add_co_u32_e32 v138, vcc, v4, v138
	v_addc_co_u32_e32 v139, vcc, v5, v139, vcc
	flat_load_dword v131, v[138:139]
	flat_load_dword v133, v[4:5] offset:240
	s_waitcnt vmcnt(0) lgkmcnt(0)
	flat_store_dword v[4:5], v131 offset:240
	flat_store_dword v[138:139], v133
.LBB122_1026:
	s_or_b64 exec, exec, s[14:15]
	v_mov_b32_e32 v131, v130
	v_mov_b32_e32 v133, v130
.LBB122_1027:
	s_or_b64 exec, exec, s[2:3]
.LBB122_1028:
	s_andn2_saveexec_b64 s[0:1], s[0:1]
	s_cbranch_execz .LBB122_1030
; %bb.1029:
	v_mov_b32_e32 v133, 60
	ds_write_b64 v132, v[126:127] offset:488
.LBB122_1030:
	s_or_b64 exec, exec, s[0:1]
	v_cmp_lt_i32_e32 vcc, 60, v133
	s_waitcnt lgkmcnt(0)
	s_barrier
	s_and_saveexec_b64 s[0:1], vcc
	s_cbranch_execz .LBB122_1032
; %bb.1031:
	ds_read_b64 v[138:139], v132 offset:488
	v_mul_f64 v[0:1], v[128:129], v[0:1]
	s_waitcnt lgkmcnt(0)
	v_fma_f64 v[126:127], -v[0:1], v[138:139], v[126:127]
.LBB122_1032:
	s_or_b64 exec, exec, s[0:1]
	v_lshl_add_u32 v128, v133, 3, v132
	s_barrier
	ds_write_b64 v128, v[126:127]
	s_waitcnt lgkmcnt(0)
	s_barrier
	ds_read_b64 v[128:129], v132 offset:488
	s_cmp_lt_i32 s18, 63
	v_mov_b32_e32 v130, 61
	s_cbranch_scc1 .LBB122_1035
; %bb.1033:
	v_add_u32_e32 v132, 0x1f0, v132
	s_mov_b32 s0, 62
	v_mov_b32_e32 v130, 61
.LBB122_1034:                           ; =>This Inner Loop Header: Depth=1
	ds_read_b64 v[138:139], v132
	v_mov_b32_e32 v137, s0
	s_add_i32 s0, s0, 1
	v_add_u32_e32 v132, 8, v132
	s_cmp_lg_u32 s18, s0
	s_waitcnt lgkmcnt(0)
	v_cmp_lt_f64_e64 vcc, |v[128:129]|, |v[138:139]|
	v_cndmask_b32_e32 v129, v129, v139, vcc
	v_cndmask_b32_e32 v128, v128, v138, vcc
	;; [unrolled: 1-line block ×3, first 2 shown]
	s_cbranch_scc1 .LBB122_1034
.LBB122_1035:
	s_waitcnt lgkmcnt(0)
	v_cmp_eq_f64_e32 vcc, 0, v[128:129]
	s_and_saveexec_b64 s[0:1], vcc
	s_xor_b64 s[0:1], exec, s[0:1]
; %bb.1036:
	v_cmp_ne_u32_e32 vcc, 0, v136
	v_cndmask_b32_e32 v136, 62, v136, vcc
; %bb.1037:
	s_andn2_saveexec_b64 s[0:1], s[0:1]
; %bb.1038:
	v_div_scale_f64 v[138:139], s[2:3], v[128:129], v[128:129], 1.0
	v_rcp_f64_e32 v[140:141], v[138:139]
	v_div_scale_f64 v[142:143], vcc, 1.0, v[128:129], 1.0
	v_fma_f64 v[144:145], -v[138:139], v[140:141], 1.0
	v_fmac_f64_e32 v[140:141], v[140:141], v[144:145]
	v_fma_f64 v[144:145], -v[138:139], v[140:141], 1.0
	v_fmac_f64_e32 v[140:141], v[140:141], v[144:145]
	v_mul_f64 v[144:145], v[142:143], v[140:141]
	v_fma_f64 v[138:139], -v[138:139], v[144:145], v[142:143]
	v_div_fmas_f64 v[138:139], v[138:139], v[140:141], v[144:145]
	v_div_fixup_f64 v[128:129], v[138:139], v[128:129], 1.0
; %bb.1039:
	s_or_b64 exec, exec, s[0:1]
	v_cmp_ne_u32_e32 vcc, v133, v130
	v_mov_b32_e32 v132, 61
	s_and_saveexec_b64 s[0:1], vcc
	s_cbranch_execz .LBB122_1045
; %bb.1040:
	v_cmp_eq_u32_e32 vcc, 61, v133
	s_and_saveexec_b64 s[2:3], vcc
	s_cbranch_execz .LBB122_1044
; %bb.1041:
	v_cmp_ne_u32_e32 vcc, 61, v130
	s_xor_b64 s[6:7], s[6:7], -1
	s_and_b64 s[14:15], s[6:7], vcc
	s_and_saveexec_b64 s[6:7], s[14:15]
	s_cbranch_execz .LBB122_1043
; %bb.1042:
	v_ashrrev_i32_e32 v131, 31, v130
	v_lshlrev_b64 v[132:133], 2, v[130:131]
	v_add_co_u32_e32 v132, vcc, v4, v132
	v_addc_co_u32_e32 v133, vcc, v5, v133, vcc
	flat_load_dword v131, v[132:133]
	flat_load_dword v137, v[4:5] offset:244
	s_waitcnt vmcnt(0) lgkmcnt(0)
	flat_store_dword v[4:5], v131 offset:244
	flat_store_dword v[132:133], v137
.LBB122_1043:
	s_or_b64 exec, exec, s[6:7]
	v_mov_b32_e32 v131, v130
	v_mov_b32_e32 v133, v130
.LBB122_1044:
	s_or_b64 exec, exec, s[2:3]
	v_mov_b32_e32 v132, v133
.LBB122_1045:
	s_or_b64 exec, exec, s[0:1]
	s_load_dwordx8 s[0:7], s[4:5], 0x28
	v_cmp_gt_i32_e32 vcc, 62, v132
	v_ashrrev_i32_e32 v133, 31, v132
	s_waitcnt lgkmcnt(0)
	s_barrier
	s_barrier
	s_and_saveexec_b64 s[14:15], vcc
	s_cbranch_execz .LBB122_1047
; %bb.1046:
	v_mul_lo_u32 v130, v3, s4
	v_mul_lo_u32 v137, v2, s5
	v_mad_u64_u32 v[4:5], s[4:5], v2, s4, 0
	s_lshl_b64 s[2:3], s[2:3], 2
	v_add3_u32 v5, v5, v137, v130
	s_add_u32 s0, s2, s0
	v_lshlrev_b64 v[4:5], 2, v[4:5]
	s_addc_u32 s1, s3, s1
	v_mov_b32_e32 v130, s1
	v_add_co_u32_e32 v137, vcc, s0, v4
	v_addc_co_u32_e32 v130, vcc, v130, v5, vcc
	v_lshlrev_b64 v[4:5], 2, v[132:133]
	v_add_co_u32_e32 v4, vcc, v137, v4
	v_addc_co_u32_e32 v5, vcc, v130, v5, vcc
	v_add3_u32 v130, v131, s13, 1
	global_store_dword v[4:5], v130, off
.LBB122_1047:
	s_or_b64 exec, exec, s[14:15]
	v_cmp_eq_u32_e32 vcc, 0, v132
	s_and_saveexec_b64 s[2:3], vcc
	s_cbranch_execz .LBB122_1050
; %bb.1048:
	v_lshlrev_b64 v[2:3], 2, v[2:3]
	v_mov_b32_e32 v4, s7
	v_add_co_u32_e32 v2, vcc, s6, v2
	v_addc_co_u32_e32 v3, vcc, v4, v3, vcc
	global_load_dword v4, v[2:3], off
	v_cmp_lt_i32_e64 s[0:1], 0, v136
	s_waitcnt vmcnt(0)
	v_cmp_eq_u32_e32 vcc, 0, v4
	s_and_b64 s[0:1], vcc, s[0:1]
	s_and_b64 exec, exec, s[0:1]
	s_cbranch_execz .LBB122_1050
; %bb.1049:
	v_add_u32_e32 v4, s13, v136
	global_store_dword v[2:3], v4, off
.LBB122_1050:
	s_or_b64 exec, exec, s[2:3]
	v_mul_f64 v[2:3], v[128:129], v[126:127]
	v_cmp_lt_i32_e32 vcc, 61, v132
	v_lshlrev_b64 v[4:5], 3, v[132:133]
	v_cndmask_b32_e32 v3, v127, v3, vcc
	v_cndmask_b32_e32 v2, v126, v2, vcc
	v_add_co_u32_e32 v4, vcc, v134, v4
	v_addc_co_u32_e32 v5, vcc, v135, v5, vcc
	global_store_dwordx2 v[4:5], v[122:123], off
	v_mov_b32_e32 v122, s11
	v_add_co_u32_e32 v4, vcc, s10, v4
	v_addc_co_u32_e32 v5, vcc, v5, v122, vcc
	global_store_dwordx2 v[4:5], v[124:125], off
	v_add_u32_e32 v4, s12, v132
	v_ashrrev_i32_e32 v5, 31, v4
	v_lshlrev_b64 v[122:123], 3, v[4:5]
	v_add_co_u32_e32 v122, vcc, v134, v122
	v_add_u32_e32 v4, s8, v4
	v_addc_co_u32_e32 v123, vcc, v135, v123, vcc
	v_ashrrev_i32_e32 v5, 31, v4
	global_store_dwordx2 v[122:123], v[120:121], off
	v_lshlrev_b64 v[120:121], 3, v[4:5]
	v_add_co_u32_e32 v120, vcc, v134, v120
	v_add_u32_e32 v4, s8, v4
	v_addc_co_u32_e32 v121, vcc, v135, v121, vcc
	v_ashrrev_i32_e32 v5, 31, v4
	global_store_dwordx2 v[120:121], v[118:119], off
	;; [unrolled: 6-line block ×58, first 2 shown]
	v_lshlrev_b64 v[6:7], 3, v[4:5]
	v_add_co_u32_e32 v6, vcc, v134, v6
	v_addc_co_u32_e32 v7, vcc, v135, v7, vcc
	global_store_dwordx2 v[6:7], v[0:1], off
	v_add_u32_e32 v0, s8, v4
	v_ashrrev_i32_e32 v1, 31, v0
	v_lshlrev_b64 v[0:1], 3, v[0:1]
	v_add_co_u32_e32 v0, vcc, v134, v0
	v_addc_co_u32_e32 v1, vcc, v135, v1, vcc
	global_store_dwordx2 v[0:1], v[2:3], off
.LBB122_1051:
	s_endpgm
	.section	.rodata,"a",@progbits
	.p2align	6, 0x0
	.amdhsa_kernel _ZN9rocsolver6v33100L18getf2_small_kernelILi62EdiiPKPdEEvT1_T3_lS5_lPS5_llPT2_S5_S5_S7_l
		.amdhsa_group_segment_fixed_size 0
		.amdhsa_private_segment_fixed_size 0
		.amdhsa_kernarg_size 352
		.amdhsa_user_sgpr_count 6
		.amdhsa_user_sgpr_private_segment_buffer 1
		.amdhsa_user_sgpr_dispatch_ptr 0
		.amdhsa_user_sgpr_queue_ptr 0
		.amdhsa_user_sgpr_kernarg_segment_ptr 1
		.amdhsa_user_sgpr_dispatch_id 0
		.amdhsa_user_sgpr_flat_scratch_init 0
		.amdhsa_user_sgpr_kernarg_preload_length 0
		.amdhsa_user_sgpr_kernarg_preload_offset 0
		.amdhsa_user_sgpr_private_segment_size 0
		.amdhsa_uses_dynamic_stack 0
		.amdhsa_system_sgpr_private_segment_wavefront_offset 0
		.amdhsa_system_sgpr_workgroup_id_x 1
		.amdhsa_system_sgpr_workgroup_id_y 1
		.amdhsa_system_sgpr_workgroup_id_z 0
		.amdhsa_system_sgpr_workgroup_info 0
		.amdhsa_system_vgpr_workitem_id 1
		.amdhsa_next_free_vgpr 194
		.amdhsa_next_free_sgpr 22
		.amdhsa_accum_offset 196
		.amdhsa_reserve_vcc 1
		.amdhsa_reserve_flat_scratch 0
		.amdhsa_float_round_mode_32 0
		.amdhsa_float_round_mode_16_64 0
		.amdhsa_float_denorm_mode_32 3
		.amdhsa_float_denorm_mode_16_64 3
		.amdhsa_dx10_clamp 1
		.amdhsa_ieee_mode 1
		.amdhsa_fp16_overflow 0
		.amdhsa_tg_split 0
		.amdhsa_exception_fp_ieee_invalid_op 0
		.amdhsa_exception_fp_denorm_src 0
		.amdhsa_exception_fp_ieee_div_zero 0
		.amdhsa_exception_fp_ieee_overflow 0
		.amdhsa_exception_fp_ieee_underflow 0
		.amdhsa_exception_fp_ieee_inexact 0
		.amdhsa_exception_int_div_zero 0
	.end_amdhsa_kernel
	.section	.text._ZN9rocsolver6v33100L18getf2_small_kernelILi62EdiiPKPdEEvT1_T3_lS5_lPS5_llPT2_S5_S5_S7_l,"axG",@progbits,_ZN9rocsolver6v33100L18getf2_small_kernelILi62EdiiPKPdEEvT1_T3_lS5_lPS5_llPT2_S5_S5_S7_l,comdat
.Lfunc_end122:
	.size	_ZN9rocsolver6v33100L18getf2_small_kernelILi62EdiiPKPdEEvT1_T3_lS5_lPS5_llPT2_S5_S5_S7_l, .Lfunc_end122-_ZN9rocsolver6v33100L18getf2_small_kernelILi62EdiiPKPdEEvT1_T3_lS5_lPS5_llPT2_S5_S5_S7_l
                                        ; -- End function
	.section	.AMDGPU.csdata,"",@progbits
; Kernel info:
; codeLenInByte = 67828
; NumSgprs: 26
; NumVgprs: 194
; NumAgprs: 0
; TotalNumVgprs: 194
; ScratchSize: 0
; MemoryBound: 0
; FloatMode: 240
; IeeeMode: 1
; LDSByteSize: 0 bytes/workgroup (compile time only)
; SGPRBlocks: 3
; VGPRBlocks: 24
; NumSGPRsForWavesPerEU: 26
; NumVGPRsForWavesPerEU: 194
; AccumOffset: 196
; Occupancy: 2
; WaveLimiterHint : 1
; COMPUTE_PGM_RSRC2:SCRATCH_EN: 0
; COMPUTE_PGM_RSRC2:USER_SGPR: 6
; COMPUTE_PGM_RSRC2:TRAP_HANDLER: 0
; COMPUTE_PGM_RSRC2:TGID_X_EN: 1
; COMPUTE_PGM_RSRC2:TGID_Y_EN: 1
; COMPUTE_PGM_RSRC2:TGID_Z_EN: 0
; COMPUTE_PGM_RSRC2:TIDIG_COMP_CNT: 1
; COMPUTE_PGM_RSRC3_GFX90A:ACCUM_OFFSET: 48
; COMPUTE_PGM_RSRC3_GFX90A:TG_SPLIT: 0
	.section	.text._ZN9rocsolver6v33100L23getf2_npvt_small_kernelILi62EdiiPKPdEEvT1_T3_lS5_lPT2_S5_S5_,"axG",@progbits,_ZN9rocsolver6v33100L23getf2_npvt_small_kernelILi62EdiiPKPdEEvT1_T3_lS5_lPT2_S5_S5_,comdat
	.globl	_ZN9rocsolver6v33100L23getf2_npvt_small_kernelILi62EdiiPKPdEEvT1_T3_lS5_lPT2_S5_S5_ ; -- Begin function _ZN9rocsolver6v33100L23getf2_npvt_small_kernelILi62EdiiPKPdEEvT1_T3_lS5_lPT2_S5_S5_
	.p2align	8
	.type	_ZN9rocsolver6v33100L23getf2_npvt_small_kernelILi62EdiiPKPdEEvT1_T3_lS5_lPT2_S5_S5_,@function
_ZN9rocsolver6v33100L23getf2_npvt_small_kernelILi62EdiiPKPdEEvT1_T3_lS5_lPT2_S5_S5_: ; @_ZN9rocsolver6v33100L23getf2_npvt_small_kernelILi62EdiiPKPdEEvT1_T3_lS5_lPT2_S5_S5_
; %bb.0:
	s_mov_b64 s[18:19], s[2:3]
	s_mov_b64 s[16:17], s[0:1]
	s_add_u32 s16, s16, s8
	s_load_dword s0, s[4:5], 0x44
	s_load_dwordx2 s[8:9], s[4:5], 0x30
	s_addc_u32 s17, s17, 0
	v_bfe_u32 v1, v0, 10, 10
	s_waitcnt lgkmcnt(0)
	s_lshr_b32 s6, s0, 16
	s_mul_i32 s7, s7, s6
	v_add_u32_e32 v78, s7, v1
	v_cmp_gt_i32_e32 vcc, s8, v78
	s_and_saveexec_b64 s[0:1], vcc
	s_cbranch_execz .LBB123_313
; %bb.1:
	s_load_dwordx4 s[12:15], s[4:5], 0x8
	s_load_dword s0, s[4:5], 0x18
	v_ashrrev_i32_e32 v79, 31, v78
	v_lshlrev_b64 v[2:3], 3, v[78:79]
	v_and_b32_e32 v70, 0x3ff, v0
	s_waitcnt lgkmcnt(0)
	v_mov_b32_e32 v4, s13
	v_add_co_u32_e32 v2, vcc, s12, v2
	v_addc_co_u32_e32 v3, vcc, v4, v3, vcc
	global_load_dwordx2 v[2:3], v[2:3], off
	s_add_i32 s1, s0, s0
	s_lshl_b64 s[2:3], s[14:15], 3
	v_add_u32_e32 v4, s1, v70
	v_mov_b32_e32 v25, s3
	v_ashrrev_i32_e32 v5, 31, v4
	v_add_u32_e32 v6, s0, v4
	v_lshlrev_b64 v[4:5], 3, v[4:5]
	v_ashrrev_i32_e32 v7, 31, v6
	v_add_u32_e32 v8, s0, v6
	v_lshlrev_b64 v[6:7], 3, v[6:7]
	;; [unrolled: 3-line block ×10, first 2 shown]
	s_ashr_i32 s1, s0, 31
	s_mulk_i32 s6, 0x1f0
	s_waitcnt vmcnt(0)
	v_add_co_u32_e32 v0, vcc, s2, v2
	v_addc_co_u32_e32 v2, vcc, v3, v25, vcc
	v_add_co_u32_e32 v80, vcc, v0, v4
	v_addc_co_u32_e32 v81, vcc, v2, v5, vcc
	;; [unrolled: 2-line block ×10, first 2 shown]
	v_add_co_u32_e32 v98, vcc, v0, v22
	v_ashrrev_i32_e32 v25, 31, v24
	v_addc_co_u32_e32 v99, vcc, v2, v23, vcc
	v_lshlrev_b64 v[4:5], 3, v[24:25]
	v_add_co_u32_e32 v100, vcc, v0, v4
	v_add_u32_e32 v4, s0, v24
	v_addc_co_u32_e32 v101, vcc, v2, v5, vcc
	v_ashrrev_i32_e32 v5, 31, v4
	v_lshlrev_b64 v[6:7], 3, v[4:5]
	v_add_u32_e32 v4, s0, v4
	v_add_co_u32_e32 v102, vcc, v0, v6
	v_ashrrev_i32_e32 v5, 31, v4
	v_addc_co_u32_e32 v103, vcc, v2, v7, vcc
	v_lshlrev_b64 v[6:7], 3, v[4:5]
	v_add_u32_e32 v4, s0, v4
	v_add_co_u32_e32 v104, vcc, v0, v6
	v_ashrrev_i32_e32 v5, 31, v4
	v_addc_co_u32_e32 v105, vcc, v2, v7, vcc
	;; [unrolled: 5-line block ×48, first 2 shown]
	v_lshlrev_b64 v[4:5], 3, v[4:5]
	v_add_co_u32_e32 v4, vcc, v0, v4
	v_addc_co_u32_e32 v5, vcc, v2, v5, vcc
	v_lshlrev_b32_e32 v3, 3, v70
	v_add_co_u32_e32 v122, vcc, v0, v3
	v_addc_co_u32_e32 v123, vcc, 0, v2, vcc
	s_lshl_b64 s[0:1], s[0:1], 3
	v_mov_b32_e32 v0, s1
	v_add_co_u32_e32 v2, vcc, s0, v122
	v_addc_co_u32_e32 v3, vcc, v123, v0, vcc
	global_load_dwordx2 v[126:127], v[122:123], off
	s_nop 0
	buffer_store_dword v2, off, s[16:19], 0 offset:280 ; 4-byte Folded Spill
	s_nop 0
	buffer_store_dword v3, off, s[16:19], 0 offset:284 ; 4-byte Folded Spill
	global_load_dwordx2 v[186:187], v[2:3], off
	global_load_dwordx2 v[246:247], v[80:81], off
	;; [unrolled: 1-line block ×26, first 2 shown]
	s_nop 0
	buffer_store_dword v8, off, s[16:19], 0 ; 4-byte Folded Spill
	s_nop 0
	buffer_store_dword v9, off, s[16:19], 0 offset:4 ; 4-byte Folded Spill
	s_movk_i32 s0, 0x1f0
	s_add_i32 s1, s6, 0
	v_mad_u32_u24 v69, v1, s0, 0
	v_lshl_add_u32 v68, v1, 3, s1
	v_cmp_ne_u32_e64 s[2:3], 0, v70
	v_cmp_eq_u32_e64 s[0:1], 0, v70
	global_load_dwordx2 v[160:161], v[8:9], off
	s_nop 0
	buffer_store_dword v10, off, s[16:19], 0 offset:8 ; 4-byte Folded Spill
	s_nop 0
	buffer_store_dword v11, off, s[16:19], 0 offset:12 ; 4-byte Folded Spill
	global_load_dwordx2 v[220:221], v[10:11], off
	s_nop 0
	buffer_store_dword v12, off, s[16:19], 0 offset:16 ; 4-byte Folded Spill
	s_nop 0
	buffer_store_dword v13, off, s[16:19], 0 offset:20 ; 4-byte Folded Spill
	;; [unrolled: 5-line block ×34, first 2 shown]
	global_load_dwordx2 v[248:249], v[4:5], off
	s_and_saveexec_b64 s[6:7], s[0:1]
	s_cbranch_execz .LBB123_4
; %bb.2:
	s_waitcnt vmcnt(62)
	ds_write_b64 v68, v[126:127]
	ds_write2_b64 v69, v[186:187], v[246:247] offset0:1 offset1:2
	ds_write2_b64 v69, v[184:185], v[244:245] offset0:3 offset1:4
	;; [unrolled: 1-line block ×20, first 2 shown]
	s_waitcnt vmcnt(57)
	ds_write2_b64 v69, v[146:147], v[206:207] offset0:41 offset1:42
	s_waitcnt vmcnt(51)
	ds_write2_b64 v69, v[144:145], v[204:205] offset0:43 offset1:44
	s_waitcnt vmcnt(45)
	ds_write2_b64 v69, v[142:143], v[202:203] offset0:45 offset1:46
	s_waitcnt vmcnt(39)
	ds_write2_b64 v69, v[140:141], v[200:201] offset0:47 offset1:48
	s_waitcnt vmcnt(33)
	ds_write2_b64 v69, v[138:139], v[198:199] offset0:49 offset1:50
	s_waitcnt vmcnt(27)
	ds_write2_b64 v69, v[136:137], v[196:197] offset0:51 offset1:52
	s_waitcnt vmcnt(21)
	ds_write2_b64 v69, v[134:135], v[194:195] offset0:53 offset1:54
	s_waitcnt vmcnt(15)
	ds_write2_b64 v69, v[132:133], v[192:193] offset0:55 offset1:56
	s_waitcnt vmcnt(9)
	ds_write2_b64 v69, v[130:131], v[190:191] offset0:57 offset1:58
	s_waitcnt vmcnt(3)
	ds_write2_b64 v69, v[128:129], v[188:189] offset0:59 offset1:60
	s_waitcnt vmcnt(0)
	ds_write_b64 v69, v[248:249] offset:488
	ds_read_b64 v[0:1], v68
	s_waitcnt lgkmcnt(0)
	v_cmp_neq_f64_e32 vcc, 0, v[0:1]
	s_and_b64 exec, exec, vcc
	s_cbranch_execz .LBB123_4
; %bb.3:
	v_div_scale_f64 v[2:3], s[10:11], v[0:1], v[0:1], 1.0
	v_rcp_f64_e32 v[4:5], v[2:3]
	v_div_scale_f64 v[6:7], vcc, 1.0, v[0:1], 1.0
	v_fma_f64 v[8:9], -v[2:3], v[4:5], 1.0
	v_fmac_f64_e32 v[4:5], v[4:5], v[8:9]
	v_fma_f64 v[8:9], -v[2:3], v[4:5], 1.0
	v_fmac_f64_e32 v[4:5], v[4:5], v[8:9]
	v_mul_f64 v[8:9], v[6:7], v[4:5]
	v_fma_f64 v[2:3], -v[2:3], v[8:9], v[6:7]
	v_div_fmas_f64 v[2:3], v[2:3], v[4:5], v[8:9]
	v_div_fixup_f64 v[0:1], v[2:3], v[0:1], 1.0
	ds_write_b64 v68, v[0:1]
.LBB123_4:
	s_or_b64 exec, exec, s[6:7]
	s_waitcnt lgkmcnt(0)
	s_barrier
	ds_read_b64 v[0:1], v68
	s_waitcnt lgkmcnt(0)
	buffer_store_dword v0, off, s[16:19], 0 offset:288 ; 4-byte Folded Spill
	s_nop 0
	buffer_store_dword v1, off, s[16:19], 0 offset:292 ; 4-byte Folded Spill
	s_and_saveexec_b64 s[6:7], s[2:3]
	s_cbranch_execz .LBB123_6
; %bb.5:
	buffer_load_dword v0, off, s[16:19], 0 offset:288 ; 4-byte Folded Reload
	buffer_load_dword v1, off, s[16:19], 0 offset:292 ; 4-byte Folded Reload
	s_waitcnt vmcnt(0)
	v_mul_f64 v[126:127], v[0:1], v[126:127]
	ds_read2_b64 v[0:3], v69 offset0:1 offset1:2
	s_waitcnt lgkmcnt(0)
	v_fma_f64 v[186:187], -v[126:127], v[0:1], v[186:187]
	v_fma_f64 v[246:247], -v[126:127], v[2:3], v[246:247]
	ds_read2_b64 v[0:3], v69 offset0:3 offset1:4
	s_waitcnt lgkmcnt(0)
	v_fma_f64 v[184:185], -v[126:127], v[0:1], v[184:185]
	v_fma_f64 v[244:245], -v[126:127], v[2:3], v[244:245]
	;; [unrolled: 4-line block ×29, first 2 shown]
	ds_read2_b64 v[0:3], v69 offset0:59 offset1:60
	s_waitcnt lgkmcnt(0)
	v_fma_f64 v[128:129], -v[126:127], v[0:1], v[128:129]
	ds_read_b64 v[0:1], v69 offset:488
	v_fma_f64 v[188:189], -v[126:127], v[2:3], v[188:189]
	s_waitcnt lgkmcnt(0)
	v_fma_f64 v[248:249], -v[126:127], v[0:1], v[248:249]
.LBB123_6:
	s_or_b64 exec, exec, s[6:7]
	v_cmp_eq_u32_e32 vcc, 1, v70
	s_waitcnt vmcnt(63) expcnt(7) lgkmcnt(15)
	s_barrier
	s_and_saveexec_b64 s[2:3], vcc
	s_cbranch_execz .LBB123_9
; %bb.7:
	v_mov_b32_e32 v0, v246
	v_mov_b32_e32 v1, v247
	;; [unrolled: 1-line block ×4, first 2 shown]
	ds_write_b64 v68, v[186:187]
	ds_write2_b64 v69, v[0:1], v[2:3] offset0:2 offset1:3
	v_mov_b32_e32 v0, v244
	v_mov_b32_e32 v1, v245
	v_mov_b32_e32 v2, v182
	v_mov_b32_e32 v3, v183
	ds_write2_b64 v69, v[0:1], v[2:3] offset0:4 offset1:5
	v_mov_b32_e32 v0, v242
	v_mov_b32_e32 v1, v243
	v_mov_b32_e32 v2, v180
	v_mov_b32_e32 v3, v181
	;; [unrolled: 5-line block ×18, first 2 shown]
	ds_write2_b64 v69, v[0:1], v[2:3] offset0:38 offset1:39
	v_mov_b32_e32 v0, v208
	v_mov_b32_e32 v1, v209
	s_waitcnt vmcnt(62)
	v_mov_b32_e32 v2, v146
	v_mov_b32_e32 v3, v147
	ds_write2_b64 v69, v[0:1], v[2:3] offset0:40 offset1:41
	s_waitcnt vmcnt(59)
	v_mov_b32_e32 v0, v206
	v_mov_b32_e32 v1, v207
	s_waitcnt vmcnt(56)
	v_mov_b32_e32 v2, v144
	v_mov_b32_e32 v3, v145
	ds_write2_b64 v69, v[0:1], v[2:3] offset0:42 offset1:43
	s_waitcnt vmcnt(53)
	;; [unrolled: 7-line block ×10, first 2 shown]
	v_mov_b32_e32 v0, v188
	v_mov_b32_e32 v1, v189
	s_waitcnt vmcnt(2)
	ds_write2_b64 v69, v[0:1], v[248:249] offset0:60 offset1:61
	ds_read_b64 v[0:1], v68
	s_waitcnt lgkmcnt(0)
	v_cmp_neq_f64_e32 vcc, 0, v[0:1]
	s_and_b64 exec, exec, vcc
	s_cbranch_execz .LBB123_9
; %bb.8:
	v_div_scale_f64 v[2:3], s[6:7], v[0:1], v[0:1], 1.0
	v_rcp_f64_e32 v[4:5], v[2:3]
	v_div_scale_f64 v[6:7], vcc, 1.0, v[0:1], 1.0
	v_fma_f64 v[8:9], -v[2:3], v[4:5], 1.0
	v_fmac_f64_e32 v[4:5], v[4:5], v[8:9]
	v_fma_f64 v[8:9], -v[2:3], v[4:5], 1.0
	v_fmac_f64_e32 v[4:5], v[4:5], v[8:9]
	v_mul_f64 v[8:9], v[6:7], v[4:5]
	v_fma_f64 v[2:3], -v[2:3], v[8:9], v[6:7]
	v_div_fmas_f64 v[2:3], v[2:3], v[4:5], v[8:9]
	v_div_fixup_f64 v[0:1], v[2:3], v[0:1], 1.0
	ds_write_b64 v68, v[0:1]
.LBB123_9:
	s_or_b64 exec, exec, s[2:3]
	s_waitcnt lgkmcnt(0)
	s_barrier
	ds_read_b64 v[0:1], v68
	v_cmp_lt_u32_e32 vcc, 1, v70
	s_waitcnt lgkmcnt(0)
	buffer_store_dword v0, off, s[16:19], 0 offset:296 ; 4-byte Folded Spill
	s_nop 0
	buffer_store_dword v1, off, s[16:19], 0 offset:300 ; 4-byte Folded Spill
	s_and_saveexec_b64 s[2:3], vcc
	s_cbranch_execz .LBB123_11
; %bb.10:
	buffer_load_dword v0, off, s[16:19], 0 offset:296 ; 4-byte Folded Reload
	buffer_load_dword v1, off, s[16:19], 0 offset:300 ; 4-byte Folded Reload
	s_waitcnt vmcnt(0)
	v_mul_f64 v[186:187], v[0:1], v[186:187]
	ds_read2_b64 v[0:3], v69 offset0:2 offset1:3
	s_waitcnt lgkmcnt(0)
	v_fma_f64 v[246:247], -v[186:187], v[0:1], v[246:247]
	v_fma_f64 v[184:185], -v[186:187], v[2:3], v[184:185]
	ds_read2_b64 v[0:3], v69 offset0:4 offset1:5
	s_waitcnt lgkmcnt(0)
	v_fma_f64 v[244:245], -v[186:187], v[0:1], v[244:245]
	v_fma_f64 v[182:183], -v[186:187], v[2:3], v[182:183]
	;; [unrolled: 4-line block ×30, first 2 shown]
.LBB123_11:
	s_or_b64 exec, exec, s[2:3]
	v_cmp_eq_u32_e32 vcc, 2, v70
	s_waitcnt vmcnt(63) expcnt(7) lgkmcnt(15)
	s_barrier
	s_and_saveexec_b64 s[2:3], vcc
	s_cbranch_execz .LBB123_14
; %bb.12:
	ds_write_b64 v68, v[246:247]
	ds_write2_b64 v69, v[184:185], v[244:245] offset0:3 offset1:4
	ds_write2_b64 v69, v[182:183], v[242:243] offset0:5 offset1:6
	;; [unrolled: 1-line block ×19, first 2 shown]
	s_waitcnt vmcnt(61)
	ds_write2_b64 v69, v[146:147], v[206:207] offset0:41 offset1:42
	s_waitcnt vmcnt(55)
	ds_write2_b64 v69, v[144:145], v[204:205] offset0:43 offset1:44
	;; [unrolled: 2-line block ×10, first 2 shown]
	s_waitcnt vmcnt(4)
	ds_write_b64 v69, v[248:249] offset:488
	ds_read_b64 v[0:1], v68
	s_waitcnt lgkmcnt(0)
	v_cmp_neq_f64_e32 vcc, 0, v[0:1]
	s_and_b64 exec, exec, vcc
	s_cbranch_execz .LBB123_14
; %bb.13:
	v_div_scale_f64 v[2:3], s[6:7], v[0:1], v[0:1], 1.0
	v_rcp_f64_e32 v[4:5], v[2:3]
	v_div_scale_f64 v[6:7], vcc, 1.0, v[0:1], 1.0
	v_fma_f64 v[8:9], -v[2:3], v[4:5], 1.0
	v_fmac_f64_e32 v[4:5], v[4:5], v[8:9]
	v_fma_f64 v[8:9], -v[2:3], v[4:5], 1.0
	v_fmac_f64_e32 v[4:5], v[4:5], v[8:9]
	v_mul_f64 v[8:9], v[6:7], v[4:5]
	v_fma_f64 v[2:3], -v[2:3], v[8:9], v[6:7]
	v_div_fmas_f64 v[2:3], v[2:3], v[4:5], v[8:9]
	v_div_fixup_f64 v[0:1], v[2:3], v[0:1], 1.0
	ds_write_b64 v68, v[0:1]
.LBB123_14:
	s_or_b64 exec, exec, s[2:3]
	s_waitcnt lgkmcnt(0)
	s_barrier
	ds_read_b64 v[0:1], v68
	v_cmp_lt_u32_e32 vcc, 2, v70
	s_waitcnt lgkmcnt(0)
	buffer_store_dword v0, off, s[16:19], 0 offset:304 ; 4-byte Folded Spill
	s_nop 0
	buffer_store_dword v1, off, s[16:19], 0 offset:308 ; 4-byte Folded Spill
	s_and_saveexec_b64 s[2:3], vcc
	s_cbranch_execz .LBB123_16
; %bb.15:
	buffer_load_dword v0, off, s[16:19], 0 offset:304 ; 4-byte Folded Reload
	buffer_load_dword v1, off, s[16:19], 0 offset:308 ; 4-byte Folded Reload
	s_waitcnt vmcnt(0)
	v_mul_f64 v[246:247], v[0:1], v[246:247]
	ds_read2_b64 v[0:3], v69 offset0:3 offset1:4
	s_waitcnt lgkmcnt(0)
	v_fma_f64 v[184:185], -v[246:247], v[0:1], v[184:185]
	v_fma_f64 v[244:245], -v[246:247], v[2:3], v[244:245]
	ds_read2_b64 v[0:3], v69 offset0:5 offset1:6
	s_waitcnt lgkmcnt(0)
	v_fma_f64 v[182:183], -v[246:247], v[0:1], v[182:183]
	v_fma_f64 v[242:243], -v[246:247], v[2:3], v[242:243]
	;; [unrolled: 4-line block ×28, first 2 shown]
	ds_read2_b64 v[0:3], v69 offset0:59 offset1:60
	s_waitcnt lgkmcnt(0)
	v_fma_f64 v[128:129], -v[246:247], v[0:1], v[128:129]
	ds_read_b64 v[0:1], v69 offset:488
	v_fma_f64 v[188:189], -v[246:247], v[2:3], v[188:189]
	s_waitcnt lgkmcnt(0)
	v_fma_f64 v[248:249], -v[246:247], v[0:1], v[248:249]
.LBB123_16:
	s_or_b64 exec, exec, s[2:3]
	v_cmp_eq_u32_e32 vcc, 3, v70
	s_waitcnt vmcnt(63) expcnt(7) lgkmcnt(15)
	s_barrier
	s_and_saveexec_b64 s[2:3], vcc
	s_cbranch_execz .LBB123_19
; %bb.17:
	v_mov_b32_e32 v0, v244
	v_mov_b32_e32 v1, v245
	;; [unrolled: 1-line block ×4, first 2 shown]
	ds_write_b64 v68, v[184:185]
	ds_write2_b64 v69, v[0:1], v[2:3] offset0:4 offset1:5
	v_mov_b32_e32 v0, v242
	v_mov_b32_e32 v1, v243
	v_mov_b32_e32 v2, v180
	v_mov_b32_e32 v3, v181
	ds_write2_b64 v69, v[0:1], v[2:3] offset0:6 offset1:7
	v_mov_b32_e32 v0, v240
	v_mov_b32_e32 v1, v241
	v_mov_b32_e32 v2, v178
	v_mov_b32_e32 v3, v179
	;; [unrolled: 5-line block ×18, first 2 shown]
	ds_write2_b64 v69, v[0:1], v[2:3] offset0:40 offset1:41
	v_mov_b32_e32 v0, v206
	v_mov_b32_e32 v1, v207
	s_waitcnt vmcnt(60)
	v_mov_b32_e32 v2, v144
	v_mov_b32_e32 v3, v145
	ds_write2_b64 v69, v[0:1], v[2:3] offset0:42 offset1:43
	s_waitcnt vmcnt(57)
	v_mov_b32_e32 v0, v204
	v_mov_b32_e32 v1, v205
	s_waitcnt vmcnt(54)
	v_mov_b32_e32 v2, v142
	v_mov_b32_e32 v3, v143
	ds_write2_b64 v69, v[0:1], v[2:3] offset0:44 offset1:45
	s_waitcnt vmcnt(51)
	;; [unrolled: 7-line block ×9, first 2 shown]
	v_mov_b32_e32 v0, v188
	v_mov_b32_e32 v1, v189
	s_waitcnt vmcnt(6)
	ds_write2_b64 v69, v[0:1], v[248:249] offset0:60 offset1:61
	ds_read_b64 v[0:1], v68
	s_waitcnt lgkmcnt(0)
	v_cmp_neq_f64_e32 vcc, 0, v[0:1]
	s_and_b64 exec, exec, vcc
	s_cbranch_execz .LBB123_19
; %bb.18:
	v_div_scale_f64 v[2:3], s[6:7], v[0:1], v[0:1], 1.0
	v_rcp_f64_e32 v[4:5], v[2:3]
	v_div_scale_f64 v[6:7], vcc, 1.0, v[0:1], 1.0
	v_fma_f64 v[8:9], -v[2:3], v[4:5], 1.0
	v_fmac_f64_e32 v[4:5], v[4:5], v[8:9]
	v_fma_f64 v[8:9], -v[2:3], v[4:5], 1.0
	v_fmac_f64_e32 v[4:5], v[4:5], v[8:9]
	v_mul_f64 v[8:9], v[6:7], v[4:5]
	v_fma_f64 v[2:3], -v[2:3], v[8:9], v[6:7]
	v_div_fmas_f64 v[2:3], v[2:3], v[4:5], v[8:9]
	v_div_fixup_f64 v[0:1], v[2:3], v[0:1], 1.0
	ds_write_b64 v68, v[0:1]
.LBB123_19:
	s_or_b64 exec, exec, s[2:3]
	s_waitcnt lgkmcnt(0)
	s_barrier
	ds_read_b64 v[0:1], v68
	v_cmp_lt_u32_e32 vcc, 3, v70
	s_waitcnt lgkmcnt(0)
	buffer_store_dword v0, off, s[16:19], 0 offset:312 ; 4-byte Folded Spill
	s_nop 0
	buffer_store_dword v1, off, s[16:19], 0 offset:316 ; 4-byte Folded Spill
	s_and_saveexec_b64 s[2:3], vcc
	s_cbranch_execz .LBB123_21
; %bb.20:
	buffer_load_dword v0, off, s[16:19], 0 offset:312 ; 4-byte Folded Reload
	buffer_load_dword v1, off, s[16:19], 0 offset:316 ; 4-byte Folded Reload
	s_waitcnt vmcnt(0)
	v_mul_f64 v[184:185], v[0:1], v[184:185]
	ds_read2_b64 v[0:3], v69 offset0:4 offset1:5
	s_waitcnt lgkmcnt(0)
	v_fma_f64 v[244:245], -v[184:185], v[0:1], v[244:245]
	v_fma_f64 v[182:183], -v[184:185], v[2:3], v[182:183]
	ds_read2_b64 v[0:3], v69 offset0:6 offset1:7
	s_waitcnt lgkmcnt(0)
	v_fma_f64 v[242:243], -v[184:185], v[0:1], v[242:243]
	v_fma_f64 v[180:181], -v[184:185], v[2:3], v[180:181]
	;; [unrolled: 4-line block ×29, first 2 shown]
.LBB123_21:
	s_or_b64 exec, exec, s[2:3]
	v_cmp_eq_u32_e32 vcc, 4, v70
	s_waitcnt vmcnt(63) expcnt(7) lgkmcnt(15)
	s_barrier
	s_and_saveexec_b64 s[2:3], vcc
	s_cbranch_execz .LBB123_24
; %bb.22:
	ds_write_b64 v68, v[244:245]
	ds_write2_b64 v69, v[182:183], v[242:243] offset0:5 offset1:6
	ds_write2_b64 v69, v[180:181], v[240:241] offset0:7 offset1:8
	ds_write2_b64 v69, v[178:179], v[238:239] offset0:9 offset1:10
	ds_write2_b64 v69, v[176:177], v[236:237] offset0:11 offset1:12
	ds_write2_b64 v69, v[174:175], v[234:235] offset0:13 offset1:14
	ds_write2_b64 v69, v[172:173], v[232:233] offset0:15 offset1:16
	ds_write2_b64 v69, v[170:171], v[230:231] offset0:17 offset1:18
	ds_write2_b64 v69, v[168:169], v[228:229] offset0:19 offset1:20
	ds_write2_b64 v69, v[166:167], v[226:227] offset0:21 offset1:22
	ds_write2_b64 v69, v[164:165], v[224:225] offset0:23 offset1:24
	ds_write2_b64 v69, v[162:163], v[222:223] offset0:25 offset1:26
	ds_write2_b64 v69, v[160:161], v[220:221] offset0:27 offset1:28
	ds_write2_b64 v69, v[158:159], v[218:219] offset0:29 offset1:30
	ds_write2_b64 v69, v[156:157], v[216:217] offset0:31 offset1:32
	ds_write2_b64 v69, v[154:155], v[214:215] offset0:33 offset1:34
	ds_write2_b64 v69, v[152:153], v[212:213] offset0:35 offset1:36
	ds_write2_b64 v69, v[150:151], v[210:211] offset0:37 offset1:38
	ds_write2_b64 v69, v[148:149], v[208:209] offset0:39 offset1:40
	ds_write2_b64 v69, v[146:147], v[206:207] offset0:41 offset1:42
	s_waitcnt vmcnt(59)
	ds_write2_b64 v69, v[144:145], v[204:205] offset0:43 offset1:44
	s_waitcnt vmcnt(53)
	ds_write2_b64 v69, v[142:143], v[202:203] offset0:45 offset1:46
	;; [unrolled: 2-line block ×9, first 2 shown]
	s_waitcnt vmcnt(8)
	ds_write_b64 v69, v[248:249] offset:488
	ds_read_b64 v[0:1], v68
	s_waitcnt lgkmcnt(0)
	v_cmp_neq_f64_e32 vcc, 0, v[0:1]
	s_and_b64 exec, exec, vcc
	s_cbranch_execz .LBB123_24
; %bb.23:
	v_div_scale_f64 v[2:3], s[6:7], v[0:1], v[0:1], 1.0
	v_rcp_f64_e32 v[4:5], v[2:3]
	v_div_scale_f64 v[6:7], vcc, 1.0, v[0:1], 1.0
	v_fma_f64 v[8:9], -v[2:3], v[4:5], 1.0
	v_fmac_f64_e32 v[4:5], v[4:5], v[8:9]
	v_fma_f64 v[8:9], -v[2:3], v[4:5], 1.0
	v_fmac_f64_e32 v[4:5], v[4:5], v[8:9]
	v_mul_f64 v[8:9], v[6:7], v[4:5]
	v_fma_f64 v[2:3], -v[2:3], v[8:9], v[6:7]
	v_div_fmas_f64 v[2:3], v[2:3], v[4:5], v[8:9]
	v_div_fixup_f64 v[0:1], v[2:3], v[0:1], 1.0
	ds_write_b64 v68, v[0:1]
.LBB123_24:
	s_or_b64 exec, exec, s[2:3]
	s_waitcnt lgkmcnt(0)
	s_barrier
	ds_read_b64 v[0:1], v68
	v_cmp_lt_u32_e32 vcc, 4, v70
	s_waitcnt lgkmcnt(0)
	buffer_store_dword v0, off, s[16:19], 0 offset:320 ; 4-byte Folded Spill
	s_nop 0
	buffer_store_dword v1, off, s[16:19], 0 offset:324 ; 4-byte Folded Spill
	s_and_saveexec_b64 s[2:3], vcc
	s_cbranch_execz .LBB123_26
; %bb.25:
	buffer_load_dword v0, off, s[16:19], 0 offset:320 ; 4-byte Folded Reload
	buffer_load_dword v1, off, s[16:19], 0 offset:324 ; 4-byte Folded Reload
	s_waitcnt vmcnt(0)
	v_mul_f64 v[244:245], v[0:1], v[244:245]
	ds_read2_b64 v[0:3], v69 offset0:5 offset1:6
	s_waitcnt lgkmcnt(0)
	v_fma_f64 v[182:183], -v[244:245], v[0:1], v[182:183]
	v_fma_f64 v[242:243], -v[244:245], v[2:3], v[242:243]
	ds_read2_b64 v[0:3], v69 offset0:7 offset1:8
	s_waitcnt lgkmcnt(0)
	v_fma_f64 v[180:181], -v[244:245], v[0:1], v[180:181]
	v_fma_f64 v[240:241], -v[244:245], v[2:3], v[240:241]
	;; [unrolled: 4-line block ×27, first 2 shown]
	ds_read2_b64 v[0:3], v69 offset0:59 offset1:60
	s_waitcnt lgkmcnt(0)
	v_fma_f64 v[128:129], -v[244:245], v[0:1], v[128:129]
	ds_read_b64 v[0:1], v69 offset:488
	v_fma_f64 v[188:189], -v[244:245], v[2:3], v[188:189]
	s_waitcnt lgkmcnt(0)
	v_fma_f64 v[248:249], -v[244:245], v[0:1], v[248:249]
.LBB123_26:
	s_or_b64 exec, exec, s[2:3]
	v_cmp_eq_u32_e32 vcc, 5, v70
	s_waitcnt vmcnt(63) expcnt(7) lgkmcnt(15)
	s_barrier
	s_and_saveexec_b64 s[2:3], vcc
	s_cbranch_execz .LBB123_29
; %bb.27:
	v_mov_b32_e32 v0, v242
	v_mov_b32_e32 v1, v243
	;; [unrolled: 1-line block ×4, first 2 shown]
	ds_write_b64 v68, v[182:183]
	ds_write2_b64 v69, v[0:1], v[2:3] offset0:6 offset1:7
	v_mov_b32_e32 v0, v240
	v_mov_b32_e32 v1, v241
	v_mov_b32_e32 v2, v178
	v_mov_b32_e32 v3, v179
	ds_write2_b64 v69, v[0:1], v[2:3] offset0:8 offset1:9
	v_mov_b32_e32 v0, v238
	v_mov_b32_e32 v1, v239
	v_mov_b32_e32 v2, v176
	v_mov_b32_e32 v3, v177
	;; [unrolled: 5-line block ×18, first 2 shown]
	ds_write2_b64 v69, v[0:1], v[2:3] offset0:42 offset1:43
	s_waitcnt vmcnt(61)
	v_mov_b32_e32 v0, v204
	v_mov_b32_e32 v1, v205
	s_waitcnt vmcnt(58)
	v_mov_b32_e32 v2, v142
	v_mov_b32_e32 v3, v143
	ds_write2_b64 v69, v[0:1], v[2:3] offset0:44 offset1:45
	s_waitcnt vmcnt(55)
	v_mov_b32_e32 v0, v202
	v_mov_b32_e32 v1, v203
	s_waitcnt vmcnt(52)
	v_mov_b32_e32 v2, v140
	v_mov_b32_e32 v3, v141
	;; [unrolled: 7-line block ×8, first 2 shown]
	ds_write2_b64 v69, v[0:1], v[2:3] offset0:58 offset1:59
	s_waitcnt vmcnt(13)
	v_mov_b32_e32 v0, v188
	v_mov_b32_e32 v1, v189
	s_waitcnt vmcnt(10)
	ds_write2_b64 v69, v[0:1], v[248:249] offset0:60 offset1:61
	ds_read_b64 v[0:1], v68
	s_waitcnt lgkmcnt(0)
	v_cmp_neq_f64_e32 vcc, 0, v[0:1]
	s_and_b64 exec, exec, vcc
	s_cbranch_execz .LBB123_29
; %bb.28:
	v_div_scale_f64 v[2:3], s[6:7], v[0:1], v[0:1], 1.0
	v_rcp_f64_e32 v[4:5], v[2:3]
	v_div_scale_f64 v[6:7], vcc, 1.0, v[0:1], 1.0
	v_fma_f64 v[8:9], -v[2:3], v[4:5], 1.0
	v_fmac_f64_e32 v[4:5], v[4:5], v[8:9]
	v_fma_f64 v[8:9], -v[2:3], v[4:5], 1.0
	v_fmac_f64_e32 v[4:5], v[4:5], v[8:9]
	v_mul_f64 v[8:9], v[6:7], v[4:5]
	v_fma_f64 v[2:3], -v[2:3], v[8:9], v[6:7]
	v_div_fmas_f64 v[2:3], v[2:3], v[4:5], v[8:9]
	v_div_fixup_f64 v[0:1], v[2:3], v[0:1], 1.0
	ds_write_b64 v68, v[0:1]
.LBB123_29:
	s_or_b64 exec, exec, s[2:3]
	s_waitcnt lgkmcnt(0)
	s_barrier
	ds_read_b64 v[0:1], v68
	v_cmp_lt_u32_e32 vcc, 5, v70
	s_waitcnt lgkmcnt(0)
	buffer_store_dword v0, off, s[16:19], 0 offset:328 ; 4-byte Folded Spill
	s_nop 0
	buffer_store_dword v1, off, s[16:19], 0 offset:332 ; 4-byte Folded Spill
	s_and_saveexec_b64 s[2:3], vcc
	s_cbranch_execz .LBB123_31
; %bb.30:
	buffer_load_dword v0, off, s[16:19], 0 offset:328 ; 4-byte Folded Reload
	buffer_load_dword v1, off, s[16:19], 0 offset:332 ; 4-byte Folded Reload
	s_waitcnt vmcnt(0)
	v_mul_f64 v[182:183], v[0:1], v[182:183]
	ds_read2_b64 v[0:3], v69 offset0:6 offset1:7
	s_waitcnt lgkmcnt(0)
	v_fma_f64 v[242:243], -v[182:183], v[0:1], v[242:243]
	v_fma_f64 v[180:181], -v[182:183], v[2:3], v[180:181]
	ds_read2_b64 v[0:3], v69 offset0:8 offset1:9
	s_waitcnt lgkmcnt(0)
	v_fma_f64 v[240:241], -v[182:183], v[0:1], v[240:241]
	v_fma_f64 v[178:179], -v[182:183], v[2:3], v[178:179]
	;; [unrolled: 4-line block ×28, first 2 shown]
.LBB123_31:
	s_or_b64 exec, exec, s[2:3]
	v_cmp_eq_u32_e32 vcc, 6, v70
	s_waitcnt vmcnt(63) expcnt(7) lgkmcnt(15)
	s_barrier
	s_and_saveexec_b64 s[2:3], vcc
	s_cbranch_execz .LBB123_34
; %bb.32:
	ds_write_b64 v68, v[242:243]
	ds_write2_b64 v69, v[180:181], v[240:241] offset0:7 offset1:8
	ds_write2_b64 v69, v[178:179], v[238:239] offset0:9 offset1:10
	;; [unrolled: 1-line block ×19, first 2 shown]
	s_waitcnt vmcnt(57)
	ds_write2_b64 v69, v[142:143], v[202:203] offset0:45 offset1:46
	s_waitcnt vmcnt(51)
	ds_write2_b64 v69, v[140:141], v[200:201] offset0:47 offset1:48
	;; [unrolled: 2-line block ×8, first 2 shown]
	s_waitcnt vmcnt(12)
	ds_write_b64 v69, v[248:249] offset:488
	ds_read_b64 v[0:1], v68
	s_waitcnt lgkmcnt(0)
	v_cmp_neq_f64_e32 vcc, 0, v[0:1]
	s_and_b64 exec, exec, vcc
	s_cbranch_execz .LBB123_34
; %bb.33:
	v_div_scale_f64 v[2:3], s[6:7], v[0:1], v[0:1], 1.0
	v_rcp_f64_e32 v[4:5], v[2:3]
	v_div_scale_f64 v[6:7], vcc, 1.0, v[0:1], 1.0
	v_fma_f64 v[8:9], -v[2:3], v[4:5], 1.0
	v_fmac_f64_e32 v[4:5], v[4:5], v[8:9]
	v_fma_f64 v[8:9], -v[2:3], v[4:5], 1.0
	v_fmac_f64_e32 v[4:5], v[4:5], v[8:9]
	v_mul_f64 v[8:9], v[6:7], v[4:5]
	v_fma_f64 v[2:3], -v[2:3], v[8:9], v[6:7]
	v_div_fmas_f64 v[2:3], v[2:3], v[4:5], v[8:9]
	v_div_fixup_f64 v[0:1], v[2:3], v[0:1], 1.0
	ds_write_b64 v68, v[0:1]
.LBB123_34:
	s_or_b64 exec, exec, s[2:3]
	s_waitcnt lgkmcnt(0)
	s_barrier
	ds_read_b64 v[0:1], v68
	v_cmp_lt_u32_e32 vcc, 6, v70
	s_waitcnt lgkmcnt(0)
	buffer_store_dword v0, off, s[16:19], 0 offset:336 ; 4-byte Folded Spill
	s_nop 0
	buffer_store_dword v1, off, s[16:19], 0 offset:340 ; 4-byte Folded Spill
	s_and_saveexec_b64 s[2:3], vcc
	s_cbranch_execz .LBB123_36
; %bb.35:
	buffer_load_dword v0, off, s[16:19], 0 offset:336 ; 4-byte Folded Reload
	buffer_load_dword v1, off, s[16:19], 0 offset:340 ; 4-byte Folded Reload
	s_waitcnt vmcnt(0)
	v_mul_f64 v[242:243], v[0:1], v[242:243]
	ds_read2_b64 v[0:3], v69 offset0:7 offset1:8
	s_waitcnt lgkmcnt(0)
	v_fma_f64 v[180:181], -v[242:243], v[0:1], v[180:181]
	v_fma_f64 v[240:241], -v[242:243], v[2:3], v[240:241]
	ds_read2_b64 v[0:3], v69 offset0:9 offset1:10
	s_waitcnt lgkmcnt(0)
	v_fma_f64 v[178:179], -v[242:243], v[0:1], v[178:179]
	v_fma_f64 v[238:239], -v[242:243], v[2:3], v[238:239]
	;; [unrolled: 4-line block ×26, first 2 shown]
	ds_read2_b64 v[0:3], v69 offset0:59 offset1:60
	s_waitcnt lgkmcnt(0)
	v_fma_f64 v[128:129], -v[242:243], v[0:1], v[128:129]
	ds_read_b64 v[0:1], v69 offset:488
	v_fma_f64 v[188:189], -v[242:243], v[2:3], v[188:189]
	s_waitcnt lgkmcnt(0)
	v_fma_f64 v[248:249], -v[242:243], v[0:1], v[248:249]
.LBB123_36:
	s_or_b64 exec, exec, s[2:3]
	v_cmp_eq_u32_e32 vcc, 7, v70
	s_waitcnt vmcnt(63) expcnt(7) lgkmcnt(15)
	s_barrier
	s_and_saveexec_b64 s[2:3], vcc
	s_cbranch_execz .LBB123_39
; %bb.37:
	v_mov_b32_e32 v0, v240
	v_mov_b32_e32 v1, v241
	;; [unrolled: 1-line block ×4, first 2 shown]
	ds_write_b64 v68, v[180:181]
	ds_write2_b64 v69, v[0:1], v[2:3] offset0:8 offset1:9
	v_mov_b32_e32 v0, v238
	v_mov_b32_e32 v1, v239
	v_mov_b32_e32 v2, v176
	v_mov_b32_e32 v3, v177
	ds_write2_b64 v69, v[0:1], v[2:3] offset0:10 offset1:11
	v_mov_b32_e32 v0, v236
	v_mov_b32_e32 v1, v237
	v_mov_b32_e32 v2, v174
	v_mov_b32_e32 v3, v175
	;; [unrolled: 5-line block ×17, first 2 shown]
	ds_write2_b64 v69, v[0:1], v[2:3] offset0:42 offset1:43
	v_mov_b32_e32 v0, v204
	v_mov_b32_e32 v1, v205
	s_waitcnt vmcnt(62)
	v_mov_b32_e32 v2, v142
	v_mov_b32_e32 v3, v143
	ds_write2_b64 v69, v[0:1], v[2:3] offset0:44 offset1:45
	s_waitcnt vmcnt(59)
	v_mov_b32_e32 v0, v202
	v_mov_b32_e32 v1, v203
	s_waitcnt vmcnt(56)
	v_mov_b32_e32 v2, v140
	v_mov_b32_e32 v3, v141
	ds_write2_b64 v69, v[0:1], v[2:3] offset0:46 offset1:47
	s_waitcnt vmcnt(53)
	;; [unrolled: 7-line block ×8, first 2 shown]
	v_mov_b32_e32 v0, v188
	v_mov_b32_e32 v1, v189
	s_waitcnt vmcnt(14)
	ds_write2_b64 v69, v[0:1], v[248:249] offset0:60 offset1:61
	ds_read_b64 v[0:1], v68
	s_waitcnt lgkmcnt(0)
	v_cmp_neq_f64_e32 vcc, 0, v[0:1]
	s_and_b64 exec, exec, vcc
	s_cbranch_execz .LBB123_39
; %bb.38:
	v_div_scale_f64 v[2:3], s[6:7], v[0:1], v[0:1], 1.0
	v_rcp_f64_e32 v[4:5], v[2:3]
	v_div_scale_f64 v[6:7], vcc, 1.0, v[0:1], 1.0
	v_fma_f64 v[8:9], -v[2:3], v[4:5], 1.0
	v_fmac_f64_e32 v[4:5], v[4:5], v[8:9]
	v_fma_f64 v[8:9], -v[2:3], v[4:5], 1.0
	v_fmac_f64_e32 v[4:5], v[4:5], v[8:9]
	v_mul_f64 v[8:9], v[6:7], v[4:5]
	v_fma_f64 v[2:3], -v[2:3], v[8:9], v[6:7]
	v_div_fmas_f64 v[2:3], v[2:3], v[4:5], v[8:9]
	v_div_fixup_f64 v[0:1], v[2:3], v[0:1], 1.0
	ds_write_b64 v68, v[0:1]
.LBB123_39:
	s_or_b64 exec, exec, s[2:3]
	s_waitcnt lgkmcnt(0)
	s_barrier
	ds_read_b64 v[0:1], v68
	v_cmp_lt_u32_e32 vcc, 7, v70
	s_waitcnt lgkmcnt(0)
	buffer_store_dword v0, off, s[16:19], 0 offset:344 ; 4-byte Folded Spill
	s_nop 0
	buffer_store_dword v1, off, s[16:19], 0 offset:348 ; 4-byte Folded Spill
	s_and_saveexec_b64 s[2:3], vcc
	s_cbranch_execz .LBB123_41
; %bb.40:
	buffer_load_dword v0, off, s[16:19], 0 offset:344 ; 4-byte Folded Reload
	buffer_load_dword v1, off, s[16:19], 0 offset:348 ; 4-byte Folded Reload
	s_waitcnt vmcnt(0)
	v_mul_f64 v[180:181], v[0:1], v[180:181]
	ds_read2_b64 v[0:3], v69 offset0:8 offset1:9
	s_waitcnt lgkmcnt(0)
	v_fma_f64 v[240:241], -v[180:181], v[0:1], v[240:241]
	v_fma_f64 v[178:179], -v[180:181], v[2:3], v[178:179]
	ds_read2_b64 v[0:3], v69 offset0:10 offset1:11
	s_waitcnt lgkmcnt(0)
	v_fma_f64 v[238:239], -v[180:181], v[0:1], v[238:239]
	v_fma_f64 v[176:177], -v[180:181], v[2:3], v[176:177]
	;; [unrolled: 4-line block ×27, first 2 shown]
.LBB123_41:
	s_or_b64 exec, exec, s[2:3]
	v_cmp_eq_u32_e32 vcc, 8, v70
	s_waitcnt vmcnt(63) expcnt(7) lgkmcnt(15)
	s_barrier
	s_and_saveexec_b64 s[2:3], vcc
	s_cbranch_execz .LBB123_44
; %bb.42:
	ds_write_b64 v68, v[240:241]
	ds_write2_b64 v69, v[178:179], v[238:239] offset0:9 offset1:10
	ds_write2_b64 v69, v[176:177], v[236:237] offset0:11 offset1:12
	;; [unrolled: 1-line block ×18, first 2 shown]
	s_waitcnt vmcnt(61)
	ds_write2_b64 v69, v[142:143], v[202:203] offset0:45 offset1:46
	s_waitcnt vmcnt(55)
	ds_write2_b64 v69, v[140:141], v[200:201] offset0:47 offset1:48
	;; [unrolled: 2-line block ×8, first 2 shown]
	s_waitcnt vmcnt(16)
	ds_write_b64 v69, v[248:249] offset:488
	ds_read_b64 v[0:1], v68
	s_waitcnt lgkmcnt(0)
	v_cmp_neq_f64_e32 vcc, 0, v[0:1]
	s_and_b64 exec, exec, vcc
	s_cbranch_execz .LBB123_44
; %bb.43:
	v_div_scale_f64 v[2:3], s[6:7], v[0:1], v[0:1], 1.0
	v_rcp_f64_e32 v[4:5], v[2:3]
	v_div_scale_f64 v[6:7], vcc, 1.0, v[0:1], 1.0
	v_fma_f64 v[8:9], -v[2:3], v[4:5], 1.0
	v_fmac_f64_e32 v[4:5], v[4:5], v[8:9]
	v_fma_f64 v[8:9], -v[2:3], v[4:5], 1.0
	v_fmac_f64_e32 v[4:5], v[4:5], v[8:9]
	v_mul_f64 v[8:9], v[6:7], v[4:5]
	v_fma_f64 v[2:3], -v[2:3], v[8:9], v[6:7]
	v_div_fmas_f64 v[2:3], v[2:3], v[4:5], v[8:9]
	v_div_fixup_f64 v[0:1], v[2:3], v[0:1], 1.0
	ds_write_b64 v68, v[0:1]
.LBB123_44:
	s_or_b64 exec, exec, s[2:3]
	s_waitcnt lgkmcnt(0)
	s_barrier
	ds_read_b64 v[0:1], v68
	v_cmp_lt_u32_e32 vcc, 8, v70
	s_waitcnt lgkmcnt(0)
	buffer_store_dword v0, off, s[16:19], 0 offset:352 ; 4-byte Folded Spill
	s_nop 0
	buffer_store_dword v1, off, s[16:19], 0 offset:356 ; 4-byte Folded Spill
	s_and_saveexec_b64 s[2:3], vcc
	s_cbranch_execz .LBB123_46
; %bb.45:
	buffer_load_dword v0, off, s[16:19], 0 offset:352 ; 4-byte Folded Reload
	buffer_load_dword v1, off, s[16:19], 0 offset:356 ; 4-byte Folded Reload
	s_waitcnt vmcnt(0)
	v_mul_f64 v[240:241], v[0:1], v[240:241]
	ds_read2_b64 v[0:3], v69 offset0:9 offset1:10
	s_waitcnt lgkmcnt(0)
	v_fma_f64 v[178:179], -v[240:241], v[0:1], v[178:179]
	v_fma_f64 v[238:239], -v[240:241], v[2:3], v[238:239]
	ds_read2_b64 v[0:3], v69 offset0:11 offset1:12
	s_waitcnt lgkmcnt(0)
	v_fma_f64 v[176:177], -v[240:241], v[0:1], v[176:177]
	v_fma_f64 v[236:237], -v[240:241], v[2:3], v[236:237]
	;; [unrolled: 4-line block ×25, first 2 shown]
	ds_read2_b64 v[0:3], v69 offset0:59 offset1:60
	s_waitcnt lgkmcnt(0)
	v_fma_f64 v[128:129], -v[240:241], v[0:1], v[128:129]
	ds_read_b64 v[0:1], v69 offset:488
	v_fma_f64 v[188:189], -v[240:241], v[2:3], v[188:189]
	s_waitcnt lgkmcnt(0)
	v_fma_f64 v[248:249], -v[240:241], v[0:1], v[248:249]
.LBB123_46:
	s_or_b64 exec, exec, s[2:3]
	v_cmp_eq_u32_e32 vcc, 9, v70
	s_waitcnt vmcnt(63) expcnt(7) lgkmcnt(15)
	s_barrier
	s_and_saveexec_b64 s[2:3], vcc
	s_cbranch_execz .LBB123_49
; %bb.47:
	v_mov_b32_e32 v0, v238
	v_mov_b32_e32 v1, v239
	;; [unrolled: 1-line block ×4, first 2 shown]
	ds_write_b64 v68, v[178:179]
	ds_write2_b64 v69, v[0:1], v[2:3] offset0:10 offset1:11
	v_mov_b32_e32 v0, v236
	v_mov_b32_e32 v1, v237
	v_mov_b32_e32 v2, v174
	v_mov_b32_e32 v3, v175
	ds_write2_b64 v69, v[0:1], v[2:3] offset0:12 offset1:13
	v_mov_b32_e32 v0, v234
	v_mov_b32_e32 v1, v235
	v_mov_b32_e32 v2, v172
	v_mov_b32_e32 v3, v173
	;; [unrolled: 5-line block ×17, first 2 shown]
	ds_write2_b64 v69, v[0:1], v[2:3] offset0:44 offset1:45
	v_mov_b32_e32 v0, v202
	v_mov_b32_e32 v1, v203
	s_waitcnt vmcnt(60)
	v_mov_b32_e32 v2, v140
	v_mov_b32_e32 v3, v141
	ds_write2_b64 v69, v[0:1], v[2:3] offset0:46 offset1:47
	s_waitcnt vmcnt(57)
	v_mov_b32_e32 v0, v200
	v_mov_b32_e32 v1, v201
	s_waitcnt vmcnt(54)
	v_mov_b32_e32 v2, v138
	v_mov_b32_e32 v3, v139
	ds_write2_b64 v69, v[0:1], v[2:3] offset0:48 offset1:49
	s_waitcnt vmcnt(51)
	;; [unrolled: 7-line block ×7, first 2 shown]
	v_mov_b32_e32 v0, v188
	v_mov_b32_e32 v1, v189
	s_waitcnt vmcnt(18)
	ds_write2_b64 v69, v[0:1], v[248:249] offset0:60 offset1:61
	ds_read_b64 v[0:1], v68
	s_waitcnt lgkmcnt(0)
	v_cmp_neq_f64_e32 vcc, 0, v[0:1]
	s_and_b64 exec, exec, vcc
	s_cbranch_execz .LBB123_49
; %bb.48:
	v_div_scale_f64 v[2:3], s[6:7], v[0:1], v[0:1], 1.0
	v_rcp_f64_e32 v[4:5], v[2:3]
	v_div_scale_f64 v[6:7], vcc, 1.0, v[0:1], 1.0
	v_fma_f64 v[8:9], -v[2:3], v[4:5], 1.0
	v_fmac_f64_e32 v[4:5], v[4:5], v[8:9]
	v_fma_f64 v[8:9], -v[2:3], v[4:5], 1.0
	v_fmac_f64_e32 v[4:5], v[4:5], v[8:9]
	v_mul_f64 v[8:9], v[6:7], v[4:5]
	v_fma_f64 v[2:3], -v[2:3], v[8:9], v[6:7]
	v_div_fmas_f64 v[2:3], v[2:3], v[4:5], v[8:9]
	v_div_fixup_f64 v[0:1], v[2:3], v[0:1], 1.0
	ds_write_b64 v68, v[0:1]
.LBB123_49:
	s_or_b64 exec, exec, s[2:3]
	s_waitcnt lgkmcnt(0)
	s_barrier
	ds_read_b64 v[0:1], v68
	v_cmp_lt_u32_e32 vcc, 9, v70
	s_waitcnt lgkmcnt(0)
	buffer_store_dword v0, off, s[16:19], 0 offset:360 ; 4-byte Folded Spill
	s_nop 0
	buffer_store_dword v1, off, s[16:19], 0 offset:364 ; 4-byte Folded Spill
	s_and_saveexec_b64 s[2:3], vcc
	s_cbranch_execz .LBB123_51
; %bb.50:
	buffer_load_dword v0, off, s[16:19], 0 offset:360 ; 4-byte Folded Reload
	buffer_load_dword v1, off, s[16:19], 0 offset:364 ; 4-byte Folded Reload
	s_waitcnt vmcnt(0)
	v_mul_f64 v[178:179], v[0:1], v[178:179]
	ds_read2_b64 v[0:3], v69 offset0:10 offset1:11
	s_waitcnt lgkmcnt(0)
	v_fma_f64 v[238:239], -v[178:179], v[0:1], v[238:239]
	v_fma_f64 v[176:177], -v[178:179], v[2:3], v[176:177]
	ds_read2_b64 v[0:3], v69 offset0:12 offset1:13
	s_waitcnt lgkmcnt(0)
	v_fma_f64 v[236:237], -v[178:179], v[0:1], v[236:237]
	v_fma_f64 v[174:175], -v[178:179], v[2:3], v[174:175]
	;; [unrolled: 4-line block ×26, first 2 shown]
.LBB123_51:
	s_or_b64 exec, exec, s[2:3]
	v_cmp_eq_u32_e32 vcc, 10, v70
	s_waitcnt vmcnt(63) expcnt(7) lgkmcnt(15)
	s_barrier
	s_and_saveexec_b64 s[2:3], vcc
	s_cbranch_execz .LBB123_54
; %bb.52:
	ds_write_b64 v68, v[238:239]
	ds_write2_b64 v69, v[176:177], v[236:237] offset0:11 offset1:12
	ds_write2_b64 v69, v[174:175], v[234:235] offset0:13 offset1:14
	;; [unrolled: 1-line block ×18, first 2 shown]
	s_waitcnt vmcnt(59)
	ds_write2_b64 v69, v[140:141], v[200:201] offset0:47 offset1:48
	s_waitcnt vmcnt(53)
	ds_write2_b64 v69, v[138:139], v[198:199] offset0:49 offset1:50
	;; [unrolled: 2-line block ×7, first 2 shown]
	s_waitcnt vmcnt(20)
	ds_write_b64 v69, v[248:249] offset:488
	ds_read_b64 v[0:1], v68
	s_waitcnt lgkmcnt(0)
	v_cmp_neq_f64_e32 vcc, 0, v[0:1]
	s_and_b64 exec, exec, vcc
	s_cbranch_execz .LBB123_54
; %bb.53:
	v_div_scale_f64 v[2:3], s[6:7], v[0:1], v[0:1], 1.0
	v_rcp_f64_e32 v[4:5], v[2:3]
	v_div_scale_f64 v[6:7], vcc, 1.0, v[0:1], 1.0
	v_fma_f64 v[8:9], -v[2:3], v[4:5], 1.0
	v_fmac_f64_e32 v[4:5], v[4:5], v[8:9]
	v_fma_f64 v[8:9], -v[2:3], v[4:5], 1.0
	v_fmac_f64_e32 v[4:5], v[4:5], v[8:9]
	v_mul_f64 v[8:9], v[6:7], v[4:5]
	v_fma_f64 v[2:3], -v[2:3], v[8:9], v[6:7]
	v_div_fmas_f64 v[2:3], v[2:3], v[4:5], v[8:9]
	v_div_fixup_f64 v[0:1], v[2:3], v[0:1], 1.0
	ds_write_b64 v68, v[0:1]
.LBB123_54:
	s_or_b64 exec, exec, s[2:3]
	s_waitcnt lgkmcnt(0)
	s_barrier
	ds_read_b64 v[0:1], v68
	v_cmp_lt_u32_e32 vcc, 10, v70
	s_waitcnt lgkmcnt(0)
	buffer_store_dword v0, off, s[16:19], 0 offset:368 ; 4-byte Folded Spill
	s_nop 0
	buffer_store_dword v1, off, s[16:19], 0 offset:372 ; 4-byte Folded Spill
	s_and_saveexec_b64 s[2:3], vcc
	s_cbranch_execz .LBB123_56
; %bb.55:
	buffer_load_dword v0, off, s[16:19], 0 offset:368 ; 4-byte Folded Reload
	buffer_load_dword v1, off, s[16:19], 0 offset:372 ; 4-byte Folded Reload
	s_waitcnt vmcnt(0)
	v_mul_f64 v[238:239], v[0:1], v[238:239]
	ds_read2_b64 v[0:3], v69 offset0:11 offset1:12
	s_waitcnt lgkmcnt(0)
	v_fma_f64 v[176:177], -v[238:239], v[0:1], v[176:177]
	v_fma_f64 v[236:237], -v[238:239], v[2:3], v[236:237]
	ds_read2_b64 v[0:3], v69 offset0:13 offset1:14
	s_waitcnt lgkmcnt(0)
	v_fma_f64 v[174:175], -v[238:239], v[0:1], v[174:175]
	v_fma_f64 v[234:235], -v[238:239], v[2:3], v[234:235]
	;; [unrolled: 4-line block ×24, first 2 shown]
	ds_read2_b64 v[0:3], v69 offset0:59 offset1:60
	s_waitcnt lgkmcnt(0)
	v_fma_f64 v[128:129], -v[238:239], v[0:1], v[128:129]
	ds_read_b64 v[0:1], v69 offset:488
	v_fma_f64 v[188:189], -v[238:239], v[2:3], v[188:189]
	s_waitcnt lgkmcnt(0)
	v_fma_f64 v[248:249], -v[238:239], v[0:1], v[248:249]
.LBB123_56:
	s_or_b64 exec, exec, s[2:3]
	v_cmp_eq_u32_e32 vcc, 11, v70
	s_waitcnt vmcnt(63) expcnt(7) lgkmcnt(15)
	s_barrier
	s_and_saveexec_b64 s[2:3], vcc
	s_cbranch_execz .LBB123_59
; %bb.57:
	v_mov_b32_e32 v0, v236
	v_mov_b32_e32 v1, v237
	;; [unrolled: 1-line block ×4, first 2 shown]
	ds_write_b64 v68, v[176:177]
	ds_write2_b64 v69, v[0:1], v[2:3] offset0:12 offset1:13
	v_mov_b32_e32 v0, v234
	v_mov_b32_e32 v1, v235
	v_mov_b32_e32 v2, v172
	v_mov_b32_e32 v3, v173
	ds_write2_b64 v69, v[0:1], v[2:3] offset0:14 offset1:15
	v_mov_b32_e32 v0, v232
	v_mov_b32_e32 v1, v233
	v_mov_b32_e32 v2, v170
	v_mov_b32_e32 v3, v171
	ds_write2_b64 v69, v[0:1], v[2:3] offset0:16 offset1:17
	v_mov_b32_e32 v0, v230
	v_mov_b32_e32 v1, v231
	v_mov_b32_e32 v2, v168
	v_mov_b32_e32 v3, v169
	ds_write2_b64 v69, v[0:1], v[2:3] offset0:18 offset1:19
	v_mov_b32_e32 v0, v228
	v_mov_b32_e32 v1, v229
	v_mov_b32_e32 v2, v166
	v_mov_b32_e32 v3, v167
	ds_write2_b64 v69, v[0:1], v[2:3] offset0:20 offset1:21
	v_mov_b32_e32 v0, v226
	v_mov_b32_e32 v1, v227
	v_mov_b32_e32 v2, v164
	v_mov_b32_e32 v3, v165
	ds_write2_b64 v69, v[0:1], v[2:3] offset0:22 offset1:23
	v_mov_b32_e32 v0, v224
	v_mov_b32_e32 v1, v225
	v_mov_b32_e32 v2, v162
	v_mov_b32_e32 v3, v163
	ds_write2_b64 v69, v[0:1], v[2:3] offset0:24 offset1:25
	v_mov_b32_e32 v0, v222
	v_mov_b32_e32 v1, v223
	v_mov_b32_e32 v2, v160
	v_mov_b32_e32 v3, v161
	ds_write2_b64 v69, v[0:1], v[2:3] offset0:26 offset1:27
	v_mov_b32_e32 v0, v220
	v_mov_b32_e32 v1, v221
	v_mov_b32_e32 v2, v158
	v_mov_b32_e32 v3, v159
	ds_write2_b64 v69, v[0:1], v[2:3] offset0:28 offset1:29
	v_mov_b32_e32 v0, v218
	v_mov_b32_e32 v1, v219
	v_mov_b32_e32 v2, v156
	v_mov_b32_e32 v3, v157
	ds_write2_b64 v69, v[0:1], v[2:3] offset0:30 offset1:31
	v_mov_b32_e32 v0, v216
	v_mov_b32_e32 v1, v217
	v_mov_b32_e32 v2, v154
	v_mov_b32_e32 v3, v155
	ds_write2_b64 v69, v[0:1], v[2:3] offset0:32 offset1:33
	v_mov_b32_e32 v0, v214
	v_mov_b32_e32 v1, v215
	v_mov_b32_e32 v2, v152
	v_mov_b32_e32 v3, v153
	ds_write2_b64 v69, v[0:1], v[2:3] offset0:34 offset1:35
	v_mov_b32_e32 v0, v212
	v_mov_b32_e32 v1, v213
	v_mov_b32_e32 v2, v150
	v_mov_b32_e32 v3, v151
	ds_write2_b64 v69, v[0:1], v[2:3] offset0:36 offset1:37
	v_mov_b32_e32 v0, v210
	v_mov_b32_e32 v1, v211
	v_mov_b32_e32 v2, v148
	v_mov_b32_e32 v3, v149
	ds_write2_b64 v69, v[0:1], v[2:3] offset0:38 offset1:39
	v_mov_b32_e32 v0, v208
	v_mov_b32_e32 v1, v209
	v_mov_b32_e32 v2, v146
	v_mov_b32_e32 v3, v147
	ds_write2_b64 v69, v[0:1], v[2:3] offset0:40 offset1:41
	v_mov_b32_e32 v0, v206
	v_mov_b32_e32 v1, v207
	v_mov_b32_e32 v2, v144
	v_mov_b32_e32 v3, v145
	ds_write2_b64 v69, v[0:1], v[2:3] offset0:42 offset1:43
	v_mov_b32_e32 v0, v204
	v_mov_b32_e32 v1, v205
	v_mov_b32_e32 v2, v142
	v_mov_b32_e32 v3, v143
	ds_write2_b64 v69, v[0:1], v[2:3] offset0:44 offset1:45
	v_mov_b32_e32 v0, v202
	v_mov_b32_e32 v1, v203
	v_mov_b32_e32 v2, v140
	v_mov_b32_e32 v3, v141
	ds_write2_b64 v69, v[0:1], v[2:3] offset0:46 offset1:47
	s_waitcnt vmcnt(61)
	v_mov_b32_e32 v0, v200
	v_mov_b32_e32 v1, v201
	s_waitcnt vmcnt(58)
	v_mov_b32_e32 v2, v138
	v_mov_b32_e32 v3, v139
	ds_write2_b64 v69, v[0:1], v[2:3] offset0:48 offset1:49
	s_waitcnt vmcnt(55)
	v_mov_b32_e32 v0, v198
	v_mov_b32_e32 v1, v199
	s_waitcnt vmcnt(52)
	v_mov_b32_e32 v2, v136
	v_mov_b32_e32 v3, v137
	ds_write2_b64 v69, v[0:1], v[2:3] offset0:50 offset1:51
	s_waitcnt vmcnt(49)
	v_mov_b32_e32 v0, v196
	v_mov_b32_e32 v1, v197
	s_waitcnt vmcnt(46)
	v_mov_b32_e32 v2, v134
	v_mov_b32_e32 v3, v135
	ds_write2_b64 v69, v[0:1], v[2:3] offset0:52 offset1:53
	s_waitcnt vmcnt(43)
	v_mov_b32_e32 v0, v194
	v_mov_b32_e32 v1, v195
	s_waitcnt vmcnt(40)
	v_mov_b32_e32 v2, v132
	v_mov_b32_e32 v3, v133
	ds_write2_b64 v69, v[0:1], v[2:3] offset0:54 offset1:55
	s_waitcnt vmcnt(37)
	v_mov_b32_e32 v0, v192
	v_mov_b32_e32 v1, v193
	s_waitcnt vmcnt(34)
	v_mov_b32_e32 v2, v130
	v_mov_b32_e32 v3, v131
	ds_write2_b64 v69, v[0:1], v[2:3] offset0:56 offset1:57
	s_waitcnt vmcnt(31)
	v_mov_b32_e32 v0, v190
	v_mov_b32_e32 v1, v191
	s_waitcnt vmcnt(28)
	v_mov_b32_e32 v2, v128
	v_mov_b32_e32 v3, v129
	ds_write2_b64 v69, v[0:1], v[2:3] offset0:58 offset1:59
	s_waitcnt vmcnt(25)
	v_mov_b32_e32 v0, v188
	v_mov_b32_e32 v1, v189
	s_waitcnt vmcnt(22)
	ds_write2_b64 v69, v[0:1], v[248:249] offset0:60 offset1:61
	ds_read_b64 v[0:1], v68
	s_waitcnt lgkmcnt(0)
	v_cmp_neq_f64_e32 vcc, 0, v[0:1]
	s_and_b64 exec, exec, vcc
	s_cbranch_execz .LBB123_59
; %bb.58:
	v_div_scale_f64 v[2:3], s[6:7], v[0:1], v[0:1], 1.0
	v_rcp_f64_e32 v[4:5], v[2:3]
	v_div_scale_f64 v[6:7], vcc, 1.0, v[0:1], 1.0
	v_fma_f64 v[8:9], -v[2:3], v[4:5], 1.0
	v_fmac_f64_e32 v[4:5], v[4:5], v[8:9]
	v_fma_f64 v[8:9], -v[2:3], v[4:5], 1.0
	v_fmac_f64_e32 v[4:5], v[4:5], v[8:9]
	v_mul_f64 v[8:9], v[6:7], v[4:5]
	v_fma_f64 v[2:3], -v[2:3], v[8:9], v[6:7]
	v_div_fmas_f64 v[2:3], v[2:3], v[4:5], v[8:9]
	v_div_fixup_f64 v[0:1], v[2:3], v[0:1], 1.0
	ds_write_b64 v68, v[0:1]
.LBB123_59:
	s_or_b64 exec, exec, s[2:3]
	s_waitcnt lgkmcnt(0)
	s_barrier
	ds_read_b64 v[0:1], v68
	v_cmp_lt_u32_e32 vcc, 11, v70
	s_waitcnt lgkmcnt(0)
	buffer_store_dword v0, off, s[16:19], 0 offset:376 ; 4-byte Folded Spill
	s_nop 0
	buffer_store_dword v1, off, s[16:19], 0 offset:380 ; 4-byte Folded Spill
	s_and_saveexec_b64 s[2:3], vcc
	s_cbranch_execz .LBB123_61
; %bb.60:
	buffer_load_dword v0, off, s[16:19], 0 offset:376 ; 4-byte Folded Reload
	buffer_load_dword v1, off, s[16:19], 0 offset:380 ; 4-byte Folded Reload
	s_waitcnt vmcnt(0)
	v_mul_f64 v[176:177], v[0:1], v[176:177]
	ds_read2_b64 v[0:3], v69 offset0:12 offset1:13
	s_waitcnt lgkmcnt(0)
	v_fma_f64 v[236:237], -v[176:177], v[0:1], v[236:237]
	v_fma_f64 v[174:175], -v[176:177], v[2:3], v[174:175]
	ds_read2_b64 v[0:3], v69 offset0:14 offset1:15
	s_waitcnt lgkmcnt(0)
	v_fma_f64 v[234:235], -v[176:177], v[0:1], v[234:235]
	v_fma_f64 v[172:173], -v[176:177], v[2:3], v[172:173]
	;; [unrolled: 4-line block ×25, first 2 shown]
.LBB123_61:
	s_or_b64 exec, exec, s[2:3]
	v_cmp_eq_u32_e32 vcc, 12, v70
	s_waitcnt vmcnt(63) expcnt(7) lgkmcnt(15)
	s_barrier
	s_and_saveexec_b64 s[2:3], vcc
	s_cbranch_execz .LBB123_64
; %bb.62:
	ds_write_b64 v68, v[236:237]
	ds_write2_b64 v69, v[174:175], v[234:235] offset0:13 offset1:14
	ds_write2_b64 v69, v[172:173], v[232:233] offset0:15 offset1:16
	ds_write2_b64 v69, v[170:171], v[230:231] offset0:17 offset1:18
	ds_write2_b64 v69, v[168:169], v[228:229] offset0:19 offset1:20
	ds_write2_b64 v69, v[166:167], v[226:227] offset0:21 offset1:22
	ds_write2_b64 v69, v[164:165], v[224:225] offset0:23 offset1:24
	ds_write2_b64 v69, v[162:163], v[222:223] offset0:25 offset1:26
	ds_write2_b64 v69, v[160:161], v[220:221] offset0:27 offset1:28
	ds_write2_b64 v69, v[158:159], v[218:219] offset0:29 offset1:30
	ds_write2_b64 v69, v[156:157], v[216:217] offset0:31 offset1:32
	ds_write2_b64 v69, v[154:155], v[214:215] offset0:33 offset1:34
	ds_write2_b64 v69, v[152:153], v[212:213] offset0:35 offset1:36
	ds_write2_b64 v69, v[150:151], v[210:211] offset0:37 offset1:38
	ds_write2_b64 v69, v[148:149], v[208:209] offset0:39 offset1:40
	ds_write2_b64 v69, v[146:147], v[206:207] offset0:41 offset1:42
	ds_write2_b64 v69, v[144:145], v[204:205] offset0:43 offset1:44
	ds_write2_b64 v69, v[142:143], v[202:203] offset0:45 offset1:46
	ds_write2_b64 v69, v[140:141], v[200:201] offset0:47 offset1:48
	s_waitcnt vmcnt(57)
	ds_write2_b64 v69, v[138:139], v[198:199] offset0:49 offset1:50
	s_waitcnt vmcnt(51)
	ds_write2_b64 v69, v[136:137], v[196:197] offset0:51 offset1:52
	;; [unrolled: 2-line block ×6, first 2 shown]
	s_waitcnt vmcnt(24)
	ds_write_b64 v69, v[248:249] offset:488
	ds_read_b64 v[0:1], v68
	s_waitcnt lgkmcnt(0)
	v_cmp_neq_f64_e32 vcc, 0, v[0:1]
	s_and_b64 exec, exec, vcc
	s_cbranch_execz .LBB123_64
; %bb.63:
	v_div_scale_f64 v[2:3], s[6:7], v[0:1], v[0:1], 1.0
	v_rcp_f64_e32 v[4:5], v[2:3]
	v_div_scale_f64 v[6:7], vcc, 1.0, v[0:1], 1.0
	v_fma_f64 v[8:9], -v[2:3], v[4:5], 1.0
	v_fmac_f64_e32 v[4:5], v[4:5], v[8:9]
	v_fma_f64 v[8:9], -v[2:3], v[4:5], 1.0
	v_fmac_f64_e32 v[4:5], v[4:5], v[8:9]
	v_mul_f64 v[8:9], v[6:7], v[4:5]
	v_fma_f64 v[2:3], -v[2:3], v[8:9], v[6:7]
	v_div_fmas_f64 v[2:3], v[2:3], v[4:5], v[8:9]
	v_div_fixup_f64 v[0:1], v[2:3], v[0:1], 1.0
	ds_write_b64 v68, v[0:1]
.LBB123_64:
	s_or_b64 exec, exec, s[2:3]
	s_waitcnt lgkmcnt(0)
	s_barrier
	ds_read_b64 v[0:1], v68
	v_cmp_lt_u32_e32 vcc, 12, v70
	s_waitcnt lgkmcnt(0)
	buffer_store_dword v0, off, s[16:19], 0 offset:384 ; 4-byte Folded Spill
	s_nop 0
	buffer_store_dword v1, off, s[16:19], 0 offset:388 ; 4-byte Folded Spill
	s_and_saveexec_b64 s[2:3], vcc
	s_cbranch_execz .LBB123_66
; %bb.65:
	buffer_load_dword v0, off, s[16:19], 0 offset:384 ; 4-byte Folded Reload
	buffer_load_dword v1, off, s[16:19], 0 offset:388 ; 4-byte Folded Reload
	s_waitcnt vmcnt(0)
	v_mul_f64 v[236:237], v[0:1], v[236:237]
	ds_read2_b64 v[0:3], v69 offset0:13 offset1:14
	s_waitcnt lgkmcnt(0)
	v_fma_f64 v[174:175], -v[236:237], v[0:1], v[174:175]
	v_fma_f64 v[234:235], -v[236:237], v[2:3], v[234:235]
	ds_read2_b64 v[0:3], v69 offset0:15 offset1:16
	s_waitcnt lgkmcnt(0)
	v_fma_f64 v[172:173], -v[236:237], v[0:1], v[172:173]
	v_fma_f64 v[232:233], -v[236:237], v[2:3], v[232:233]
	ds_read2_b64 v[0:3], v69 offset0:17 offset1:18
	s_waitcnt lgkmcnt(0)
	v_fma_f64 v[170:171], -v[236:237], v[0:1], v[170:171]
	v_fma_f64 v[230:231], -v[236:237], v[2:3], v[230:231]
	ds_read2_b64 v[0:3], v69 offset0:19 offset1:20
	s_waitcnt lgkmcnt(0)
	v_fma_f64 v[168:169], -v[236:237], v[0:1], v[168:169]
	v_fma_f64 v[228:229], -v[236:237], v[2:3], v[228:229]
	ds_read2_b64 v[0:3], v69 offset0:21 offset1:22
	s_waitcnt lgkmcnt(0)
	v_fma_f64 v[166:167], -v[236:237], v[0:1], v[166:167]
	v_fma_f64 v[226:227], -v[236:237], v[2:3], v[226:227]
	ds_read2_b64 v[0:3], v69 offset0:23 offset1:24
	s_waitcnt lgkmcnt(0)
	v_fma_f64 v[164:165], -v[236:237], v[0:1], v[164:165]
	v_fma_f64 v[224:225], -v[236:237], v[2:3], v[224:225]
	ds_read2_b64 v[0:3], v69 offset0:25 offset1:26
	s_waitcnt lgkmcnt(0)
	v_fma_f64 v[162:163], -v[236:237], v[0:1], v[162:163]
	v_fma_f64 v[222:223], -v[236:237], v[2:3], v[222:223]
	ds_read2_b64 v[0:3], v69 offset0:27 offset1:28
	s_waitcnt lgkmcnt(0)
	v_fma_f64 v[160:161], -v[236:237], v[0:1], v[160:161]
	v_fma_f64 v[220:221], -v[236:237], v[2:3], v[220:221]
	ds_read2_b64 v[0:3], v69 offset0:29 offset1:30
	s_waitcnt lgkmcnt(0)
	v_fma_f64 v[158:159], -v[236:237], v[0:1], v[158:159]
	v_fma_f64 v[218:219], -v[236:237], v[2:3], v[218:219]
	ds_read2_b64 v[0:3], v69 offset0:31 offset1:32
	s_waitcnt lgkmcnt(0)
	v_fma_f64 v[156:157], -v[236:237], v[0:1], v[156:157]
	v_fma_f64 v[216:217], -v[236:237], v[2:3], v[216:217]
	ds_read2_b64 v[0:3], v69 offset0:33 offset1:34
	s_waitcnt lgkmcnt(0)
	v_fma_f64 v[154:155], -v[236:237], v[0:1], v[154:155]
	v_fma_f64 v[214:215], -v[236:237], v[2:3], v[214:215]
	ds_read2_b64 v[0:3], v69 offset0:35 offset1:36
	s_waitcnt lgkmcnt(0)
	v_fma_f64 v[152:153], -v[236:237], v[0:1], v[152:153]
	v_fma_f64 v[212:213], -v[236:237], v[2:3], v[212:213]
	ds_read2_b64 v[0:3], v69 offset0:37 offset1:38
	s_waitcnt lgkmcnt(0)
	v_fma_f64 v[150:151], -v[236:237], v[0:1], v[150:151]
	v_fma_f64 v[210:211], -v[236:237], v[2:3], v[210:211]
	ds_read2_b64 v[0:3], v69 offset0:39 offset1:40
	s_waitcnt lgkmcnt(0)
	v_fma_f64 v[148:149], -v[236:237], v[0:1], v[148:149]
	v_fma_f64 v[208:209], -v[236:237], v[2:3], v[208:209]
	ds_read2_b64 v[0:3], v69 offset0:41 offset1:42
	s_waitcnt lgkmcnt(0)
	v_fma_f64 v[146:147], -v[236:237], v[0:1], v[146:147]
	v_fma_f64 v[206:207], -v[236:237], v[2:3], v[206:207]
	ds_read2_b64 v[0:3], v69 offset0:43 offset1:44
	s_waitcnt lgkmcnt(0)
	v_fma_f64 v[144:145], -v[236:237], v[0:1], v[144:145]
	v_fma_f64 v[204:205], -v[236:237], v[2:3], v[204:205]
	ds_read2_b64 v[0:3], v69 offset0:45 offset1:46
	s_waitcnt lgkmcnt(0)
	v_fma_f64 v[142:143], -v[236:237], v[0:1], v[142:143]
	v_fma_f64 v[202:203], -v[236:237], v[2:3], v[202:203]
	ds_read2_b64 v[0:3], v69 offset0:47 offset1:48
	s_waitcnt lgkmcnt(0)
	v_fma_f64 v[140:141], -v[236:237], v[0:1], v[140:141]
	v_fma_f64 v[200:201], -v[236:237], v[2:3], v[200:201]
	ds_read2_b64 v[0:3], v69 offset0:49 offset1:50
	s_waitcnt lgkmcnt(0)
	v_fma_f64 v[138:139], -v[236:237], v[0:1], v[138:139]
	v_fma_f64 v[198:199], -v[236:237], v[2:3], v[198:199]
	ds_read2_b64 v[0:3], v69 offset0:51 offset1:52
	s_waitcnt lgkmcnt(0)
	v_fma_f64 v[136:137], -v[236:237], v[0:1], v[136:137]
	v_fma_f64 v[196:197], -v[236:237], v[2:3], v[196:197]
	ds_read2_b64 v[0:3], v69 offset0:53 offset1:54
	s_waitcnt lgkmcnt(0)
	v_fma_f64 v[134:135], -v[236:237], v[0:1], v[134:135]
	v_fma_f64 v[194:195], -v[236:237], v[2:3], v[194:195]
	ds_read2_b64 v[0:3], v69 offset0:55 offset1:56
	s_waitcnt lgkmcnt(0)
	v_fma_f64 v[132:133], -v[236:237], v[0:1], v[132:133]
	v_fma_f64 v[192:193], -v[236:237], v[2:3], v[192:193]
	ds_read2_b64 v[0:3], v69 offset0:57 offset1:58
	s_waitcnt lgkmcnt(0)
	v_fma_f64 v[130:131], -v[236:237], v[0:1], v[130:131]
	v_fma_f64 v[190:191], -v[236:237], v[2:3], v[190:191]
	ds_read2_b64 v[0:3], v69 offset0:59 offset1:60
	s_waitcnt lgkmcnt(0)
	v_fma_f64 v[128:129], -v[236:237], v[0:1], v[128:129]
	ds_read_b64 v[0:1], v69 offset:488
	v_fma_f64 v[188:189], -v[236:237], v[2:3], v[188:189]
	s_waitcnt lgkmcnt(0)
	v_fma_f64 v[248:249], -v[236:237], v[0:1], v[248:249]
.LBB123_66:
	s_or_b64 exec, exec, s[2:3]
	v_cmp_eq_u32_e32 vcc, 13, v70
	s_waitcnt vmcnt(63) expcnt(7) lgkmcnt(15)
	s_barrier
	s_and_saveexec_b64 s[2:3], vcc
	s_cbranch_execz .LBB123_69
; %bb.67:
	v_mov_b32_e32 v0, v234
	v_mov_b32_e32 v1, v235
	;; [unrolled: 1-line block ×4, first 2 shown]
	ds_write_b64 v68, v[174:175]
	ds_write2_b64 v69, v[0:1], v[2:3] offset0:14 offset1:15
	v_mov_b32_e32 v0, v232
	v_mov_b32_e32 v1, v233
	v_mov_b32_e32 v2, v170
	v_mov_b32_e32 v3, v171
	ds_write2_b64 v69, v[0:1], v[2:3] offset0:16 offset1:17
	v_mov_b32_e32 v0, v230
	v_mov_b32_e32 v1, v231
	v_mov_b32_e32 v2, v168
	v_mov_b32_e32 v3, v169
	ds_write2_b64 v69, v[0:1], v[2:3] offset0:18 offset1:19
	v_mov_b32_e32 v0, v228
	v_mov_b32_e32 v1, v229
	v_mov_b32_e32 v2, v166
	v_mov_b32_e32 v3, v167
	ds_write2_b64 v69, v[0:1], v[2:3] offset0:20 offset1:21
	v_mov_b32_e32 v0, v226
	v_mov_b32_e32 v1, v227
	v_mov_b32_e32 v2, v164
	v_mov_b32_e32 v3, v165
	ds_write2_b64 v69, v[0:1], v[2:3] offset0:22 offset1:23
	v_mov_b32_e32 v0, v224
	v_mov_b32_e32 v1, v225
	v_mov_b32_e32 v2, v162
	v_mov_b32_e32 v3, v163
	ds_write2_b64 v69, v[0:1], v[2:3] offset0:24 offset1:25
	v_mov_b32_e32 v0, v222
	v_mov_b32_e32 v1, v223
	v_mov_b32_e32 v2, v160
	v_mov_b32_e32 v3, v161
	ds_write2_b64 v69, v[0:1], v[2:3] offset0:26 offset1:27
	v_mov_b32_e32 v0, v220
	v_mov_b32_e32 v1, v221
	v_mov_b32_e32 v2, v158
	v_mov_b32_e32 v3, v159
	ds_write2_b64 v69, v[0:1], v[2:3] offset0:28 offset1:29
	v_mov_b32_e32 v0, v218
	v_mov_b32_e32 v1, v219
	v_mov_b32_e32 v2, v156
	v_mov_b32_e32 v3, v157
	ds_write2_b64 v69, v[0:1], v[2:3] offset0:30 offset1:31
	v_mov_b32_e32 v0, v216
	v_mov_b32_e32 v1, v217
	v_mov_b32_e32 v2, v154
	v_mov_b32_e32 v3, v155
	ds_write2_b64 v69, v[0:1], v[2:3] offset0:32 offset1:33
	v_mov_b32_e32 v0, v214
	v_mov_b32_e32 v1, v215
	v_mov_b32_e32 v2, v152
	v_mov_b32_e32 v3, v153
	ds_write2_b64 v69, v[0:1], v[2:3] offset0:34 offset1:35
	v_mov_b32_e32 v0, v212
	v_mov_b32_e32 v1, v213
	v_mov_b32_e32 v2, v150
	v_mov_b32_e32 v3, v151
	ds_write2_b64 v69, v[0:1], v[2:3] offset0:36 offset1:37
	v_mov_b32_e32 v0, v210
	v_mov_b32_e32 v1, v211
	v_mov_b32_e32 v2, v148
	v_mov_b32_e32 v3, v149
	ds_write2_b64 v69, v[0:1], v[2:3] offset0:38 offset1:39
	v_mov_b32_e32 v0, v208
	v_mov_b32_e32 v1, v209
	v_mov_b32_e32 v2, v146
	v_mov_b32_e32 v3, v147
	ds_write2_b64 v69, v[0:1], v[2:3] offset0:40 offset1:41
	v_mov_b32_e32 v0, v206
	v_mov_b32_e32 v1, v207
	v_mov_b32_e32 v2, v144
	v_mov_b32_e32 v3, v145
	ds_write2_b64 v69, v[0:1], v[2:3] offset0:42 offset1:43
	v_mov_b32_e32 v0, v204
	v_mov_b32_e32 v1, v205
	v_mov_b32_e32 v2, v142
	v_mov_b32_e32 v3, v143
	ds_write2_b64 v69, v[0:1], v[2:3] offset0:44 offset1:45
	v_mov_b32_e32 v0, v202
	v_mov_b32_e32 v1, v203
	v_mov_b32_e32 v2, v140
	v_mov_b32_e32 v3, v141
	ds_write2_b64 v69, v[0:1], v[2:3] offset0:46 offset1:47
	v_mov_b32_e32 v0, v200
	v_mov_b32_e32 v1, v201
	s_waitcnt vmcnt(62)
	v_mov_b32_e32 v2, v138
	v_mov_b32_e32 v3, v139
	ds_write2_b64 v69, v[0:1], v[2:3] offset0:48 offset1:49
	s_waitcnt vmcnt(59)
	v_mov_b32_e32 v0, v198
	v_mov_b32_e32 v1, v199
	s_waitcnt vmcnt(56)
	v_mov_b32_e32 v2, v136
	v_mov_b32_e32 v3, v137
	ds_write2_b64 v69, v[0:1], v[2:3] offset0:50 offset1:51
	s_waitcnt vmcnt(53)
	;; [unrolled: 7-line block ×6, first 2 shown]
	v_mov_b32_e32 v0, v188
	v_mov_b32_e32 v1, v189
	s_waitcnt vmcnt(26)
	ds_write2_b64 v69, v[0:1], v[248:249] offset0:60 offset1:61
	ds_read_b64 v[0:1], v68
	s_waitcnt lgkmcnt(0)
	v_cmp_neq_f64_e32 vcc, 0, v[0:1]
	s_and_b64 exec, exec, vcc
	s_cbranch_execz .LBB123_69
; %bb.68:
	v_div_scale_f64 v[2:3], s[6:7], v[0:1], v[0:1], 1.0
	v_rcp_f64_e32 v[4:5], v[2:3]
	v_div_scale_f64 v[6:7], vcc, 1.0, v[0:1], 1.0
	v_fma_f64 v[8:9], -v[2:3], v[4:5], 1.0
	v_fmac_f64_e32 v[4:5], v[4:5], v[8:9]
	v_fma_f64 v[8:9], -v[2:3], v[4:5], 1.0
	v_fmac_f64_e32 v[4:5], v[4:5], v[8:9]
	v_mul_f64 v[8:9], v[6:7], v[4:5]
	v_fma_f64 v[2:3], -v[2:3], v[8:9], v[6:7]
	v_div_fmas_f64 v[2:3], v[2:3], v[4:5], v[8:9]
	v_div_fixup_f64 v[0:1], v[2:3], v[0:1], 1.0
	ds_write_b64 v68, v[0:1]
.LBB123_69:
	s_or_b64 exec, exec, s[2:3]
	s_waitcnt lgkmcnt(0)
	s_barrier
	ds_read_b64 v[0:1], v68
	v_cmp_lt_u32_e32 vcc, 13, v70
	s_waitcnt lgkmcnt(0)
	buffer_store_dword v0, off, s[16:19], 0 offset:392 ; 4-byte Folded Spill
	s_nop 0
	buffer_store_dword v1, off, s[16:19], 0 offset:396 ; 4-byte Folded Spill
	s_and_saveexec_b64 s[2:3], vcc
	s_cbranch_execz .LBB123_71
; %bb.70:
	buffer_load_dword v0, off, s[16:19], 0 offset:392 ; 4-byte Folded Reload
	buffer_load_dword v1, off, s[16:19], 0 offset:396 ; 4-byte Folded Reload
	s_waitcnt vmcnt(0)
	v_mul_f64 v[174:175], v[0:1], v[174:175]
	ds_read2_b64 v[0:3], v69 offset0:14 offset1:15
	s_waitcnt lgkmcnt(0)
	v_fma_f64 v[234:235], -v[174:175], v[0:1], v[234:235]
	v_fma_f64 v[172:173], -v[174:175], v[2:3], v[172:173]
	ds_read2_b64 v[0:3], v69 offset0:16 offset1:17
	s_waitcnt lgkmcnt(0)
	v_fma_f64 v[232:233], -v[174:175], v[0:1], v[232:233]
	v_fma_f64 v[170:171], -v[174:175], v[2:3], v[170:171]
	;; [unrolled: 4-line block ×24, first 2 shown]
.LBB123_71:
	s_or_b64 exec, exec, s[2:3]
	v_cmp_eq_u32_e32 vcc, 14, v70
	s_waitcnt vmcnt(63) expcnt(7) lgkmcnt(15)
	s_barrier
	s_and_saveexec_b64 s[2:3], vcc
	s_cbranch_execz .LBB123_74
; %bb.72:
	ds_write_b64 v68, v[234:235]
	ds_write2_b64 v69, v[172:173], v[232:233] offset0:15 offset1:16
	ds_write2_b64 v69, v[170:171], v[230:231] offset0:17 offset1:18
	;; [unrolled: 1-line block ×17, first 2 shown]
	s_waitcnt vmcnt(61)
	ds_write2_b64 v69, v[138:139], v[198:199] offset0:49 offset1:50
	s_waitcnt vmcnt(55)
	ds_write2_b64 v69, v[136:137], v[196:197] offset0:51 offset1:52
	;; [unrolled: 2-line block ×6, first 2 shown]
	s_waitcnt vmcnt(28)
	ds_write_b64 v69, v[248:249] offset:488
	ds_read_b64 v[0:1], v68
	s_waitcnt lgkmcnt(0)
	v_cmp_neq_f64_e32 vcc, 0, v[0:1]
	s_and_b64 exec, exec, vcc
	s_cbranch_execz .LBB123_74
; %bb.73:
	v_div_scale_f64 v[2:3], s[6:7], v[0:1], v[0:1], 1.0
	v_rcp_f64_e32 v[4:5], v[2:3]
	v_div_scale_f64 v[6:7], vcc, 1.0, v[0:1], 1.0
	v_fma_f64 v[8:9], -v[2:3], v[4:5], 1.0
	v_fmac_f64_e32 v[4:5], v[4:5], v[8:9]
	v_fma_f64 v[8:9], -v[2:3], v[4:5], 1.0
	v_fmac_f64_e32 v[4:5], v[4:5], v[8:9]
	v_mul_f64 v[8:9], v[6:7], v[4:5]
	v_fma_f64 v[2:3], -v[2:3], v[8:9], v[6:7]
	v_div_fmas_f64 v[2:3], v[2:3], v[4:5], v[8:9]
	v_div_fixup_f64 v[0:1], v[2:3], v[0:1], 1.0
	ds_write_b64 v68, v[0:1]
.LBB123_74:
	s_or_b64 exec, exec, s[2:3]
	s_waitcnt lgkmcnt(0)
	s_barrier
	ds_read_b64 v[0:1], v68
	v_cmp_lt_u32_e32 vcc, 14, v70
	s_waitcnt lgkmcnt(0)
	buffer_store_dword v0, off, s[16:19], 0 offset:400 ; 4-byte Folded Spill
	s_nop 0
	buffer_store_dword v1, off, s[16:19], 0 offset:404 ; 4-byte Folded Spill
	s_and_saveexec_b64 s[2:3], vcc
	s_cbranch_execz .LBB123_76
; %bb.75:
	buffer_load_dword v0, off, s[16:19], 0 offset:400 ; 4-byte Folded Reload
	buffer_load_dword v1, off, s[16:19], 0 offset:404 ; 4-byte Folded Reload
	s_waitcnt vmcnt(0)
	v_mul_f64 v[234:235], v[0:1], v[234:235]
	ds_read2_b64 v[0:3], v69 offset0:15 offset1:16
	s_waitcnt lgkmcnt(0)
	v_fma_f64 v[172:173], -v[234:235], v[0:1], v[172:173]
	v_fma_f64 v[232:233], -v[234:235], v[2:3], v[232:233]
	ds_read2_b64 v[0:3], v69 offset0:17 offset1:18
	s_waitcnt lgkmcnt(0)
	v_fma_f64 v[170:171], -v[234:235], v[0:1], v[170:171]
	v_fma_f64 v[230:231], -v[234:235], v[2:3], v[230:231]
	;; [unrolled: 4-line block ×22, first 2 shown]
	ds_read2_b64 v[0:3], v69 offset0:59 offset1:60
	s_waitcnt lgkmcnt(0)
	v_fma_f64 v[128:129], -v[234:235], v[0:1], v[128:129]
	ds_read_b64 v[0:1], v69 offset:488
	v_fma_f64 v[188:189], -v[234:235], v[2:3], v[188:189]
	s_waitcnt lgkmcnt(0)
	v_fma_f64 v[248:249], -v[234:235], v[0:1], v[248:249]
.LBB123_76:
	s_or_b64 exec, exec, s[2:3]
	v_cmp_eq_u32_e32 vcc, 15, v70
	s_waitcnt vmcnt(63) expcnt(7) lgkmcnt(15)
	s_barrier
	s_and_saveexec_b64 s[2:3], vcc
	s_cbranch_execz .LBB123_79
; %bb.77:
	v_mov_b32_e32 v0, v232
	v_mov_b32_e32 v1, v233
	;; [unrolled: 1-line block ×4, first 2 shown]
	ds_write_b64 v68, v[172:173]
	ds_write2_b64 v69, v[0:1], v[2:3] offset0:16 offset1:17
	v_mov_b32_e32 v0, v230
	v_mov_b32_e32 v1, v231
	v_mov_b32_e32 v2, v168
	v_mov_b32_e32 v3, v169
	ds_write2_b64 v69, v[0:1], v[2:3] offset0:18 offset1:19
	v_mov_b32_e32 v0, v228
	v_mov_b32_e32 v1, v229
	v_mov_b32_e32 v2, v166
	v_mov_b32_e32 v3, v167
	;; [unrolled: 5-line block ×16, first 2 shown]
	ds_write2_b64 v69, v[0:1], v[2:3] offset0:48 offset1:49
	v_mov_b32_e32 v0, v198
	v_mov_b32_e32 v1, v199
	s_waitcnt vmcnt(60)
	v_mov_b32_e32 v2, v136
	v_mov_b32_e32 v3, v137
	ds_write2_b64 v69, v[0:1], v[2:3] offset0:50 offset1:51
	s_waitcnt vmcnt(57)
	v_mov_b32_e32 v0, v196
	v_mov_b32_e32 v1, v197
	s_waitcnt vmcnt(54)
	v_mov_b32_e32 v2, v134
	v_mov_b32_e32 v3, v135
	ds_write2_b64 v69, v[0:1], v[2:3] offset0:52 offset1:53
	s_waitcnt vmcnt(51)
	;; [unrolled: 7-line block ×5, first 2 shown]
	v_mov_b32_e32 v0, v188
	v_mov_b32_e32 v1, v189
	s_waitcnt vmcnt(30)
	ds_write2_b64 v69, v[0:1], v[248:249] offset0:60 offset1:61
	ds_read_b64 v[0:1], v68
	s_waitcnt lgkmcnt(0)
	v_cmp_neq_f64_e32 vcc, 0, v[0:1]
	s_and_b64 exec, exec, vcc
	s_cbranch_execz .LBB123_79
; %bb.78:
	v_div_scale_f64 v[2:3], s[6:7], v[0:1], v[0:1], 1.0
	v_rcp_f64_e32 v[4:5], v[2:3]
	v_div_scale_f64 v[6:7], vcc, 1.0, v[0:1], 1.0
	v_fma_f64 v[8:9], -v[2:3], v[4:5], 1.0
	v_fmac_f64_e32 v[4:5], v[4:5], v[8:9]
	v_fma_f64 v[8:9], -v[2:3], v[4:5], 1.0
	v_fmac_f64_e32 v[4:5], v[4:5], v[8:9]
	v_mul_f64 v[8:9], v[6:7], v[4:5]
	v_fma_f64 v[2:3], -v[2:3], v[8:9], v[6:7]
	v_div_fmas_f64 v[2:3], v[2:3], v[4:5], v[8:9]
	v_div_fixup_f64 v[0:1], v[2:3], v[0:1], 1.0
	ds_write_b64 v68, v[0:1]
.LBB123_79:
	s_or_b64 exec, exec, s[2:3]
	s_waitcnt lgkmcnt(0)
	s_barrier
	ds_read_b64 v[0:1], v68
	v_cmp_lt_u32_e32 vcc, 15, v70
	s_waitcnt lgkmcnt(0)
	buffer_store_dword v0, off, s[16:19], 0 offset:408 ; 4-byte Folded Spill
	s_nop 0
	buffer_store_dword v1, off, s[16:19], 0 offset:412 ; 4-byte Folded Spill
	s_and_saveexec_b64 s[2:3], vcc
	s_cbranch_execz .LBB123_81
; %bb.80:
	buffer_load_dword v0, off, s[16:19], 0 offset:408 ; 4-byte Folded Reload
	buffer_load_dword v1, off, s[16:19], 0 offset:412 ; 4-byte Folded Reload
	s_waitcnt vmcnt(0)
	v_mul_f64 v[172:173], v[0:1], v[172:173]
	ds_read2_b64 v[0:3], v69 offset0:16 offset1:17
	s_waitcnt lgkmcnt(0)
	v_fma_f64 v[232:233], -v[172:173], v[0:1], v[232:233]
	v_fma_f64 v[170:171], -v[172:173], v[2:3], v[170:171]
	ds_read2_b64 v[0:3], v69 offset0:18 offset1:19
	s_waitcnt lgkmcnt(0)
	v_fma_f64 v[230:231], -v[172:173], v[0:1], v[230:231]
	v_fma_f64 v[168:169], -v[172:173], v[2:3], v[168:169]
	;; [unrolled: 4-line block ×23, first 2 shown]
.LBB123_81:
	s_or_b64 exec, exec, s[2:3]
	v_cmp_eq_u32_e32 vcc, 16, v70
	s_waitcnt vmcnt(63) expcnt(7) lgkmcnt(15)
	s_barrier
	s_and_saveexec_b64 s[2:3], vcc
	s_cbranch_execz .LBB123_84
; %bb.82:
	ds_write_b64 v68, v[232:233]
	ds_write2_b64 v69, v[170:171], v[230:231] offset0:17 offset1:18
	ds_write2_b64 v69, v[168:169], v[228:229] offset0:19 offset1:20
	;; [unrolled: 1-line block ×17, first 2 shown]
	s_waitcnt vmcnt(59)
	ds_write2_b64 v69, v[136:137], v[196:197] offset0:51 offset1:52
	s_waitcnt vmcnt(53)
	ds_write2_b64 v69, v[134:135], v[194:195] offset0:53 offset1:54
	;; [unrolled: 2-line block ×5, first 2 shown]
	s_waitcnt vmcnt(32)
	ds_write_b64 v69, v[248:249] offset:488
	ds_read_b64 v[0:1], v68
	s_waitcnt lgkmcnt(0)
	v_cmp_neq_f64_e32 vcc, 0, v[0:1]
	s_and_b64 exec, exec, vcc
	s_cbranch_execz .LBB123_84
; %bb.83:
	v_div_scale_f64 v[2:3], s[6:7], v[0:1], v[0:1], 1.0
	v_rcp_f64_e32 v[4:5], v[2:3]
	v_div_scale_f64 v[6:7], vcc, 1.0, v[0:1], 1.0
	v_fma_f64 v[8:9], -v[2:3], v[4:5], 1.0
	v_fmac_f64_e32 v[4:5], v[4:5], v[8:9]
	v_fma_f64 v[8:9], -v[2:3], v[4:5], 1.0
	v_fmac_f64_e32 v[4:5], v[4:5], v[8:9]
	v_mul_f64 v[8:9], v[6:7], v[4:5]
	v_fma_f64 v[2:3], -v[2:3], v[8:9], v[6:7]
	v_div_fmas_f64 v[2:3], v[2:3], v[4:5], v[8:9]
	v_div_fixup_f64 v[0:1], v[2:3], v[0:1], 1.0
	ds_write_b64 v68, v[0:1]
.LBB123_84:
	s_or_b64 exec, exec, s[2:3]
	s_waitcnt lgkmcnt(0)
	s_barrier
	ds_read_b64 v[0:1], v68
	v_cmp_lt_u32_e32 vcc, 16, v70
	s_waitcnt lgkmcnt(0)
	buffer_store_dword v0, off, s[16:19], 0 offset:416 ; 4-byte Folded Spill
	s_nop 0
	buffer_store_dword v1, off, s[16:19], 0 offset:420 ; 4-byte Folded Spill
	s_and_saveexec_b64 s[2:3], vcc
	s_cbranch_execz .LBB123_86
; %bb.85:
	buffer_load_dword v0, off, s[16:19], 0 offset:416 ; 4-byte Folded Reload
	buffer_load_dword v1, off, s[16:19], 0 offset:420 ; 4-byte Folded Reload
	s_waitcnt vmcnt(0)
	v_mul_f64 v[232:233], v[0:1], v[232:233]
	ds_read2_b64 v[0:3], v69 offset0:17 offset1:18
	s_waitcnt lgkmcnt(0)
	v_fma_f64 v[170:171], -v[232:233], v[0:1], v[170:171]
	v_fma_f64 v[230:231], -v[232:233], v[2:3], v[230:231]
	ds_read2_b64 v[0:3], v69 offset0:19 offset1:20
	s_waitcnt lgkmcnt(0)
	v_fma_f64 v[168:169], -v[232:233], v[0:1], v[168:169]
	v_fma_f64 v[228:229], -v[232:233], v[2:3], v[228:229]
	;; [unrolled: 4-line block ×21, first 2 shown]
	ds_read2_b64 v[0:3], v69 offset0:59 offset1:60
	s_waitcnt lgkmcnt(0)
	v_fma_f64 v[128:129], -v[232:233], v[0:1], v[128:129]
	ds_read_b64 v[0:1], v69 offset:488
	v_fma_f64 v[188:189], -v[232:233], v[2:3], v[188:189]
	s_waitcnt lgkmcnt(0)
	v_fma_f64 v[248:249], -v[232:233], v[0:1], v[248:249]
.LBB123_86:
	s_or_b64 exec, exec, s[2:3]
	v_cmp_eq_u32_e32 vcc, 17, v70
	s_waitcnt vmcnt(63) expcnt(7) lgkmcnt(15)
	s_barrier
	s_and_saveexec_b64 s[2:3], vcc
	s_cbranch_execz .LBB123_89
; %bb.87:
	v_mov_b32_e32 v0, v230
	v_mov_b32_e32 v1, v231
	;; [unrolled: 1-line block ×4, first 2 shown]
	ds_write_b64 v68, v[170:171]
	ds_write2_b64 v69, v[0:1], v[2:3] offset0:18 offset1:19
	v_mov_b32_e32 v0, v228
	v_mov_b32_e32 v1, v229
	v_mov_b32_e32 v2, v166
	v_mov_b32_e32 v3, v167
	ds_write2_b64 v69, v[0:1], v[2:3] offset0:20 offset1:21
	v_mov_b32_e32 v0, v226
	v_mov_b32_e32 v1, v227
	v_mov_b32_e32 v2, v164
	v_mov_b32_e32 v3, v165
	;; [unrolled: 5-line block ×16, first 2 shown]
	ds_write2_b64 v69, v[0:1], v[2:3] offset0:50 offset1:51
	s_waitcnt vmcnt(61)
	v_mov_b32_e32 v0, v196
	v_mov_b32_e32 v1, v197
	s_waitcnt vmcnt(58)
	v_mov_b32_e32 v2, v134
	v_mov_b32_e32 v3, v135
	ds_write2_b64 v69, v[0:1], v[2:3] offset0:52 offset1:53
	s_waitcnt vmcnt(55)
	v_mov_b32_e32 v0, v194
	v_mov_b32_e32 v1, v195
	s_waitcnt vmcnt(52)
	v_mov_b32_e32 v2, v132
	v_mov_b32_e32 v3, v133
	;; [unrolled: 7-line block ×4, first 2 shown]
	ds_write2_b64 v69, v[0:1], v[2:3] offset0:58 offset1:59
	s_waitcnt vmcnt(37)
	v_mov_b32_e32 v0, v188
	v_mov_b32_e32 v1, v189
	s_waitcnt vmcnt(34)
	ds_write2_b64 v69, v[0:1], v[248:249] offset0:60 offset1:61
	ds_read_b64 v[0:1], v68
	s_waitcnt lgkmcnt(0)
	v_cmp_neq_f64_e32 vcc, 0, v[0:1]
	s_and_b64 exec, exec, vcc
	s_cbranch_execz .LBB123_89
; %bb.88:
	v_div_scale_f64 v[2:3], s[6:7], v[0:1], v[0:1], 1.0
	v_rcp_f64_e32 v[4:5], v[2:3]
	v_div_scale_f64 v[6:7], vcc, 1.0, v[0:1], 1.0
	v_fma_f64 v[8:9], -v[2:3], v[4:5], 1.0
	v_fmac_f64_e32 v[4:5], v[4:5], v[8:9]
	v_fma_f64 v[8:9], -v[2:3], v[4:5], 1.0
	v_fmac_f64_e32 v[4:5], v[4:5], v[8:9]
	v_mul_f64 v[8:9], v[6:7], v[4:5]
	v_fma_f64 v[2:3], -v[2:3], v[8:9], v[6:7]
	v_div_fmas_f64 v[2:3], v[2:3], v[4:5], v[8:9]
	v_div_fixup_f64 v[0:1], v[2:3], v[0:1], 1.0
	ds_write_b64 v68, v[0:1]
.LBB123_89:
	s_or_b64 exec, exec, s[2:3]
	s_waitcnt lgkmcnt(0)
	s_barrier
	ds_read_b64 v[0:1], v68
	v_cmp_lt_u32_e32 vcc, 17, v70
	s_waitcnt lgkmcnt(0)
	buffer_store_dword v0, off, s[16:19], 0 offset:424 ; 4-byte Folded Spill
	s_nop 0
	buffer_store_dword v1, off, s[16:19], 0 offset:428 ; 4-byte Folded Spill
	s_and_saveexec_b64 s[2:3], vcc
	s_cbranch_execz .LBB123_91
; %bb.90:
	buffer_load_dword v0, off, s[16:19], 0 offset:424 ; 4-byte Folded Reload
	buffer_load_dword v1, off, s[16:19], 0 offset:428 ; 4-byte Folded Reload
	s_waitcnt vmcnt(0)
	v_mul_f64 v[170:171], v[0:1], v[170:171]
	ds_read2_b64 v[0:3], v69 offset0:18 offset1:19
	s_waitcnt lgkmcnt(0)
	v_fma_f64 v[230:231], -v[170:171], v[0:1], v[230:231]
	v_fma_f64 v[168:169], -v[170:171], v[2:3], v[168:169]
	ds_read2_b64 v[0:3], v69 offset0:20 offset1:21
	s_waitcnt lgkmcnt(0)
	v_fma_f64 v[228:229], -v[170:171], v[0:1], v[228:229]
	v_fma_f64 v[166:167], -v[170:171], v[2:3], v[166:167]
	;; [unrolled: 4-line block ×22, first 2 shown]
.LBB123_91:
	s_or_b64 exec, exec, s[2:3]
	v_cmp_eq_u32_e32 vcc, 18, v70
	s_waitcnt vmcnt(63) expcnt(7) lgkmcnt(15)
	s_barrier
	s_and_saveexec_b64 s[2:3], vcc
	s_cbranch_execz .LBB123_94
; %bb.92:
	ds_write_b64 v68, v[230:231]
	ds_write2_b64 v69, v[168:169], v[228:229] offset0:19 offset1:20
	ds_write2_b64 v69, v[166:167], v[226:227] offset0:21 offset1:22
	;; [unrolled: 1-line block ×17, first 2 shown]
	s_waitcnt vmcnt(57)
	ds_write2_b64 v69, v[134:135], v[194:195] offset0:53 offset1:54
	s_waitcnt vmcnt(51)
	ds_write2_b64 v69, v[132:133], v[192:193] offset0:55 offset1:56
	;; [unrolled: 2-line block ×4, first 2 shown]
	s_waitcnt vmcnt(36)
	ds_write_b64 v69, v[248:249] offset:488
	ds_read_b64 v[0:1], v68
	s_waitcnt lgkmcnt(0)
	v_cmp_neq_f64_e32 vcc, 0, v[0:1]
	s_and_b64 exec, exec, vcc
	s_cbranch_execz .LBB123_94
; %bb.93:
	v_div_scale_f64 v[2:3], s[6:7], v[0:1], v[0:1], 1.0
	v_rcp_f64_e32 v[4:5], v[2:3]
	v_div_scale_f64 v[6:7], vcc, 1.0, v[0:1], 1.0
	v_fma_f64 v[8:9], -v[2:3], v[4:5], 1.0
	v_fmac_f64_e32 v[4:5], v[4:5], v[8:9]
	v_fma_f64 v[8:9], -v[2:3], v[4:5], 1.0
	v_fmac_f64_e32 v[4:5], v[4:5], v[8:9]
	v_mul_f64 v[8:9], v[6:7], v[4:5]
	v_fma_f64 v[2:3], -v[2:3], v[8:9], v[6:7]
	v_div_fmas_f64 v[2:3], v[2:3], v[4:5], v[8:9]
	v_div_fixup_f64 v[0:1], v[2:3], v[0:1], 1.0
	ds_write_b64 v68, v[0:1]
.LBB123_94:
	s_or_b64 exec, exec, s[2:3]
	s_waitcnt lgkmcnt(0)
	s_barrier
	ds_read_b64 v[0:1], v68
	v_cmp_lt_u32_e32 vcc, 18, v70
	s_waitcnt lgkmcnt(0)
	buffer_store_dword v0, off, s[16:19], 0 offset:432 ; 4-byte Folded Spill
	s_nop 0
	buffer_store_dword v1, off, s[16:19], 0 offset:436 ; 4-byte Folded Spill
	s_and_saveexec_b64 s[2:3], vcc
	s_cbranch_execz .LBB123_96
; %bb.95:
	buffer_load_dword v0, off, s[16:19], 0 offset:432 ; 4-byte Folded Reload
	buffer_load_dword v1, off, s[16:19], 0 offset:436 ; 4-byte Folded Reload
	s_waitcnt vmcnt(0)
	v_mul_f64 v[230:231], v[0:1], v[230:231]
	ds_read2_b64 v[0:3], v69 offset0:19 offset1:20
	s_waitcnt lgkmcnt(0)
	v_fma_f64 v[168:169], -v[230:231], v[0:1], v[168:169]
	v_fma_f64 v[228:229], -v[230:231], v[2:3], v[228:229]
	ds_read2_b64 v[0:3], v69 offset0:21 offset1:22
	s_waitcnt lgkmcnt(0)
	v_fma_f64 v[166:167], -v[230:231], v[0:1], v[166:167]
	v_fma_f64 v[226:227], -v[230:231], v[2:3], v[226:227]
	;; [unrolled: 4-line block ×20, first 2 shown]
	ds_read2_b64 v[0:3], v69 offset0:59 offset1:60
	s_waitcnt lgkmcnt(0)
	v_fma_f64 v[128:129], -v[230:231], v[0:1], v[128:129]
	ds_read_b64 v[0:1], v69 offset:488
	v_fma_f64 v[188:189], -v[230:231], v[2:3], v[188:189]
	s_waitcnt lgkmcnt(0)
	v_fma_f64 v[248:249], -v[230:231], v[0:1], v[248:249]
.LBB123_96:
	s_or_b64 exec, exec, s[2:3]
	v_cmp_eq_u32_e32 vcc, 19, v70
	s_waitcnt vmcnt(63) expcnt(7) lgkmcnt(15)
	s_barrier
	s_and_saveexec_b64 s[2:3], vcc
	s_cbranch_execz .LBB123_99
; %bb.97:
	v_mov_b32_e32 v0, v228
	v_mov_b32_e32 v1, v229
	;; [unrolled: 1-line block ×4, first 2 shown]
	ds_write_b64 v68, v[168:169]
	ds_write2_b64 v69, v[0:1], v[2:3] offset0:20 offset1:21
	v_mov_b32_e32 v0, v226
	v_mov_b32_e32 v1, v227
	v_mov_b32_e32 v2, v164
	v_mov_b32_e32 v3, v165
	ds_write2_b64 v69, v[0:1], v[2:3] offset0:22 offset1:23
	v_mov_b32_e32 v0, v224
	v_mov_b32_e32 v1, v225
	v_mov_b32_e32 v2, v162
	v_mov_b32_e32 v3, v163
	;; [unrolled: 5-line block ×15, first 2 shown]
	ds_write2_b64 v69, v[0:1], v[2:3] offset0:50 offset1:51
	v_mov_b32_e32 v0, v196
	v_mov_b32_e32 v1, v197
	s_waitcnt vmcnt(62)
	v_mov_b32_e32 v2, v134
	v_mov_b32_e32 v3, v135
	ds_write2_b64 v69, v[0:1], v[2:3] offset0:52 offset1:53
	s_waitcnt vmcnt(59)
	v_mov_b32_e32 v0, v194
	v_mov_b32_e32 v1, v195
	s_waitcnt vmcnt(56)
	v_mov_b32_e32 v2, v132
	v_mov_b32_e32 v3, v133
	ds_write2_b64 v69, v[0:1], v[2:3] offset0:54 offset1:55
	s_waitcnt vmcnt(53)
	;; [unrolled: 7-line block ×4, first 2 shown]
	v_mov_b32_e32 v0, v188
	v_mov_b32_e32 v1, v189
	s_waitcnt vmcnt(38)
	ds_write2_b64 v69, v[0:1], v[248:249] offset0:60 offset1:61
	ds_read_b64 v[0:1], v68
	s_waitcnt lgkmcnt(0)
	v_cmp_neq_f64_e32 vcc, 0, v[0:1]
	s_and_b64 exec, exec, vcc
	s_cbranch_execz .LBB123_99
; %bb.98:
	v_div_scale_f64 v[2:3], s[6:7], v[0:1], v[0:1], 1.0
	v_rcp_f64_e32 v[4:5], v[2:3]
	v_div_scale_f64 v[6:7], vcc, 1.0, v[0:1], 1.0
	v_fma_f64 v[8:9], -v[2:3], v[4:5], 1.0
	v_fmac_f64_e32 v[4:5], v[4:5], v[8:9]
	v_fma_f64 v[8:9], -v[2:3], v[4:5], 1.0
	v_fmac_f64_e32 v[4:5], v[4:5], v[8:9]
	v_mul_f64 v[8:9], v[6:7], v[4:5]
	v_fma_f64 v[2:3], -v[2:3], v[8:9], v[6:7]
	v_div_fmas_f64 v[2:3], v[2:3], v[4:5], v[8:9]
	v_div_fixup_f64 v[0:1], v[2:3], v[0:1], 1.0
	ds_write_b64 v68, v[0:1]
.LBB123_99:
	s_or_b64 exec, exec, s[2:3]
	s_waitcnt lgkmcnt(0)
	s_barrier
	ds_read_b64 v[0:1], v68
	v_cmp_lt_u32_e32 vcc, 19, v70
	s_waitcnt lgkmcnt(0)
	buffer_store_dword v0, off, s[16:19], 0 offset:440 ; 4-byte Folded Spill
	s_nop 0
	buffer_store_dword v1, off, s[16:19], 0 offset:444 ; 4-byte Folded Spill
	s_and_saveexec_b64 s[2:3], vcc
	s_cbranch_execz .LBB123_101
; %bb.100:
	buffer_load_dword v0, off, s[16:19], 0 offset:440 ; 4-byte Folded Reload
	buffer_load_dword v1, off, s[16:19], 0 offset:444 ; 4-byte Folded Reload
	s_waitcnt vmcnt(0)
	v_mul_f64 v[168:169], v[0:1], v[168:169]
	ds_read2_b64 v[0:3], v69 offset0:20 offset1:21
	s_waitcnt lgkmcnt(0)
	v_fma_f64 v[228:229], -v[168:169], v[0:1], v[228:229]
	v_fma_f64 v[166:167], -v[168:169], v[2:3], v[166:167]
	ds_read2_b64 v[0:3], v69 offset0:22 offset1:23
	s_waitcnt lgkmcnt(0)
	v_fma_f64 v[226:227], -v[168:169], v[0:1], v[226:227]
	v_fma_f64 v[164:165], -v[168:169], v[2:3], v[164:165]
	;; [unrolled: 4-line block ×21, first 2 shown]
.LBB123_101:
	s_or_b64 exec, exec, s[2:3]
	v_cmp_eq_u32_e32 vcc, 20, v70
	s_waitcnt vmcnt(63) expcnt(7) lgkmcnt(15)
	s_barrier
	s_and_saveexec_b64 s[2:3], vcc
	s_cbranch_execz .LBB123_104
; %bb.102:
	ds_write_b64 v68, v[228:229]
	ds_write2_b64 v69, v[166:167], v[226:227] offset0:21 offset1:22
	ds_write2_b64 v69, v[164:165], v[224:225] offset0:23 offset1:24
	;; [unrolled: 1-line block ×16, first 2 shown]
	s_waitcnt vmcnt(61)
	ds_write2_b64 v69, v[134:135], v[194:195] offset0:53 offset1:54
	s_waitcnt vmcnt(55)
	ds_write2_b64 v69, v[132:133], v[192:193] offset0:55 offset1:56
	s_waitcnt vmcnt(49)
	ds_write2_b64 v69, v[130:131], v[190:191] offset0:57 offset1:58
	s_waitcnt vmcnt(43)
	ds_write2_b64 v69, v[128:129], v[188:189] offset0:59 offset1:60
	s_waitcnt vmcnt(40)
	ds_write_b64 v69, v[248:249] offset:488
	ds_read_b64 v[0:1], v68
	s_waitcnt lgkmcnt(0)
	v_cmp_neq_f64_e32 vcc, 0, v[0:1]
	s_and_b64 exec, exec, vcc
	s_cbranch_execz .LBB123_104
; %bb.103:
	v_div_scale_f64 v[2:3], s[6:7], v[0:1], v[0:1], 1.0
	v_rcp_f64_e32 v[4:5], v[2:3]
	v_div_scale_f64 v[6:7], vcc, 1.0, v[0:1], 1.0
	v_fma_f64 v[8:9], -v[2:3], v[4:5], 1.0
	v_fmac_f64_e32 v[4:5], v[4:5], v[8:9]
	v_fma_f64 v[8:9], -v[2:3], v[4:5], 1.0
	v_fmac_f64_e32 v[4:5], v[4:5], v[8:9]
	v_mul_f64 v[8:9], v[6:7], v[4:5]
	v_fma_f64 v[2:3], -v[2:3], v[8:9], v[6:7]
	v_div_fmas_f64 v[2:3], v[2:3], v[4:5], v[8:9]
	v_div_fixup_f64 v[0:1], v[2:3], v[0:1], 1.0
	ds_write_b64 v68, v[0:1]
.LBB123_104:
	s_or_b64 exec, exec, s[2:3]
	s_waitcnt lgkmcnt(0)
	s_barrier
	ds_read_b64 v[0:1], v68
	v_cmp_lt_u32_e32 vcc, 20, v70
	s_waitcnt lgkmcnt(0)
	buffer_store_dword v0, off, s[16:19], 0 offset:448 ; 4-byte Folded Spill
	s_nop 0
	buffer_store_dword v1, off, s[16:19], 0 offset:452 ; 4-byte Folded Spill
	s_and_saveexec_b64 s[2:3], vcc
	s_cbranch_execz .LBB123_106
; %bb.105:
	buffer_load_dword v0, off, s[16:19], 0 offset:448 ; 4-byte Folded Reload
	buffer_load_dword v1, off, s[16:19], 0 offset:452 ; 4-byte Folded Reload
	s_waitcnt vmcnt(0)
	v_mul_f64 v[228:229], v[0:1], v[228:229]
	ds_read2_b64 v[0:3], v69 offset0:21 offset1:22
	s_waitcnt lgkmcnt(0)
	v_fma_f64 v[166:167], -v[228:229], v[0:1], v[166:167]
	v_fma_f64 v[226:227], -v[228:229], v[2:3], v[226:227]
	ds_read2_b64 v[0:3], v69 offset0:23 offset1:24
	s_waitcnt lgkmcnt(0)
	v_fma_f64 v[164:165], -v[228:229], v[0:1], v[164:165]
	v_fma_f64 v[224:225], -v[228:229], v[2:3], v[224:225]
	;; [unrolled: 4-line block ×19, first 2 shown]
	ds_read2_b64 v[0:3], v69 offset0:59 offset1:60
	s_waitcnt lgkmcnt(0)
	v_fma_f64 v[128:129], -v[228:229], v[0:1], v[128:129]
	ds_read_b64 v[0:1], v69 offset:488
	v_fma_f64 v[188:189], -v[228:229], v[2:3], v[188:189]
	s_waitcnt lgkmcnt(0)
	v_fma_f64 v[248:249], -v[228:229], v[0:1], v[248:249]
.LBB123_106:
	s_or_b64 exec, exec, s[2:3]
	v_cmp_eq_u32_e32 vcc, 21, v70
	s_waitcnt vmcnt(63) expcnt(7) lgkmcnt(15)
	s_barrier
	s_and_saveexec_b64 s[2:3], vcc
	s_cbranch_execz .LBB123_109
; %bb.107:
	v_mov_b32_e32 v0, v226
	v_mov_b32_e32 v1, v227
	;; [unrolled: 1-line block ×4, first 2 shown]
	ds_write_b64 v68, v[166:167]
	ds_write2_b64 v69, v[0:1], v[2:3] offset0:22 offset1:23
	v_mov_b32_e32 v0, v224
	v_mov_b32_e32 v1, v225
	v_mov_b32_e32 v2, v162
	v_mov_b32_e32 v3, v163
	ds_write2_b64 v69, v[0:1], v[2:3] offset0:24 offset1:25
	v_mov_b32_e32 v0, v222
	v_mov_b32_e32 v1, v223
	v_mov_b32_e32 v2, v160
	v_mov_b32_e32 v3, v161
	;; [unrolled: 5-line block ×15, first 2 shown]
	ds_write2_b64 v69, v[0:1], v[2:3] offset0:52 offset1:53
	v_mov_b32_e32 v0, v194
	v_mov_b32_e32 v1, v195
	s_waitcnt vmcnt(60)
	v_mov_b32_e32 v2, v132
	v_mov_b32_e32 v3, v133
	ds_write2_b64 v69, v[0:1], v[2:3] offset0:54 offset1:55
	s_waitcnt vmcnt(57)
	v_mov_b32_e32 v0, v192
	v_mov_b32_e32 v1, v193
	s_waitcnt vmcnt(54)
	v_mov_b32_e32 v2, v130
	v_mov_b32_e32 v3, v131
	ds_write2_b64 v69, v[0:1], v[2:3] offset0:56 offset1:57
	s_waitcnt vmcnt(51)
	;; [unrolled: 7-line block ×3, first 2 shown]
	v_mov_b32_e32 v0, v188
	v_mov_b32_e32 v1, v189
	s_waitcnt vmcnt(42)
	ds_write2_b64 v69, v[0:1], v[248:249] offset0:60 offset1:61
	ds_read_b64 v[0:1], v68
	s_waitcnt lgkmcnt(0)
	v_cmp_neq_f64_e32 vcc, 0, v[0:1]
	s_and_b64 exec, exec, vcc
	s_cbranch_execz .LBB123_109
; %bb.108:
	v_div_scale_f64 v[2:3], s[6:7], v[0:1], v[0:1], 1.0
	v_rcp_f64_e32 v[4:5], v[2:3]
	v_div_scale_f64 v[6:7], vcc, 1.0, v[0:1], 1.0
	v_fma_f64 v[8:9], -v[2:3], v[4:5], 1.0
	v_fmac_f64_e32 v[4:5], v[4:5], v[8:9]
	v_fma_f64 v[8:9], -v[2:3], v[4:5], 1.0
	v_fmac_f64_e32 v[4:5], v[4:5], v[8:9]
	v_mul_f64 v[8:9], v[6:7], v[4:5]
	v_fma_f64 v[2:3], -v[2:3], v[8:9], v[6:7]
	v_div_fmas_f64 v[2:3], v[2:3], v[4:5], v[8:9]
	v_div_fixup_f64 v[0:1], v[2:3], v[0:1], 1.0
	ds_write_b64 v68, v[0:1]
.LBB123_109:
	s_or_b64 exec, exec, s[2:3]
	s_waitcnt lgkmcnt(0)
	s_barrier
	ds_read_b64 v[0:1], v68
	v_cmp_lt_u32_e32 vcc, 21, v70
	s_waitcnt lgkmcnt(0)
	buffer_store_dword v0, off, s[16:19], 0 offset:456 ; 4-byte Folded Spill
	s_nop 0
	buffer_store_dword v1, off, s[16:19], 0 offset:460 ; 4-byte Folded Spill
	s_and_saveexec_b64 s[2:3], vcc
	s_cbranch_execz .LBB123_111
; %bb.110:
	buffer_load_dword v0, off, s[16:19], 0 offset:456 ; 4-byte Folded Reload
	buffer_load_dword v1, off, s[16:19], 0 offset:460 ; 4-byte Folded Reload
	s_waitcnt vmcnt(0)
	v_mul_f64 v[166:167], v[0:1], v[166:167]
	ds_read2_b64 v[0:3], v69 offset0:22 offset1:23
	s_waitcnt lgkmcnt(0)
	v_fma_f64 v[226:227], -v[166:167], v[0:1], v[226:227]
	v_fma_f64 v[164:165], -v[166:167], v[2:3], v[164:165]
	ds_read2_b64 v[0:3], v69 offset0:24 offset1:25
	s_waitcnt lgkmcnt(0)
	v_fma_f64 v[224:225], -v[166:167], v[0:1], v[224:225]
	v_fma_f64 v[162:163], -v[166:167], v[2:3], v[162:163]
	;; [unrolled: 4-line block ×20, first 2 shown]
.LBB123_111:
	s_or_b64 exec, exec, s[2:3]
	v_cmp_eq_u32_e32 vcc, 22, v70
	s_waitcnt vmcnt(63) expcnt(7) lgkmcnt(15)
	s_barrier
	s_and_saveexec_b64 s[2:3], vcc
	s_cbranch_execz .LBB123_114
; %bb.112:
	ds_write_b64 v68, v[226:227]
	ds_write2_b64 v69, v[164:165], v[224:225] offset0:23 offset1:24
	ds_write2_b64 v69, v[162:163], v[222:223] offset0:25 offset1:26
	;; [unrolled: 1-line block ×16, first 2 shown]
	s_waitcnt vmcnt(59)
	ds_write2_b64 v69, v[132:133], v[192:193] offset0:55 offset1:56
	s_waitcnt vmcnt(53)
	ds_write2_b64 v69, v[130:131], v[190:191] offset0:57 offset1:58
	s_waitcnt vmcnt(47)
	ds_write2_b64 v69, v[128:129], v[188:189] offset0:59 offset1:60
	s_waitcnt vmcnt(44)
	ds_write_b64 v69, v[248:249] offset:488
	ds_read_b64 v[0:1], v68
	s_waitcnt lgkmcnt(0)
	v_cmp_neq_f64_e32 vcc, 0, v[0:1]
	s_and_b64 exec, exec, vcc
	s_cbranch_execz .LBB123_114
; %bb.113:
	v_div_scale_f64 v[2:3], s[6:7], v[0:1], v[0:1], 1.0
	v_rcp_f64_e32 v[4:5], v[2:3]
	v_div_scale_f64 v[6:7], vcc, 1.0, v[0:1], 1.0
	v_fma_f64 v[8:9], -v[2:3], v[4:5], 1.0
	v_fmac_f64_e32 v[4:5], v[4:5], v[8:9]
	v_fma_f64 v[8:9], -v[2:3], v[4:5], 1.0
	v_fmac_f64_e32 v[4:5], v[4:5], v[8:9]
	v_mul_f64 v[8:9], v[6:7], v[4:5]
	v_fma_f64 v[2:3], -v[2:3], v[8:9], v[6:7]
	v_div_fmas_f64 v[2:3], v[2:3], v[4:5], v[8:9]
	v_div_fixup_f64 v[0:1], v[2:3], v[0:1], 1.0
	ds_write_b64 v68, v[0:1]
.LBB123_114:
	s_or_b64 exec, exec, s[2:3]
	s_waitcnt lgkmcnt(0)
	s_barrier
	ds_read_b64 v[0:1], v68
	v_cmp_lt_u32_e32 vcc, 22, v70
	s_waitcnt lgkmcnt(0)
	buffer_store_dword v0, off, s[16:19], 0 offset:464 ; 4-byte Folded Spill
	s_nop 0
	buffer_store_dword v1, off, s[16:19], 0 offset:468 ; 4-byte Folded Spill
	s_and_saveexec_b64 s[2:3], vcc
	s_cbranch_execz .LBB123_116
; %bb.115:
	buffer_load_dword v0, off, s[16:19], 0 offset:464 ; 4-byte Folded Reload
	buffer_load_dword v1, off, s[16:19], 0 offset:468 ; 4-byte Folded Reload
	s_waitcnt vmcnt(0)
	v_mul_f64 v[226:227], v[0:1], v[226:227]
	ds_read2_b64 v[0:3], v69 offset0:23 offset1:24
	s_waitcnt lgkmcnt(0)
	v_fma_f64 v[164:165], -v[226:227], v[0:1], v[164:165]
	v_fma_f64 v[224:225], -v[226:227], v[2:3], v[224:225]
	ds_read2_b64 v[0:3], v69 offset0:25 offset1:26
	s_waitcnt lgkmcnt(0)
	v_fma_f64 v[162:163], -v[226:227], v[0:1], v[162:163]
	v_fma_f64 v[222:223], -v[226:227], v[2:3], v[222:223]
	;; [unrolled: 4-line block ×18, first 2 shown]
	ds_read2_b64 v[0:3], v69 offset0:59 offset1:60
	s_waitcnt lgkmcnt(0)
	v_fma_f64 v[128:129], -v[226:227], v[0:1], v[128:129]
	ds_read_b64 v[0:1], v69 offset:488
	v_fma_f64 v[188:189], -v[226:227], v[2:3], v[188:189]
	s_waitcnt lgkmcnt(0)
	v_fma_f64 v[248:249], -v[226:227], v[0:1], v[248:249]
.LBB123_116:
	s_or_b64 exec, exec, s[2:3]
	v_cmp_eq_u32_e32 vcc, 23, v70
	s_waitcnt vmcnt(63) expcnt(7) lgkmcnt(15)
	s_barrier
	s_and_saveexec_b64 s[2:3], vcc
	s_cbranch_execz .LBB123_119
; %bb.117:
	v_mov_b32_e32 v0, v224
	v_mov_b32_e32 v1, v225
	;; [unrolled: 1-line block ×4, first 2 shown]
	ds_write_b64 v68, v[164:165]
	ds_write2_b64 v69, v[0:1], v[2:3] offset0:24 offset1:25
	v_mov_b32_e32 v0, v222
	v_mov_b32_e32 v1, v223
	v_mov_b32_e32 v2, v160
	v_mov_b32_e32 v3, v161
	ds_write2_b64 v69, v[0:1], v[2:3] offset0:26 offset1:27
	v_mov_b32_e32 v0, v220
	v_mov_b32_e32 v1, v221
	v_mov_b32_e32 v2, v158
	v_mov_b32_e32 v3, v159
	;; [unrolled: 5-line block ×15, first 2 shown]
	ds_write2_b64 v69, v[0:1], v[2:3] offset0:54 offset1:55
	s_waitcnt vmcnt(61)
	v_mov_b32_e32 v0, v192
	v_mov_b32_e32 v1, v193
	s_waitcnt vmcnt(58)
	v_mov_b32_e32 v2, v130
	v_mov_b32_e32 v3, v131
	ds_write2_b64 v69, v[0:1], v[2:3] offset0:56 offset1:57
	s_waitcnt vmcnt(55)
	v_mov_b32_e32 v0, v190
	v_mov_b32_e32 v1, v191
	s_waitcnt vmcnt(52)
	v_mov_b32_e32 v2, v128
	v_mov_b32_e32 v3, v129
	ds_write2_b64 v69, v[0:1], v[2:3] offset0:58 offset1:59
	s_waitcnt vmcnt(49)
	v_mov_b32_e32 v0, v188
	v_mov_b32_e32 v1, v189
	s_waitcnt vmcnt(46)
	ds_write2_b64 v69, v[0:1], v[248:249] offset0:60 offset1:61
	ds_read_b64 v[0:1], v68
	s_waitcnt lgkmcnt(0)
	v_cmp_neq_f64_e32 vcc, 0, v[0:1]
	s_and_b64 exec, exec, vcc
	s_cbranch_execz .LBB123_119
; %bb.118:
	v_div_scale_f64 v[2:3], s[6:7], v[0:1], v[0:1], 1.0
	v_rcp_f64_e32 v[4:5], v[2:3]
	v_div_scale_f64 v[6:7], vcc, 1.0, v[0:1], 1.0
	v_fma_f64 v[8:9], -v[2:3], v[4:5], 1.0
	v_fmac_f64_e32 v[4:5], v[4:5], v[8:9]
	v_fma_f64 v[8:9], -v[2:3], v[4:5], 1.0
	v_fmac_f64_e32 v[4:5], v[4:5], v[8:9]
	v_mul_f64 v[8:9], v[6:7], v[4:5]
	v_fma_f64 v[2:3], -v[2:3], v[8:9], v[6:7]
	v_div_fmas_f64 v[2:3], v[2:3], v[4:5], v[8:9]
	v_div_fixup_f64 v[0:1], v[2:3], v[0:1], 1.0
	ds_write_b64 v68, v[0:1]
.LBB123_119:
	s_or_b64 exec, exec, s[2:3]
	s_waitcnt lgkmcnt(0)
	s_barrier
	ds_read_b64 v[0:1], v68
	v_cmp_lt_u32_e32 vcc, 23, v70
	s_waitcnt lgkmcnt(0)
	buffer_store_dword v0, off, s[16:19], 0 offset:472 ; 4-byte Folded Spill
	s_nop 0
	buffer_store_dword v1, off, s[16:19], 0 offset:476 ; 4-byte Folded Spill
	s_and_saveexec_b64 s[2:3], vcc
	s_cbranch_execz .LBB123_121
; %bb.120:
	buffer_load_dword v0, off, s[16:19], 0 offset:472 ; 4-byte Folded Reload
	buffer_load_dword v1, off, s[16:19], 0 offset:476 ; 4-byte Folded Reload
	s_waitcnt vmcnt(0)
	v_mul_f64 v[164:165], v[0:1], v[164:165]
	ds_read2_b64 v[0:3], v69 offset0:24 offset1:25
	s_waitcnt lgkmcnt(0)
	v_fma_f64 v[224:225], -v[164:165], v[0:1], v[224:225]
	v_fma_f64 v[162:163], -v[164:165], v[2:3], v[162:163]
	ds_read2_b64 v[0:3], v69 offset0:26 offset1:27
	s_waitcnt lgkmcnt(0)
	v_fma_f64 v[222:223], -v[164:165], v[0:1], v[222:223]
	v_fma_f64 v[160:161], -v[164:165], v[2:3], v[160:161]
	;; [unrolled: 4-line block ×19, first 2 shown]
.LBB123_121:
	s_or_b64 exec, exec, s[2:3]
	v_cmp_eq_u32_e32 vcc, 24, v70
	s_waitcnt vmcnt(63) expcnt(7) lgkmcnt(15)
	s_barrier
	s_and_saveexec_b64 s[2:3], vcc
	s_cbranch_execz .LBB123_124
; %bb.122:
	ds_write_b64 v68, v[224:225]
	ds_write2_b64 v69, v[162:163], v[222:223] offset0:25 offset1:26
	ds_write2_b64 v69, v[160:161], v[220:221] offset0:27 offset1:28
	;; [unrolled: 1-line block ×16, first 2 shown]
	s_waitcnt vmcnt(57)
	ds_write2_b64 v69, v[130:131], v[190:191] offset0:57 offset1:58
	s_waitcnt vmcnt(51)
	ds_write2_b64 v69, v[128:129], v[188:189] offset0:59 offset1:60
	s_waitcnt vmcnt(48)
	ds_write_b64 v69, v[248:249] offset:488
	ds_read_b64 v[0:1], v68
	s_waitcnt lgkmcnt(0)
	v_cmp_neq_f64_e32 vcc, 0, v[0:1]
	s_and_b64 exec, exec, vcc
	s_cbranch_execz .LBB123_124
; %bb.123:
	v_div_scale_f64 v[2:3], s[6:7], v[0:1], v[0:1], 1.0
	v_rcp_f64_e32 v[4:5], v[2:3]
	v_div_scale_f64 v[6:7], vcc, 1.0, v[0:1], 1.0
	v_fma_f64 v[8:9], -v[2:3], v[4:5], 1.0
	v_fmac_f64_e32 v[4:5], v[4:5], v[8:9]
	v_fma_f64 v[8:9], -v[2:3], v[4:5], 1.0
	v_fmac_f64_e32 v[4:5], v[4:5], v[8:9]
	v_mul_f64 v[8:9], v[6:7], v[4:5]
	v_fma_f64 v[2:3], -v[2:3], v[8:9], v[6:7]
	v_div_fmas_f64 v[2:3], v[2:3], v[4:5], v[8:9]
	v_div_fixup_f64 v[0:1], v[2:3], v[0:1], 1.0
	ds_write_b64 v68, v[0:1]
.LBB123_124:
	s_or_b64 exec, exec, s[2:3]
	s_waitcnt lgkmcnt(0)
	s_barrier
	ds_read_b64 v[2:3], v68
	v_cmp_lt_u32_e32 vcc, 24, v70
	s_and_saveexec_b64 s[2:3], vcc
	s_cbranch_execz .LBB123_126
; %bb.125:
	ds_read2_b64 v[4:7], v69 offset0:25 offset1:26
	ds_read_b64 v[0:1], v69 offset:488
	s_waitcnt lgkmcnt(2)
	v_mul_f64 v[224:225], v[2:3], v[224:225]
	s_waitcnt lgkmcnt(1)
	v_fma_f64 v[162:163], -v[224:225], v[4:5], v[162:163]
	v_fma_f64 v[222:223], -v[224:225], v[6:7], v[222:223]
	ds_read2_b64 v[4:7], v69 offset0:27 offset1:28
	s_waitcnt vmcnt(48) lgkmcnt(1)
	v_fma_f64 v[248:249], -v[224:225], v[0:1], v[248:249]
	s_waitcnt lgkmcnt(0)
	v_fma_f64 v[160:161], -v[224:225], v[4:5], v[160:161]
	v_fma_f64 v[220:221], -v[224:225], v[6:7], v[220:221]
	ds_read2_b64 v[4:7], v69 offset0:29 offset1:30
	s_waitcnt lgkmcnt(0)
	v_fma_f64 v[158:159], -v[224:225], v[4:5], v[158:159]
	v_fma_f64 v[218:219], -v[224:225], v[6:7], v[218:219]
	ds_read2_b64 v[4:7], v69 offset0:31 offset1:32
	s_waitcnt lgkmcnt(0)
	v_fma_f64 v[156:157], -v[224:225], v[4:5], v[156:157]
	v_fma_f64 v[216:217], -v[224:225], v[6:7], v[216:217]
	ds_read2_b64 v[4:7], v69 offset0:33 offset1:34
	s_waitcnt lgkmcnt(0)
	v_fma_f64 v[154:155], -v[224:225], v[4:5], v[154:155]
	v_fma_f64 v[214:215], -v[224:225], v[6:7], v[214:215]
	ds_read2_b64 v[4:7], v69 offset0:35 offset1:36
	s_waitcnt lgkmcnt(0)
	v_fma_f64 v[152:153], -v[224:225], v[4:5], v[152:153]
	v_fma_f64 v[212:213], -v[224:225], v[6:7], v[212:213]
	ds_read2_b64 v[4:7], v69 offset0:37 offset1:38
	s_waitcnt lgkmcnt(0)
	v_fma_f64 v[150:151], -v[224:225], v[4:5], v[150:151]
	v_fma_f64 v[210:211], -v[224:225], v[6:7], v[210:211]
	ds_read2_b64 v[4:7], v69 offset0:39 offset1:40
	s_waitcnt lgkmcnt(0)
	v_fma_f64 v[148:149], -v[224:225], v[4:5], v[148:149]
	v_fma_f64 v[208:209], -v[224:225], v[6:7], v[208:209]
	ds_read2_b64 v[4:7], v69 offset0:41 offset1:42
	s_waitcnt lgkmcnt(0)
	v_fma_f64 v[146:147], -v[224:225], v[4:5], v[146:147]
	v_fma_f64 v[206:207], -v[224:225], v[6:7], v[206:207]
	ds_read2_b64 v[4:7], v69 offset0:43 offset1:44
	s_waitcnt lgkmcnt(0)
	v_fma_f64 v[144:145], -v[224:225], v[4:5], v[144:145]
	v_fma_f64 v[204:205], -v[224:225], v[6:7], v[204:205]
	ds_read2_b64 v[4:7], v69 offset0:45 offset1:46
	s_waitcnt lgkmcnt(0)
	v_fma_f64 v[142:143], -v[224:225], v[4:5], v[142:143]
	v_fma_f64 v[202:203], -v[224:225], v[6:7], v[202:203]
	ds_read2_b64 v[4:7], v69 offset0:47 offset1:48
	s_waitcnt lgkmcnt(0)
	v_fma_f64 v[140:141], -v[224:225], v[4:5], v[140:141]
	v_fma_f64 v[200:201], -v[224:225], v[6:7], v[200:201]
	ds_read2_b64 v[4:7], v69 offset0:49 offset1:50
	s_waitcnt lgkmcnt(0)
	v_fma_f64 v[138:139], -v[224:225], v[4:5], v[138:139]
	v_fma_f64 v[198:199], -v[224:225], v[6:7], v[198:199]
	ds_read2_b64 v[4:7], v69 offset0:51 offset1:52
	s_waitcnt lgkmcnt(0)
	v_fma_f64 v[136:137], -v[224:225], v[4:5], v[136:137]
	v_fma_f64 v[196:197], -v[224:225], v[6:7], v[196:197]
	ds_read2_b64 v[4:7], v69 offset0:53 offset1:54
	s_waitcnt lgkmcnt(0)
	v_fma_f64 v[134:135], -v[224:225], v[4:5], v[134:135]
	v_fma_f64 v[194:195], -v[224:225], v[6:7], v[194:195]
	ds_read2_b64 v[4:7], v69 offset0:55 offset1:56
	s_waitcnt lgkmcnt(0)
	v_fma_f64 v[132:133], -v[224:225], v[4:5], v[132:133]
	v_fma_f64 v[192:193], -v[224:225], v[6:7], v[192:193]
	ds_read2_b64 v[4:7], v69 offset0:57 offset1:58
	s_waitcnt lgkmcnt(0)
	v_fma_f64 v[130:131], -v[224:225], v[4:5], v[130:131]
	v_fma_f64 v[190:191], -v[224:225], v[6:7], v[190:191]
	ds_read2_b64 v[4:7], v69 offset0:59 offset1:60
	s_waitcnt lgkmcnt(0)
	v_fma_f64 v[128:129], -v[224:225], v[4:5], v[128:129]
	v_fma_f64 v[188:189], -v[224:225], v[6:7], v[188:189]
.LBB123_126:
	s_or_b64 exec, exec, s[2:3]
	v_cmp_eq_u32_e32 vcc, 25, v70
	s_waitcnt lgkmcnt(0)
	s_barrier
	s_and_saveexec_b64 s[2:3], vcc
	s_cbranch_execz .LBB123_129
; %bb.127:
	v_mov_b32_e32 v0, v222
	v_mov_b32_e32 v1, v223
	;; [unrolled: 1-line block ×4, first 2 shown]
	ds_write_b64 v68, v[162:163]
	ds_write2_b64 v69, v[0:1], v[4:5] offset0:26 offset1:27
	v_mov_b32_e32 v0, v220
	v_mov_b32_e32 v1, v221
	v_mov_b32_e32 v4, v158
	v_mov_b32_e32 v5, v159
	ds_write2_b64 v69, v[0:1], v[4:5] offset0:28 offset1:29
	v_mov_b32_e32 v0, v218
	v_mov_b32_e32 v1, v219
	v_mov_b32_e32 v4, v156
	v_mov_b32_e32 v5, v157
	;; [unrolled: 5-line block ×14, first 2 shown]
	ds_write2_b64 v69, v[0:1], v[4:5] offset0:54 offset1:55
	v_mov_b32_e32 v0, v192
	v_mov_b32_e32 v1, v193
	s_waitcnt vmcnt(60)
	v_mov_b32_e32 v4, v130
	v_mov_b32_e32 v5, v131
	ds_write2_b64 v69, v[0:1], v[4:5] offset0:56 offset1:57
	s_waitcnt vmcnt(57)
	v_mov_b32_e32 v0, v190
	v_mov_b32_e32 v1, v191
	s_waitcnt vmcnt(54)
	v_mov_b32_e32 v4, v128
	v_mov_b32_e32 v5, v129
	ds_write2_b64 v69, v[0:1], v[4:5] offset0:58 offset1:59
	s_waitcnt vmcnt(51)
	v_mov_b32_e32 v0, v188
	v_mov_b32_e32 v1, v189
	s_waitcnt vmcnt(48)
	ds_write2_b64 v69, v[0:1], v[248:249] offset0:60 offset1:61
	ds_read_b64 v[0:1], v68
	s_waitcnt lgkmcnt(0)
	v_cmp_neq_f64_e32 vcc, 0, v[0:1]
	s_and_b64 exec, exec, vcc
	s_cbranch_execz .LBB123_129
; %bb.128:
	v_div_scale_f64 v[4:5], s[6:7], v[0:1], v[0:1], 1.0
	v_rcp_f64_e32 v[6:7], v[4:5]
	v_div_scale_f64 v[8:9], vcc, 1.0, v[0:1], 1.0
	v_fma_f64 v[10:11], -v[4:5], v[6:7], 1.0
	v_fmac_f64_e32 v[6:7], v[6:7], v[10:11]
	v_fma_f64 v[10:11], -v[4:5], v[6:7], 1.0
	v_fmac_f64_e32 v[6:7], v[6:7], v[10:11]
	v_mul_f64 v[10:11], v[8:9], v[6:7]
	v_fma_f64 v[4:5], -v[4:5], v[10:11], v[8:9]
	v_div_fmas_f64 v[4:5], v[4:5], v[6:7], v[10:11]
	v_div_fixup_f64 v[0:1], v[4:5], v[0:1], 1.0
	ds_write_b64 v68, v[0:1]
.LBB123_129:
	s_or_b64 exec, exec, s[2:3]
	s_waitcnt lgkmcnt(0)
	s_barrier
	ds_read_b64 v[0:1], v68
	v_cmp_lt_u32_e32 vcc, 25, v70
	s_and_saveexec_b64 s[2:3], vcc
	s_cbranch_execz .LBB123_131
; %bb.130:
	ds_read2_b64 v[4:7], v69 offset0:26 offset1:27
	s_waitcnt lgkmcnt(1)
	v_mul_f64 v[162:163], v[0:1], v[162:163]
	s_waitcnt lgkmcnt(0)
	v_fma_f64 v[222:223], -v[162:163], v[4:5], v[222:223]
	v_fma_f64 v[160:161], -v[162:163], v[6:7], v[160:161]
	ds_read2_b64 v[4:7], v69 offset0:28 offset1:29
	s_waitcnt lgkmcnt(0)
	v_fma_f64 v[220:221], -v[162:163], v[4:5], v[220:221]
	v_fma_f64 v[158:159], -v[162:163], v[6:7], v[158:159]
	ds_read2_b64 v[4:7], v69 offset0:30 offset1:31
	;; [unrolled: 4-line block ×15, first 2 shown]
	s_waitcnt lgkmcnt(0)
	v_fma_f64 v[192:193], -v[162:163], v[4:5], v[192:193]
	s_waitcnt vmcnt(60)
	v_fma_f64 v[130:131], -v[162:163], v[6:7], v[130:131]
	ds_read2_b64 v[4:7], v69 offset0:58 offset1:59
	s_waitcnt vmcnt(57) lgkmcnt(0)
	v_fma_f64 v[190:191], -v[162:163], v[4:5], v[190:191]
	s_waitcnt vmcnt(54)
	v_fma_f64 v[128:129], -v[162:163], v[6:7], v[128:129]
	ds_read2_b64 v[4:7], v69 offset0:60 offset1:61
	s_waitcnt vmcnt(51) lgkmcnt(0)
	v_fma_f64 v[188:189], -v[162:163], v[4:5], v[188:189]
	s_waitcnt vmcnt(48)
	v_fma_f64 v[248:249], -v[162:163], v[6:7], v[248:249]
.LBB123_131:
	s_or_b64 exec, exec, s[2:3]
	v_cmp_eq_u32_e32 vcc, 26, v70
	s_waitcnt lgkmcnt(0)
	buffer_store_dword v0, off, s[16:19], 0 offset:496 ; 4-byte Folded Spill
	s_nop 0
	buffer_store_dword v1, off, s[16:19], 0 offset:500 ; 4-byte Folded Spill
	s_waitcnt vmcnt(63) expcnt(7) lgkmcnt(15)
	s_barrier
	s_and_saveexec_b64 s[2:3], vcc
	s_cbranch_execz .LBB123_134
; %bb.132:
	ds_write_b64 v68, v[222:223]
	ds_write2_b64 v69, v[160:161], v[220:221] offset0:27 offset1:28
	ds_write2_b64 v69, v[158:159], v[218:219] offset0:29 offset1:30
	;; [unrolled: 1-line block ×15, first 2 shown]
	s_waitcnt vmcnt(59)
	ds_write2_b64 v69, v[130:131], v[190:191] offset0:57 offset1:58
	s_waitcnt vmcnt(53)
	ds_write2_b64 v69, v[128:129], v[188:189] offset0:59 offset1:60
	s_waitcnt vmcnt(50)
	ds_write_b64 v69, v[248:249] offset:488
	ds_read_b64 v[0:1], v68
	s_waitcnt lgkmcnt(0)
	v_cmp_neq_f64_e32 vcc, 0, v[0:1]
	s_and_b64 exec, exec, vcc
	s_cbranch_execz .LBB123_134
; %bb.133:
	v_div_scale_f64 v[4:5], s[6:7], v[0:1], v[0:1], 1.0
	v_rcp_f64_e32 v[6:7], v[4:5]
	v_div_scale_f64 v[8:9], vcc, 1.0, v[0:1], 1.0
	v_fma_f64 v[10:11], -v[4:5], v[6:7], 1.0
	v_fmac_f64_e32 v[6:7], v[6:7], v[10:11]
	v_fma_f64 v[10:11], -v[4:5], v[6:7], 1.0
	v_fmac_f64_e32 v[6:7], v[6:7], v[10:11]
	v_mul_f64 v[10:11], v[8:9], v[6:7]
	v_fma_f64 v[4:5], -v[4:5], v[10:11], v[8:9]
	v_div_fmas_f64 v[4:5], v[4:5], v[6:7], v[10:11]
	v_div_fixup_f64 v[0:1], v[4:5], v[0:1], 1.0
	ds_write_b64 v68, v[0:1]
.LBB123_134:
	s_or_b64 exec, exec, s[2:3]
	s_waitcnt lgkmcnt(0)
	s_barrier
	ds_read_b64 v[0:1], v68
	v_cmp_lt_u32_e32 vcc, 26, v70
	s_waitcnt lgkmcnt(0)
	buffer_store_dword v0, off, s[16:19], 0 offset:480 ; 4-byte Folded Spill
	s_nop 0
	buffer_store_dword v1, off, s[16:19], 0 offset:484 ; 4-byte Folded Spill
	s_and_saveexec_b64 s[2:3], vcc
	s_cbranch_execz .LBB123_136
; %bb.135:
	buffer_load_dword v0, off, s[16:19], 0 offset:480 ; 4-byte Folded Reload
	buffer_load_dword v1, off, s[16:19], 0 offset:484 ; 4-byte Folded Reload
	ds_read2_b64 v[4:7], v69 offset0:27 offset1:28
	s_waitcnt vmcnt(0)
	v_mul_f64 v[222:223], v[0:1], v[222:223]
	ds_read_b64 v[0:1], v69 offset:488
	s_waitcnt lgkmcnt(1)
	v_fma_f64 v[160:161], -v[222:223], v[4:5], v[160:161]
	v_fma_f64 v[220:221], -v[222:223], v[6:7], v[220:221]
	ds_read2_b64 v[4:7], v69 offset0:29 offset1:30
	s_waitcnt lgkmcnt(1)
	v_fma_f64 v[248:249], -v[222:223], v[0:1], v[248:249]
	s_waitcnt lgkmcnt(0)
	v_fma_f64 v[158:159], -v[222:223], v[4:5], v[158:159]
	v_fma_f64 v[218:219], -v[222:223], v[6:7], v[218:219]
	ds_read2_b64 v[4:7], v69 offset0:31 offset1:32
	s_waitcnt lgkmcnt(0)
	v_fma_f64 v[156:157], -v[222:223], v[4:5], v[156:157]
	v_fma_f64 v[216:217], -v[222:223], v[6:7], v[216:217]
	ds_read2_b64 v[4:7], v69 offset0:33 offset1:34
	s_waitcnt lgkmcnt(0)
	v_fma_f64 v[154:155], -v[222:223], v[4:5], v[154:155]
	v_fma_f64 v[214:215], -v[222:223], v[6:7], v[214:215]
	ds_read2_b64 v[4:7], v69 offset0:35 offset1:36
	s_waitcnt lgkmcnt(0)
	v_fma_f64 v[152:153], -v[222:223], v[4:5], v[152:153]
	v_fma_f64 v[212:213], -v[222:223], v[6:7], v[212:213]
	ds_read2_b64 v[4:7], v69 offset0:37 offset1:38
	s_waitcnt lgkmcnt(0)
	v_fma_f64 v[150:151], -v[222:223], v[4:5], v[150:151]
	v_fma_f64 v[210:211], -v[222:223], v[6:7], v[210:211]
	ds_read2_b64 v[4:7], v69 offset0:39 offset1:40
	s_waitcnt lgkmcnt(0)
	v_fma_f64 v[148:149], -v[222:223], v[4:5], v[148:149]
	v_fma_f64 v[208:209], -v[222:223], v[6:7], v[208:209]
	ds_read2_b64 v[4:7], v69 offset0:41 offset1:42
	s_waitcnt lgkmcnt(0)
	v_fma_f64 v[146:147], -v[222:223], v[4:5], v[146:147]
	v_fma_f64 v[206:207], -v[222:223], v[6:7], v[206:207]
	ds_read2_b64 v[4:7], v69 offset0:43 offset1:44
	s_waitcnt lgkmcnt(0)
	v_fma_f64 v[144:145], -v[222:223], v[4:5], v[144:145]
	v_fma_f64 v[204:205], -v[222:223], v[6:7], v[204:205]
	ds_read2_b64 v[4:7], v69 offset0:45 offset1:46
	s_waitcnt lgkmcnt(0)
	v_fma_f64 v[142:143], -v[222:223], v[4:5], v[142:143]
	v_fma_f64 v[202:203], -v[222:223], v[6:7], v[202:203]
	ds_read2_b64 v[4:7], v69 offset0:47 offset1:48
	s_waitcnt lgkmcnt(0)
	v_fma_f64 v[140:141], -v[222:223], v[4:5], v[140:141]
	v_fma_f64 v[200:201], -v[222:223], v[6:7], v[200:201]
	ds_read2_b64 v[4:7], v69 offset0:49 offset1:50
	s_waitcnt lgkmcnt(0)
	v_fma_f64 v[138:139], -v[222:223], v[4:5], v[138:139]
	v_fma_f64 v[198:199], -v[222:223], v[6:7], v[198:199]
	ds_read2_b64 v[4:7], v69 offset0:51 offset1:52
	s_waitcnt lgkmcnt(0)
	v_fma_f64 v[136:137], -v[222:223], v[4:5], v[136:137]
	v_fma_f64 v[196:197], -v[222:223], v[6:7], v[196:197]
	ds_read2_b64 v[4:7], v69 offset0:53 offset1:54
	s_waitcnt lgkmcnt(0)
	v_fma_f64 v[134:135], -v[222:223], v[4:5], v[134:135]
	v_fma_f64 v[194:195], -v[222:223], v[6:7], v[194:195]
	ds_read2_b64 v[4:7], v69 offset0:55 offset1:56
	s_waitcnt lgkmcnt(0)
	v_fma_f64 v[132:133], -v[222:223], v[4:5], v[132:133]
	v_fma_f64 v[192:193], -v[222:223], v[6:7], v[192:193]
	ds_read2_b64 v[4:7], v69 offset0:57 offset1:58
	s_waitcnt lgkmcnt(0)
	v_fma_f64 v[130:131], -v[222:223], v[4:5], v[130:131]
	v_fma_f64 v[190:191], -v[222:223], v[6:7], v[190:191]
	ds_read2_b64 v[4:7], v69 offset0:59 offset1:60
	s_waitcnt lgkmcnt(0)
	v_fma_f64 v[128:129], -v[222:223], v[4:5], v[128:129]
	v_fma_f64 v[188:189], -v[222:223], v[6:7], v[188:189]
.LBB123_136:
	s_or_b64 exec, exec, s[2:3]
	v_cmp_eq_u32_e32 vcc, 27, v70
	s_waitcnt vmcnt(63) expcnt(7) lgkmcnt(15)
	s_barrier
	s_and_saveexec_b64 s[2:3], vcc
	s_cbranch_execz .LBB123_139
; %bb.137:
	v_mov_b32_e32 v0, v220
	v_mov_b32_e32 v1, v221
	;; [unrolled: 1-line block ×4, first 2 shown]
	ds_write_b64 v68, v[160:161]
	ds_write2_b64 v69, v[0:1], v[4:5] offset0:28 offset1:29
	v_mov_b32_e32 v0, v218
	v_mov_b32_e32 v1, v219
	v_mov_b32_e32 v4, v156
	v_mov_b32_e32 v5, v157
	ds_write2_b64 v69, v[0:1], v[4:5] offset0:30 offset1:31
	v_mov_b32_e32 v0, v216
	v_mov_b32_e32 v1, v217
	v_mov_b32_e32 v4, v154
	v_mov_b32_e32 v5, v155
	;; [unrolled: 5-line block ×14, first 2 shown]
	ds_write2_b64 v69, v[0:1], v[4:5] offset0:56 offset1:57
	s_waitcnt vmcnt(61)
	v_mov_b32_e32 v0, v190
	v_mov_b32_e32 v1, v191
	s_waitcnt vmcnt(58)
	v_mov_b32_e32 v4, v128
	v_mov_b32_e32 v5, v129
	ds_write2_b64 v69, v[0:1], v[4:5] offset0:58 offset1:59
	s_waitcnt vmcnt(55)
	v_mov_b32_e32 v0, v188
	v_mov_b32_e32 v1, v189
	s_waitcnt vmcnt(52)
	ds_write2_b64 v69, v[0:1], v[248:249] offset0:60 offset1:61
	ds_read_b64 v[0:1], v68
	s_waitcnt lgkmcnt(0)
	v_cmp_neq_f64_e32 vcc, 0, v[0:1]
	s_and_b64 exec, exec, vcc
	s_cbranch_execz .LBB123_139
; %bb.138:
	v_div_scale_f64 v[4:5], s[6:7], v[0:1], v[0:1], 1.0
	v_rcp_f64_e32 v[6:7], v[4:5]
	v_div_scale_f64 v[8:9], vcc, 1.0, v[0:1], 1.0
	v_fma_f64 v[10:11], -v[4:5], v[6:7], 1.0
	v_fmac_f64_e32 v[6:7], v[6:7], v[10:11]
	v_fma_f64 v[10:11], -v[4:5], v[6:7], 1.0
	v_fmac_f64_e32 v[6:7], v[6:7], v[10:11]
	v_mul_f64 v[10:11], v[8:9], v[6:7]
	v_fma_f64 v[4:5], -v[4:5], v[10:11], v[8:9]
	v_div_fmas_f64 v[4:5], v[4:5], v[6:7], v[10:11]
	v_div_fixup_f64 v[0:1], v[4:5], v[0:1], 1.0
	ds_write_b64 v68, v[0:1]
.LBB123_139:
	s_or_b64 exec, exec, s[2:3]
	s_waitcnt lgkmcnt(0)
	s_barrier
	ds_read_b64 v[0:1], v68
	v_cmp_lt_u32_e32 vcc, 27, v70
	s_waitcnt lgkmcnt(0)
	buffer_store_dword v0, off, s[16:19], 0 offset:488 ; 4-byte Folded Spill
	s_nop 0
	buffer_store_dword v1, off, s[16:19], 0 offset:492 ; 4-byte Folded Spill
	s_and_saveexec_b64 s[2:3], vcc
	s_cbranch_execz .LBB123_141
; %bb.140:
	buffer_load_dword v0, off, s[16:19], 0 offset:488 ; 4-byte Folded Reload
	buffer_load_dword v1, off, s[16:19], 0 offset:492 ; 4-byte Folded Reload
	ds_read2_b64 v[4:7], v69 offset0:28 offset1:29
	s_waitcnt vmcnt(0)
	v_mul_f64 v[160:161], v[0:1], v[160:161]
	s_waitcnt lgkmcnt(0)
	v_fma_f64 v[220:221], -v[160:161], v[4:5], v[220:221]
	v_fma_f64 v[158:159], -v[160:161], v[6:7], v[158:159]
	ds_read2_b64 v[4:7], v69 offset0:30 offset1:31
	s_waitcnt lgkmcnt(0)
	v_fma_f64 v[218:219], -v[160:161], v[4:5], v[218:219]
	v_fma_f64 v[156:157], -v[160:161], v[6:7], v[156:157]
	ds_read2_b64 v[4:7], v69 offset0:32 offset1:33
	;; [unrolled: 4-line block ×16, first 2 shown]
	s_waitcnt lgkmcnt(0)
	v_fma_f64 v[188:189], -v[160:161], v[4:5], v[188:189]
	v_fma_f64 v[248:249], -v[160:161], v[6:7], v[248:249]
.LBB123_141:
	s_or_b64 exec, exec, s[2:3]
	v_cmp_eq_u32_e32 vcc, 28, v70
	s_waitcnt vmcnt(63) expcnt(7) lgkmcnt(15)
	s_barrier
	s_and_saveexec_b64 s[2:3], vcc
	s_cbranch_execz .LBB123_144
; %bb.142:
	ds_write_b64 v68, v[220:221]
	ds_write2_b64 v69, v[158:159], v[218:219] offset0:29 offset1:30
	ds_write2_b64 v69, v[156:157], v[216:217] offset0:31 offset1:32
	;; [unrolled: 1-line block ×15, first 2 shown]
	s_waitcnt vmcnt(57)
	ds_write2_b64 v69, v[128:129], v[188:189] offset0:59 offset1:60
	s_waitcnt vmcnt(54)
	ds_write_b64 v69, v[248:249] offset:488
	ds_read_b64 v[4:5], v68
	s_waitcnt lgkmcnt(0)
	v_cmp_neq_f64_e32 vcc, 0, v[4:5]
	s_and_b64 exec, exec, vcc
	s_cbranch_execz .LBB123_144
; %bb.143:
	v_div_scale_f64 v[6:7], s[6:7], v[4:5], v[4:5], 1.0
	v_rcp_f64_e32 v[8:9], v[6:7]
	v_div_scale_f64 v[10:11], vcc, 1.0, v[4:5], 1.0
	v_fma_f64 v[12:13], -v[6:7], v[8:9], 1.0
	v_fmac_f64_e32 v[8:9], v[8:9], v[12:13]
	v_fma_f64 v[12:13], -v[6:7], v[8:9], 1.0
	v_fmac_f64_e32 v[8:9], v[8:9], v[12:13]
	v_mul_f64 v[12:13], v[10:11], v[8:9]
	v_fma_f64 v[6:7], -v[6:7], v[12:13], v[10:11]
	v_div_fmas_f64 v[6:7], v[6:7], v[8:9], v[12:13]
	v_div_fixup_f64 v[4:5], v[6:7], v[4:5], 1.0
	ds_write_b64 v68, v[4:5]
.LBB123_144:
	s_or_b64 exec, exec, s[2:3]
	s_waitcnt lgkmcnt(0)
	s_barrier
	ds_read_b64 v[4:5], v68
	v_cmp_lt_u32_e32 vcc, 28, v70
	s_and_saveexec_b64 s[2:3], vcc
	s_cbranch_execz .LBB123_146
; %bb.145:
	ds_read2_b64 v[6:9], v69 offset0:29 offset1:30
	s_waitcnt lgkmcnt(1)
	v_mul_f64 v[220:221], v[4:5], v[220:221]
	s_waitcnt lgkmcnt(0)
	v_fma_f64 v[158:159], -v[220:221], v[6:7], v[158:159]
	v_fma_f64 v[218:219], -v[220:221], v[8:9], v[218:219]
	ds_read2_b64 v[6:9], v69 offset0:31 offset1:32
	s_waitcnt lgkmcnt(0)
	v_fma_f64 v[156:157], -v[220:221], v[6:7], v[156:157]
	v_fma_f64 v[216:217], -v[220:221], v[8:9], v[216:217]
	ds_read2_b64 v[6:9], v69 offset0:33 offset1:34
	;; [unrolled: 4-line block ×15, first 2 shown]
	s_waitcnt vmcnt(60) lgkmcnt(0)
	v_fma_f64 v[128:129], -v[220:221], v[6:7], v[128:129]
	ds_read_b64 v[6:7], v69 offset:488
	s_waitcnt vmcnt(57)
	v_fma_f64 v[188:189], -v[220:221], v[8:9], v[188:189]
	s_waitcnt vmcnt(54) lgkmcnt(0)
	v_fma_f64 v[248:249], -v[220:221], v[6:7], v[248:249]
.LBB123_146:
	s_or_b64 exec, exec, s[2:3]
	v_cmp_eq_u32_e32 vcc, 29, v70
	s_waitcnt lgkmcnt(0)
	s_barrier
	s_and_saveexec_b64 s[2:3], vcc
	s_cbranch_execz .LBB123_149
; %bb.147:
	v_mov_b32_e32 v6, v218
	v_mov_b32_e32 v7, v219
	;; [unrolled: 1-line block ×4, first 2 shown]
	ds_write_b64 v68, v[158:159]
	ds_write2_b64 v69, v[6:7], v[8:9] offset0:30 offset1:31
	v_mov_b32_e32 v6, v216
	v_mov_b32_e32 v7, v217
	v_mov_b32_e32 v8, v154
	v_mov_b32_e32 v9, v155
	ds_write2_b64 v69, v[6:7], v[8:9] offset0:32 offset1:33
	v_mov_b32_e32 v6, v214
	v_mov_b32_e32 v7, v215
	v_mov_b32_e32 v8, v152
	v_mov_b32_e32 v9, v153
	;; [unrolled: 5-line block ×13, first 2 shown]
	ds_write2_b64 v69, v[6:7], v[8:9] offset0:56 offset1:57
	v_mov_b32_e32 v6, v190
	v_mov_b32_e32 v7, v191
	s_waitcnt vmcnt(60)
	v_mov_b32_e32 v8, v128
	v_mov_b32_e32 v9, v129
	ds_write2_b64 v69, v[6:7], v[8:9] offset0:58 offset1:59
	s_waitcnt vmcnt(57)
	v_mov_b32_e32 v6, v188
	v_mov_b32_e32 v7, v189
	s_waitcnt vmcnt(54)
	ds_write2_b64 v69, v[6:7], v[248:249] offset0:60 offset1:61
	ds_read_b64 v[6:7], v68
	s_waitcnt lgkmcnt(0)
	v_cmp_neq_f64_e32 vcc, 0, v[6:7]
	s_and_b64 exec, exec, vcc
	s_cbranch_execz .LBB123_149
; %bb.148:
	v_div_scale_f64 v[8:9], s[6:7], v[6:7], v[6:7], 1.0
	v_rcp_f64_e32 v[10:11], v[8:9]
	v_div_scale_f64 v[12:13], vcc, 1.0, v[6:7], 1.0
	v_fma_f64 v[14:15], -v[8:9], v[10:11], 1.0
	v_fmac_f64_e32 v[10:11], v[10:11], v[14:15]
	v_fma_f64 v[14:15], -v[8:9], v[10:11], 1.0
	v_fmac_f64_e32 v[10:11], v[10:11], v[14:15]
	v_mul_f64 v[14:15], v[12:13], v[10:11]
	v_fma_f64 v[8:9], -v[8:9], v[14:15], v[12:13]
	v_div_fmas_f64 v[8:9], v[8:9], v[10:11], v[14:15]
	v_div_fixup_f64 v[6:7], v[8:9], v[6:7], 1.0
	ds_write_b64 v68, v[6:7]
.LBB123_149:
	s_or_b64 exec, exec, s[2:3]
	s_waitcnt lgkmcnt(0)
	s_barrier
	ds_read_b64 v[6:7], v68
	v_cmp_lt_u32_e32 vcc, 29, v70
	s_and_saveexec_b64 s[2:3], vcc
	s_cbranch_execz .LBB123_151
; %bb.150:
	ds_read2_b64 v[8:11], v69 offset0:30 offset1:31
	s_waitcnt lgkmcnt(1)
	v_mul_f64 v[158:159], v[6:7], v[158:159]
	s_waitcnt lgkmcnt(0)
	v_fma_f64 v[218:219], -v[158:159], v[8:9], v[218:219]
	v_fma_f64 v[156:157], -v[158:159], v[10:11], v[156:157]
	ds_read2_b64 v[8:11], v69 offset0:32 offset1:33
	s_waitcnt lgkmcnt(0)
	v_fma_f64 v[216:217], -v[158:159], v[8:9], v[216:217]
	v_fma_f64 v[154:155], -v[158:159], v[10:11], v[154:155]
	ds_read2_b64 v[8:11], v69 offset0:34 offset1:35
	;; [unrolled: 4-line block ×14, first 2 shown]
	s_waitcnt lgkmcnt(0)
	v_fma_f64 v[190:191], -v[158:159], v[8:9], v[190:191]
	s_waitcnt vmcnt(60)
	v_fma_f64 v[128:129], -v[158:159], v[10:11], v[128:129]
	ds_read2_b64 v[8:11], v69 offset0:60 offset1:61
	s_waitcnt vmcnt(57) lgkmcnt(0)
	v_fma_f64 v[188:189], -v[158:159], v[8:9], v[188:189]
	s_waitcnt vmcnt(54)
	v_fma_f64 v[248:249], -v[158:159], v[10:11], v[248:249]
.LBB123_151:
	s_or_b64 exec, exec, s[2:3]
	v_cmp_eq_u32_e32 vcc, 30, v70
	s_waitcnt lgkmcnt(0)
	s_barrier
	s_and_saveexec_b64 s[2:3], vcc
	s_cbranch_execz .LBB123_154
; %bb.152:
	ds_write_b64 v68, v[218:219]
	ds_write2_b64 v69, v[156:157], v[216:217] offset0:31 offset1:32
	ds_write2_b64 v69, v[154:155], v[214:215] offset0:33 offset1:34
	;; [unrolled: 1-line block ×14, first 2 shown]
	s_waitcnt vmcnt(57)
	ds_write2_b64 v69, v[128:129], v[188:189] offset0:59 offset1:60
	s_waitcnt vmcnt(54)
	ds_write_b64 v69, v[248:249] offset:488
	ds_read_b64 v[8:9], v68
	s_waitcnt lgkmcnt(0)
	v_cmp_neq_f64_e32 vcc, 0, v[8:9]
	s_and_b64 exec, exec, vcc
	s_cbranch_execz .LBB123_154
; %bb.153:
	v_div_scale_f64 v[10:11], s[6:7], v[8:9], v[8:9], 1.0
	v_rcp_f64_e32 v[12:13], v[10:11]
	v_div_scale_f64 v[14:15], vcc, 1.0, v[8:9], 1.0
	v_fma_f64 v[16:17], -v[10:11], v[12:13], 1.0
	v_fmac_f64_e32 v[12:13], v[12:13], v[16:17]
	v_fma_f64 v[16:17], -v[10:11], v[12:13], 1.0
	v_fmac_f64_e32 v[12:13], v[12:13], v[16:17]
	v_mul_f64 v[16:17], v[14:15], v[12:13]
	v_fma_f64 v[10:11], -v[10:11], v[16:17], v[14:15]
	v_div_fmas_f64 v[10:11], v[10:11], v[12:13], v[16:17]
	v_div_fixup_f64 v[8:9], v[10:11], v[8:9], 1.0
	ds_write_b64 v68, v[8:9]
.LBB123_154:
	s_or_b64 exec, exec, s[2:3]
	s_waitcnt lgkmcnt(0)
	s_barrier
	ds_read_b64 v[8:9], v68
	v_cmp_lt_u32_e32 vcc, 30, v70
	s_and_saveexec_b64 s[2:3], vcc
	s_cbranch_execz .LBB123_156
; %bb.155:
	ds_read2_b64 v[10:13], v69 offset0:31 offset1:32
	s_waitcnt lgkmcnt(1)
	v_mul_f64 v[218:219], v[8:9], v[218:219]
	s_waitcnt lgkmcnt(0)
	v_fma_f64 v[156:157], -v[218:219], v[10:11], v[156:157]
	v_fma_f64 v[216:217], -v[218:219], v[12:13], v[216:217]
	ds_read2_b64 v[10:13], v69 offset0:33 offset1:34
	s_waitcnt lgkmcnt(0)
	v_fma_f64 v[154:155], -v[218:219], v[10:11], v[154:155]
	v_fma_f64 v[214:215], -v[218:219], v[12:13], v[214:215]
	ds_read2_b64 v[10:13], v69 offset0:35 offset1:36
	;; [unrolled: 4-line block ×14, first 2 shown]
	s_waitcnt vmcnt(60) lgkmcnt(0)
	v_fma_f64 v[128:129], -v[218:219], v[10:11], v[128:129]
	ds_read_b64 v[10:11], v69 offset:488
	s_waitcnt vmcnt(57)
	v_fma_f64 v[188:189], -v[218:219], v[12:13], v[188:189]
	s_waitcnt vmcnt(54) lgkmcnt(0)
	v_fma_f64 v[248:249], -v[218:219], v[10:11], v[248:249]
.LBB123_156:
	s_or_b64 exec, exec, s[2:3]
	v_cmp_eq_u32_e32 vcc, 31, v70
	s_waitcnt lgkmcnt(0)
	s_barrier
	s_and_saveexec_b64 s[2:3], vcc
	s_cbranch_execz .LBB123_159
; %bb.157:
	v_mov_b32_e32 v10, v216
	v_mov_b32_e32 v11, v217
	;; [unrolled: 1-line block ×4, first 2 shown]
	ds_write_b64 v68, v[156:157]
	ds_write2_b64 v69, v[10:11], v[12:13] offset0:32 offset1:33
	v_mov_b32_e32 v10, v214
	v_mov_b32_e32 v11, v215
	v_mov_b32_e32 v12, v152
	v_mov_b32_e32 v13, v153
	ds_write2_b64 v69, v[10:11], v[12:13] offset0:34 offset1:35
	v_mov_b32_e32 v10, v212
	v_mov_b32_e32 v11, v213
	v_mov_b32_e32 v12, v150
	v_mov_b32_e32 v13, v151
	ds_write2_b64 v69, v[10:11], v[12:13] offset0:36 offset1:37
	v_mov_b32_e32 v10, v210
	v_mov_b32_e32 v11, v211
	v_mov_b32_e32 v12, v148
	v_mov_b32_e32 v13, v149
	ds_write2_b64 v69, v[10:11], v[12:13] offset0:38 offset1:39
	v_mov_b32_e32 v10, v208
	v_mov_b32_e32 v11, v209
	v_mov_b32_e32 v12, v146
	v_mov_b32_e32 v13, v147
	ds_write2_b64 v69, v[10:11], v[12:13] offset0:40 offset1:41
	v_mov_b32_e32 v10, v206
	v_mov_b32_e32 v11, v207
	v_mov_b32_e32 v12, v144
	v_mov_b32_e32 v13, v145
	ds_write2_b64 v69, v[10:11], v[12:13] offset0:42 offset1:43
	v_mov_b32_e32 v10, v204
	v_mov_b32_e32 v11, v205
	v_mov_b32_e32 v12, v142
	v_mov_b32_e32 v13, v143
	ds_write2_b64 v69, v[10:11], v[12:13] offset0:44 offset1:45
	v_mov_b32_e32 v10, v202
	v_mov_b32_e32 v11, v203
	v_mov_b32_e32 v12, v140
	v_mov_b32_e32 v13, v141
	ds_write2_b64 v69, v[10:11], v[12:13] offset0:46 offset1:47
	v_mov_b32_e32 v10, v200
	v_mov_b32_e32 v11, v201
	v_mov_b32_e32 v12, v138
	v_mov_b32_e32 v13, v139
	ds_write2_b64 v69, v[10:11], v[12:13] offset0:48 offset1:49
	v_mov_b32_e32 v10, v198
	v_mov_b32_e32 v11, v199
	v_mov_b32_e32 v12, v136
	v_mov_b32_e32 v13, v137
	ds_write2_b64 v69, v[10:11], v[12:13] offset0:50 offset1:51
	v_mov_b32_e32 v10, v196
	v_mov_b32_e32 v11, v197
	v_mov_b32_e32 v12, v134
	v_mov_b32_e32 v13, v135
	ds_write2_b64 v69, v[10:11], v[12:13] offset0:52 offset1:53
	v_mov_b32_e32 v10, v194
	v_mov_b32_e32 v11, v195
	v_mov_b32_e32 v12, v132
	v_mov_b32_e32 v13, v133
	ds_write2_b64 v69, v[10:11], v[12:13] offset0:54 offset1:55
	v_mov_b32_e32 v10, v192
	v_mov_b32_e32 v11, v193
	v_mov_b32_e32 v12, v130
	v_mov_b32_e32 v13, v131
	ds_write2_b64 v69, v[10:11], v[12:13] offset0:56 offset1:57
	v_mov_b32_e32 v10, v190
	v_mov_b32_e32 v11, v191
	s_waitcnt vmcnt(60)
	v_mov_b32_e32 v12, v128
	v_mov_b32_e32 v13, v129
	ds_write2_b64 v69, v[10:11], v[12:13] offset0:58 offset1:59
	s_waitcnt vmcnt(57)
	v_mov_b32_e32 v10, v188
	v_mov_b32_e32 v11, v189
	s_waitcnt vmcnt(54)
	ds_write2_b64 v69, v[10:11], v[248:249] offset0:60 offset1:61
	ds_read_b64 v[10:11], v68
	s_waitcnt lgkmcnt(0)
	v_cmp_neq_f64_e32 vcc, 0, v[10:11]
	s_and_b64 exec, exec, vcc
	s_cbranch_execz .LBB123_159
; %bb.158:
	v_div_scale_f64 v[12:13], s[6:7], v[10:11], v[10:11], 1.0
	v_rcp_f64_e32 v[14:15], v[12:13]
	v_div_scale_f64 v[16:17], vcc, 1.0, v[10:11], 1.0
	v_fma_f64 v[18:19], -v[12:13], v[14:15], 1.0
	v_fmac_f64_e32 v[14:15], v[14:15], v[18:19]
	v_fma_f64 v[18:19], -v[12:13], v[14:15], 1.0
	v_fmac_f64_e32 v[14:15], v[14:15], v[18:19]
	v_mul_f64 v[18:19], v[16:17], v[14:15]
	v_fma_f64 v[12:13], -v[12:13], v[18:19], v[16:17]
	v_div_fmas_f64 v[12:13], v[12:13], v[14:15], v[18:19]
	v_div_fixup_f64 v[10:11], v[12:13], v[10:11], 1.0
	ds_write_b64 v68, v[10:11]
.LBB123_159:
	s_or_b64 exec, exec, s[2:3]
	s_waitcnt lgkmcnt(0)
	s_barrier
	ds_read_b64 v[10:11], v68
	v_cmp_lt_u32_e32 vcc, 31, v70
	s_and_saveexec_b64 s[2:3], vcc
	s_cbranch_execz .LBB123_161
; %bb.160:
	ds_read2_b64 v[12:15], v69 offset0:32 offset1:33
	s_waitcnt lgkmcnt(1)
	v_mul_f64 v[156:157], v[10:11], v[156:157]
	s_waitcnt lgkmcnt(0)
	v_fma_f64 v[216:217], -v[156:157], v[12:13], v[216:217]
	v_fma_f64 v[154:155], -v[156:157], v[14:15], v[154:155]
	ds_read2_b64 v[12:15], v69 offset0:34 offset1:35
	s_waitcnt lgkmcnt(0)
	v_fma_f64 v[214:215], -v[156:157], v[12:13], v[214:215]
	v_fma_f64 v[152:153], -v[156:157], v[14:15], v[152:153]
	ds_read2_b64 v[12:15], v69 offset0:36 offset1:37
	;; [unrolled: 4-line block ×13, first 2 shown]
	s_waitcnt lgkmcnt(0)
	v_fma_f64 v[190:191], -v[156:157], v[12:13], v[190:191]
	s_waitcnt vmcnt(60)
	v_fma_f64 v[128:129], -v[156:157], v[14:15], v[128:129]
	ds_read2_b64 v[12:15], v69 offset0:60 offset1:61
	s_waitcnt vmcnt(57) lgkmcnt(0)
	v_fma_f64 v[188:189], -v[156:157], v[12:13], v[188:189]
	s_waitcnt vmcnt(54)
	v_fma_f64 v[248:249], -v[156:157], v[14:15], v[248:249]
.LBB123_161:
	s_or_b64 exec, exec, s[2:3]
	v_cmp_eq_u32_e32 vcc, 32, v70
	s_waitcnt lgkmcnt(0)
	s_barrier
	s_and_saveexec_b64 s[2:3], vcc
	s_cbranch_execz .LBB123_164
; %bb.162:
	ds_write_b64 v68, v[216:217]
	ds_write2_b64 v69, v[154:155], v[214:215] offset0:33 offset1:34
	ds_write2_b64 v69, v[152:153], v[212:213] offset0:35 offset1:36
	;; [unrolled: 1-line block ×13, first 2 shown]
	s_waitcnt vmcnt(57)
	ds_write2_b64 v69, v[128:129], v[188:189] offset0:59 offset1:60
	s_waitcnt vmcnt(54)
	ds_write_b64 v69, v[248:249] offset:488
	ds_read_b64 v[12:13], v68
	s_waitcnt lgkmcnt(0)
	v_cmp_neq_f64_e32 vcc, 0, v[12:13]
	s_and_b64 exec, exec, vcc
	s_cbranch_execz .LBB123_164
; %bb.163:
	v_div_scale_f64 v[14:15], s[6:7], v[12:13], v[12:13], 1.0
	v_rcp_f64_e32 v[16:17], v[14:15]
	v_div_scale_f64 v[18:19], vcc, 1.0, v[12:13], 1.0
	v_fma_f64 v[20:21], -v[14:15], v[16:17], 1.0
	v_fmac_f64_e32 v[16:17], v[16:17], v[20:21]
	v_fma_f64 v[20:21], -v[14:15], v[16:17], 1.0
	v_fmac_f64_e32 v[16:17], v[16:17], v[20:21]
	v_mul_f64 v[20:21], v[18:19], v[16:17]
	v_fma_f64 v[14:15], -v[14:15], v[20:21], v[18:19]
	v_div_fmas_f64 v[14:15], v[14:15], v[16:17], v[20:21]
	v_div_fixup_f64 v[12:13], v[14:15], v[12:13], 1.0
	ds_write_b64 v68, v[12:13]
.LBB123_164:
	s_or_b64 exec, exec, s[2:3]
	s_waitcnt lgkmcnt(0)
	s_barrier
	ds_read_b64 v[12:13], v68
	v_cmp_lt_u32_e32 vcc, 32, v70
	s_and_saveexec_b64 s[2:3], vcc
	s_cbranch_execz .LBB123_166
; %bb.165:
	ds_read2_b64 v[14:17], v69 offset0:33 offset1:34
	s_waitcnt lgkmcnt(1)
	v_mul_f64 v[216:217], v[12:13], v[216:217]
	s_waitcnt lgkmcnt(0)
	v_fma_f64 v[154:155], -v[216:217], v[14:15], v[154:155]
	v_fma_f64 v[214:215], -v[216:217], v[16:17], v[214:215]
	ds_read2_b64 v[14:17], v69 offset0:35 offset1:36
	s_waitcnt lgkmcnt(0)
	v_fma_f64 v[152:153], -v[216:217], v[14:15], v[152:153]
	v_fma_f64 v[212:213], -v[216:217], v[16:17], v[212:213]
	ds_read2_b64 v[14:17], v69 offset0:37 offset1:38
	;; [unrolled: 4-line block ×13, first 2 shown]
	s_waitcnt vmcnt(60) lgkmcnt(0)
	v_fma_f64 v[128:129], -v[216:217], v[14:15], v[128:129]
	ds_read_b64 v[14:15], v69 offset:488
	s_waitcnt vmcnt(57)
	v_fma_f64 v[188:189], -v[216:217], v[16:17], v[188:189]
	s_waitcnt vmcnt(54) lgkmcnt(0)
	v_fma_f64 v[248:249], -v[216:217], v[14:15], v[248:249]
.LBB123_166:
	s_or_b64 exec, exec, s[2:3]
	v_cmp_eq_u32_e32 vcc, 33, v70
	s_waitcnt lgkmcnt(0)
	s_barrier
	s_and_saveexec_b64 s[2:3], vcc
	s_cbranch_execz .LBB123_169
; %bb.167:
	v_mov_b32_e32 v14, v214
	v_mov_b32_e32 v15, v215
	;; [unrolled: 1-line block ×4, first 2 shown]
	ds_write_b64 v68, v[154:155]
	ds_write2_b64 v69, v[14:15], v[16:17] offset0:34 offset1:35
	v_mov_b32_e32 v14, v212
	v_mov_b32_e32 v15, v213
	v_mov_b32_e32 v16, v150
	v_mov_b32_e32 v17, v151
	ds_write2_b64 v69, v[14:15], v[16:17] offset0:36 offset1:37
	v_mov_b32_e32 v14, v210
	v_mov_b32_e32 v15, v211
	v_mov_b32_e32 v16, v148
	v_mov_b32_e32 v17, v149
	;; [unrolled: 5-line block ×11, first 2 shown]
	ds_write2_b64 v69, v[14:15], v[16:17] offset0:56 offset1:57
	v_mov_b32_e32 v14, v190
	v_mov_b32_e32 v15, v191
	s_waitcnt vmcnt(60)
	v_mov_b32_e32 v16, v128
	v_mov_b32_e32 v17, v129
	ds_write2_b64 v69, v[14:15], v[16:17] offset0:58 offset1:59
	s_waitcnt vmcnt(57)
	v_mov_b32_e32 v14, v188
	v_mov_b32_e32 v15, v189
	s_waitcnt vmcnt(54)
	ds_write2_b64 v69, v[14:15], v[248:249] offset0:60 offset1:61
	ds_read_b64 v[14:15], v68
	s_waitcnt lgkmcnt(0)
	v_cmp_neq_f64_e32 vcc, 0, v[14:15]
	s_and_b64 exec, exec, vcc
	s_cbranch_execz .LBB123_169
; %bb.168:
	v_div_scale_f64 v[16:17], s[6:7], v[14:15], v[14:15], 1.0
	v_rcp_f64_e32 v[18:19], v[16:17]
	v_div_scale_f64 v[20:21], vcc, 1.0, v[14:15], 1.0
	v_fma_f64 v[22:23], -v[16:17], v[18:19], 1.0
	v_fmac_f64_e32 v[18:19], v[18:19], v[22:23]
	v_fma_f64 v[22:23], -v[16:17], v[18:19], 1.0
	v_fmac_f64_e32 v[18:19], v[18:19], v[22:23]
	v_mul_f64 v[22:23], v[20:21], v[18:19]
	v_fma_f64 v[16:17], -v[16:17], v[22:23], v[20:21]
	v_div_fmas_f64 v[16:17], v[16:17], v[18:19], v[22:23]
	v_div_fixup_f64 v[14:15], v[16:17], v[14:15], 1.0
	ds_write_b64 v68, v[14:15]
.LBB123_169:
	s_or_b64 exec, exec, s[2:3]
	s_waitcnt lgkmcnt(0)
	s_barrier
	ds_read_b64 v[14:15], v68
	v_cmp_lt_u32_e32 vcc, 33, v70
	s_and_saveexec_b64 s[2:3], vcc
	s_cbranch_execz .LBB123_171
; %bb.170:
	ds_read2_b64 v[16:19], v69 offset0:34 offset1:35
	s_waitcnt lgkmcnt(1)
	v_mul_f64 v[154:155], v[14:15], v[154:155]
	s_waitcnt lgkmcnt(0)
	v_fma_f64 v[214:215], -v[154:155], v[16:17], v[214:215]
	v_fma_f64 v[152:153], -v[154:155], v[18:19], v[152:153]
	ds_read2_b64 v[16:19], v69 offset0:36 offset1:37
	s_waitcnt lgkmcnt(0)
	v_fma_f64 v[212:213], -v[154:155], v[16:17], v[212:213]
	v_fma_f64 v[150:151], -v[154:155], v[18:19], v[150:151]
	ds_read2_b64 v[16:19], v69 offset0:38 offset1:39
	s_waitcnt lgkmcnt(0)
	v_fma_f64 v[210:211], -v[154:155], v[16:17], v[210:211]
	v_fma_f64 v[148:149], -v[154:155], v[18:19], v[148:149]
	ds_read2_b64 v[16:19], v69 offset0:40 offset1:41
	s_waitcnt lgkmcnt(0)
	v_fma_f64 v[208:209], -v[154:155], v[16:17], v[208:209]
	v_fma_f64 v[146:147], -v[154:155], v[18:19], v[146:147]
	ds_read2_b64 v[16:19], v69 offset0:42 offset1:43
	s_waitcnt lgkmcnt(0)
	v_fma_f64 v[206:207], -v[154:155], v[16:17], v[206:207]
	v_fma_f64 v[144:145], -v[154:155], v[18:19], v[144:145]
	ds_read2_b64 v[16:19], v69 offset0:44 offset1:45
	s_waitcnt lgkmcnt(0)
	v_fma_f64 v[204:205], -v[154:155], v[16:17], v[204:205]
	v_fma_f64 v[142:143], -v[154:155], v[18:19], v[142:143]
	ds_read2_b64 v[16:19], v69 offset0:46 offset1:47
	s_waitcnt lgkmcnt(0)
	v_fma_f64 v[202:203], -v[154:155], v[16:17], v[202:203]
	v_fma_f64 v[140:141], -v[154:155], v[18:19], v[140:141]
	ds_read2_b64 v[16:19], v69 offset0:48 offset1:49
	s_waitcnt lgkmcnt(0)
	v_fma_f64 v[200:201], -v[154:155], v[16:17], v[200:201]
	v_fma_f64 v[138:139], -v[154:155], v[18:19], v[138:139]
	ds_read2_b64 v[16:19], v69 offset0:50 offset1:51
	s_waitcnt lgkmcnt(0)
	v_fma_f64 v[198:199], -v[154:155], v[16:17], v[198:199]
	v_fma_f64 v[136:137], -v[154:155], v[18:19], v[136:137]
	ds_read2_b64 v[16:19], v69 offset0:52 offset1:53
	s_waitcnt lgkmcnt(0)
	v_fma_f64 v[196:197], -v[154:155], v[16:17], v[196:197]
	v_fma_f64 v[134:135], -v[154:155], v[18:19], v[134:135]
	ds_read2_b64 v[16:19], v69 offset0:54 offset1:55
	s_waitcnt lgkmcnt(0)
	v_fma_f64 v[194:195], -v[154:155], v[16:17], v[194:195]
	v_fma_f64 v[132:133], -v[154:155], v[18:19], v[132:133]
	ds_read2_b64 v[16:19], v69 offset0:56 offset1:57
	s_waitcnt lgkmcnt(0)
	v_fma_f64 v[192:193], -v[154:155], v[16:17], v[192:193]
	v_fma_f64 v[130:131], -v[154:155], v[18:19], v[130:131]
	ds_read2_b64 v[16:19], v69 offset0:58 offset1:59
	s_waitcnt lgkmcnt(0)
	v_fma_f64 v[190:191], -v[154:155], v[16:17], v[190:191]
	s_waitcnt vmcnt(60)
	v_fma_f64 v[128:129], -v[154:155], v[18:19], v[128:129]
	ds_read2_b64 v[16:19], v69 offset0:60 offset1:61
	s_waitcnt vmcnt(57) lgkmcnt(0)
	v_fma_f64 v[188:189], -v[154:155], v[16:17], v[188:189]
	s_waitcnt vmcnt(54)
	v_fma_f64 v[248:249], -v[154:155], v[18:19], v[248:249]
.LBB123_171:
	s_or_b64 exec, exec, s[2:3]
	v_cmp_eq_u32_e32 vcc, 34, v70
	s_waitcnt lgkmcnt(0)
	s_barrier
	s_and_saveexec_b64 s[2:3], vcc
	s_cbranch_execz .LBB123_174
; %bb.172:
	ds_write_b64 v68, v[214:215]
	ds_write2_b64 v69, v[152:153], v[212:213] offset0:35 offset1:36
	ds_write2_b64 v69, v[150:151], v[210:211] offset0:37 offset1:38
	;; [unrolled: 1-line block ×12, first 2 shown]
	s_waitcnt vmcnt(57)
	ds_write2_b64 v69, v[128:129], v[188:189] offset0:59 offset1:60
	s_waitcnt vmcnt(54)
	ds_write_b64 v69, v[248:249] offset:488
	ds_read_b64 v[16:17], v68
	s_waitcnt lgkmcnt(0)
	v_cmp_neq_f64_e32 vcc, 0, v[16:17]
	s_and_b64 exec, exec, vcc
	s_cbranch_execz .LBB123_174
; %bb.173:
	v_div_scale_f64 v[18:19], s[6:7], v[16:17], v[16:17], 1.0
	v_rcp_f64_e32 v[20:21], v[18:19]
	v_div_scale_f64 v[22:23], vcc, 1.0, v[16:17], 1.0
	v_fma_f64 v[24:25], -v[18:19], v[20:21], 1.0
	v_fmac_f64_e32 v[20:21], v[20:21], v[24:25]
	v_fma_f64 v[24:25], -v[18:19], v[20:21], 1.0
	v_fmac_f64_e32 v[20:21], v[20:21], v[24:25]
	v_mul_f64 v[24:25], v[22:23], v[20:21]
	v_fma_f64 v[18:19], -v[18:19], v[24:25], v[22:23]
	v_div_fmas_f64 v[18:19], v[18:19], v[20:21], v[24:25]
	v_div_fixup_f64 v[16:17], v[18:19], v[16:17], 1.0
	ds_write_b64 v68, v[16:17]
.LBB123_174:
	s_or_b64 exec, exec, s[2:3]
	s_waitcnt lgkmcnt(0)
	s_barrier
	ds_read_b64 v[16:17], v68
	v_cmp_lt_u32_e32 vcc, 34, v70
	s_and_saveexec_b64 s[2:3], vcc
	s_cbranch_execz .LBB123_176
; %bb.175:
	ds_read2_b64 v[18:21], v69 offset0:35 offset1:36
	s_waitcnt lgkmcnt(1)
	v_mul_f64 v[214:215], v[16:17], v[214:215]
	s_waitcnt lgkmcnt(0)
	v_fma_f64 v[152:153], -v[214:215], v[18:19], v[152:153]
	v_fma_f64 v[212:213], -v[214:215], v[20:21], v[212:213]
	ds_read2_b64 v[18:21], v69 offset0:37 offset1:38
	s_waitcnt lgkmcnt(0)
	v_fma_f64 v[150:151], -v[214:215], v[18:19], v[150:151]
	v_fma_f64 v[210:211], -v[214:215], v[20:21], v[210:211]
	ds_read2_b64 v[18:21], v69 offset0:39 offset1:40
	;; [unrolled: 4-line block ×12, first 2 shown]
	s_waitcnt vmcnt(60) lgkmcnt(0)
	v_fma_f64 v[128:129], -v[214:215], v[18:19], v[128:129]
	ds_read_b64 v[18:19], v69 offset:488
	s_waitcnt vmcnt(57)
	v_fma_f64 v[188:189], -v[214:215], v[20:21], v[188:189]
	s_waitcnt vmcnt(54) lgkmcnt(0)
	v_fma_f64 v[248:249], -v[214:215], v[18:19], v[248:249]
.LBB123_176:
	s_or_b64 exec, exec, s[2:3]
	v_cmp_eq_u32_e32 vcc, 35, v70
	s_waitcnt lgkmcnt(0)
	s_barrier
	s_and_saveexec_b64 s[2:3], vcc
	s_cbranch_execz .LBB123_179
; %bb.177:
	v_mov_b32_e32 v18, v212
	v_mov_b32_e32 v19, v213
	v_mov_b32_e32 v20, v150
	v_mov_b32_e32 v21, v151
	ds_write_b64 v68, v[152:153]
	ds_write2_b64 v69, v[18:19], v[20:21] offset0:36 offset1:37
	v_mov_b32_e32 v18, v210
	v_mov_b32_e32 v19, v211
	v_mov_b32_e32 v20, v148
	v_mov_b32_e32 v21, v149
	ds_write2_b64 v69, v[18:19], v[20:21] offset0:38 offset1:39
	v_mov_b32_e32 v18, v208
	v_mov_b32_e32 v19, v209
	v_mov_b32_e32 v20, v146
	v_mov_b32_e32 v21, v147
	;; [unrolled: 5-line block ×10, first 2 shown]
	ds_write2_b64 v69, v[18:19], v[20:21] offset0:56 offset1:57
	v_mov_b32_e32 v18, v190
	v_mov_b32_e32 v19, v191
	s_waitcnt vmcnt(60)
	v_mov_b32_e32 v20, v128
	v_mov_b32_e32 v21, v129
	ds_write2_b64 v69, v[18:19], v[20:21] offset0:58 offset1:59
	s_waitcnt vmcnt(57)
	v_mov_b32_e32 v18, v188
	v_mov_b32_e32 v19, v189
	s_waitcnt vmcnt(54)
	ds_write2_b64 v69, v[18:19], v[248:249] offset0:60 offset1:61
	ds_read_b64 v[18:19], v68
	s_waitcnt lgkmcnt(0)
	v_cmp_neq_f64_e32 vcc, 0, v[18:19]
	s_and_b64 exec, exec, vcc
	s_cbranch_execz .LBB123_179
; %bb.178:
	v_div_scale_f64 v[20:21], s[6:7], v[18:19], v[18:19], 1.0
	v_rcp_f64_e32 v[22:23], v[20:21]
	v_div_scale_f64 v[24:25], vcc, 1.0, v[18:19], 1.0
	v_fma_f64 v[26:27], -v[20:21], v[22:23], 1.0
	v_fmac_f64_e32 v[22:23], v[22:23], v[26:27]
	v_fma_f64 v[26:27], -v[20:21], v[22:23], 1.0
	v_fmac_f64_e32 v[22:23], v[22:23], v[26:27]
	v_mul_f64 v[26:27], v[24:25], v[22:23]
	v_fma_f64 v[20:21], -v[20:21], v[26:27], v[24:25]
	v_div_fmas_f64 v[20:21], v[20:21], v[22:23], v[26:27]
	v_div_fixup_f64 v[18:19], v[20:21], v[18:19], 1.0
	ds_write_b64 v68, v[18:19]
.LBB123_179:
	s_or_b64 exec, exec, s[2:3]
	s_waitcnt lgkmcnt(0)
	s_barrier
	ds_read_b64 v[18:19], v68
	v_cmp_lt_u32_e32 vcc, 35, v70
	s_and_saveexec_b64 s[2:3], vcc
	s_cbranch_execz .LBB123_181
; %bb.180:
	ds_read2_b64 v[20:23], v69 offset0:36 offset1:37
	s_waitcnt lgkmcnt(1)
	v_mul_f64 v[152:153], v[18:19], v[152:153]
	s_waitcnt lgkmcnt(0)
	v_fma_f64 v[212:213], -v[152:153], v[20:21], v[212:213]
	v_fma_f64 v[150:151], -v[152:153], v[22:23], v[150:151]
	ds_read2_b64 v[20:23], v69 offset0:38 offset1:39
	s_waitcnt lgkmcnt(0)
	v_fma_f64 v[210:211], -v[152:153], v[20:21], v[210:211]
	v_fma_f64 v[148:149], -v[152:153], v[22:23], v[148:149]
	ds_read2_b64 v[20:23], v69 offset0:40 offset1:41
	;; [unrolled: 4-line block ×11, first 2 shown]
	s_waitcnt lgkmcnt(0)
	v_fma_f64 v[190:191], -v[152:153], v[20:21], v[190:191]
	s_waitcnt vmcnt(60)
	v_fma_f64 v[128:129], -v[152:153], v[22:23], v[128:129]
	ds_read2_b64 v[20:23], v69 offset0:60 offset1:61
	s_waitcnt vmcnt(57) lgkmcnt(0)
	v_fma_f64 v[188:189], -v[152:153], v[20:21], v[188:189]
	s_waitcnt vmcnt(54)
	v_fma_f64 v[248:249], -v[152:153], v[22:23], v[248:249]
.LBB123_181:
	s_or_b64 exec, exec, s[2:3]
	v_cmp_eq_u32_e32 vcc, 36, v70
	s_waitcnt lgkmcnt(0)
	s_barrier
	s_and_saveexec_b64 s[2:3], vcc
	s_cbranch_execz .LBB123_184
; %bb.182:
	ds_write_b64 v68, v[212:213]
	ds_write2_b64 v69, v[150:151], v[210:211] offset0:37 offset1:38
	ds_write2_b64 v69, v[148:149], v[208:209] offset0:39 offset1:40
	ds_write2_b64 v69, v[146:147], v[206:207] offset0:41 offset1:42
	ds_write2_b64 v69, v[144:145], v[204:205] offset0:43 offset1:44
	ds_write2_b64 v69, v[142:143], v[202:203] offset0:45 offset1:46
	ds_write2_b64 v69, v[140:141], v[200:201] offset0:47 offset1:48
	ds_write2_b64 v69, v[138:139], v[198:199] offset0:49 offset1:50
	ds_write2_b64 v69, v[136:137], v[196:197] offset0:51 offset1:52
	ds_write2_b64 v69, v[134:135], v[194:195] offset0:53 offset1:54
	ds_write2_b64 v69, v[132:133], v[192:193] offset0:55 offset1:56
	ds_write2_b64 v69, v[130:131], v[190:191] offset0:57 offset1:58
	s_waitcnt vmcnt(57)
	ds_write2_b64 v69, v[128:129], v[188:189] offset0:59 offset1:60
	s_waitcnt vmcnt(54)
	ds_write_b64 v69, v[248:249] offset:488
	ds_read_b64 v[20:21], v68
	s_waitcnt lgkmcnt(0)
	v_cmp_neq_f64_e32 vcc, 0, v[20:21]
	s_and_b64 exec, exec, vcc
	s_cbranch_execz .LBB123_184
; %bb.183:
	v_div_scale_f64 v[22:23], s[6:7], v[20:21], v[20:21], 1.0
	v_rcp_f64_e32 v[24:25], v[22:23]
	v_div_scale_f64 v[26:27], vcc, 1.0, v[20:21], 1.0
	v_fma_f64 v[28:29], -v[22:23], v[24:25], 1.0
	v_fmac_f64_e32 v[24:25], v[24:25], v[28:29]
	v_fma_f64 v[28:29], -v[22:23], v[24:25], 1.0
	v_fmac_f64_e32 v[24:25], v[24:25], v[28:29]
	v_mul_f64 v[28:29], v[26:27], v[24:25]
	v_fma_f64 v[22:23], -v[22:23], v[28:29], v[26:27]
	v_div_fmas_f64 v[22:23], v[22:23], v[24:25], v[28:29]
	v_div_fixup_f64 v[20:21], v[22:23], v[20:21], 1.0
	ds_write_b64 v68, v[20:21]
.LBB123_184:
	s_or_b64 exec, exec, s[2:3]
	s_waitcnt lgkmcnt(0)
	s_barrier
	ds_read_b64 v[20:21], v68
	v_cmp_lt_u32_e32 vcc, 36, v70
	s_and_saveexec_b64 s[2:3], vcc
	s_cbranch_execz .LBB123_186
; %bb.185:
	ds_read2_b64 v[22:25], v69 offset0:37 offset1:38
	s_waitcnt lgkmcnt(1)
	v_mul_f64 v[212:213], v[20:21], v[212:213]
	s_waitcnt lgkmcnt(0)
	v_fma_f64 v[150:151], -v[212:213], v[22:23], v[150:151]
	v_fma_f64 v[210:211], -v[212:213], v[24:25], v[210:211]
	ds_read2_b64 v[22:25], v69 offset0:39 offset1:40
	s_waitcnt lgkmcnt(0)
	v_fma_f64 v[148:149], -v[212:213], v[22:23], v[148:149]
	v_fma_f64 v[208:209], -v[212:213], v[24:25], v[208:209]
	ds_read2_b64 v[22:25], v69 offset0:41 offset1:42
	;; [unrolled: 4-line block ×11, first 2 shown]
	s_waitcnt vmcnt(60) lgkmcnt(0)
	v_fma_f64 v[128:129], -v[212:213], v[22:23], v[128:129]
	ds_read_b64 v[22:23], v69 offset:488
	s_waitcnt vmcnt(57)
	v_fma_f64 v[188:189], -v[212:213], v[24:25], v[188:189]
	s_waitcnt vmcnt(54) lgkmcnt(0)
	v_fma_f64 v[248:249], -v[212:213], v[22:23], v[248:249]
.LBB123_186:
	s_or_b64 exec, exec, s[2:3]
	v_cmp_eq_u32_e32 vcc, 37, v70
	s_waitcnt lgkmcnt(0)
	s_barrier
	s_and_saveexec_b64 s[2:3], vcc
	s_cbranch_execz .LBB123_189
; %bb.187:
	v_mov_b32_e32 v22, v210
	v_mov_b32_e32 v23, v211
	;; [unrolled: 1-line block ×4, first 2 shown]
	ds_write_b64 v68, v[150:151]
	ds_write2_b64 v69, v[22:23], v[24:25] offset0:38 offset1:39
	v_mov_b32_e32 v22, v208
	v_mov_b32_e32 v23, v209
	v_mov_b32_e32 v24, v146
	v_mov_b32_e32 v25, v147
	ds_write2_b64 v69, v[22:23], v[24:25] offset0:40 offset1:41
	v_mov_b32_e32 v22, v206
	v_mov_b32_e32 v23, v207
	v_mov_b32_e32 v24, v144
	v_mov_b32_e32 v25, v145
	;; [unrolled: 5-line block ×9, first 2 shown]
	ds_write2_b64 v69, v[22:23], v[24:25] offset0:56 offset1:57
	v_mov_b32_e32 v22, v190
	v_mov_b32_e32 v23, v191
	s_waitcnt vmcnt(60)
	v_mov_b32_e32 v24, v128
	v_mov_b32_e32 v25, v129
	ds_write2_b64 v69, v[22:23], v[24:25] offset0:58 offset1:59
	s_waitcnt vmcnt(57)
	v_mov_b32_e32 v22, v188
	v_mov_b32_e32 v23, v189
	s_waitcnt vmcnt(54)
	ds_write2_b64 v69, v[22:23], v[248:249] offset0:60 offset1:61
	ds_read_b64 v[22:23], v68
	s_waitcnt lgkmcnt(0)
	v_cmp_neq_f64_e32 vcc, 0, v[22:23]
	s_and_b64 exec, exec, vcc
	s_cbranch_execz .LBB123_189
; %bb.188:
	v_div_scale_f64 v[24:25], s[6:7], v[22:23], v[22:23], 1.0
	v_rcp_f64_e32 v[26:27], v[24:25]
	v_div_scale_f64 v[28:29], vcc, 1.0, v[22:23], 1.0
	v_fma_f64 v[30:31], -v[24:25], v[26:27], 1.0
	v_fmac_f64_e32 v[26:27], v[26:27], v[30:31]
	v_fma_f64 v[30:31], -v[24:25], v[26:27], 1.0
	v_fmac_f64_e32 v[26:27], v[26:27], v[30:31]
	v_mul_f64 v[30:31], v[28:29], v[26:27]
	v_fma_f64 v[24:25], -v[24:25], v[30:31], v[28:29]
	v_div_fmas_f64 v[24:25], v[24:25], v[26:27], v[30:31]
	v_div_fixup_f64 v[22:23], v[24:25], v[22:23], 1.0
	ds_write_b64 v68, v[22:23]
.LBB123_189:
	s_or_b64 exec, exec, s[2:3]
	s_waitcnt lgkmcnt(0)
	s_barrier
	ds_read_b64 v[22:23], v68
	v_cmp_lt_u32_e32 vcc, 37, v70
	s_and_saveexec_b64 s[2:3], vcc
	s_cbranch_execz .LBB123_191
; %bb.190:
	ds_read2_b64 v[24:27], v69 offset0:38 offset1:39
	s_waitcnt lgkmcnt(1)
	v_mul_f64 v[150:151], v[22:23], v[150:151]
	s_waitcnt lgkmcnt(0)
	v_fma_f64 v[210:211], -v[150:151], v[24:25], v[210:211]
	v_fma_f64 v[148:149], -v[150:151], v[26:27], v[148:149]
	ds_read2_b64 v[24:27], v69 offset0:40 offset1:41
	s_waitcnt lgkmcnt(0)
	v_fma_f64 v[208:209], -v[150:151], v[24:25], v[208:209]
	v_fma_f64 v[146:147], -v[150:151], v[26:27], v[146:147]
	ds_read2_b64 v[24:27], v69 offset0:42 offset1:43
	;; [unrolled: 4-line block ×10, first 2 shown]
	s_waitcnt lgkmcnt(0)
	v_fma_f64 v[190:191], -v[150:151], v[24:25], v[190:191]
	s_waitcnt vmcnt(60)
	v_fma_f64 v[128:129], -v[150:151], v[26:27], v[128:129]
	ds_read2_b64 v[24:27], v69 offset0:60 offset1:61
	s_waitcnt vmcnt(57) lgkmcnt(0)
	v_fma_f64 v[188:189], -v[150:151], v[24:25], v[188:189]
	s_waitcnt vmcnt(54)
	v_fma_f64 v[248:249], -v[150:151], v[26:27], v[248:249]
.LBB123_191:
	s_or_b64 exec, exec, s[2:3]
	v_cmp_eq_u32_e32 vcc, 38, v70
	s_waitcnt lgkmcnt(0)
	s_barrier
	s_and_saveexec_b64 s[2:3], vcc
	s_cbranch_execz .LBB123_194
; %bb.192:
	ds_write_b64 v68, v[210:211]
	ds_write2_b64 v69, v[148:149], v[208:209] offset0:39 offset1:40
	ds_write2_b64 v69, v[146:147], v[206:207] offset0:41 offset1:42
	;; [unrolled: 1-line block ×10, first 2 shown]
	s_waitcnt vmcnt(57)
	ds_write2_b64 v69, v[128:129], v[188:189] offset0:59 offset1:60
	s_waitcnt vmcnt(54)
	ds_write_b64 v69, v[248:249] offset:488
	ds_read_b64 v[24:25], v68
	s_waitcnt lgkmcnt(0)
	v_cmp_neq_f64_e32 vcc, 0, v[24:25]
	s_and_b64 exec, exec, vcc
	s_cbranch_execz .LBB123_194
; %bb.193:
	v_div_scale_f64 v[26:27], s[6:7], v[24:25], v[24:25], 1.0
	v_rcp_f64_e32 v[28:29], v[26:27]
	v_div_scale_f64 v[30:31], vcc, 1.0, v[24:25], 1.0
	v_fma_f64 v[32:33], -v[26:27], v[28:29], 1.0
	v_fmac_f64_e32 v[28:29], v[28:29], v[32:33]
	v_fma_f64 v[32:33], -v[26:27], v[28:29], 1.0
	v_fmac_f64_e32 v[28:29], v[28:29], v[32:33]
	v_mul_f64 v[32:33], v[30:31], v[28:29]
	v_fma_f64 v[26:27], -v[26:27], v[32:33], v[30:31]
	v_div_fmas_f64 v[26:27], v[26:27], v[28:29], v[32:33]
	v_div_fixup_f64 v[24:25], v[26:27], v[24:25], 1.0
	ds_write_b64 v68, v[24:25]
.LBB123_194:
	s_or_b64 exec, exec, s[2:3]
	s_waitcnt lgkmcnt(0)
	s_barrier
	ds_read_b64 v[24:25], v68
	v_cmp_lt_u32_e32 vcc, 38, v70
	s_and_saveexec_b64 s[2:3], vcc
	s_cbranch_execz .LBB123_196
; %bb.195:
	ds_read2_b64 v[26:29], v69 offset0:39 offset1:40
	s_waitcnt lgkmcnt(1)
	v_mul_f64 v[210:211], v[24:25], v[210:211]
	s_waitcnt lgkmcnt(0)
	v_fma_f64 v[148:149], -v[210:211], v[26:27], v[148:149]
	v_fma_f64 v[208:209], -v[210:211], v[28:29], v[208:209]
	ds_read2_b64 v[26:29], v69 offset0:41 offset1:42
	s_waitcnt lgkmcnt(0)
	v_fma_f64 v[146:147], -v[210:211], v[26:27], v[146:147]
	v_fma_f64 v[206:207], -v[210:211], v[28:29], v[206:207]
	ds_read2_b64 v[26:29], v69 offset0:43 offset1:44
	s_waitcnt lgkmcnt(0)
	v_fma_f64 v[144:145], -v[210:211], v[26:27], v[144:145]
	v_fma_f64 v[204:205], -v[210:211], v[28:29], v[204:205]
	ds_read2_b64 v[26:29], v69 offset0:45 offset1:46
	s_waitcnt lgkmcnt(0)
	v_fma_f64 v[142:143], -v[210:211], v[26:27], v[142:143]
	v_fma_f64 v[202:203], -v[210:211], v[28:29], v[202:203]
	ds_read2_b64 v[26:29], v69 offset0:47 offset1:48
	s_waitcnt lgkmcnt(0)
	v_fma_f64 v[140:141], -v[210:211], v[26:27], v[140:141]
	v_fma_f64 v[200:201], -v[210:211], v[28:29], v[200:201]
	ds_read2_b64 v[26:29], v69 offset0:49 offset1:50
	s_waitcnt lgkmcnt(0)
	v_fma_f64 v[138:139], -v[210:211], v[26:27], v[138:139]
	v_fma_f64 v[198:199], -v[210:211], v[28:29], v[198:199]
	ds_read2_b64 v[26:29], v69 offset0:51 offset1:52
	s_waitcnt lgkmcnt(0)
	v_fma_f64 v[136:137], -v[210:211], v[26:27], v[136:137]
	v_fma_f64 v[196:197], -v[210:211], v[28:29], v[196:197]
	ds_read2_b64 v[26:29], v69 offset0:53 offset1:54
	s_waitcnt lgkmcnt(0)
	v_fma_f64 v[134:135], -v[210:211], v[26:27], v[134:135]
	v_fma_f64 v[194:195], -v[210:211], v[28:29], v[194:195]
	ds_read2_b64 v[26:29], v69 offset0:55 offset1:56
	s_waitcnt lgkmcnt(0)
	v_fma_f64 v[132:133], -v[210:211], v[26:27], v[132:133]
	v_fma_f64 v[192:193], -v[210:211], v[28:29], v[192:193]
	ds_read2_b64 v[26:29], v69 offset0:57 offset1:58
	s_waitcnt lgkmcnt(0)
	v_fma_f64 v[130:131], -v[210:211], v[26:27], v[130:131]
	v_fma_f64 v[190:191], -v[210:211], v[28:29], v[190:191]
	ds_read2_b64 v[26:29], v69 offset0:59 offset1:60
	s_waitcnt vmcnt(60) lgkmcnt(0)
	v_fma_f64 v[128:129], -v[210:211], v[26:27], v[128:129]
	ds_read_b64 v[26:27], v69 offset:488
	s_waitcnt vmcnt(57)
	v_fma_f64 v[188:189], -v[210:211], v[28:29], v[188:189]
	s_waitcnt vmcnt(54) lgkmcnt(0)
	v_fma_f64 v[248:249], -v[210:211], v[26:27], v[248:249]
.LBB123_196:
	s_or_b64 exec, exec, s[2:3]
	v_cmp_eq_u32_e32 vcc, 39, v70
	s_waitcnt lgkmcnt(0)
	s_barrier
	s_and_saveexec_b64 s[2:3], vcc
	s_cbranch_execz .LBB123_199
; %bb.197:
	v_mov_b32_e32 v26, v208
	v_mov_b32_e32 v27, v209
	v_mov_b32_e32 v28, v146
	v_mov_b32_e32 v29, v147
	ds_write_b64 v68, v[148:149]
	ds_write2_b64 v69, v[26:27], v[28:29] offset0:40 offset1:41
	v_mov_b32_e32 v26, v206
	v_mov_b32_e32 v27, v207
	v_mov_b32_e32 v28, v144
	v_mov_b32_e32 v29, v145
	ds_write2_b64 v69, v[26:27], v[28:29] offset0:42 offset1:43
	v_mov_b32_e32 v26, v204
	v_mov_b32_e32 v27, v205
	v_mov_b32_e32 v28, v142
	v_mov_b32_e32 v29, v143
	;; [unrolled: 5-line block ×8, first 2 shown]
	ds_write2_b64 v69, v[26:27], v[28:29] offset0:56 offset1:57
	v_mov_b32_e32 v26, v190
	v_mov_b32_e32 v27, v191
	s_waitcnt vmcnt(60)
	v_mov_b32_e32 v28, v128
	v_mov_b32_e32 v29, v129
	ds_write2_b64 v69, v[26:27], v[28:29] offset0:58 offset1:59
	s_waitcnt vmcnt(57)
	v_mov_b32_e32 v26, v188
	v_mov_b32_e32 v27, v189
	s_waitcnt vmcnt(54)
	ds_write2_b64 v69, v[26:27], v[248:249] offset0:60 offset1:61
	ds_read_b64 v[26:27], v68
	s_waitcnt lgkmcnt(0)
	v_cmp_neq_f64_e32 vcc, 0, v[26:27]
	s_and_b64 exec, exec, vcc
	s_cbranch_execz .LBB123_199
; %bb.198:
	v_div_scale_f64 v[28:29], s[6:7], v[26:27], v[26:27], 1.0
	v_rcp_f64_e32 v[30:31], v[28:29]
	v_div_scale_f64 v[32:33], vcc, 1.0, v[26:27], 1.0
	v_fma_f64 v[34:35], -v[28:29], v[30:31], 1.0
	v_fmac_f64_e32 v[30:31], v[30:31], v[34:35]
	v_fma_f64 v[34:35], -v[28:29], v[30:31], 1.0
	v_fmac_f64_e32 v[30:31], v[30:31], v[34:35]
	v_mul_f64 v[34:35], v[32:33], v[30:31]
	v_fma_f64 v[28:29], -v[28:29], v[34:35], v[32:33]
	v_div_fmas_f64 v[28:29], v[28:29], v[30:31], v[34:35]
	v_div_fixup_f64 v[26:27], v[28:29], v[26:27], 1.0
	ds_write_b64 v68, v[26:27]
.LBB123_199:
	s_or_b64 exec, exec, s[2:3]
	s_waitcnt lgkmcnt(0)
	s_barrier
	ds_read_b64 v[26:27], v68
	v_cmp_lt_u32_e32 vcc, 39, v70
	s_and_saveexec_b64 s[2:3], vcc
	s_cbranch_execz .LBB123_201
; %bb.200:
	ds_read2_b64 v[28:31], v69 offset0:40 offset1:41
	s_waitcnt lgkmcnt(1)
	v_mul_f64 v[148:149], v[26:27], v[148:149]
	s_waitcnt lgkmcnt(0)
	v_fma_f64 v[208:209], -v[148:149], v[28:29], v[208:209]
	v_fma_f64 v[146:147], -v[148:149], v[30:31], v[146:147]
	ds_read2_b64 v[28:31], v69 offset0:42 offset1:43
	s_waitcnt lgkmcnt(0)
	v_fma_f64 v[206:207], -v[148:149], v[28:29], v[206:207]
	v_fma_f64 v[144:145], -v[148:149], v[30:31], v[144:145]
	ds_read2_b64 v[28:31], v69 offset0:44 offset1:45
	;; [unrolled: 4-line block ×9, first 2 shown]
	s_waitcnt lgkmcnt(0)
	v_fma_f64 v[190:191], -v[148:149], v[28:29], v[190:191]
	s_waitcnt vmcnt(60)
	v_fma_f64 v[128:129], -v[148:149], v[30:31], v[128:129]
	ds_read2_b64 v[28:31], v69 offset0:60 offset1:61
	s_waitcnt vmcnt(57) lgkmcnt(0)
	v_fma_f64 v[188:189], -v[148:149], v[28:29], v[188:189]
	s_waitcnt vmcnt(54)
	v_fma_f64 v[248:249], -v[148:149], v[30:31], v[248:249]
.LBB123_201:
	s_or_b64 exec, exec, s[2:3]
	v_cmp_eq_u32_e32 vcc, 40, v70
	s_waitcnt lgkmcnt(0)
	s_barrier
	s_and_saveexec_b64 s[2:3], vcc
	s_cbranch_execz .LBB123_204
; %bb.202:
	ds_write_b64 v68, v[208:209]
	ds_write2_b64 v69, v[146:147], v[206:207] offset0:41 offset1:42
	ds_write2_b64 v69, v[144:145], v[204:205] offset0:43 offset1:44
	;; [unrolled: 1-line block ×9, first 2 shown]
	s_waitcnt vmcnt(57)
	ds_write2_b64 v69, v[128:129], v[188:189] offset0:59 offset1:60
	s_waitcnt vmcnt(54)
	ds_write_b64 v69, v[248:249] offset:488
	ds_read_b64 v[28:29], v68
	s_waitcnt lgkmcnt(0)
	v_cmp_neq_f64_e32 vcc, 0, v[28:29]
	s_and_b64 exec, exec, vcc
	s_cbranch_execz .LBB123_204
; %bb.203:
	v_div_scale_f64 v[30:31], s[6:7], v[28:29], v[28:29], 1.0
	v_rcp_f64_e32 v[32:33], v[30:31]
	v_div_scale_f64 v[34:35], vcc, 1.0, v[28:29], 1.0
	v_fma_f64 v[36:37], -v[30:31], v[32:33], 1.0
	v_fmac_f64_e32 v[32:33], v[32:33], v[36:37]
	v_fma_f64 v[36:37], -v[30:31], v[32:33], 1.0
	v_fmac_f64_e32 v[32:33], v[32:33], v[36:37]
	v_mul_f64 v[36:37], v[34:35], v[32:33]
	v_fma_f64 v[30:31], -v[30:31], v[36:37], v[34:35]
	v_div_fmas_f64 v[30:31], v[30:31], v[32:33], v[36:37]
	v_div_fixup_f64 v[28:29], v[30:31], v[28:29], 1.0
	ds_write_b64 v68, v[28:29]
.LBB123_204:
	s_or_b64 exec, exec, s[2:3]
	s_waitcnt lgkmcnt(0)
	s_barrier
	ds_read_b64 v[28:29], v68
	v_cmp_lt_u32_e32 vcc, 40, v70
	s_and_saveexec_b64 s[2:3], vcc
	s_cbranch_execz .LBB123_206
; %bb.205:
	ds_read2_b64 v[30:33], v69 offset0:41 offset1:42
	s_waitcnt lgkmcnt(1)
	v_mul_f64 v[208:209], v[28:29], v[208:209]
	s_waitcnt lgkmcnt(0)
	v_fma_f64 v[146:147], -v[208:209], v[30:31], v[146:147]
	v_fma_f64 v[206:207], -v[208:209], v[32:33], v[206:207]
	ds_read2_b64 v[30:33], v69 offset0:43 offset1:44
	s_waitcnt lgkmcnt(0)
	v_fma_f64 v[144:145], -v[208:209], v[30:31], v[144:145]
	v_fma_f64 v[204:205], -v[208:209], v[32:33], v[204:205]
	ds_read2_b64 v[30:33], v69 offset0:45 offset1:46
	;; [unrolled: 4-line block ×9, first 2 shown]
	s_waitcnt vmcnt(60) lgkmcnt(0)
	v_fma_f64 v[128:129], -v[208:209], v[30:31], v[128:129]
	ds_read_b64 v[30:31], v69 offset:488
	s_waitcnt vmcnt(57)
	v_fma_f64 v[188:189], -v[208:209], v[32:33], v[188:189]
	s_waitcnt vmcnt(54) lgkmcnt(0)
	v_fma_f64 v[248:249], -v[208:209], v[30:31], v[248:249]
.LBB123_206:
	s_or_b64 exec, exec, s[2:3]
	v_cmp_eq_u32_e32 vcc, 41, v70
	s_waitcnt lgkmcnt(0)
	s_barrier
	s_and_saveexec_b64 s[2:3], vcc
	s_cbranch_execz .LBB123_209
; %bb.207:
	v_mov_b32_e32 v30, v206
	v_mov_b32_e32 v31, v207
	;; [unrolled: 1-line block ×4, first 2 shown]
	ds_write_b64 v68, v[146:147]
	ds_write2_b64 v69, v[30:31], v[32:33] offset0:42 offset1:43
	v_mov_b32_e32 v30, v204
	v_mov_b32_e32 v31, v205
	v_mov_b32_e32 v32, v142
	v_mov_b32_e32 v33, v143
	ds_write2_b64 v69, v[30:31], v[32:33] offset0:44 offset1:45
	v_mov_b32_e32 v30, v202
	v_mov_b32_e32 v31, v203
	v_mov_b32_e32 v32, v140
	v_mov_b32_e32 v33, v141
	;; [unrolled: 5-line block ×7, first 2 shown]
	ds_write2_b64 v69, v[30:31], v[32:33] offset0:56 offset1:57
	v_mov_b32_e32 v30, v190
	v_mov_b32_e32 v31, v191
	s_waitcnt vmcnt(60)
	v_mov_b32_e32 v32, v128
	v_mov_b32_e32 v33, v129
	ds_write2_b64 v69, v[30:31], v[32:33] offset0:58 offset1:59
	s_waitcnt vmcnt(57)
	v_mov_b32_e32 v30, v188
	v_mov_b32_e32 v31, v189
	s_waitcnt vmcnt(54)
	ds_write2_b64 v69, v[30:31], v[248:249] offset0:60 offset1:61
	ds_read_b64 v[30:31], v68
	s_waitcnt lgkmcnt(0)
	v_cmp_neq_f64_e32 vcc, 0, v[30:31]
	s_and_b64 exec, exec, vcc
	s_cbranch_execz .LBB123_209
; %bb.208:
	v_div_scale_f64 v[32:33], s[6:7], v[30:31], v[30:31], 1.0
	v_rcp_f64_e32 v[34:35], v[32:33]
	v_div_scale_f64 v[36:37], vcc, 1.0, v[30:31], 1.0
	v_fma_f64 v[38:39], -v[32:33], v[34:35], 1.0
	v_fmac_f64_e32 v[34:35], v[34:35], v[38:39]
	v_fma_f64 v[38:39], -v[32:33], v[34:35], 1.0
	v_fmac_f64_e32 v[34:35], v[34:35], v[38:39]
	v_mul_f64 v[38:39], v[36:37], v[34:35]
	v_fma_f64 v[32:33], -v[32:33], v[38:39], v[36:37]
	v_div_fmas_f64 v[32:33], v[32:33], v[34:35], v[38:39]
	v_div_fixup_f64 v[30:31], v[32:33], v[30:31], 1.0
	ds_write_b64 v68, v[30:31]
.LBB123_209:
	s_or_b64 exec, exec, s[2:3]
	s_waitcnt lgkmcnt(0)
	s_barrier
	ds_read_b64 v[30:31], v68
	v_cmp_lt_u32_e32 vcc, 41, v70
	s_and_saveexec_b64 s[2:3], vcc
	s_cbranch_execz .LBB123_211
; %bb.210:
	ds_read2_b64 v[32:35], v69 offset0:42 offset1:43
	s_waitcnt lgkmcnt(1)
	v_mul_f64 v[146:147], v[30:31], v[146:147]
	s_waitcnt lgkmcnt(0)
	v_fma_f64 v[206:207], -v[146:147], v[32:33], v[206:207]
	v_fma_f64 v[144:145], -v[146:147], v[34:35], v[144:145]
	ds_read2_b64 v[32:35], v69 offset0:44 offset1:45
	s_waitcnt lgkmcnt(0)
	v_fma_f64 v[204:205], -v[146:147], v[32:33], v[204:205]
	v_fma_f64 v[142:143], -v[146:147], v[34:35], v[142:143]
	ds_read2_b64 v[32:35], v69 offset0:46 offset1:47
	;; [unrolled: 4-line block ×8, first 2 shown]
	s_waitcnt lgkmcnt(0)
	v_fma_f64 v[190:191], -v[146:147], v[32:33], v[190:191]
	s_waitcnt vmcnt(60)
	v_fma_f64 v[128:129], -v[146:147], v[34:35], v[128:129]
	ds_read2_b64 v[32:35], v69 offset0:60 offset1:61
	s_waitcnt vmcnt(57) lgkmcnt(0)
	v_fma_f64 v[188:189], -v[146:147], v[32:33], v[188:189]
	s_waitcnt vmcnt(54)
	v_fma_f64 v[248:249], -v[146:147], v[34:35], v[248:249]
.LBB123_211:
	s_or_b64 exec, exec, s[2:3]
	v_cmp_eq_u32_e32 vcc, 42, v70
	s_waitcnt lgkmcnt(0)
	s_barrier
	s_and_saveexec_b64 s[2:3], vcc
	s_cbranch_execz .LBB123_214
; %bb.212:
	ds_write_b64 v68, v[206:207]
	ds_write2_b64 v69, v[144:145], v[204:205] offset0:43 offset1:44
	ds_write2_b64 v69, v[142:143], v[202:203] offset0:45 offset1:46
	;; [unrolled: 1-line block ×8, first 2 shown]
	s_waitcnt vmcnt(57)
	ds_write2_b64 v69, v[128:129], v[188:189] offset0:59 offset1:60
	s_waitcnt vmcnt(54)
	ds_write_b64 v69, v[248:249] offset:488
	ds_read_b64 v[32:33], v68
	s_waitcnt lgkmcnt(0)
	v_cmp_neq_f64_e32 vcc, 0, v[32:33]
	s_and_b64 exec, exec, vcc
	s_cbranch_execz .LBB123_214
; %bb.213:
	v_div_scale_f64 v[34:35], s[6:7], v[32:33], v[32:33], 1.0
	v_rcp_f64_e32 v[36:37], v[34:35]
	v_div_scale_f64 v[38:39], vcc, 1.0, v[32:33], 1.0
	v_fma_f64 v[40:41], -v[34:35], v[36:37], 1.0
	v_fmac_f64_e32 v[36:37], v[36:37], v[40:41]
	v_fma_f64 v[40:41], -v[34:35], v[36:37], 1.0
	v_fmac_f64_e32 v[36:37], v[36:37], v[40:41]
	v_mul_f64 v[40:41], v[38:39], v[36:37]
	v_fma_f64 v[34:35], -v[34:35], v[40:41], v[38:39]
	v_div_fmas_f64 v[34:35], v[34:35], v[36:37], v[40:41]
	v_div_fixup_f64 v[32:33], v[34:35], v[32:33], 1.0
	ds_write_b64 v68, v[32:33]
.LBB123_214:
	s_or_b64 exec, exec, s[2:3]
	s_waitcnt lgkmcnt(0)
	s_barrier
	ds_read_b64 v[32:33], v68
	v_cmp_lt_u32_e32 vcc, 42, v70
	s_and_saveexec_b64 s[2:3], vcc
	s_cbranch_execz .LBB123_216
; %bb.215:
	ds_read2_b64 v[34:37], v69 offset0:43 offset1:44
	s_waitcnt lgkmcnt(1)
	v_mul_f64 v[206:207], v[32:33], v[206:207]
	s_waitcnt lgkmcnt(0)
	v_fma_f64 v[144:145], -v[206:207], v[34:35], v[144:145]
	v_fma_f64 v[204:205], -v[206:207], v[36:37], v[204:205]
	ds_read2_b64 v[34:37], v69 offset0:45 offset1:46
	s_waitcnt lgkmcnt(0)
	v_fma_f64 v[142:143], -v[206:207], v[34:35], v[142:143]
	v_fma_f64 v[202:203], -v[206:207], v[36:37], v[202:203]
	ds_read2_b64 v[34:37], v69 offset0:47 offset1:48
	;; [unrolled: 4-line block ×8, first 2 shown]
	s_waitcnt vmcnt(60) lgkmcnt(0)
	v_fma_f64 v[128:129], -v[206:207], v[34:35], v[128:129]
	ds_read_b64 v[34:35], v69 offset:488
	s_waitcnt vmcnt(57)
	v_fma_f64 v[188:189], -v[206:207], v[36:37], v[188:189]
	s_waitcnt vmcnt(54) lgkmcnt(0)
	v_fma_f64 v[248:249], -v[206:207], v[34:35], v[248:249]
.LBB123_216:
	s_or_b64 exec, exec, s[2:3]
	v_cmp_eq_u32_e32 vcc, 43, v70
	s_waitcnt lgkmcnt(0)
	s_barrier
	s_and_saveexec_b64 s[2:3], vcc
	s_cbranch_execz .LBB123_219
; %bb.217:
	v_mov_b32_e32 v34, v204
	v_mov_b32_e32 v35, v205
	;; [unrolled: 1-line block ×4, first 2 shown]
	ds_write_b64 v68, v[144:145]
	ds_write2_b64 v69, v[34:35], v[36:37] offset0:44 offset1:45
	v_mov_b32_e32 v34, v202
	v_mov_b32_e32 v35, v203
	v_mov_b32_e32 v36, v140
	v_mov_b32_e32 v37, v141
	ds_write2_b64 v69, v[34:35], v[36:37] offset0:46 offset1:47
	v_mov_b32_e32 v34, v200
	v_mov_b32_e32 v35, v201
	v_mov_b32_e32 v36, v138
	v_mov_b32_e32 v37, v139
	;; [unrolled: 5-line block ×6, first 2 shown]
	ds_write2_b64 v69, v[34:35], v[36:37] offset0:56 offset1:57
	v_mov_b32_e32 v34, v190
	v_mov_b32_e32 v35, v191
	s_waitcnt vmcnt(60)
	v_mov_b32_e32 v36, v128
	v_mov_b32_e32 v37, v129
	ds_write2_b64 v69, v[34:35], v[36:37] offset0:58 offset1:59
	s_waitcnt vmcnt(57)
	v_mov_b32_e32 v34, v188
	v_mov_b32_e32 v35, v189
	s_waitcnt vmcnt(54)
	ds_write2_b64 v69, v[34:35], v[248:249] offset0:60 offset1:61
	ds_read_b64 v[34:35], v68
	s_waitcnt lgkmcnt(0)
	v_cmp_neq_f64_e32 vcc, 0, v[34:35]
	s_and_b64 exec, exec, vcc
	s_cbranch_execz .LBB123_219
; %bb.218:
	v_div_scale_f64 v[36:37], s[6:7], v[34:35], v[34:35], 1.0
	v_rcp_f64_e32 v[38:39], v[36:37]
	v_div_scale_f64 v[40:41], vcc, 1.0, v[34:35], 1.0
	v_fma_f64 v[42:43], -v[36:37], v[38:39], 1.0
	v_fmac_f64_e32 v[38:39], v[38:39], v[42:43]
	v_fma_f64 v[42:43], -v[36:37], v[38:39], 1.0
	v_fmac_f64_e32 v[38:39], v[38:39], v[42:43]
	v_mul_f64 v[42:43], v[40:41], v[38:39]
	v_fma_f64 v[36:37], -v[36:37], v[42:43], v[40:41]
	v_div_fmas_f64 v[36:37], v[36:37], v[38:39], v[42:43]
	v_div_fixup_f64 v[34:35], v[36:37], v[34:35], 1.0
	ds_write_b64 v68, v[34:35]
.LBB123_219:
	s_or_b64 exec, exec, s[2:3]
	s_waitcnt lgkmcnt(0)
	s_barrier
	ds_read_b64 v[34:35], v68
	v_cmp_lt_u32_e32 vcc, 43, v70
	s_and_saveexec_b64 s[2:3], vcc
	s_cbranch_execz .LBB123_221
; %bb.220:
	ds_read2_b64 v[36:39], v69 offset0:44 offset1:45
	s_waitcnt lgkmcnt(1)
	v_mul_f64 v[144:145], v[34:35], v[144:145]
	s_waitcnt lgkmcnt(0)
	v_fma_f64 v[204:205], -v[144:145], v[36:37], v[204:205]
	v_fma_f64 v[142:143], -v[144:145], v[38:39], v[142:143]
	ds_read2_b64 v[36:39], v69 offset0:46 offset1:47
	s_waitcnt lgkmcnt(0)
	v_fma_f64 v[202:203], -v[144:145], v[36:37], v[202:203]
	v_fma_f64 v[140:141], -v[144:145], v[38:39], v[140:141]
	ds_read2_b64 v[36:39], v69 offset0:48 offset1:49
	;; [unrolled: 4-line block ×7, first 2 shown]
	s_waitcnt lgkmcnt(0)
	v_fma_f64 v[190:191], -v[144:145], v[36:37], v[190:191]
	s_waitcnt vmcnt(60)
	v_fma_f64 v[128:129], -v[144:145], v[38:39], v[128:129]
	ds_read2_b64 v[36:39], v69 offset0:60 offset1:61
	s_waitcnt vmcnt(57) lgkmcnt(0)
	v_fma_f64 v[188:189], -v[144:145], v[36:37], v[188:189]
	s_waitcnt vmcnt(54)
	v_fma_f64 v[248:249], -v[144:145], v[38:39], v[248:249]
.LBB123_221:
	s_or_b64 exec, exec, s[2:3]
	v_cmp_eq_u32_e32 vcc, 44, v70
	s_waitcnt lgkmcnt(0)
	s_barrier
	s_and_saveexec_b64 s[2:3], vcc
	s_cbranch_execz .LBB123_224
; %bb.222:
	ds_write_b64 v68, v[204:205]
	ds_write2_b64 v69, v[142:143], v[202:203] offset0:45 offset1:46
	ds_write2_b64 v69, v[140:141], v[200:201] offset0:47 offset1:48
	;; [unrolled: 1-line block ×7, first 2 shown]
	s_waitcnt vmcnt(57)
	ds_write2_b64 v69, v[128:129], v[188:189] offset0:59 offset1:60
	s_waitcnt vmcnt(54)
	ds_write_b64 v69, v[248:249] offset:488
	ds_read_b64 v[36:37], v68
	s_waitcnt lgkmcnt(0)
	v_cmp_neq_f64_e32 vcc, 0, v[36:37]
	s_and_b64 exec, exec, vcc
	s_cbranch_execz .LBB123_224
; %bb.223:
	v_div_scale_f64 v[38:39], s[6:7], v[36:37], v[36:37], 1.0
	v_rcp_f64_e32 v[40:41], v[38:39]
	v_div_scale_f64 v[42:43], vcc, 1.0, v[36:37], 1.0
	v_fma_f64 v[44:45], -v[38:39], v[40:41], 1.0
	v_fmac_f64_e32 v[40:41], v[40:41], v[44:45]
	v_fma_f64 v[44:45], -v[38:39], v[40:41], 1.0
	v_fmac_f64_e32 v[40:41], v[40:41], v[44:45]
	v_mul_f64 v[44:45], v[42:43], v[40:41]
	v_fma_f64 v[38:39], -v[38:39], v[44:45], v[42:43]
	v_div_fmas_f64 v[38:39], v[38:39], v[40:41], v[44:45]
	v_div_fixup_f64 v[36:37], v[38:39], v[36:37], 1.0
	ds_write_b64 v68, v[36:37]
.LBB123_224:
	s_or_b64 exec, exec, s[2:3]
	s_waitcnt lgkmcnt(0)
	s_barrier
	ds_read_b64 v[36:37], v68
	v_cmp_lt_u32_e32 vcc, 44, v70
	s_and_saveexec_b64 s[2:3], vcc
	s_cbranch_execz .LBB123_226
; %bb.225:
	ds_read2_b64 v[38:41], v69 offset0:45 offset1:46
	s_waitcnt lgkmcnt(1)
	v_mul_f64 v[204:205], v[36:37], v[204:205]
	s_waitcnt lgkmcnt(0)
	v_fma_f64 v[142:143], -v[204:205], v[38:39], v[142:143]
	v_fma_f64 v[202:203], -v[204:205], v[40:41], v[202:203]
	ds_read2_b64 v[38:41], v69 offset0:47 offset1:48
	s_waitcnt lgkmcnt(0)
	v_fma_f64 v[140:141], -v[204:205], v[38:39], v[140:141]
	v_fma_f64 v[200:201], -v[204:205], v[40:41], v[200:201]
	ds_read2_b64 v[38:41], v69 offset0:49 offset1:50
	;; [unrolled: 4-line block ×7, first 2 shown]
	s_waitcnt vmcnt(60) lgkmcnt(0)
	v_fma_f64 v[128:129], -v[204:205], v[38:39], v[128:129]
	ds_read_b64 v[38:39], v69 offset:488
	s_waitcnt vmcnt(57)
	v_fma_f64 v[188:189], -v[204:205], v[40:41], v[188:189]
	s_waitcnt vmcnt(54) lgkmcnt(0)
	v_fma_f64 v[248:249], -v[204:205], v[38:39], v[248:249]
.LBB123_226:
	s_or_b64 exec, exec, s[2:3]
	v_cmp_eq_u32_e32 vcc, 45, v70
	s_waitcnt lgkmcnt(0)
	s_barrier
	s_and_saveexec_b64 s[2:3], vcc
	s_cbranch_execz .LBB123_229
; %bb.227:
	v_mov_b32_e32 v38, v202
	v_mov_b32_e32 v39, v203
	;; [unrolled: 1-line block ×4, first 2 shown]
	ds_write_b64 v68, v[142:143]
	ds_write2_b64 v69, v[38:39], v[40:41] offset0:46 offset1:47
	v_mov_b32_e32 v38, v200
	v_mov_b32_e32 v39, v201
	v_mov_b32_e32 v40, v138
	v_mov_b32_e32 v41, v139
	ds_write2_b64 v69, v[38:39], v[40:41] offset0:48 offset1:49
	v_mov_b32_e32 v38, v198
	v_mov_b32_e32 v39, v199
	v_mov_b32_e32 v40, v136
	v_mov_b32_e32 v41, v137
	;; [unrolled: 5-line block ×5, first 2 shown]
	ds_write2_b64 v69, v[38:39], v[40:41] offset0:56 offset1:57
	v_mov_b32_e32 v38, v190
	v_mov_b32_e32 v39, v191
	s_waitcnt vmcnt(60)
	v_mov_b32_e32 v40, v128
	v_mov_b32_e32 v41, v129
	ds_write2_b64 v69, v[38:39], v[40:41] offset0:58 offset1:59
	s_waitcnt vmcnt(57)
	v_mov_b32_e32 v38, v188
	v_mov_b32_e32 v39, v189
	s_waitcnt vmcnt(54)
	ds_write2_b64 v69, v[38:39], v[248:249] offset0:60 offset1:61
	ds_read_b64 v[38:39], v68
	s_waitcnt lgkmcnt(0)
	v_cmp_neq_f64_e32 vcc, 0, v[38:39]
	s_and_b64 exec, exec, vcc
	s_cbranch_execz .LBB123_229
; %bb.228:
	v_div_scale_f64 v[40:41], s[6:7], v[38:39], v[38:39], 1.0
	v_rcp_f64_e32 v[42:43], v[40:41]
	v_div_scale_f64 v[44:45], vcc, 1.0, v[38:39], 1.0
	v_fma_f64 v[46:47], -v[40:41], v[42:43], 1.0
	v_fmac_f64_e32 v[42:43], v[42:43], v[46:47]
	v_fma_f64 v[46:47], -v[40:41], v[42:43], 1.0
	v_fmac_f64_e32 v[42:43], v[42:43], v[46:47]
	v_mul_f64 v[46:47], v[44:45], v[42:43]
	v_fma_f64 v[40:41], -v[40:41], v[46:47], v[44:45]
	v_div_fmas_f64 v[40:41], v[40:41], v[42:43], v[46:47]
	v_div_fixup_f64 v[38:39], v[40:41], v[38:39], 1.0
	ds_write_b64 v68, v[38:39]
.LBB123_229:
	s_or_b64 exec, exec, s[2:3]
	s_waitcnt lgkmcnt(0)
	s_barrier
	ds_read_b64 v[38:39], v68
	v_cmp_lt_u32_e32 vcc, 45, v70
	s_and_saveexec_b64 s[2:3], vcc
	s_cbranch_execz .LBB123_231
; %bb.230:
	ds_read2_b64 v[40:43], v69 offset0:46 offset1:47
	s_waitcnt lgkmcnt(1)
	v_mul_f64 v[142:143], v[38:39], v[142:143]
	s_waitcnt lgkmcnt(0)
	v_fma_f64 v[202:203], -v[142:143], v[40:41], v[202:203]
	v_fma_f64 v[140:141], -v[142:143], v[42:43], v[140:141]
	ds_read2_b64 v[40:43], v69 offset0:48 offset1:49
	s_waitcnt lgkmcnt(0)
	v_fma_f64 v[200:201], -v[142:143], v[40:41], v[200:201]
	v_fma_f64 v[138:139], -v[142:143], v[42:43], v[138:139]
	ds_read2_b64 v[40:43], v69 offset0:50 offset1:51
	;; [unrolled: 4-line block ×6, first 2 shown]
	s_waitcnt lgkmcnt(0)
	v_fma_f64 v[190:191], -v[142:143], v[40:41], v[190:191]
	s_waitcnt vmcnt(60)
	v_fma_f64 v[128:129], -v[142:143], v[42:43], v[128:129]
	ds_read2_b64 v[40:43], v69 offset0:60 offset1:61
	s_waitcnt vmcnt(57) lgkmcnt(0)
	v_fma_f64 v[188:189], -v[142:143], v[40:41], v[188:189]
	s_waitcnt vmcnt(54)
	v_fma_f64 v[248:249], -v[142:143], v[42:43], v[248:249]
.LBB123_231:
	s_or_b64 exec, exec, s[2:3]
	v_cmp_eq_u32_e32 vcc, 46, v70
	s_waitcnt lgkmcnt(0)
	s_barrier
	s_and_saveexec_b64 s[2:3], vcc
	s_cbranch_execz .LBB123_234
; %bb.232:
	ds_write_b64 v68, v[202:203]
	ds_write2_b64 v69, v[140:141], v[200:201] offset0:47 offset1:48
	ds_write2_b64 v69, v[138:139], v[198:199] offset0:49 offset1:50
	;; [unrolled: 1-line block ×6, first 2 shown]
	s_waitcnt vmcnt(57)
	ds_write2_b64 v69, v[128:129], v[188:189] offset0:59 offset1:60
	s_waitcnt vmcnt(54)
	ds_write_b64 v69, v[248:249] offset:488
	ds_read_b64 v[40:41], v68
	s_waitcnt lgkmcnt(0)
	v_cmp_neq_f64_e32 vcc, 0, v[40:41]
	s_and_b64 exec, exec, vcc
	s_cbranch_execz .LBB123_234
; %bb.233:
	v_div_scale_f64 v[42:43], s[6:7], v[40:41], v[40:41], 1.0
	v_rcp_f64_e32 v[44:45], v[42:43]
	v_div_scale_f64 v[46:47], vcc, 1.0, v[40:41], 1.0
	v_fma_f64 v[48:49], -v[42:43], v[44:45], 1.0
	v_fmac_f64_e32 v[44:45], v[44:45], v[48:49]
	v_fma_f64 v[48:49], -v[42:43], v[44:45], 1.0
	v_fmac_f64_e32 v[44:45], v[44:45], v[48:49]
	v_mul_f64 v[48:49], v[46:47], v[44:45]
	v_fma_f64 v[42:43], -v[42:43], v[48:49], v[46:47]
	v_div_fmas_f64 v[42:43], v[42:43], v[44:45], v[48:49]
	v_div_fixup_f64 v[40:41], v[42:43], v[40:41], 1.0
	ds_write_b64 v68, v[40:41]
.LBB123_234:
	s_or_b64 exec, exec, s[2:3]
	s_waitcnt lgkmcnt(0)
	s_barrier
	ds_read_b64 v[40:41], v68
	v_cmp_lt_u32_e32 vcc, 46, v70
	s_and_saveexec_b64 s[2:3], vcc
	s_cbranch_execz .LBB123_236
; %bb.235:
	ds_read2_b64 v[42:45], v69 offset0:47 offset1:48
	s_waitcnt lgkmcnt(1)
	v_mul_f64 v[202:203], v[40:41], v[202:203]
	s_waitcnt lgkmcnt(0)
	v_fma_f64 v[140:141], -v[202:203], v[42:43], v[140:141]
	v_fma_f64 v[200:201], -v[202:203], v[44:45], v[200:201]
	ds_read2_b64 v[42:45], v69 offset0:49 offset1:50
	s_waitcnt lgkmcnt(0)
	v_fma_f64 v[138:139], -v[202:203], v[42:43], v[138:139]
	v_fma_f64 v[198:199], -v[202:203], v[44:45], v[198:199]
	ds_read2_b64 v[42:45], v69 offset0:51 offset1:52
	;; [unrolled: 4-line block ×6, first 2 shown]
	s_waitcnt vmcnt(60) lgkmcnt(0)
	v_fma_f64 v[128:129], -v[202:203], v[42:43], v[128:129]
	ds_read_b64 v[42:43], v69 offset:488
	s_waitcnt vmcnt(57)
	v_fma_f64 v[188:189], -v[202:203], v[44:45], v[188:189]
	s_waitcnt vmcnt(54) lgkmcnt(0)
	v_fma_f64 v[248:249], -v[202:203], v[42:43], v[248:249]
.LBB123_236:
	s_or_b64 exec, exec, s[2:3]
	v_cmp_eq_u32_e32 vcc, 47, v70
	s_waitcnt lgkmcnt(0)
	s_barrier
	s_and_saveexec_b64 s[2:3], vcc
	s_cbranch_execz .LBB123_239
; %bb.237:
	v_mov_b32_e32 v42, v200
	v_mov_b32_e32 v43, v201
	;; [unrolled: 1-line block ×4, first 2 shown]
	ds_write_b64 v68, v[140:141]
	ds_write2_b64 v69, v[42:43], v[44:45] offset0:48 offset1:49
	v_mov_b32_e32 v42, v198
	v_mov_b32_e32 v43, v199
	v_mov_b32_e32 v44, v136
	v_mov_b32_e32 v45, v137
	ds_write2_b64 v69, v[42:43], v[44:45] offset0:50 offset1:51
	v_mov_b32_e32 v42, v196
	v_mov_b32_e32 v43, v197
	v_mov_b32_e32 v44, v134
	v_mov_b32_e32 v45, v135
	;; [unrolled: 5-line block ×4, first 2 shown]
	ds_write2_b64 v69, v[42:43], v[44:45] offset0:56 offset1:57
	v_mov_b32_e32 v42, v190
	v_mov_b32_e32 v43, v191
	s_waitcnt vmcnt(60)
	v_mov_b32_e32 v44, v128
	v_mov_b32_e32 v45, v129
	ds_write2_b64 v69, v[42:43], v[44:45] offset0:58 offset1:59
	s_waitcnt vmcnt(57)
	v_mov_b32_e32 v42, v188
	v_mov_b32_e32 v43, v189
	s_waitcnt vmcnt(54)
	ds_write2_b64 v69, v[42:43], v[248:249] offset0:60 offset1:61
	ds_read_b64 v[42:43], v68
	s_waitcnt lgkmcnt(0)
	v_cmp_neq_f64_e32 vcc, 0, v[42:43]
	s_and_b64 exec, exec, vcc
	s_cbranch_execz .LBB123_239
; %bb.238:
	v_div_scale_f64 v[44:45], s[6:7], v[42:43], v[42:43], 1.0
	v_rcp_f64_e32 v[46:47], v[44:45]
	v_div_scale_f64 v[48:49], vcc, 1.0, v[42:43], 1.0
	v_fma_f64 v[50:51], -v[44:45], v[46:47], 1.0
	v_fmac_f64_e32 v[46:47], v[46:47], v[50:51]
	v_fma_f64 v[50:51], -v[44:45], v[46:47], 1.0
	v_fmac_f64_e32 v[46:47], v[46:47], v[50:51]
	v_mul_f64 v[50:51], v[48:49], v[46:47]
	v_fma_f64 v[44:45], -v[44:45], v[50:51], v[48:49]
	v_div_fmas_f64 v[44:45], v[44:45], v[46:47], v[50:51]
	v_div_fixup_f64 v[42:43], v[44:45], v[42:43], 1.0
	ds_write_b64 v68, v[42:43]
.LBB123_239:
	s_or_b64 exec, exec, s[2:3]
	s_waitcnt lgkmcnt(0)
	s_barrier
	ds_read_b64 v[42:43], v68
	v_cmp_lt_u32_e32 vcc, 47, v70
	s_and_saveexec_b64 s[2:3], vcc
	s_cbranch_execz .LBB123_241
; %bb.240:
	ds_read2_b64 v[44:47], v69 offset0:48 offset1:49
	s_waitcnt lgkmcnt(1)
	v_mul_f64 v[140:141], v[42:43], v[140:141]
	s_waitcnt lgkmcnt(0)
	v_fma_f64 v[200:201], -v[140:141], v[44:45], v[200:201]
	v_fma_f64 v[138:139], -v[140:141], v[46:47], v[138:139]
	ds_read2_b64 v[44:47], v69 offset0:50 offset1:51
	s_waitcnt lgkmcnt(0)
	v_fma_f64 v[198:199], -v[140:141], v[44:45], v[198:199]
	v_fma_f64 v[136:137], -v[140:141], v[46:47], v[136:137]
	ds_read2_b64 v[44:47], v69 offset0:52 offset1:53
	;; [unrolled: 4-line block ×5, first 2 shown]
	s_waitcnt lgkmcnt(0)
	v_fma_f64 v[190:191], -v[140:141], v[44:45], v[190:191]
	s_waitcnt vmcnt(60)
	v_fma_f64 v[128:129], -v[140:141], v[46:47], v[128:129]
	ds_read2_b64 v[44:47], v69 offset0:60 offset1:61
	s_waitcnt vmcnt(57) lgkmcnt(0)
	v_fma_f64 v[188:189], -v[140:141], v[44:45], v[188:189]
	s_waitcnt vmcnt(54)
	v_fma_f64 v[248:249], -v[140:141], v[46:47], v[248:249]
.LBB123_241:
	s_or_b64 exec, exec, s[2:3]
	v_cmp_eq_u32_e32 vcc, 48, v70
	s_waitcnt lgkmcnt(0)
	s_barrier
	s_and_saveexec_b64 s[2:3], vcc
	s_cbranch_execz .LBB123_244
; %bb.242:
	ds_write_b64 v68, v[200:201]
	ds_write2_b64 v69, v[138:139], v[198:199] offset0:49 offset1:50
	ds_write2_b64 v69, v[136:137], v[196:197] offset0:51 offset1:52
	;; [unrolled: 1-line block ×5, first 2 shown]
	s_waitcnt vmcnt(57)
	ds_write2_b64 v69, v[128:129], v[188:189] offset0:59 offset1:60
	s_waitcnt vmcnt(54)
	ds_write_b64 v69, v[248:249] offset:488
	ds_read_b64 v[44:45], v68
	s_waitcnt lgkmcnt(0)
	v_cmp_neq_f64_e32 vcc, 0, v[44:45]
	s_and_b64 exec, exec, vcc
	s_cbranch_execz .LBB123_244
; %bb.243:
	v_div_scale_f64 v[46:47], s[6:7], v[44:45], v[44:45], 1.0
	v_rcp_f64_e32 v[48:49], v[46:47]
	v_div_scale_f64 v[50:51], vcc, 1.0, v[44:45], 1.0
	v_fma_f64 v[52:53], -v[46:47], v[48:49], 1.0
	v_fmac_f64_e32 v[48:49], v[48:49], v[52:53]
	v_fma_f64 v[52:53], -v[46:47], v[48:49], 1.0
	v_fmac_f64_e32 v[48:49], v[48:49], v[52:53]
	v_mul_f64 v[52:53], v[50:51], v[48:49]
	v_fma_f64 v[46:47], -v[46:47], v[52:53], v[50:51]
	v_div_fmas_f64 v[46:47], v[46:47], v[48:49], v[52:53]
	v_div_fixup_f64 v[44:45], v[46:47], v[44:45], 1.0
	ds_write_b64 v68, v[44:45]
.LBB123_244:
	s_or_b64 exec, exec, s[2:3]
	s_waitcnt lgkmcnt(0)
	s_barrier
	ds_read_b64 v[44:45], v68
	v_cmp_lt_u32_e32 vcc, 48, v70
	s_and_saveexec_b64 s[2:3], vcc
	s_cbranch_execz .LBB123_246
; %bb.245:
	ds_read2_b64 v[46:49], v69 offset0:49 offset1:50
	s_waitcnt lgkmcnt(1)
	v_mul_f64 v[200:201], v[44:45], v[200:201]
	s_waitcnt lgkmcnt(0)
	v_fma_f64 v[138:139], -v[200:201], v[46:47], v[138:139]
	v_fma_f64 v[198:199], -v[200:201], v[48:49], v[198:199]
	ds_read2_b64 v[46:49], v69 offset0:51 offset1:52
	s_waitcnt lgkmcnt(0)
	v_fma_f64 v[136:137], -v[200:201], v[46:47], v[136:137]
	v_fma_f64 v[196:197], -v[200:201], v[48:49], v[196:197]
	ds_read2_b64 v[46:49], v69 offset0:53 offset1:54
	;; [unrolled: 4-line block ×5, first 2 shown]
	s_waitcnt vmcnt(60) lgkmcnt(0)
	v_fma_f64 v[128:129], -v[200:201], v[46:47], v[128:129]
	ds_read_b64 v[46:47], v69 offset:488
	s_waitcnt vmcnt(57)
	v_fma_f64 v[188:189], -v[200:201], v[48:49], v[188:189]
	s_waitcnt vmcnt(54) lgkmcnt(0)
	v_fma_f64 v[248:249], -v[200:201], v[46:47], v[248:249]
.LBB123_246:
	s_or_b64 exec, exec, s[2:3]
	v_cmp_eq_u32_e32 vcc, 49, v70
	s_waitcnt lgkmcnt(0)
	s_barrier
	s_and_saveexec_b64 s[2:3], vcc
	s_cbranch_execz .LBB123_249
; %bb.247:
	v_mov_b32_e32 v46, v198
	v_mov_b32_e32 v47, v199
	;; [unrolled: 1-line block ×4, first 2 shown]
	ds_write_b64 v68, v[138:139]
	ds_write2_b64 v69, v[46:47], v[48:49] offset0:50 offset1:51
	v_mov_b32_e32 v46, v196
	v_mov_b32_e32 v47, v197
	v_mov_b32_e32 v48, v134
	v_mov_b32_e32 v49, v135
	ds_write2_b64 v69, v[46:47], v[48:49] offset0:52 offset1:53
	v_mov_b32_e32 v46, v194
	v_mov_b32_e32 v47, v195
	v_mov_b32_e32 v48, v132
	v_mov_b32_e32 v49, v133
	;; [unrolled: 5-line block ×3, first 2 shown]
	ds_write2_b64 v69, v[46:47], v[48:49] offset0:56 offset1:57
	v_mov_b32_e32 v46, v190
	v_mov_b32_e32 v47, v191
	s_waitcnt vmcnt(60)
	v_mov_b32_e32 v48, v128
	v_mov_b32_e32 v49, v129
	ds_write2_b64 v69, v[46:47], v[48:49] offset0:58 offset1:59
	s_waitcnt vmcnt(57)
	v_mov_b32_e32 v46, v188
	v_mov_b32_e32 v47, v189
	s_waitcnt vmcnt(54)
	ds_write2_b64 v69, v[46:47], v[248:249] offset0:60 offset1:61
	ds_read_b64 v[46:47], v68
	s_waitcnt lgkmcnt(0)
	v_cmp_neq_f64_e32 vcc, 0, v[46:47]
	s_and_b64 exec, exec, vcc
	s_cbranch_execz .LBB123_249
; %bb.248:
	v_div_scale_f64 v[48:49], s[6:7], v[46:47], v[46:47], 1.0
	v_rcp_f64_e32 v[50:51], v[48:49]
	v_div_scale_f64 v[52:53], vcc, 1.0, v[46:47], 1.0
	v_fma_f64 v[54:55], -v[48:49], v[50:51], 1.0
	v_fmac_f64_e32 v[50:51], v[50:51], v[54:55]
	v_fma_f64 v[54:55], -v[48:49], v[50:51], 1.0
	v_fmac_f64_e32 v[50:51], v[50:51], v[54:55]
	v_mul_f64 v[54:55], v[52:53], v[50:51]
	v_fma_f64 v[48:49], -v[48:49], v[54:55], v[52:53]
	v_div_fmas_f64 v[48:49], v[48:49], v[50:51], v[54:55]
	v_div_fixup_f64 v[46:47], v[48:49], v[46:47], 1.0
	ds_write_b64 v68, v[46:47]
.LBB123_249:
	s_or_b64 exec, exec, s[2:3]
	s_waitcnt lgkmcnt(0)
	s_barrier
	ds_read_b64 v[46:47], v68
	v_cmp_lt_u32_e32 vcc, 49, v70
	s_and_saveexec_b64 s[2:3], vcc
	s_cbranch_execz .LBB123_251
; %bb.250:
	ds_read2_b64 v[48:51], v69 offset0:50 offset1:51
	s_waitcnt lgkmcnt(1)
	v_mul_f64 v[138:139], v[46:47], v[138:139]
	s_waitcnt lgkmcnt(0)
	v_fma_f64 v[198:199], -v[138:139], v[48:49], v[198:199]
	v_fma_f64 v[136:137], -v[138:139], v[50:51], v[136:137]
	ds_read2_b64 v[48:51], v69 offset0:52 offset1:53
	s_waitcnt lgkmcnt(0)
	v_fma_f64 v[196:197], -v[138:139], v[48:49], v[196:197]
	v_fma_f64 v[134:135], -v[138:139], v[50:51], v[134:135]
	ds_read2_b64 v[48:51], v69 offset0:54 offset1:55
	;; [unrolled: 4-line block ×4, first 2 shown]
	s_waitcnt lgkmcnt(0)
	v_fma_f64 v[190:191], -v[138:139], v[48:49], v[190:191]
	s_waitcnt vmcnt(60)
	v_fma_f64 v[128:129], -v[138:139], v[50:51], v[128:129]
	ds_read2_b64 v[48:51], v69 offset0:60 offset1:61
	s_waitcnt vmcnt(57) lgkmcnt(0)
	v_fma_f64 v[188:189], -v[138:139], v[48:49], v[188:189]
	s_waitcnt vmcnt(54)
	v_fma_f64 v[248:249], -v[138:139], v[50:51], v[248:249]
.LBB123_251:
	s_or_b64 exec, exec, s[2:3]
	v_cmp_eq_u32_e32 vcc, 50, v70
	s_waitcnt lgkmcnt(0)
	s_barrier
	s_and_saveexec_b64 s[2:3], vcc
	s_cbranch_execz .LBB123_254
; %bb.252:
	ds_write_b64 v68, v[198:199]
	ds_write2_b64 v69, v[136:137], v[196:197] offset0:51 offset1:52
	ds_write2_b64 v69, v[134:135], v[194:195] offset0:53 offset1:54
	;; [unrolled: 1-line block ×4, first 2 shown]
	s_waitcnt vmcnt(57)
	ds_write2_b64 v69, v[128:129], v[188:189] offset0:59 offset1:60
	s_waitcnt vmcnt(54)
	ds_write_b64 v69, v[248:249] offset:488
	ds_read_b64 v[48:49], v68
	s_waitcnt lgkmcnt(0)
	v_cmp_neq_f64_e32 vcc, 0, v[48:49]
	s_and_b64 exec, exec, vcc
	s_cbranch_execz .LBB123_254
; %bb.253:
	v_div_scale_f64 v[50:51], s[6:7], v[48:49], v[48:49], 1.0
	v_rcp_f64_e32 v[52:53], v[50:51]
	v_div_scale_f64 v[54:55], vcc, 1.0, v[48:49], 1.0
	v_fma_f64 v[56:57], -v[50:51], v[52:53], 1.0
	v_fmac_f64_e32 v[52:53], v[52:53], v[56:57]
	v_fma_f64 v[56:57], -v[50:51], v[52:53], 1.0
	v_fmac_f64_e32 v[52:53], v[52:53], v[56:57]
	v_mul_f64 v[56:57], v[54:55], v[52:53]
	v_fma_f64 v[50:51], -v[50:51], v[56:57], v[54:55]
	v_div_fmas_f64 v[50:51], v[50:51], v[52:53], v[56:57]
	v_div_fixup_f64 v[48:49], v[50:51], v[48:49], 1.0
	ds_write_b64 v68, v[48:49]
.LBB123_254:
	s_or_b64 exec, exec, s[2:3]
	s_waitcnt lgkmcnt(0)
	s_barrier
	ds_read_b64 v[48:49], v68
	v_cmp_lt_u32_e32 vcc, 50, v70
	s_and_saveexec_b64 s[2:3], vcc
	s_cbranch_execz .LBB123_256
; %bb.255:
	ds_read2_b64 v[50:53], v69 offset0:51 offset1:52
	s_waitcnt lgkmcnt(1)
	v_mul_f64 v[198:199], v[48:49], v[198:199]
	s_waitcnt lgkmcnt(0)
	v_fma_f64 v[136:137], -v[198:199], v[50:51], v[136:137]
	v_fma_f64 v[196:197], -v[198:199], v[52:53], v[196:197]
	ds_read2_b64 v[50:53], v69 offset0:53 offset1:54
	s_waitcnt lgkmcnt(0)
	v_fma_f64 v[134:135], -v[198:199], v[50:51], v[134:135]
	v_fma_f64 v[194:195], -v[198:199], v[52:53], v[194:195]
	ds_read2_b64 v[50:53], v69 offset0:55 offset1:56
	;; [unrolled: 4-line block ×4, first 2 shown]
	s_waitcnt vmcnt(60) lgkmcnt(0)
	v_fma_f64 v[128:129], -v[198:199], v[50:51], v[128:129]
	ds_read_b64 v[50:51], v69 offset:488
	s_waitcnt vmcnt(57)
	v_fma_f64 v[188:189], -v[198:199], v[52:53], v[188:189]
	s_waitcnt vmcnt(54) lgkmcnt(0)
	v_fma_f64 v[248:249], -v[198:199], v[50:51], v[248:249]
.LBB123_256:
	s_or_b64 exec, exec, s[2:3]
	v_cmp_eq_u32_e32 vcc, 51, v70
	s_waitcnt lgkmcnt(0)
	s_barrier
	s_and_saveexec_b64 s[2:3], vcc
	s_cbranch_execz .LBB123_259
; %bb.257:
	v_mov_b32_e32 v50, v196
	v_mov_b32_e32 v51, v197
	;; [unrolled: 1-line block ×4, first 2 shown]
	ds_write_b64 v68, v[136:137]
	ds_write2_b64 v69, v[50:51], v[52:53] offset0:52 offset1:53
	v_mov_b32_e32 v50, v194
	v_mov_b32_e32 v51, v195
	;; [unrolled: 1-line block ×4, first 2 shown]
	ds_write2_b64 v69, v[50:51], v[52:53] offset0:54 offset1:55
	v_mov_b32_e32 v50, v192
	v_mov_b32_e32 v51, v193
	;; [unrolled: 1-line block ×4, first 2 shown]
	ds_write2_b64 v69, v[50:51], v[52:53] offset0:56 offset1:57
	v_mov_b32_e32 v50, v190
	v_mov_b32_e32 v51, v191
	s_waitcnt vmcnt(60)
	v_mov_b32_e32 v52, v128
	v_mov_b32_e32 v53, v129
	ds_write2_b64 v69, v[50:51], v[52:53] offset0:58 offset1:59
	s_waitcnt vmcnt(57)
	v_mov_b32_e32 v50, v188
	v_mov_b32_e32 v51, v189
	s_waitcnt vmcnt(54)
	ds_write2_b64 v69, v[50:51], v[248:249] offset0:60 offset1:61
	ds_read_b64 v[50:51], v68
	s_waitcnt lgkmcnt(0)
	v_cmp_neq_f64_e32 vcc, 0, v[50:51]
	s_and_b64 exec, exec, vcc
	s_cbranch_execz .LBB123_259
; %bb.258:
	v_div_scale_f64 v[52:53], s[6:7], v[50:51], v[50:51], 1.0
	v_rcp_f64_e32 v[54:55], v[52:53]
	v_div_scale_f64 v[56:57], vcc, 1.0, v[50:51], 1.0
	v_fma_f64 v[58:59], -v[52:53], v[54:55], 1.0
	v_fmac_f64_e32 v[54:55], v[54:55], v[58:59]
	v_fma_f64 v[58:59], -v[52:53], v[54:55], 1.0
	v_fmac_f64_e32 v[54:55], v[54:55], v[58:59]
	v_mul_f64 v[58:59], v[56:57], v[54:55]
	v_fma_f64 v[52:53], -v[52:53], v[58:59], v[56:57]
	v_div_fmas_f64 v[52:53], v[52:53], v[54:55], v[58:59]
	v_div_fixup_f64 v[50:51], v[52:53], v[50:51], 1.0
	ds_write_b64 v68, v[50:51]
.LBB123_259:
	s_or_b64 exec, exec, s[2:3]
	s_waitcnt lgkmcnt(0)
	s_barrier
	ds_read_b64 v[50:51], v68
	v_cmp_lt_u32_e32 vcc, 51, v70
	s_and_saveexec_b64 s[2:3], vcc
	s_cbranch_execz .LBB123_261
; %bb.260:
	ds_read2_b64 v[52:55], v69 offset0:52 offset1:53
	s_waitcnt lgkmcnt(1)
	v_mul_f64 v[136:137], v[50:51], v[136:137]
	s_waitcnt lgkmcnt(0)
	v_fma_f64 v[196:197], -v[136:137], v[52:53], v[196:197]
	v_fma_f64 v[134:135], -v[136:137], v[54:55], v[134:135]
	ds_read2_b64 v[52:55], v69 offset0:54 offset1:55
	s_waitcnt lgkmcnt(0)
	v_fma_f64 v[194:195], -v[136:137], v[52:53], v[194:195]
	v_fma_f64 v[132:133], -v[136:137], v[54:55], v[132:133]
	ds_read2_b64 v[52:55], v69 offset0:56 offset1:57
	;; [unrolled: 4-line block ×3, first 2 shown]
	s_waitcnt lgkmcnt(0)
	v_fma_f64 v[190:191], -v[136:137], v[52:53], v[190:191]
	s_waitcnt vmcnt(60)
	v_fma_f64 v[128:129], -v[136:137], v[54:55], v[128:129]
	ds_read2_b64 v[52:55], v69 offset0:60 offset1:61
	s_waitcnt vmcnt(57) lgkmcnt(0)
	v_fma_f64 v[188:189], -v[136:137], v[52:53], v[188:189]
	s_waitcnt vmcnt(54)
	v_fma_f64 v[248:249], -v[136:137], v[54:55], v[248:249]
.LBB123_261:
	s_or_b64 exec, exec, s[2:3]
	v_cmp_eq_u32_e32 vcc, 52, v70
	s_waitcnt lgkmcnt(0)
	s_barrier
	s_and_saveexec_b64 s[2:3], vcc
	s_cbranch_execz .LBB123_264
; %bb.262:
	ds_write_b64 v68, v[196:197]
	ds_write2_b64 v69, v[134:135], v[194:195] offset0:53 offset1:54
	ds_write2_b64 v69, v[132:133], v[192:193] offset0:55 offset1:56
	;; [unrolled: 1-line block ×3, first 2 shown]
	s_waitcnt vmcnt(57)
	ds_write2_b64 v69, v[128:129], v[188:189] offset0:59 offset1:60
	s_waitcnt vmcnt(54)
	ds_write_b64 v69, v[248:249] offset:488
	ds_read_b64 v[52:53], v68
	s_waitcnt lgkmcnt(0)
	v_cmp_neq_f64_e32 vcc, 0, v[52:53]
	s_and_b64 exec, exec, vcc
	s_cbranch_execz .LBB123_264
; %bb.263:
	v_div_scale_f64 v[54:55], s[6:7], v[52:53], v[52:53], 1.0
	v_rcp_f64_e32 v[56:57], v[54:55]
	v_div_scale_f64 v[58:59], vcc, 1.0, v[52:53], 1.0
	v_fma_f64 v[60:61], -v[54:55], v[56:57], 1.0
	v_fmac_f64_e32 v[56:57], v[56:57], v[60:61]
	v_fma_f64 v[60:61], -v[54:55], v[56:57], 1.0
	v_fmac_f64_e32 v[56:57], v[56:57], v[60:61]
	v_mul_f64 v[60:61], v[58:59], v[56:57]
	v_fma_f64 v[54:55], -v[54:55], v[60:61], v[58:59]
	v_div_fmas_f64 v[54:55], v[54:55], v[56:57], v[60:61]
	v_div_fixup_f64 v[52:53], v[54:55], v[52:53], 1.0
	ds_write_b64 v68, v[52:53]
.LBB123_264:
	s_or_b64 exec, exec, s[2:3]
	s_waitcnt lgkmcnt(0)
	s_barrier
	ds_read_b64 v[52:53], v68
	v_cmp_lt_u32_e32 vcc, 52, v70
	s_and_saveexec_b64 s[2:3], vcc
	s_cbranch_execz .LBB123_266
; %bb.265:
	ds_read2_b64 v[54:57], v69 offset0:53 offset1:54
	s_waitcnt lgkmcnt(1)
	v_mul_f64 v[196:197], v[52:53], v[196:197]
	s_waitcnt lgkmcnt(0)
	v_fma_f64 v[134:135], -v[196:197], v[54:55], v[134:135]
	v_fma_f64 v[194:195], -v[196:197], v[56:57], v[194:195]
	ds_read2_b64 v[54:57], v69 offset0:55 offset1:56
	s_waitcnt lgkmcnt(0)
	v_fma_f64 v[132:133], -v[196:197], v[54:55], v[132:133]
	v_fma_f64 v[192:193], -v[196:197], v[56:57], v[192:193]
	ds_read2_b64 v[54:57], v69 offset0:57 offset1:58
	;; [unrolled: 4-line block ×3, first 2 shown]
	s_waitcnt vmcnt(60) lgkmcnt(0)
	v_fma_f64 v[128:129], -v[196:197], v[54:55], v[128:129]
	ds_read_b64 v[54:55], v69 offset:488
	s_waitcnt vmcnt(57)
	v_fma_f64 v[188:189], -v[196:197], v[56:57], v[188:189]
	s_waitcnt vmcnt(54) lgkmcnt(0)
	v_fma_f64 v[248:249], -v[196:197], v[54:55], v[248:249]
.LBB123_266:
	s_or_b64 exec, exec, s[2:3]
	v_cmp_eq_u32_e32 vcc, 53, v70
	s_waitcnt lgkmcnt(0)
	s_barrier
	s_and_saveexec_b64 s[2:3], vcc
	s_cbranch_execz .LBB123_269
; %bb.267:
	v_mov_b32_e32 v54, v194
	v_mov_b32_e32 v55, v195
	;; [unrolled: 1-line block ×4, first 2 shown]
	ds_write_b64 v68, v[134:135]
	ds_write2_b64 v69, v[54:55], v[56:57] offset0:54 offset1:55
	v_mov_b32_e32 v54, v192
	v_mov_b32_e32 v55, v193
	;; [unrolled: 1-line block ×4, first 2 shown]
	ds_write2_b64 v69, v[54:55], v[56:57] offset0:56 offset1:57
	v_mov_b32_e32 v54, v190
	v_mov_b32_e32 v55, v191
	s_waitcnt vmcnt(60)
	v_mov_b32_e32 v56, v128
	v_mov_b32_e32 v57, v129
	ds_write2_b64 v69, v[54:55], v[56:57] offset0:58 offset1:59
	s_waitcnt vmcnt(57)
	v_mov_b32_e32 v54, v188
	v_mov_b32_e32 v55, v189
	s_waitcnt vmcnt(54)
	ds_write2_b64 v69, v[54:55], v[248:249] offset0:60 offset1:61
	ds_read_b64 v[54:55], v68
	s_waitcnt lgkmcnt(0)
	v_cmp_neq_f64_e32 vcc, 0, v[54:55]
	s_and_b64 exec, exec, vcc
	s_cbranch_execz .LBB123_269
; %bb.268:
	v_div_scale_f64 v[56:57], s[6:7], v[54:55], v[54:55], 1.0
	v_rcp_f64_e32 v[58:59], v[56:57]
	v_div_scale_f64 v[60:61], vcc, 1.0, v[54:55], 1.0
	v_fma_f64 v[62:63], -v[56:57], v[58:59], 1.0
	v_fmac_f64_e32 v[58:59], v[58:59], v[62:63]
	v_fma_f64 v[62:63], -v[56:57], v[58:59], 1.0
	v_fmac_f64_e32 v[58:59], v[58:59], v[62:63]
	v_mul_f64 v[62:63], v[60:61], v[58:59]
	v_fma_f64 v[56:57], -v[56:57], v[62:63], v[60:61]
	v_div_fmas_f64 v[56:57], v[56:57], v[58:59], v[62:63]
	v_div_fixup_f64 v[54:55], v[56:57], v[54:55], 1.0
	ds_write_b64 v68, v[54:55]
.LBB123_269:
	s_or_b64 exec, exec, s[2:3]
	s_waitcnt lgkmcnt(0)
	s_barrier
	ds_read_b64 v[54:55], v68
	v_cmp_lt_u32_e32 vcc, 53, v70
	s_and_saveexec_b64 s[2:3], vcc
	s_cbranch_execz .LBB123_271
; %bb.270:
	ds_read2_b64 v[56:59], v69 offset0:54 offset1:55
	s_waitcnt lgkmcnt(1)
	v_mul_f64 v[134:135], v[54:55], v[134:135]
	s_waitcnt lgkmcnt(0)
	v_fma_f64 v[194:195], -v[134:135], v[56:57], v[194:195]
	v_fma_f64 v[132:133], -v[134:135], v[58:59], v[132:133]
	ds_read2_b64 v[56:59], v69 offset0:56 offset1:57
	s_waitcnt lgkmcnt(0)
	v_fma_f64 v[192:193], -v[134:135], v[56:57], v[192:193]
	v_fma_f64 v[130:131], -v[134:135], v[58:59], v[130:131]
	ds_read2_b64 v[56:59], v69 offset0:58 offset1:59
	s_waitcnt lgkmcnt(0)
	v_fma_f64 v[190:191], -v[134:135], v[56:57], v[190:191]
	s_waitcnt vmcnt(60)
	v_fma_f64 v[128:129], -v[134:135], v[58:59], v[128:129]
	ds_read2_b64 v[56:59], v69 offset0:60 offset1:61
	s_waitcnt vmcnt(57) lgkmcnt(0)
	v_fma_f64 v[188:189], -v[134:135], v[56:57], v[188:189]
	s_waitcnt vmcnt(54)
	v_fma_f64 v[248:249], -v[134:135], v[58:59], v[248:249]
.LBB123_271:
	s_or_b64 exec, exec, s[2:3]
	v_cmp_eq_u32_e32 vcc, 54, v70
	s_waitcnt lgkmcnt(0)
	s_barrier
	s_and_saveexec_b64 s[2:3], vcc
	s_cbranch_execz .LBB123_274
; %bb.272:
	ds_write_b64 v68, v[194:195]
	ds_write2_b64 v69, v[132:133], v[192:193] offset0:55 offset1:56
	ds_write2_b64 v69, v[130:131], v[190:191] offset0:57 offset1:58
	s_waitcnt vmcnt(57)
	ds_write2_b64 v69, v[128:129], v[188:189] offset0:59 offset1:60
	s_waitcnt vmcnt(54)
	ds_write_b64 v69, v[248:249] offset:488
	ds_read_b64 v[56:57], v68
	s_waitcnt lgkmcnt(0)
	v_cmp_neq_f64_e32 vcc, 0, v[56:57]
	s_and_b64 exec, exec, vcc
	s_cbranch_execz .LBB123_274
; %bb.273:
	v_div_scale_f64 v[58:59], s[6:7], v[56:57], v[56:57], 1.0
	v_rcp_f64_e32 v[60:61], v[58:59]
	v_div_scale_f64 v[62:63], vcc, 1.0, v[56:57], 1.0
	v_fma_f64 v[64:65], -v[58:59], v[60:61], 1.0
	v_fmac_f64_e32 v[60:61], v[60:61], v[64:65]
	v_fma_f64 v[64:65], -v[58:59], v[60:61], 1.0
	v_fmac_f64_e32 v[60:61], v[60:61], v[64:65]
	v_mul_f64 v[64:65], v[62:63], v[60:61]
	v_fma_f64 v[58:59], -v[58:59], v[64:65], v[62:63]
	v_div_fmas_f64 v[58:59], v[58:59], v[60:61], v[64:65]
	v_div_fixup_f64 v[56:57], v[58:59], v[56:57], 1.0
	ds_write_b64 v68, v[56:57]
.LBB123_274:
	s_or_b64 exec, exec, s[2:3]
	s_waitcnt lgkmcnt(0)
	s_barrier
	ds_read_b64 v[56:57], v68
	v_cmp_lt_u32_e32 vcc, 54, v70
	s_and_saveexec_b64 s[2:3], vcc
	s_cbranch_execz .LBB123_276
; %bb.275:
	ds_read2_b64 v[58:61], v69 offset0:55 offset1:56
	s_waitcnt lgkmcnt(1)
	v_mul_f64 v[194:195], v[56:57], v[194:195]
	s_waitcnt lgkmcnt(0)
	v_fma_f64 v[132:133], -v[194:195], v[58:59], v[132:133]
	v_fma_f64 v[192:193], -v[194:195], v[60:61], v[192:193]
	ds_read2_b64 v[58:61], v69 offset0:57 offset1:58
	s_waitcnt lgkmcnt(0)
	v_fma_f64 v[130:131], -v[194:195], v[58:59], v[130:131]
	v_fma_f64 v[190:191], -v[194:195], v[60:61], v[190:191]
	ds_read2_b64 v[58:61], v69 offset0:59 offset1:60
	s_waitcnt vmcnt(60) lgkmcnt(0)
	v_fma_f64 v[128:129], -v[194:195], v[58:59], v[128:129]
	ds_read_b64 v[58:59], v69 offset:488
	s_waitcnt vmcnt(57)
	v_fma_f64 v[188:189], -v[194:195], v[60:61], v[188:189]
	s_waitcnt vmcnt(54) lgkmcnt(0)
	v_fma_f64 v[248:249], -v[194:195], v[58:59], v[248:249]
.LBB123_276:
	s_or_b64 exec, exec, s[2:3]
	v_cmp_eq_u32_e32 vcc, 55, v70
	s_waitcnt lgkmcnt(0)
	s_barrier
	s_and_saveexec_b64 s[2:3], vcc
	s_cbranch_execz .LBB123_279
; %bb.277:
	v_mov_b32_e32 v58, v192
	v_mov_b32_e32 v59, v193
	;; [unrolled: 1-line block ×4, first 2 shown]
	ds_write_b64 v68, v[132:133]
	ds_write2_b64 v69, v[58:59], v[60:61] offset0:56 offset1:57
	v_mov_b32_e32 v58, v190
	v_mov_b32_e32 v59, v191
	s_waitcnt vmcnt(60)
	v_mov_b32_e32 v60, v128
	v_mov_b32_e32 v61, v129
	ds_write2_b64 v69, v[58:59], v[60:61] offset0:58 offset1:59
	s_waitcnt vmcnt(57)
	v_mov_b32_e32 v58, v188
	v_mov_b32_e32 v59, v189
	s_waitcnt vmcnt(54)
	ds_write2_b64 v69, v[58:59], v[248:249] offset0:60 offset1:61
	ds_read_b64 v[58:59], v68
	s_waitcnt lgkmcnt(0)
	v_cmp_neq_f64_e32 vcc, 0, v[58:59]
	s_and_b64 exec, exec, vcc
	s_cbranch_execz .LBB123_279
; %bb.278:
	v_div_scale_f64 v[60:61], s[6:7], v[58:59], v[58:59], 1.0
	v_rcp_f64_e32 v[62:63], v[60:61]
	v_div_scale_f64 v[64:65], vcc, 1.0, v[58:59], 1.0
	v_fma_f64 v[66:67], -v[60:61], v[62:63], 1.0
	v_fmac_f64_e32 v[62:63], v[62:63], v[66:67]
	v_fma_f64 v[66:67], -v[60:61], v[62:63], 1.0
	v_fmac_f64_e32 v[62:63], v[62:63], v[66:67]
	v_mul_f64 v[66:67], v[64:65], v[62:63]
	v_fma_f64 v[60:61], -v[60:61], v[66:67], v[64:65]
	v_div_fmas_f64 v[60:61], v[60:61], v[62:63], v[66:67]
	v_div_fixup_f64 v[58:59], v[60:61], v[58:59], 1.0
	ds_write_b64 v68, v[58:59]
.LBB123_279:
	s_or_b64 exec, exec, s[2:3]
	s_waitcnt lgkmcnt(0)
	s_barrier
	ds_read_b64 v[58:59], v68
	v_cmp_lt_u32_e32 vcc, 55, v70
	s_and_saveexec_b64 s[2:3], vcc
	s_cbranch_execz .LBB123_281
; %bb.280:
	ds_read2_b64 v[60:63], v69 offset0:56 offset1:57
	s_waitcnt lgkmcnt(1)
	v_mul_f64 v[132:133], v[58:59], v[132:133]
	s_waitcnt lgkmcnt(0)
	v_fma_f64 v[192:193], -v[132:133], v[60:61], v[192:193]
	v_fma_f64 v[130:131], -v[132:133], v[62:63], v[130:131]
	ds_read2_b64 v[60:63], v69 offset0:58 offset1:59
	s_waitcnt lgkmcnt(0)
	v_fma_f64 v[190:191], -v[132:133], v[60:61], v[190:191]
	s_waitcnt vmcnt(60)
	v_fma_f64 v[128:129], -v[132:133], v[62:63], v[128:129]
	ds_read2_b64 v[60:63], v69 offset0:60 offset1:61
	s_waitcnt vmcnt(57) lgkmcnt(0)
	v_fma_f64 v[188:189], -v[132:133], v[60:61], v[188:189]
	s_waitcnt vmcnt(54)
	v_fma_f64 v[248:249], -v[132:133], v[62:63], v[248:249]
.LBB123_281:
	s_or_b64 exec, exec, s[2:3]
	v_cmp_eq_u32_e32 vcc, 56, v70
	s_waitcnt lgkmcnt(0)
	s_barrier
	s_and_saveexec_b64 s[2:3], vcc
	s_cbranch_execz .LBB123_284
; %bb.282:
	ds_write_b64 v68, v[192:193]
	ds_write2_b64 v69, v[130:131], v[190:191] offset0:57 offset1:58
	s_waitcnt vmcnt(57)
	ds_write2_b64 v69, v[128:129], v[188:189] offset0:59 offset1:60
	s_waitcnt vmcnt(54)
	ds_write_b64 v69, v[248:249] offset:488
	ds_read_b64 v[60:61], v68
	s_waitcnt lgkmcnt(0)
	v_cmp_neq_f64_e32 vcc, 0, v[60:61]
	s_and_b64 exec, exec, vcc
	s_cbranch_execz .LBB123_284
; %bb.283:
	v_div_scale_f64 v[62:63], s[6:7], v[60:61], v[60:61], 1.0
	v_rcp_f64_e32 v[64:65], v[62:63]
	v_div_scale_f64 v[66:67], vcc, 1.0, v[60:61], 1.0
	v_fma_f64 v[72:73], -v[62:63], v[64:65], 1.0
	v_fmac_f64_e32 v[64:65], v[64:65], v[72:73]
	v_fma_f64 v[72:73], -v[62:63], v[64:65], 1.0
	v_fmac_f64_e32 v[64:65], v[64:65], v[72:73]
	v_mul_f64 v[72:73], v[66:67], v[64:65]
	v_fma_f64 v[62:63], -v[62:63], v[72:73], v[66:67]
	v_div_fmas_f64 v[62:63], v[62:63], v[64:65], v[72:73]
	v_div_fixup_f64 v[60:61], v[62:63], v[60:61], 1.0
	ds_write_b64 v68, v[60:61]
.LBB123_284:
	s_or_b64 exec, exec, s[2:3]
	s_waitcnt lgkmcnt(0)
	s_barrier
	ds_read_b64 v[252:253], v68
	v_cmp_lt_u32_e32 vcc, 56, v70
	s_and_saveexec_b64 s[2:3], vcc
	s_cbranch_execz .LBB123_286
; %bb.285:
	ds_read2_b64 v[60:63], v69 offset0:57 offset1:58
	s_waitcnt lgkmcnt(1)
	v_mul_f64 v[192:193], v[252:253], v[192:193]
	s_waitcnt lgkmcnt(0)
	v_fma_f64 v[130:131], -v[192:193], v[60:61], v[130:131]
	v_fma_f64 v[190:191], -v[192:193], v[62:63], v[190:191]
	ds_read2_b64 v[60:63], v69 offset0:59 offset1:60
	s_waitcnt vmcnt(60) lgkmcnt(0)
	v_fma_f64 v[128:129], -v[192:193], v[60:61], v[128:129]
	ds_read_b64 v[60:61], v69 offset:488
	s_waitcnt vmcnt(57)
	v_fma_f64 v[188:189], -v[192:193], v[62:63], v[188:189]
	s_waitcnt vmcnt(54) lgkmcnt(0)
	v_fma_f64 v[248:249], -v[192:193], v[60:61], v[248:249]
.LBB123_286:
	s_or_b64 exec, exec, s[2:3]
	v_cmp_eq_u32_e32 vcc, 57, v70
	s_waitcnt lgkmcnt(0)
	s_barrier
	s_and_saveexec_b64 s[2:3], vcc
	s_cbranch_execz .LBB123_289
; %bb.287:
	v_mov_b32_e32 v60, v190
	v_mov_b32_e32 v61, v191
	s_waitcnt vmcnt(60)
	v_mov_b32_e32 v62, v128
	v_mov_b32_e32 v63, v129
	ds_write_b64 v68, v[130:131]
	ds_write2_b64 v69, v[60:61], v[62:63] offset0:58 offset1:59
	s_waitcnt vmcnt(57)
	v_mov_b32_e32 v60, v188
	v_mov_b32_e32 v61, v189
	s_waitcnt vmcnt(54)
	ds_write2_b64 v69, v[60:61], v[248:249] offset0:60 offset1:61
	ds_read_b64 v[60:61], v68
	s_waitcnt lgkmcnt(0)
	v_cmp_neq_f64_e32 vcc, 0, v[60:61]
	s_and_b64 exec, exec, vcc
	s_cbranch_execz .LBB123_289
; %bb.288:
	v_div_scale_f64 v[62:63], s[6:7], v[60:61], v[60:61], 1.0
	v_rcp_f64_e32 v[64:65], v[62:63]
	v_div_scale_f64 v[66:67], vcc, 1.0, v[60:61], 1.0
	v_fma_f64 v[72:73], -v[62:63], v[64:65], 1.0
	v_fmac_f64_e32 v[64:65], v[64:65], v[72:73]
	v_fma_f64 v[72:73], -v[62:63], v[64:65], 1.0
	v_fmac_f64_e32 v[64:65], v[64:65], v[72:73]
	v_mul_f64 v[72:73], v[66:67], v[64:65]
	v_fma_f64 v[62:63], -v[62:63], v[72:73], v[66:67]
	v_div_fmas_f64 v[62:63], v[62:63], v[64:65], v[72:73]
	v_div_fixup_f64 v[60:61], v[62:63], v[60:61], 1.0
	ds_write_b64 v68, v[60:61]
.LBB123_289:
	s_or_b64 exec, exec, s[2:3]
	s_waitcnt lgkmcnt(0)
	s_barrier
	ds_read_b64 v[60:61], v68
	v_cmp_lt_u32_e32 vcc, 57, v70
	s_and_saveexec_b64 s[2:3], vcc
	s_cbranch_execz .LBB123_291
; %bb.290:
	ds_read2_b64 v[62:65], v69 offset0:58 offset1:59
	s_waitcnt lgkmcnt(1)
	v_mul_f64 v[130:131], v[60:61], v[130:131]
	s_waitcnt lgkmcnt(0)
	v_fma_f64 v[190:191], -v[130:131], v[62:63], v[190:191]
	s_waitcnt vmcnt(60)
	v_fma_f64 v[128:129], -v[130:131], v[64:65], v[128:129]
	ds_read2_b64 v[62:65], v69 offset0:60 offset1:61
	s_waitcnt vmcnt(57) lgkmcnt(0)
	v_fma_f64 v[188:189], -v[130:131], v[62:63], v[188:189]
	s_waitcnt vmcnt(54)
	v_fma_f64 v[248:249], -v[130:131], v[64:65], v[248:249]
.LBB123_291:
	s_or_b64 exec, exec, s[2:3]
	v_cmp_eq_u32_e32 vcc, 58, v70
	s_waitcnt lgkmcnt(0)
	s_barrier
	s_and_saveexec_b64 s[2:3], vcc
	s_cbranch_execz .LBB123_294
; %bb.292:
	ds_write_b64 v68, v[190:191]
	s_waitcnt vmcnt(57)
	ds_write2_b64 v69, v[128:129], v[188:189] offset0:59 offset1:60
	s_waitcnt vmcnt(54)
	ds_write_b64 v69, v[248:249] offset:488
	ds_read_b64 v[62:63], v68
	s_waitcnt lgkmcnt(0)
	v_cmp_neq_f64_e32 vcc, 0, v[62:63]
	s_and_b64 exec, exec, vcc
	s_cbranch_execz .LBB123_294
; %bb.293:
	v_div_scale_f64 v[64:65], s[6:7], v[62:63], v[62:63], 1.0
	v_rcp_f64_e32 v[66:67], v[64:65]
	v_div_scale_f64 v[72:73], vcc, 1.0, v[62:63], 1.0
	v_fma_f64 v[74:75], -v[64:65], v[66:67], 1.0
	v_fmac_f64_e32 v[66:67], v[66:67], v[74:75]
	v_fma_f64 v[74:75], -v[64:65], v[66:67], 1.0
	v_fmac_f64_e32 v[66:67], v[66:67], v[74:75]
	v_mul_f64 v[74:75], v[72:73], v[66:67]
	v_fma_f64 v[64:65], -v[64:65], v[74:75], v[72:73]
	v_div_fmas_f64 v[64:65], v[64:65], v[66:67], v[74:75]
	v_div_fixup_f64 v[62:63], v[64:65], v[62:63], 1.0
	ds_write_b64 v68, v[62:63]
.LBB123_294:
	s_or_b64 exec, exec, s[2:3]
	s_waitcnt lgkmcnt(0)
	s_barrier
	ds_read_b64 v[62:63], v68
	v_cmp_lt_u32_e32 vcc, 58, v70
	s_and_saveexec_b64 s[2:3], vcc
	s_cbranch_execz .LBB123_296
; %bb.295:
	ds_read2_b64 v[64:67], v69 offset0:59 offset1:60
	s_waitcnt lgkmcnt(1)
	v_mul_f64 v[190:191], v[62:63], v[190:191]
	s_waitcnt vmcnt(60) lgkmcnt(0)
	v_fma_f64 v[128:129], -v[190:191], v[64:65], v[128:129]
	ds_read_b64 v[64:65], v69 offset:488
	s_waitcnt vmcnt(57)
	v_fma_f64 v[188:189], -v[190:191], v[66:67], v[188:189]
	s_waitcnt vmcnt(54) lgkmcnt(0)
	v_fma_f64 v[248:249], -v[190:191], v[64:65], v[248:249]
.LBB123_296:
	s_or_b64 exec, exec, s[2:3]
	v_cmp_eq_u32_e32 vcc, 59, v70
	s_waitcnt lgkmcnt(0)
	s_barrier
	s_and_saveexec_b64 s[2:3], vcc
	s_cbranch_execz .LBB123_299
; %bb.297:
	s_waitcnt vmcnt(57)
	v_mov_b32_e32 v64, v188
	v_mov_b32_e32 v65, v189
	ds_write_b64 v68, v[128:129]
	s_waitcnt vmcnt(54)
	ds_write2_b64 v69, v[64:65], v[248:249] offset0:60 offset1:61
	ds_read_b64 v[64:65], v68
	s_waitcnt lgkmcnt(0)
	v_cmp_neq_f64_e32 vcc, 0, v[64:65]
	s_and_b64 exec, exec, vcc
	s_cbranch_execz .LBB123_299
; %bb.298:
	v_div_scale_f64 v[66:67], s[6:7], v[64:65], v[64:65], 1.0
	v_rcp_f64_e32 v[72:73], v[66:67]
	v_pk_mov_b32 v[0:1], v[2:3], v[2:3] op_sel:[0,1]
	v_pk_mov_b32 v[2:3], v[76:77], v[76:77] op_sel:[0,1]
	v_div_scale_f64 v[74:75], vcc, 1.0, v[64:65], 1.0
	v_fma_f64 v[76:77], -v[66:67], v[72:73], 1.0
	v_fmac_f64_e32 v[72:73], v[72:73], v[76:77]
	v_fma_f64 v[76:77], -v[66:67], v[72:73], 1.0
	v_fmac_f64_e32 v[72:73], v[72:73], v[76:77]
	v_mul_f64 v[76:77], v[74:75], v[72:73]
	v_fma_f64 v[66:67], -v[66:67], v[76:77], v[74:75]
	v_div_fmas_f64 v[66:67], v[66:67], v[72:73], v[76:77]
	v_pk_mov_b32 v[76:77], v[2:3], v[2:3] op_sel:[0,1]
	v_pk_mov_b32 v[2:3], v[0:1], v[0:1] op_sel:[0,1]
	v_div_fixup_f64 v[64:65], v[66:67], v[64:65], 1.0
	ds_write_b64 v68, v[64:65]
.LBB123_299:
	s_or_b64 exec, exec, s[2:3]
	s_waitcnt lgkmcnt(0)
	s_barrier
	ds_read_b64 v[64:65], v68
	v_cmp_lt_u32_e32 vcc, 59, v70
	s_and_saveexec_b64 s[2:3], vcc
	s_cbranch_execz .LBB123_301
; %bb.300:
	ds_read2_b64 v[72:75], v69 offset0:60 offset1:61
	s_waitcnt vmcnt(60) lgkmcnt(1)
	v_mul_f64 v[128:129], v[64:65], v[128:129]
	s_waitcnt vmcnt(57) lgkmcnt(0)
	v_fma_f64 v[188:189], -v[128:129], v[72:73], v[188:189]
	s_waitcnt vmcnt(54)
	v_fma_f64 v[248:249], -v[128:129], v[74:75], v[248:249]
.LBB123_301:
	s_or_b64 exec, exec, s[2:3]
	v_cmp_eq_u32_e32 vcc, 60, v70
	s_waitcnt lgkmcnt(0)
	s_barrier
	s_and_saveexec_b64 s[2:3], vcc
	s_cbranch_execz .LBB123_304
; %bb.302:
	s_waitcnt vmcnt(57)
	ds_write_b64 v68, v[188:189]
	s_waitcnt vmcnt(54)
	ds_write_b64 v69, v[248:249] offset:488
	ds_read_b64 v[66:67], v68
	s_waitcnt lgkmcnt(0)
	v_cmp_neq_f64_e32 vcc, 0, v[66:67]
	s_and_b64 exec, exec, vcc
	s_cbranch_execz .LBB123_304
; %bb.303:
	v_div_scale_f64 v[72:73], s[6:7], v[66:67], v[66:67], 1.0
	v_rcp_f64_e32 v[74:75], v[72:73]
	buffer_store_dword v68, off, s[16:19], 0 offset:504 ; 4-byte Folded Spill
	v_mov_b32_e32 v68, v70
	v_pk_mov_b32 v[70:71], v[226:227], v[226:227] op_sel:[0,1]
	v_pk_mov_b32 v[226:227], v[166:167], v[166:167] op_sel:[0,1]
	;; [unrolled: 1-line block ×73, first 2 shown]
	v_fma_f64 v[78:79], -v[72:73], v[74:75], 1.0
	v_fmac_f64_e32 v[74:75], v[74:75], v[78:79]
	v_fma_f64 v[78:79], -v[72:73], v[74:75], 1.0
	v_pk_mov_b32 v[0:1], v[250:251], v[250:251] op_sel:[0,1]
	v_pk_mov_b32 v[250:251], v[254:255], v[254:255] op_sel:[0,1]
	;; [unrolled: 1-line block ×3, first 2 shown]
	v_div_scale_f64 v[76:77], vcc, 1.0, v[66:67], 1.0
	v_fmac_f64_e32 v[74:75], v[74:75], v[78:79]
	v_mul_f64 v[78:79], v[76:77], v[74:75]
	v_fma_f64 v[72:73], -v[72:73], v[78:79], v[76:77]
	s_nop 0
	v_div_fmas_f64 v[72:73], v[72:73], v[74:75], v[78:79]
	v_pk_mov_b32 v[78:79], v[82:83], v[82:83] op_sel:[0,1]
	v_pk_mov_b32 v[82:83], v[84:85], v[84:85] op_sel:[0,1]
	v_pk_mov_b32 v[84:85], v[86:87], v[86:87] op_sel:[0,1]
	v_pk_mov_b32 v[86:87], v[88:89], v[88:89] op_sel:[0,1]
	v_pk_mov_b32 v[88:89], v[90:91], v[90:91] op_sel:[0,1]
	v_pk_mov_b32 v[90:91], v[92:93], v[92:93] op_sel:[0,1]
	v_pk_mov_b32 v[92:93], v[94:95], v[94:95] op_sel:[0,1]
	v_pk_mov_b32 v[94:95], v[96:97], v[96:97] op_sel:[0,1]
	v_pk_mov_b32 v[96:97], v[98:99], v[98:99] op_sel:[0,1]
	v_pk_mov_b32 v[98:99], v[100:101], v[100:101] op_sel:[0,1]
	v_pk_mov_b32 v[100:101], v[102:103], v[102:103] op_sel:[0,1]
	v_pk_mov_b32 v[102:103], v[104:105], v[104:105] op_sel:[0,1]
	v_pk_mov_b32 v[104:105], v[106:107], v[106:107] op_sel:[0,1]
	v_pk_mov_b32 v[106:107], v[108:109], v[108:109] op_sel:[0,1]
	v_pk_mov_b32 v[108:109], v[110:111], v[110:111] op_sel:[0,1]
	v_pk_mov_b32 v[110:111], v[112:113], v[112:113] op_sel:[0,1]
	v_pk_mov_b32 v[112:113], v[114:115], v[114:115] op_sel:[0,1]
	v_pk_mov_b32 v[114:115], v[116:117], v[116:117] op_sel:[0,1]
	v_pk_mov_b32 v[116:117], v[118:119], v[118:119] op_sel:[0,1]
	v_pk_mov_b32 v[118:119], v[120:121], v[120:121] op_sel:[0,1]
	v_pk_mov_b32 v[120:121], v[124:125], v[124:125] op_sel:[0,1]
	v_pk_mov_b32 v[124:125], v[2:3], v[2:3] op_sel:[0,1]
	v_pk_mov_b32 v[2:3], v[4:5], v[4:5] op_sel:[0,1]
	v_pk_mov_b32 v[4:5], v[6:7], v[6:7] op_sel:[0,1]
	v_pk_mov_b32 v[6:7], v[122:123], v[122:123] op_sel:[0,1]
	v_pk_mov_b32 v[122:123], v[8:9], v[8:9] op_sel:[0,1]
	v_pk_mov_b32 v[8:9], v[10:11], v[10:11] op_sel:[0,1]
	v_pk_mov_b32 v[10:11], v[12:13], v[12:13] op_sel:[0,1]
	v_pk_mov_b32 v[12:13], v[14:15], v[14:15] op_sel:[0,1]
	v_pk_mov_b32 v[14:15], v[16:17], v[16:17] op_sel:[0,1]
	v_pk_mov_b32 v[16:17], v[18:19], v[18:19] op_sel:[0,1]
	v_pk_mov_b32 v[18:19], v[20:21], v[20:21] op_sel:[0,1]
	v_pk_mov_b32 v[20:21], v[22:23], v[22:23] op_sel:[0,1]
	v_pk_mov_b32 v[22:23], v[24:25], v[24:25] op_sel:[0,1]
	v_pk_mov_b32 v[24:25], v[26:27], v[26:27] op_sel:[0,1]
	v_pk_mov_b32 v[26:27], v[28:29], v[28:29] op_sel:[0,1]
	v_pk_mov_b32 v[28:29], v[30:31], v[30:31] op_sel:[0,1]
	v_pk_mov_b32 v[30:31], v[32:33], v[32:33] op_sel:[0,1]
	v_pk_mov_b32 v[32:33], v[34:35], v[34:35] op_sel:[0,1]
	v_pk_mov_b32 v[34:35], v[36:37], v[36:37] op_sel:[0,1]
	v_pk_mov_b32 v[36:37], v[38:39], v[38:39] op_sel:[0,1]
	v_pk_mov_b32 v[38:39], v[40:41], v[40:41] op_sel:[0,1]
	v_pk_mov_b32 v[40:41], v[42:43], v[42:43] op_sel:[0,1]
	v_pk_mov_b32 v[42:43], v[44:45], v[44:45] op_sel:[0,1]
	v_pk_mov_b32 v[44:45], v[46:47], v[46:47] op_sel:[0,1]
	v_pk_mov_b32 v[46:47], v[126:127], v[126:127] op_sel:[0,1]
	v_pk_mov_b32 v[126:127], v[186:187], v[186:187] op_sel:[0,1]
	v_pk_mov_b32 v[186:187], v[246:247], v[246:247] op_sel:[0,1]
	v_pk_mov_b32 v[246:247], v[184:185], v[184:185] op_sel:[0,1]
	v_pk_mov_b32 v[184:185], v[48:49], v[48:49] op_sel:[0,1]
	v_pk_mov_b32 v[48:49], v[244:245], v[244:245] op_sel:[0,1]
	v_pk_mov_b32 v[244:245], v[182:183], v[182:183] op_sel:[0,1]
	v_pk_mov_b32 v[182:183], v[242:243], v[242:243] op_sel:[0,1]
	v_pk_mov_b32 v[242:243], v[180:181], v[180:181] op_sel:[0,1]
	v_pk_mov_b32 v[180:181], v[50:51], v[50:51] op_sel:[0,1]
	v_pk_mov_b32 v[50:51], v[240:241], v[240:241] op_sel:[0,1]
	v_pk_mov_b32 v[240:241], v[178:179], v[178:179] op_sel:[0,1]
	v_pk_mov_b32 v[178:179], v[238:239], v[238:239] op_sel:[0,1]
	v_pk_mov_b32 v[238:239], v[176:177], v[176:177] op_sel:[0,1]
	v_pk_mov_b32 v[176:177], v[236:237], v[236:237] op_sel:[0,1]
	v_pk_mov_b32 v[236:237], v[52:53], v[52:53] op_sel:[0,1]
	v_pk_mov_b32 v[52:53], v[174:175], v[174:175] op_sel:[0,1]
	v_pk_mov_b32 v[174:175], v[234:235], v[234:235] op_sel:[0,1]
	v_pk_mov_b32 v[234:235], v[172:173], v[172:173] op_sel:[0,1]
	v_pk_mov_b32 v[172:173], v[232:233], v[232:233] op_sel:[0,1]
	v_pk_mov_b32 v[232:233], v[170:171], v[170:171] op_sel:[0,1]
	v_pk_mov_b32 v[170:171], v[230:231], v[230:231] op_sel:[0,1]
	v_pk_mov_b32 v[230:231], v[54:55], v[54:55] op_sel:[0,1]
	v_pk_mov_b32 v[54:55], v[168:169], v[168:169] op_sel:[0,1]
	v_pk_mov_b32 v[168:169], v[228:229], v[228:229] op_sel:[0,1]
	v_pk_mov_b32 v[228:229], v[166:167], v[166:167] op_sel:[0,1]
	v_pk_mov_b32 v[166:167], v[226:227], v[226:227] op_sel:[0,1]
	v_pk_mov_b32 v[226:227], v[70:71], v[70:71] op_sel:[0,1]
	v_mov_b32_e32 v70, v68
	buffer_load_dword v68, off, s[16:19], 0 offset:504 ; 4-byte Folded Reload
	v_pk_mov_b32 v[76:77], v[254:255], v[254:255] op_sel:[0,1]
	v_pk_mov_b32 v[254:255], v[250:251], v[250:251] op_sel:[0,1]
	;; [unrolled: 1-line block ×3, first 2 shown]
	v_div_fixup_f64 v[66:67], v[72:73], v[66:67], 1.0
	s_waitcnt vmcnt(0)
	ds_write_b64 v68, v[66:67]
.LBB123_304:
	s_or_b64 exec, exec, s[2:3]
	s_waitcnt lgkmcnt(0)
	s_barrier
	ds_read_b64 v[66:67], v68
	v_cmp_lt_u32_e32 vcc, 60, v70
	s_and_saveexec_b64 s[2:3], vcc
	s_cbranch_execz .LBB123_306
; %bb.305:
	ds_read_b64 v[72:73], v69 offset:488
	s_waitcnt vmcnt(57) lgkmcnt(1)
	v_mul_f64 v[188:189], v[66:67], v[188:189]
	s_waitcnt vmcnt(54) lgkmcnt(0)
	v_fma_f64 v[248:249], -v[188:189], v[72:73], v[248:249]
.LBB123_306:
	s_or_b64 exec, exec, s[2:3]
	v_cmp_eq_u32_e32 vcc, 61, v70
	s_waitcnt lgkmcnt(0)
	s_barrier
	s_and_saveexec_b64 s[2:3], vcc
	s_cbranch_execz .LBB123_309
; %bb.307:
	s_waitcnt vmcnt(54)
	v_cmp_neq_f64_e32 vcc, 0, v[248:249]
	ds_write_b64 v68, v[248:249]
	s_and_b64 exec, exec, vcc
	s_cbranch_execz .LBB123_309
; %bb.308:
	v_div_scale_f64 v[72:73], s[6:7], v[248:249], v[248:249], 1.0
	v_rcp_f64_e32 v[74:75], v[72:73]
	v_mov_b32_e32 v69, v70
	v_pk_mov_b32 v[70:71], v[226:227], v[226:227] op_sel:[0,1]
	v_pk_mov_b32 v[226:227], v[166:167], v[166:167] op_sel:[0,1]
	;; [unrolled: 1-line block ×74, first 2 shown]
	v_fma_f64 v[78:79], -v[72:73], v[74:75], 1.0
	v_fmac_f64_e32 v[74:75], v[74:75], v[78:79]
	v_fma_f64 v[78:79], -v[72:73], v[74:75], 1.0
	v_pk_mov_b32 v[0:1], v[250:251], v[250:251] op_sel:[0,1]
	v_pk_mov_b32 v[250:251], v[254:255], v[254:255] op_sel:[0,1]
	;; [unrolled: 1-line block ×3, first 2 shown]
	v_div_scale_f64 v[76:77], vcc, 1.0, v[248:249], 1.0
	v_fmac_f64_e32 v[74:75], v[74:75], v[78:79]
	v_mul_f64 v[78:79], v[76:77], v[74:75]
	v_fma_f64 v[72:73], -v[72:73], v[78:79], v[76:77]
	s_nop 0
	v_div_fmas_f64 v[72:73], v[72:73], v[74:75], v[78:79]
	v_pk_mov_b32 v[76:77], v[254:255], v[254:255] op_sel:[0,1]
	v_pk_mov_b32 v[254:255], v[250:251], v[250:251] op_sel:[0,1]
	;; [unrolled: 1-line block ×77, first 2 shown]
	v_mov_b32_e32 v70, v69
	v_div_fixup_f64 v[72:73], v[72:73], v[248:249], 1.0
	ds_write_b64 v68, v[72:73]
.LBB123_309:
	s_or_b64 exec, exec, s[2:3]
	s_waitcnt lgkmcnt(0)
	s_barrier
	ds_read_b64 v[68:69], v68
	s_waitcnt lgkmcnt(0)
	s_barrier
	s_and_saveexec_b64 s[2:3], s[0:1]
	s_cbranch_execz .LBB123_312
; %bb.310:
	buffer_load_dword v0, off, s[16:19], 0 offset:288 ; 4-byte Folded Reload
	buffer_load_dword v1, off, s[16:19], 0 offset:292 ; 4-byte Folded Reload
	s_load_dwordx2 s[4:5], s[4:5], 0x28
	s_waitcnt vmcnt(0)
	v_cmp_eq_f64_e32 vcc, 0, v[0:1]
	buffer_load_dword v0, off, s[16:19], 0 offset:296 ; 4-byte Folded Reload
	buffer_load_dword v1, off, s[16:19], 0 offset:300 ; 4-byte Folded Reload
	v_cndmask_b32_e64 v71, 0, 1, vcc
	s_waitcnt vmcnt(0)
	v_cmp_neq_f64_e64 s[0:1], 0, v[0:1]
	buffer_load_dword v0, off, s[16:19], 0 offset:304 ; 4-byte Folded Reload
	buffer_load_dword v1, off, s[16:19], 0 offset:308 ; 4-byte Folded Reload
	s_or_b64 vcc, s[0:1], vcc
	v_cndmask_b32_e32 v71, 2, v71, vcc
	v_cmp_eq_u32_e64 s[0:1], 0, v71
	s_waitcnt vmcnt(0)
	v_cmp_eq_f64_e32 vcc, 0, v[0:1]
	buffer_load_dword v0, off, s[16:19], 0 offset:312 ; 4-byte Folded Reload
	buffer_load_dword v1, off, s[16:19], 0 offset:316 ; 4-byte Folded Reload
	s_and_b64 s[0:1], vcc, s[0:1]
	v_cndmask_b32_e64 v71, v71, 3, s[0:1]
	v_cmp_eq_u32_e64 s[0:1], 0, v71
	s_waitcnt vmcnt(0)
	v_cmp_eq_f64_e32 vcc, 0, v[0:1]
	buffer_load_dword v0, off, s[16:19], 0 offset:320 ; 4-byte Folded Reload
	buffer_load_dword v1, off, s[16:19], 0 offset:324 ; 4-byte Folded Reload
	s_and_b64 s[0:1], vcc, s[0:1]
	v_cndmask_b32_e64 v71, v71, 4, s[0:1]
	v_cmp_eq_u32_e64 s[0:1], 0, v71
	s_waitcnt vmcnt(0)
	v_cmp_eq_f64_e32 vcc, 0, v[0:1]
	buffer_load_dword v0, off, s[16:19], 0 offset:328 ; 4-byte Folded Reload
	buffer_load_dword v1, off, s[16:19], 0 offset:332 ; 4-byte Folded Reload
	s_and_b64 s[0:1], vcc, s[0:1]
	v_cndmask_b32_e64 v71, v71, 5, s[0:1]
	v_cmp_eq_u32_e64 s[0:1], 0, v71
	s_waitcnt vmcnt(0)
	v_cmp_eq_f64_e32 vcc, 0, v[0:1]
	buffer_load_dword v0, off, s[16:19], 0 offset:336 ; 4-byte Folded Reload
	buffer_load_dword v1, off, s[16:19], 0 offset:340 ; 4-byte Folded Reload
	s_and_b64 s[0:1], vcc, s[0:1]
	v_cndmask_b32_e64 v71, v71, 6, s[0:1]
	v_cmp_eq_u32_e64 s[0:1], 0, v71
	s_waitcnt vmcnt(0)
	v_cmp_eq_f64_e32 vcc, 0, v[0:1]
	buffer_load_dword v0, off, s[16:19], 0 offset:344 ; 4-byte Folded Reload
	buffer_load_dword v1, off, s[16:19], 0 offset:348 ; 4-byte Folded Reload
	s_and_b64 s[0:1], vcc, s[0:1]
	v_cndmask_b32_e64 v71, v71, 7, s[0:1]
	v_cmp_eq_u32_e64 s[0:1], 0, v71
	s_waitcnt vmcnt(0)
	v_cmp_eq_f64_e32 vcc, 0, v[0:1]
	buffer_load_dword v0, off, s[16:19], 0 offset:352 ; 4-byte Folded Reload
	buffer_load_dword v1, off, s[16:19], 0 offset:356 ; 4-byte Folded Reload
	s_and_b64 s[0:1], vcc, s[0:1]
	v_cndmask_b32_e64 v71, v71, 8, s[0:1]
	v_cmp_eq_u32_e64 s[0:1], 0, v71
	s_waitcnt vmcnt(0)
	v_cmp_eq_f64_e32 vcc, 0, v[0:1]
	buffer_load_dword v0, off, s[16:19], 0 offset:360 ; 4-byte Folded Reload
	buffer_load_dword v1, off, s[16:19], 0 offset:364 ; 4-byte Folded Reload
	s_and_b64 s[0:1], vcc, s[0:1]
	v_cndmask_b32_e64 v71, v71, 9, s[0:1]
	v_cmp_eq_u32_e64 s[0:1], 0, v71
	s_waitcnt vmcnt(0)
	v_cmp_eq_f64_e32 vcc, 0, v[0:1]
	buffer_load_dword v0, off, s[16:19], 0 offset:368 ; 4-byte Folded Reload
	buffer_load_dword v1, off, s[16:19], 0 offset:372 ; 4-byte Folded Reload
	s_and_b64 s[0:1], vcc, s[0:1]
	v_cndmask_b32_e64 v71, v71, 10, s[0:1]
	v_cmp_eq_u32_e64 s[0:1], 0, v71
	s_waitcnt vmcnt(0)
	v_cmp_eq_f64_e32 vcc, 0, v[0:1]
	buffer_load_dword v0, off, s[16:19], 0 offset:376 ; 4-byte Folded Reload
	buffer_load_dword v1, off, s[16:19], 0 offset:380 ; 4-byte Folded Reload
	s_and_b64 s[0:1], vcc, s[0:1]
	v_cndmask_b32_e64 v71, v71, 11, s[0:1]
	v_cmp_eq_u32_e64 s[0:1], 0, v71
	s_waitcnt vmcnt(0)
	v_cmp_eq_f64_e32 vcc, 0, v[0:1]
	buffer_load_dword v0, off, s[16:19], 0 offset:384 ; 4-byte Folded Reload
	buffer_load_dword v1, off, s[16:19], 0 offset:388 ; 4-byte Folded Reload
	s_and_b64 s[0:1], vcc, s[0:1]
	v_cndmask_b32_e64 v71, v71, 12, s[0:1]
	v_cmp_eq_u32_e64 s[0:1], 0, v71
	s_waitcnt vmcnt(0)
	v_cmp_eq_f64_e32 vcc, 0, v[0:1]
	buffer_load_dword v0, off, s[16:19], 0 offset:392 ; 4-byte Folded Reload
	buffer_load_dword v1, off, s[16:19], 0 offset:396 ; 4-byte Folded Reload
	s_and_b64 s[0:1], vcc, s[0:1]
	v_cndmask_b32_e64 v71, v71, 13, s[0:1]
	v_cmp_eq_u32_e64 s[0:1], 0, v71
	s_waitcnt vmcnt(0)
	v_cmp_eq_f64_e32 vcc, 0, v[0:1]
	buffer_load_dword v0, off, s[16:19], 0 offset:400 ; 4-byte Folded Reload
	buffer_load_dword v1, off, s[16:19], 0 offset:404 ; 4-byte Folded Reload
	s_and_b64 s[0:1], vcc, s[0:1]
	v_cndmask_b32_e64 v71, v71, 14, s[0:1]
	v_cmp_eq_u32_e64 s[0:1], 0, v71
	s_waitcnt vmcnt(0)
	v_cmp_eq_f64_e32 vcc, 0, v[0:1]
	buffer_load_dword v0, off, s[16:19], 0 offset:408 ; 4-byte Folded Reload
	buffer_load_dword v1, off, s[16:19], 0 offset:412 ; 4-byte Folded Reload
	s_and_b64 s[0:1], vcc, s[0:1]
	v_cndmask_b32_e64 v71, v71, 15, s[0:1]
	v_cmp_eq_u32_e64 s[0:1], 0, v71
	s_waitcnt vmcnt(0)
	v_cmp_eq_f64_e32 vcc, 0, v[0:1]
	buffer_load_dword v0, off, s[16:19], 0 offset:416 ; 4-byte Folded Reload
	buffer_load_dword v1, off, s[16:19], 0 offset:420 ; 4-byte Folded Reload
	s_and_b64 s[0:1], vcc, s[0:1]
	v_cndmask_b32_e64 v71, v71, 16, s[0:1]
	v_cmp_eq_u32_e64 s[0:1], 0, v71
	s_waitcnt vmcnt(0)
	v_cmp_eq_f64_e32 vcc, 0, v[0:1]
	buffer_load_dword v0, off, s[16:19], 0 offset:424 ; 4-byte Folded Reload
	buffer_load_dword v1, off, s[16:19], 0 offset:428 ; 4-byte Folded Reload
	s_and_b64 s[0:1], vcc, s[0:1]
	v_cndmask_b32_e64 v71, v71, 17, s[0:1]
	v_cmp_eq_u32_e64 s[0:1], 0, v71
	s_waitcnt vmcnt(0)
	v_cmp_eq_f64_e32 vcc, 0, v[0:1]
	buffer_load_dword v0, off, s[16:19], 0 offset:432 ; 4-byte Folded Reload
	buffer_load_dword v1, off, s[16:19], 0 offset:436 ; 4-byte Folded Reload
	s_and_b64 s[0:1], vcc, s[0:1]
	v_cndmask_b32_e64 v71, v71, 18, s[0:1]
	v_cmp_eq_u32_e64 s[0:1], 0, v71
	s_waitcnt vmcnt(0)
	v_cmp_eq_f64_e32 vcc, 0, v[0:1]
	buffer_load_dword v0, off, s[16:19], 0 offset:440 ; 4-byte Folded Reload
	buffer_load_dword v1, off, s[16:19], 0 offset:444 ; 4-byte Folded Reload
	s_and_b64 s[0:1], vcc, s[0:1]
	v_cndmask_b32_e64 v71, v71, 19, s[0:1]
	v_cmp_eq_u32_e64 s[0:1], 0, v71
	s_waitcnt vmcnt(0)
	v_cmp_eq_f64_e32 vcc, 0, v[0:1]
	buffer_load_dword v0, off, s[16:19], 0 offset:448 ; 4-byte Folded Reload
	buffer_load_dword v1, off, s[16:19], 0 offset:452 ; 4-byte Folded Reload
	s_and_b64 s[0:1], vcc, s[0:1]
	v_cndmask_b32_e64 v71, v71, 20, s[0:1]
	v_cmp_eq_u32_e64 s[0:1], 0, v71
	s_waitcnt vmcnt(0)
	v_cmp_eq_f64_e32 vcc, 0, v[0:1]
	buffer_load_dword v0, off, s[16:19], 0 offset:456 ; 4-byte Folded Reload
	buffer_load_dword v1, off, s[16:19], 0 offset:460 ; 4-byte Folded Reload
	s_and_b64 s[0:1], vcc, s[0:1]
	v_cndmask_b32_e64 v71, v71, 21, s[0:1]
	v_cmp_eq_u32_e64 s[0:1], 0, v71
	s_waitcnt vmcnt(0)
	v_cmp_eq_f64_e32 vcc, 0, v[0:1]
	buffer_load_dword v0, off, s[16:19], 0 offset:464 ; 4-byte Folded Reload
	buffer_load_dword v1, off, s[16:19], 0 offset:468 ; 4-byte Folded Reload
	s_and_b64 s[0:1], vcc, s[0:1]
	v_cndmask_b32_e64 v71, v71, 22, s[0:1]
	v_cmp_eq_u32_e64 s[0:1], 0, v71
	s_waitcnt vmcnt(0)
	v_cmp_eq_f64_e32 vcc, 0, v[0:1]
	buffer_load_dword v0, off, s[16:19], 0 offset:472 ; 4-byte Folded Reload
	buffer_load_dword v1, off, s[16:19], 0 offset:476 ; 4-byte Folded Reload
	s_and_b64 s[0:1], vcc, s[0:1]
	v_cndmask_b32_e64 v71, v71, 23, s[0:1]
	v_cmp_eq_u32_e64 s[0:1], 0, v71
	s_waitcnt vmcnt(0)
	v_cmp_eq_f64_e32 vcc, 0, v[0:1]
	buffer_load_dword v0, off, s[16:19], 0 offset:496 ; 4-byte Folded Reload
	buffer_load_dword v1, off, s[16:19], 0 offset:500 ; 4-byte Folded Reload
	s_and_b64 s[0:1], vcc, s[0:1]
	v_cndmask_b32_e64 v71, v71, 24, s[0:1]
	v_cmp_eq_f64_e32 vcc, 0, v[2:3]
	v_cmp_eq_u32_e64 s[0:1], 0, v71
	s_and_b64 s[0:1], vcc, s[0:1]
	v_cndmask_b32_e64 v2, v71, 25, s[0:1]
	v_cmp_eq_u32_e64 s[0:1], 0, v2
	s_waitcnt lgkmcnt(0)
	v_mov_b32_e32 v3, s5
	s_waitcnt vmcnt(0)
	v_cmp_eq_f64_e32 vcc, 0, v[0:1]
	buffer_load_dword v0, off, s[16:19], 0 offset:480 ; 4-byte Folded Reload
	buffer_load_dword v1, off, s[16:19], 0 offset:484 ; 4-byte Folded Reload
	s_and_b64 s[0:1], vcc, s[0:1]
	v_cndmask_b32_e64 v2, v2, 26, s[0:1]
	v_cmp_eq_u32_e64 s[0:1], 0, v2
	s_waitcnt vmcnt(0)
	v_cmp_eq_f64_e32 vcc, 0, v[0:1]
	buffer_load_dword v0, off, s[16:19], 0 offset:488 ; 4-byte Folded Reload
	buffer_load_dword v1, off, s[16:19], 0 offset:492 ; 4-byte Folded Reload
	s_and_b64 s[0:1], vcc, s[0:1]
	v_cndmask_b32_e64 v2, v2, 27, s[0:1]
	v_cmp_eq_u32_e64 s[0:1], 0, v2
	s_waitcnt vmcnt(0)
	v_cmp_eq_f64_e32 vcc, 0, v[0:1]
	s_and_b64 s[0:1], vcc, s[0:1]
	v_cndmask_b32_e64 v0, v2, 28, s[0:1]
	v_cmp_eq_f64_e32 vcc, 0, v[4:5]
	v_cmp_eq_u32_e64 s[0:1], 0, v0
	s_and_b64 s[0:1], vcc, s[0:1]
	v_cndmask_b32_e64 v0, v0, 29, s[0:1]
	v_cmp_eq_f64_e32 vcc, 0, v[6:7]
	v_cmp_eq_u32_e64 s[0:1], 0, v0
	;; [unrolled: 4-line block ×14, first 2 shown]
	s_and_b64 s[0:1], vcc, s[0:1]
	v_cndmask_b32_e64 v2, v0, 42, s[0:1]
	v_lshlrev_b64 v[0:1], 2, v[78:79]
	v_add_co_u32_e64 v0, s[0:1], s4, v0
	v_addc_co_u32_e64 v1, s[0:1], v3, v1, s[0:1]
	global_load_dword v3, v[0:1], off
	v_cmp_eq_f64_e32 vcc, 0, v[32:33]
	v_cmp_eq_u32_e64 s[0:1], 0, v2
	s_and_b64 s[0:1], vcc, s[0:1]
	v_cndmask_b32_e64 v2, v2, 43, s[0:1]
	v_cmp_eq_f64_e32 vcc, 0, v[34:35]
	v_cmp_eq_u32_e64 s[0:1], 0, v2
	s_and_b64 s[0:1], vcc, s[0:1]
	v_cndmask_b32_e64 v2, v2, 44, s[0:1]
	;; [unrolled: 4-line block ×20, first 2 shown]
	s_waitcnt vmcnt(0)
	v_cmp_eq_u32_e32 vcc, 0, v3
	v_cmp_ne_u32_e64 s[0:1], 0, v2
	s_and_b64 s[0:1], vcc, s[0:1]
	s_and_b64 exec, exec, s[0:1]
	s_cbranch_execz .LBB123_312
; %bb.311:
	v_add_u32_e32 v2, s9, v2
	global_store_dword v[0:1], v2, off
.LBB123_312:
	s_or_b64 exec, exec, s[2:3]
	global_store_dwordx2 v[122:123], v[126:127], off
	buffer_load_dword v2, off, s[16:19], 0 offset:280 ; 4-byte Folded Reload
	buffer_load_dword v3, off, s[16:19], 0 offset:284 ; 4-byte Folded Reload
	s_waitcnt vmcnt(57)
	v_mul_f64 v[0:1], v[68:69], v[248:249]
	v_cmp_lt_u32_e32 vcc, 61, v70
	v_cndmask_b32_e32 v1, v249, v1, vcc
	v_cndmask_b32_e32 v0, v248, v0, vcc
	s_waitcnt vmcnt(0)
	global_store_dwordx2 v[2:3], v[186:187], off
	global_store_dwordx2 v[80:81], v[246:247], off
	;; [unrolled: 1-line block ×26, first 2 shown]
	buffer_load_dword v2, off, s[16:19], 0  ; 4-byte Folded Reload
	buffer_load_dword v3, off, s[16:19], 0 offset:4 ; 4-byte Folded Reload
	s_waitcnt vmcnt(0)
	global_store_dwordx2 v[2:3], v[160:161], off
	buffer_load_dword v2, off, s[16:19], 0 offset:8 ; 4-byte Folded Reload
	s_nop 0
	buffer_load_dword v3, off, s[16:19], 0 offset:12 ; 4-byte Folded Reload
	s_waitcnt vmcnt(0)
	global_store_dwordx2 v[2:3], v[220:221], off
	buffer_load_dword v2, off, s[16:19], 0 offset:16 ; 4-byte Folded Reload
	s_nop 0
	;; [unrolled: 5-line block ×34, first 2 shown]
	buffer_load_dword v3, off, s[16:19], 0 offset:276 ; 4-byte Folded Reload
	s_waitcnt vmcnt(0)
	global_store_dwordx2 v[2:3], v[0:1], off
.LBB123_313:
	s_endpgm
	.section	.rodata,"a",@progbits
	.p2align	6, 0x0
	.amdhsa_kernel _ZN9rocsolver6v33100L23getf2_npvt_small_kernelILi62EdiiPKPdEEvT1_T3_lS5_lPT2_S5_S5_
		.amdhsa_group_segment_fixed_size 0
		.amdhsa_private_segment_fixed_size 512
		.amdhsa_kernarg_size 312
		.amdhsa_user_sgpr_count 6
		.amdhsa_user_sgpr_private_segment_buffer 1
		.amdhsa_user_sgpr_dispatch_ptr 0
		.amdhsa_user_sgpr_queue_ptr 0
		.amdhsa_user_sgpr_kernarg_segment_ptr 1
		.amdhsa_user_sgpr_dispatch_id 0
		.amdhsa_user_sgpr_flat_scratch_init 0
		.amdhsa_user_sgpr_kernarg_preload_length 0
		.amdhsa_user_sgpr_kernarg_preload_offset 0
		.amdhsa_user_sgpr_private_segment_size 0
		.amdhsa_uses_dynamic_stack 0
		.amdhsa_system_sgpr_private_segment_wavefront_offset 1
		.amdhsa_system_sgpr_workgroup_id_x 1
		.amdhsa_system_sgpr_workgroup_id_y 1
		.amdhsa_system_sgpr_workgroup_id_z 0
		.amdhsa_system_sgpr_workgroup_info 0
		.amdhsa_system_vgpr_workitem_id 1
		.amdhsa_next_free_vgpr 256
		.amdhsa_next_free_sgpr 20
		.amdhsa_accum_offset 256
		.amdhsa_reserve_vcc 1
		.amdhsa_reserve_flat_scratch 0
		.amdhsa_float_round_mode_32 0
		.amdhsa_float_round_mode_16_64 0
		.amdhsa_float_denorm_mode_32 3
		.amdhsa_float_denorm_mode_16_64 3
		.amdhsa_dx10_clamp 1
		.amdhsa_ieee_mode 1
		.amdhsa_fp16_overflow 0
		.amdhsa_tg_split 0
		.amdhsa_exception_fp_ieee_invalid_op 0
		.amdhsa_exception_fp_denorm_src 0
		.amdhsa_exception_fp_ieee_div_zero 0
		.amdhsa_exception_fp_ieee_overflow 0
		.amdhsa_exception_fp_ieee_underflow 0
		.amdhsa_exception_fp_ieee_inexact 0
		.amdhsa_exception_int_div_zero 0
	.end_amdhsa_kernel
	.section	.text._ZN9rocsolver6v33100L23getf2_npvt_small_kernelILi62EdiiPKPdEEvT1_T3_lS5_lPT2_S5_S5_,"axG",@progbits,_ZN9rocsolver6v33100L23getf2_npvt_small_kernelILi62EdiiPKPdEEvT1_T3_lS5_lPT2_S5_S5_,comdat
.Lfunc_end123:
	.size	_ZN9rocsolver6v33100L23getf2_npvt_small_kernelILi62EdiiPKPdEEvT1_T3_lS5_lPT2_S5_S5_, .Lfunc_end123-_ZN9rocsolver6v33100L23getf2_npvt_small_kernelILi62EdiiPKPdEEvT1_T3_lS5_lPT2_S5_S5_
                                        ; -- End function
	.section	.AMDGPU.csdata,"",@progbits
; Kernel info:
; codeLenInByte = 64612
; NumSgprs: 24
; NumVgprs: 256
; NumAgprs: 0
; TotalNumVgprs: 256
; ScratchSize: 512
; MemoryBound: 0
; FloatMode: 240
; IeeeMode: 1
; LDSByteSize: 0 bytes/workgroup (compile time only)
; SGPRBlocks: 2
; VGPRBlocks: 31
; NumSGPRsForWavesPerEU: 24
; NumVGPRsForWavesPerEU: 256
; AccumOffset: 256
; Occupancy: 2
; WaveLimiterHint : 1
; COMPUTE_PGM_RSRC2:SCRATCH_EN: 1
; COMPUTE_PGM_RSRC2:USER_SGPR: 6
; COMPUTE_PGM_RSRC2:TRAP_HANDLER: 0
; COMPUTE_PGM_RSRC2:TGID_X_EN: 1
; COMPUTE_PGM_RSRC2:TGID_Y_EN: 1
; COMPUTE_PGM_RSRC2:TGID_Z_EN: 0
; COMPUTE_PGM_RSRC2:TIDIG_COMP_CNT: 1
; COMPUTE_PGM_RSRC3_GFX90A:ACCUM_OFFSET: 63
; COMPUTE_PGM_RSRC3_GFX90A:TG_SPLIT: 0
	.section	.text._ZN9rocsolver6v33100L18getf2_small_kernelILi63EdiiPKPdEEvT1_T3_lS5_lPS5_llPT2_S5_S5_S7_l,"axG",@progbits,_ZN9rocsolver6v33100L18getf2_small_kernelILi63EdiiPKPdEEvT1_T3_lS5_lPS5_llPT2_S5_S5_S7_l,comdat
	.globl	_ZN9rocsolver6v33100L18getf2_small_kernelILi63EdiiPKPdEEvT1_T3_lS5_lPS5_llPT2_S5_S5_S7_l ; -- Begin function _ZN9rocsolver6v33100L18getf2_small_kernelILi63EdiiPKPdEEvT1_T3_lS5_lPS5_llPT2_S5_S5_S7_l
	.p2align	8
	.type	_ZN9rocsolver6v33100L18getf2_small_kernelILi63EdiiPKPdEEvT1_T3_lS5_lPS5_llPT2_S5_S5_S7_l,@function
_ZN9rocsolver6v33100L18getf2_small_kernelILi63EdiiPKPdEEvT1_T3_lS5_lPS5_llPT2_S5_S5_S7_l: ; @_ZN9rocsolver6v33100L18getf2_small_kernelILi63EdiiPKPdEEvT1_T3_lS5_lPS5_llPT2_S5_S5_S7_l
; %bb.0:
	s_load_dword s0, s[4:5], 0x6c
	s_load_dwordx2 s[12:13], s[4:5], 0x48
	v_bfe_u32 v130, v0, 10, 10
	s_waitcnt lgkmcnt(0)
	s_lshr_b32 s0, s0, 16
	s_mul_i32 s7, s7, s0
	v_add_u32_e32 v2, s7, v130
	v_cmp_gt_i32_e32 vcc, s12, v2
	s_and_saveexec_b64 s[0:1], vcc
	s_cbranch_execz .LBB124_1068
; %bb.1:
	s_load_dwordx4 s[0:3], s[4:5], 0x8
	s_load_dwordx4 s[8:11], s[4:5], 0x50
	v_ashrrev_i32_e32 v3, 31, v2
	v_lshlrev_b64 v[4:5], 3, v[2:3]
	s_waitcnt lgkmcnt(0)
	v_mov_b32_e32 v1, s1
	v_add_co_u32_e32 v4, vcc, s0, v4
	v_addc_co_u32_e32 v5, vcc, v1, v5, vcc
	global_load_dwordx2 v[6:7], v[4:5], off
	s_cmp_eq_u64 s[8:9], 0
	s_cselect_b64 s[6:7], -1, 0
	s_and_b64 vcc, exec, s[6:7]
	v_pk_mov_b32 v[4:5], 0, 0
	s_cbranch_vccnz .LBB124_3
; %bb.2:
	v_mul_lo_u32 v1, v3, s10
	v_mul_lo_u32 v8, v2, s11
	v_mad_u64_u32 v[4:5], s[0:1], v2, s10, 0
	v_add3_u32 v5, v5, v8, v1
	v_lshlrev_b64 v[4:5], 2, v[4:5]
	v_mov_b32_e32 v1, s9
	v_add_co_u32_e32 v4, vcc, s8, v4
	v_addc_co_u32_e32 v5, vcc, v1, v5, vcc
.LBB124_3:
	s_load_dword s8, s[4:5], 0x18
	s_load_dword s18, s[4:5], 0x0
	s_lshl_b64 s[0:1], s[2:3], 3
	v_and_b32_e32 v138, 0x3ff, v0
	v_mov_b32_e32 v1, s1
	s_waitcnt lgkmcnt(0)
	s_add_i32 s12, s8, s8
	s_waitcnt vmcnt(0)
	v_add_co_u32_e32 v136, vcc, s0, v6
	v_add_u32_e32 v6, s12, v138
	v_addc_co_u32_e32 v137, vcc, v7, v1, vcc
	v_ashrrev_i32_e32 v7, 31, v6
	v_lshlrev_b64 v[0:1], 3, v[6:7]
	v_add_u32_e32 v8, s8, v6
	v_add_co_u32_e32 v0, vcc, v136, v0
	v_ashrrev_i32_e32 v9, 31, v8
	v_addc_co_u32_e32 v1, vcc, v137, v1, vcc
	v_lshlrev_b64 v[6:7], 3, v[8:9]
	v_add_u32_e32 v10, s8, v8
	v_add_co_u32_e32 v6, vcc, v136, v6
	v_ashrrev_i32_e32 v11, 31, v10
	v_addc_co_u32_e32 v7, vcc, v137, v7, vcc
	;; [unrolled: 5-line block ×60, first 2 shown]
	v_lshlrev_b64 v[38:39], 3, v[38:39]
	v_add_co_u32_e32 v194, vcc, v136, v38
	v_addc_co_u32_e32 v195, vcc, v137, v39, vcc
	v_lshlrev_b32_e32 v131, 3, v138
	v_add_co_u32_e32 v38, vcc, v136, v131
	s_ashr_i32 s9, s8, 31
	v_addc_co_u32_e32 v39, vcc, 0, v137, vcc
	s_lshl_b64 s[10:11], s[8:9], 3
	v_mov_b32_e32 v67, s11
	v_add_co_u32_e32 v66, vcc, s10, v38
	v_addc_co_u32_e32 v67, vcc, v39, v67, vcc
	global_load_dwordx2 v[124:125], v[38:39], off
	global_load_dwordx2 v[126:127], v[66:67], off
	;; [unrolled: 1-line block ×31, first 2 shown]
	s_nop 0
	global_load_dwordx2 v[64:65], v[64:65], off
	s_nop 0
	global_load_dwordx2 v[62:63], v[128:129], off
	global_load_dwordx2 v[60:61], v[132:133], off
	;; [unrolled: 1-line block ×31, first 2 shown]
	s_max_i32 s0, s18, 63
	v_mul_lo_u32 v132, s0, v130
	v_lshl_add_u32 v134, v132, 3, 0
	v_add_u32_e32 v130, v134, v131
	s_cmp_lt_i32 s18, 2
	v_lshlrev_b32_e32 v139, 3, v132
	v_mov_b32_e32 v132, 0
	s_waitcnt vmcnt(62)
	ds_write_b64 v130, v[124:125]
	s_waitcnt lgkmcnt(0)
	s_barrier
	ds_read_b64 v[130:131], v134
	s_cbranch_scc1 .LBB124_6
; %bb.4:
	v_add3_u32 v133, v139, 0, 8
	s_mov_b32 s0, 1
	v_mov_b32_e32 v132, 0
.LBB124_5:                              ; =>This Inner Loop Header: Depth=1
	ds_read_b64 v[140:141], v133
	v_mov_b32_e32 v135, s0
	s_add_i32 s0, s0, 1
	v_add_u32_e32 v133, 8, v133
	s_cmp_eq_u32 s18, s0
	s_waitcnt lgkmcnt(0)
	v_cmp_lt_f64_e64 vcc, |v[130:131]|, |v[140:141]|
	v_cndmask_b32_e32 v131, v131, v141, vcc
	v_cndmask_b32_e32 v130, v130, v140, vcc
	;; [unrolled: 1-line block ×3, first 2 shown]
	s_cbranch_scc0 .LBB124_5
.LBB124_6:
	v_cmp_ne_u32_e32 vcc, v138, v132
                                        ; implicit-def: $vgpr135
	s_and_saveexec_b64 s[0:1], vcc
	s_xor_b64 s[0:1], exec, s[0:1]
	s_cbranch_execz .LBB124_12
; %bb.7:
	v_cmp_eq_u32_e32 vcc, 0, v138
	s_and_saveexec_b64 s[2:3], vcc
	s_cbranch_execz .LBB124_11
; %bb.8:
	v_cmp_ne_u32_e32 vcc, 0, v132
	s_xor_b64 s[14:15], s[6:7], -1
	s_and_b64 s[16:17], s[14:15], vcc
	s_and_saveexec_b64 s[14:15], s[16:17]
	s_cbranch_execz .LBB124_10
; %bb.9:
	v_ashrrev_i32_e32 v133, 31, v132
	v_lshlrev_b64 v[140:141], 2, v[132:133]
	v_add_co_u32_e32 v140, vcc, v4, v140
	v_addc_co_u32_e32 v141, vcc, v5, v141, vcc
	flat_load_dword v133, v[140:141]
	flat_load_dword v135, v[4:5]
	s_waitcnt vmcnt(0) lgkmcnt(0)
	flat_store_dword v[4:5], v133
	flat_store_dword v[140:141], v135
.LBB124_10:
	s_or_b64 exec, exec, s[14:15]
	v_mov_b32_e32 v138, v132
.LBB124_11:
	s_or_b64 exec, exec, s[2:3]
	v_mov_b32_e32 v135, v138
                                        ; implicit-def: $vgpr138
.LBB124_12:
	s_or_saveexec_b64 s[0:1], s[0:1]
	v_mov_b32_e32 v133, v135
	s_xor_b64 exec, exec, s[0:1]
	s_cbranch_execz .LBB124_14
; %bb.13:
	v_mov_b32_e32 v135, 0
	v_mov_b32_e32 v133, v138
	s_waitcnt vmcnt(0)
	ds_write2_b64 v134, v[126:127], v[122:123] offset0:1 offset1:2
	ds_write2_b64 v134, v[120:121], v[118:119] offset0:3 offset1:4
	;; [unrolled: 1-line block ×31, first 2 shown]
.LBB124_14:
	s_or_b64 exec, exec, s[0:1]
	s_waitcnt lgkmcnt(0)
	v_cmp_eq_f64_e64 s[0:1], 0, v[130:131]
	v_cmp_lt_i32_e32 vcc, 0, v135
	s_barrier
	s_and_saveexec_b64 s[2:3], vcc
	s_cbranch_execz .LBB124_16
; %bb.15:
	v_div_scale_f64 v[140:141], s[14:15], v[130:131], v[130:131], 1.0
	v_rcp_f64_e32 v[142:143], v[140:141]
	v_div_scale_f64 v[144:145], vcc, 1.0, v[130:131], 1.0
	ds_read2_b64 v[148:151], v134 offset0:5 offset1:6
	v_fma_f64 v[146:147], -v[140:141], v[142:143], 1.0
	v_fmac_f64_e32 v[142:143], v[142:143], v[146:147]
	v_fma_f64 v[146:147], -v[140:141], v[142:143], 1.0
	v_fmac_f64_e32 v[142:143], v[142:143], v[146:147]
	v_mul_f64 v[146:147], v[144:145], v[142:143]
	v_fma_f64 v[140:141], -v[140:141], v[146:147], v[144:145]
	v_div_fmas_f64 v[140:141], v[140:141], v[142:143], v[146:147]
	v_div_fixup_f64 v[144:145], v[140:141], v[130:131], 1.0
	ds_read2_b64 v[140:143], v134 offset0:1 offset1:2
	v_cndmask_b32_e64 v131, v145, v131, s[0:1]
	v_cndmask_b32_e64 v130, v144, v130, s[0:1]
	ds_read2_b64 v[144:147], v134 offset0:3 offset1:4
	v_mul_f64 v[124:125], v[130:131], v[124:125]
	s_waitcnt vmcnt(0) lgkmcnt(0)
	v_fma_f64 v[126:127], -v[124:125], v[140:141], v[126:127]
	v_fma_f64 v[122:123], -v[124:125], v[142:143], v[122:123]
	ds_read2_b64 v[140:143], v134 offset0:7 offset1:8
	v_fma_f64 v[120:121], -v[124:125], v[144:145], v[120:121]
	v_fma_f64 v[118:119], -v[124:125], v[146:147], v[118:119]
	;; [unrolled: 1-line block ×3, first 2 shown]
	ds_read2_b64 v[144:147], v134 offset0:9 offset1:10
	v_fma_f64 v[114:115], -v[124:125], v[150:151], v[114:115]
	ds_read2_b64 v[148:151], v134 offset0:11 offset1:12
	s_waitcnt lgkmcnt(2)
	v_fma_f64 v[112:113], -v[124:125], v[140:141], v[112:113]
	v_fma_f64 v[110:111], -v[124:125], v[142:143], v[110:111]
	ds_read2_b64 v[140:143], v134 offset0:13 offset1:14
	s_waitcnt lgkmcnt(2)
	v_fma_f64 v[108:109], -v[124:125], v[144:145], v[108:109]
	v_fma_f64 v[106:107], -v[124:125], v[146:147], v[106:107]
	ds_read2_b64 v[144:147], v134 offset0:15 offset1:16
	s_waitcnt lgkmcnt(2)
	v_fma_f64 v[104:105], -v[124:125], v[148:149], v[104:105]
	v_fma_f64 v[102:103], -v[124:125], v[150:151], v[102:103]
	s_waitcnt lgkmcnt(1)
	v_fma_f64 v[100:101], -v[124:125], v[140:141], v[100:101]
	ds_read2_b64 v[148:151], v134 offset0:17 offset1:18
	v_fma_f64 v[98:99], -v[124:125], v[142:143], v[98:99]
	ds_read2_b64 v[140:143], v134 offset0:19 offset1:20
	s_waitcnt lgkmcnt(2)
	v_fma_f64 v[96:97], -v[124:125], v[144:145], v[96:97]
	v_fma_f64 v[94:95], -v[124:125], v[146:147], v[94:95]
	s_waitcnt lgkmcnt(1)
	v_fma_f64 v[92:93], -v[124:125], v[148:149], v[92:93]
	ds_read2_b64 v[144:147], v134 offset0:21 offset1:22
	v_fma_f64 v[90:91], -v[124:125], v[150:151], v[90:91]
	ds_read2_b64 v[148:151], v134 offset0:23 offset1:24
	s_waitcnt lgkmcnt(2)
	v_fma_f64 v[88:89], -v[124:125], v[140:141], v[88:89]
	v_fma_f64 v[86:87], -v[124:125], v[142:143], v[86:87]
	ds_read2_b64 v[140:143], v134 offset0:25 offset1:26
	s_waitcnt lgkmcnt(2)
	v_fma_f64 v[84:85], -v[124:125], v[144:145], v[84:85]
	v_fma_f64 v[82:83], -v[124:125], v[146:147], v[82:83]
	ds_read2_b64 v[144:147], v134 offset0:27 offset1:28
	s_waitcnt lgkmcnt(2)
	v_fma_f64 v[80:81], -v[124:125], v[148:149], v[80:81]
	v_fma_f64 v[78:79], -v[124:125], v[150:151], v[78:79]
	s_waitcnt lgkmcnt(1)
	v_fma_f64 v[76:77], -v[124:125], v[140:141], v[76:77]
	ds_read2_b64 v[148:151], v134 offset0:29 offset1:30
	v_fma_f64 v[74:75], -v[124:125], v[142:143], v[74:75]
	ds_read2_b64 v[140:143], v134 offset0:31 offset1:32
	s_waitcnt lgkmcnt(2)
	v_fma_f64 v[72:73], -v[124:125], v[144:145], v[72:73]
	v_fma_f64 v[70:71], -v[124:125], v[146:147], v[70:71]
	s_waitcnt lgkmcnt(1)
	v_fma_f64 v[68:69], -v[124:125], v[148:149], v[68:69]
	;; [unrolled: 24-line block ×4, first 2 shown]
	v_fma_f64 v[18:19], -v[124:125], v[150:151], v[18:19]
	ds_read2_b64 v[144:147], v134 offset0:57 offset1:58
	ds_read2_b64 v[148:151], v134 offset0:59 offset1:60
	s_waitcnt lgkmcnt(2)
	v_fma_f64 v[16:17], -v[124:125], v[140:141], v[16:17]
	v_fma_f64 v[14:15], -v[124:125], v[142:143], v[14:15]
	ds_read2_b64 v[140:143], v134 offset0:61 offset1:62
	s_waitcnt lgkmcnt(2)
	v_fma_f64 v[12:13], -v[124:125], v[144:145], v[12:13]
	v_fma_f64 v[10:11], -v[124:125], v[146:147], v[10:11]
	s_waitcnt lgkmcnt(1)
	v_fma_f64 v[8:9], -v[124:125], v[148:149], v[8:9]
	v_fma_f64 v[6:7], -v[124:125], v[150:151], v[6:7]
	;; [unrolled: 3-line block ×3, first 2 shown]
.LBB124_16:
	s_or_b64 exec, exec, s[2:3]
	v_lshl_add_u32 v130, v135, 3, v134
	s_barrier
	s_waitcnt vmcnt(0)
	ds_write_b64 v130, v[126:127]
	s_waitcnt lgkmcnt(0)
	s_barrier
	ds_read_b64 v[130:131], v134 offset:8
	s_cmp_lt_i32 s18, 3
	v_mov_b32_e32 v132, 1
	s_cbranch_scc1 .LBB124_19
; %bb.17:
	v_add3_u32 v138, v139, 0, 16
	s_mov_b32 s2, 2
	v_mov_b32_e32 v132, 1
.LBB124_18:                             ; =>This Inner Loop Header: Depth=1
	ds_read_b64 v[140:141], v138
	v_mov_b32_e32 v142, s2
	s_add_i32 s2, s2, 1
	v_add_u32_e32 v138, 8, v138
	s_cmp_lg_u32 s18, s2
	s_waitcnt lgkmcnt(0)
	v_cmp_lt_f64_e64 vcc, |v[130:131]|, |v[140:141]|
	v_cndmask_b32_e32 v131, v131, v141, vcc
	v_cndmask_b32_e32 v130, v130, v140, vcc
	;; [unrolled: 1-line block ×3, first 2 shown]
	s_cbranch_scc1 .LBB124_18
.LBB124_19:
	v_cmp_ne_u32_e32 vcc, v135, v132
	s_and_saveexec_b64 s[2:3], vcc
	s_xor_b64 s[2:3], exec, s[2:3]
	s_cbranch_execz .LBB124_25
; %bb.20:
	v_cmp_eq_u32_e32 vcc, 1, v135
	s_and_saveexec_b64 s[14:15], vcc
	s_cbranch_execz .LBB124_24
; %bb.21:
	v_cmp_ne_u32_e32 vcc, 1, v132
	s_xor_b64 s[16:17], s[6:7], -1
	s_and_b64 s[20:21], s[16:17], vcc
	s_and_saveexec_b64 s[16:17], s[20:21]
	s_cbranch_execz .LBB124_23
; %bb.22:
	v_ashrrev_i32_e32 v133, 31, v132
	v_lshlrev_b64 v[140:141], 2, v[132:133]
	v_add_co_u32_e32 v140, vcc, v4, v140
	v_addc_co_u32_e32 v141, vcc, v5, v141, vcc
	flat_load_dword v133, v[140:141]
	flat_load_dword v135, v[4:5] offset:4
	s_waitcnt vmcnt(0) lgkmcnt(0)
	flat_store_dword v[4:5], v133 offset:4
	flat_store_dword v[140:141], v135
.LBB124_23:
	s_or_b64 exec, exec, s[16:17]
	v_mov_b32_e32 v133, v132
	v_mov_b32_e32 v135, v132
.LBB124_24:
	s_or_b64 exec, exec, s[14:15]
.LBB124_25:
	s_andn2_saveexec_b64 s[2:3], s[2:3]
	s_cbranch_execz .LBB124_27
; %bb.26:
	v_mov_b32_e32 v140, v122
	v_mov_b32_e32 v141, v123
	v_mov_b32_e32 v142, v120
	v_mov_b32_e32 v143, v121
	ds_write2_b64 v134, v[140:141], v[142:143] offset0:2 offset1:3
	v_mov_b32_e32 v140, v118
	v_mov_b32_e32 v141, v119
	v_mov_b32_e32 v142, v116
	v_mov_b32_e32 v143, v117
	ds_write2_b64 v134, v[140:141], v[142:143] offset0:4 offset1:5
	;; [unrolled: 5-line block ×29, first 2 shown]
	v_mov_b32_e32 v140, v6
	v_mov_b32_e32 v141, v7
	v_mov_b32_e32 v142, v0
	v_mov_b32_e32 v143, v1
	v_mov_b32_e32 v135, 1
	ds_write2_b64 v134, v[140:141], v[142:143] offset0:60 offset1:61
	ds_write_b64 v134, v[128:129] offset:496
.LBB124_27:
	s_or_b64 exec, exec, s[2:3]
	s_waitcnt lgkmcnt(0)
	v_cmp_neq_f64_e64 s[2:3], 0, v[130:131]
	v_cmp_lt_i32_e32 vcc, 1, v135
	s_barrier
	s_and_saveexec_b64 s[14:15], vcc
	s_cbranch_execz .LBB124_29
; %bb.28:
	v_div_scale_f64 v[140:141], s[16:17], v[130:131], v[130:131], 1.0
	v_rcp_f64_e32 v[142:143], v[140:141]
	v_div_scale_f64 v[144:145], vcc, 1.0, v[130:131], 1.0
	ds_read2_b64 v[148:151], v134 offset0:6 offset1:7
	v_fma_f64 v[146:147], -v[140:141], v[142:143], 1.0
	v_fmac_f64_e32 v[142:143], v[142:143], v[146:147]
	v_fma_f64 v[146:147], -v[140:141], v[142:143], 1.0
	v_fmac_f64_e32 v[142:143], v[142:143], v[146:147]
	v_mul_f64 v[146:147], v[144:145], v[142:143]
	v_fma_f64 v[140:141], -v[140:141], v[146:147], v[144:145]
	v_div_fmas_f64 v[140:141], v[140:141], v[142:143], v[146:147]
	v_div_fixup_f64 v[144:145], v[140:141], v[130:131], 1.0
	ds_read2_b64 v[140:143], v134 offset0:2 offset1:3
	v_cndmask_b32_e64 v131, v131, v145, s[2:3]
	v_cndmask_b32_e64 v130, v130, v144, s[2:3]
	ds_read2_b64 v[144:147], v134 offset0:4 offset1:5
	v_mul_f64 v[126:127], v[130:131], v[126:127]
	s_waitcnt lgkmcnt(0)
	v_fma_f64 v[122:123], -v[126:127], v[140:141], v[122:123]
	v_fma_f64 v[120:121], -v[126:127], v[142:143], v[120:121]
	ds_read2_b64 v[140:143], v134 offset0:8 offset1:9
	v_fma_f64 v[118:119], -v[126:127], v[144:145], v[118:119]
	v_fma_f64 v[116:117], -v[126:127], v[146:147], v[116:117]
	v_fma_f64 v[114:115], -v[126:127], v[148:149], v[114:115]
	ds_read2_b64 v[144:147], v134 offset0:10 offset1:11
	v_fma_f64 v[112:113], -v[126:127], v[150:151], v[112:113]
	ds_read2_b64 v[148:151], v134 offset0:12 offset1:13
	s_waitcnt lgkmcnt(0)
	v_fma_f64 v[110:111], -v[126:127], v[140:141], v[110:111]
	v_fma_f64 v[108:109], -v[126:127], v[142:143], v[108:109]
	v_fma_f64 v[106:107], -v[126:127], v[144:145], v[106:107]
	ds_read2_b64 v[140:143], v134 offset0:14 offset1:15
	v_fma_f64 v[104:105], -v[126:127], v[146:147], v[104:105]
	ds_read2_b64 v[144:147], v134 offset0:16 offset1:17
	v_fma_f64 v[102:103], -v[126:127], v[148:149], v[102:103]
	v_fma_f64 v[100:101], -v[126:127], v[150:151], v[100:101]
	ds_read2_b64 v[148:151], v134 offset0:18 offset1:19
	s_waitcnt lgkmcnt(0)
	v_fma_f64 v[98:99], -v[126:127], v[140:141], v[98:99]
	v_fma_f64 v[96:97], -v[126:127], v[142:143], v[96:97]
	ds_read2_b64 v[140:143], v134 offset0:20 offset1:21
	v_fma_f64 v[94:95], -v[126:127], v[144:145], v[94:95]
	v_fma_f64 v[92:93], -v[126:127], v[146:147], v[92:93]
	v_fma_f64 v[90:91], -v[126:127], v[148:149], v[90:91]
	ds_read2_b64 v[144:147], v134 offset0:22 offset1:23
	v_fma_f64 v[88:89], -v[126:127], v[150:151], v[88:89]
	ds_read2_b64 v[148:151], v134 offset0:24 offset1:25
	s_waitcnt lgkmcnt(0)
	v_fma_f64 v[86:87], -v[126:127], v[140:141], v[86:87]
	v_fma_f64 v[84:85], -v[126:127], v[142:143], v[84:85]
	v_fma_f64 v[82:83], -v[126:127], v[144:145], v[82:83]
	ds_read2_b64 v[140:143], v134 offset0:26 offset1:27
	v_fma_f64 v[80:81], -v[126:127], v[146:147], v[80:81]
	ds_read2_b64 v[144:147], v134 offset0:28 offset1:29
	v_fma_f64 v[78:79], -v[126:127], v[148:149], v[78:79]
	v_fma_f64 v[76:77], -v[126:127], v[150:151], v[76:77]
	ds_read2_b64 v[148:151], v134 offset0:30 offset1:31
	;; [unrolled: 20-line block ×4, first 2 shown]
	s_waitcnt lgkmcnt(0)
	v_fma_f64 v[26:27], -v[126:127], v[140:141], v[26:27]
	v_fma_f64 v[24:25], -v[126:127], v[142:143], v[24:25]
	ds_read2_b64 v[140:143], v134 offset0:56 offset1:57
	v_fma_f64 v[22:23], -v[126:127], v[144:145], v[22:23]
	v_fma_f64 v[20:21], -v[126:127], v[146:147], v[20:21]
	v_fma_f64 v[18:19], -v[126:127], v[148:149], v[18:19]
	v_fma_f64 v[16:17], -v[126:127], v[150:151], v[16:17]
	ds_read2_b64 v[144:147], v134 offset0:58 offset1:59
	ds_read2_b64 v[148:151], v134 offset0:60 offset1:61
	ds_read_b64 v[130:131], v134 offset:496
	s_waitcnt lgkmcnt(0)
	v_fma_f64 v[14:15], -v[126:127], v[140:141], v[14:15]
	v_fma_f64 v[12:13], -v[126:127], v[142:143], v[12:13]
	;; [unrolled: 1-line block ×7, first 2 shown]
.LBB124_29:
	s_or_b64 exec, exec, s[14:15]
	v_lshl_add_u32 v130, v135, 3, v134
	s_barrier
	ds_write_b64 v130, v[122:123]
	s_waitcnt lgkmcnt(0)
	s_barrier
	ds_read_b64 v[130:131], v134 offset:16
	s_mov_b32 s9, 3
	s_cmp_lt_i32 s18, 4
	v_mov_b32_e32 v132, 2
	s_cbranch_scc1 .LBB124_32
; %bb.30:
	v_add3_u32 v138, v139, 0, 24
	v_mov_b32_e32 v132, 2
.LBB124_31:                             ; =>This Inner Loop Header: Depth=1
	ds_read_b64 v[140:141], v138
	v_mov_b32_e32 v142, s9
	s_add_i32 s9, s9, 1
	v_add_u32_e32 v138, 8, v138
	s_cmp_lg_u32 s18, s9
	s_waitcnt lgkmcnt(0)
	v_cmp_lt_f64_e64 vcc, |v[130:131]|, |v[140:141]|
	v_cndmask_b32_e32 v131, v131, v141, vcc
	v_cndmask_b32_e32 v130, v130, v140, vcc
	v_cndmask_b32_e32 v132, v132, v142, vcc
	s_cbranch_scc1 .LBB124_31
.LBB124_32:
	v_cndmask_b32_e64 v138, 2, 1, s[0:1]
	v_cndmask_b32_e64 v140, 0, 1, s[0:1]
	;; [unrolled: 1-line block ×3, first 2 shown]
	s_waitcnt lgkmcnt(0)
	v_cmp_eq_f64_e32 vcc, 0, v[130:131]
	s_and_saveexec_b64 s[0:1], vcc
	s_xor_b64 s[0:1], exec, s[0:1]
; %bb.33:
	v_cmp_ne_u32_e32 vcc, 0, v138
	v_cndmask_b32_e32 v138, 3, v138, vcc
; %bb.34:
	s_andn2_saveexec_b64 s[0:1], s[0:1]
; %bb.35:
	v_div_scale_f64 v[140:141], s[2:3], v[130:131], v[130:131], 1.0
	v_rcp_f64_e32 v[142:143], v[140:141]
	v_div_scale_f64 v[144:145], vcc, 1.0, v[130:131], 1.0
	v_fma_f64 v[146:147], -v[140:141], v[142:143], 1.0
	v_fmac_f64_e32 v[142:143], v[142:143], v[146:147]
	v_fma_f64 v[146:147], -v[140:141], v[142:143], 1.0
	v_fmac_f64_e32 v[142:143], v[142:143], v[146:147]
	v_mul_f64 v[146:147], v[144:145], v[142:143]
	v_fma_f64 v[140:141], -v[140:141], v[146:147], v[144:145]
	v_div_fmas_f64 v[140:141], v[140:141], v[142:143], v[146:147]
	v_div_fixup_f64 v[130:131], v[140:141], v[130:131], 1.0
; %bb.36:
	s_or_b64 exec, exec, s[0:1]
	v_cmp_ne_u32_e32 vcc, v135, v132
	s_and_saveexec_b64 s[0:1], vcc
	s_xor_b64 s[0:1], exec, s[0:1]
	s_cbranch_execz .LBB124_42
; %bb.37:
	v_cmp_eq_u32_e32 vcc, 2, v135
	s_and_saveexec_b64 s[2:3], vcc
	s_cbranch_execz .LBB124_41
; %bb.38:
	v_cmp_ne_u32_e32 vcc, 2, v132
	s_xor_b64 s[14:15], s[6:7], -1
	s_and_b64 s[16:17], s[14:15], vcc
	s_and_saveexec_b64 s[14:15], s[16:17]
	s_cbranch_execz .LBB124_40
; %bb.39:
	v_ashrrev_i32_e32 v133, 31, v132
	v_lshlrev_b64 v[140:141], 2, v[132:133]
	v_add_co_u32_e32 v140, vcc, v4, v140
	v_addc_co_u32_e32 v141, vcc, v5, v141, vcc
	flat_load_dword v133, v[140:141]
	flat_load_dword v135, v[4:5] offset:8
	s_waitcnt vmcnt(0) lgkmcnt(0)
	flat_store_dword v[4:5], v133 offset:8
	flat_store_dword v[140:141], v135
.LBB124_40:
	s_or_b64 exec, exec, s[14:15]
	v_mov_b32_e32 v133, v132
	v_mov_b32_e32 v135, v132
.LBB124_41:
	s_or_b64 exec, exec, s[2:3]
.LBB124_42:
	s_andn2_saveexec_b64 s[0:1], s[0:1]
	s_cbranch_execz .LBB124_44
; %bb.43:
	v_mov_b32_e32 v135, 2
	ds_write2_b64 v134, v[120:121], v[118:119] offset0:3 offset1:4
	ds_write2_b64 v134, v[116:117], v[114:115] offset0:5 offset1:6
	;; [unrolled: 1-line block ×30, first 2 shown]
.LBB124_44:
	s_or_b64 exec, exec, s[0:1]
	v_cmp_lt_i32_e32 vcc, 2, v135
	s_waitcnt lgkmcnt(0)
	s_barrier
	s_and_saveexec_b64 s[0:1], vcc
	s_cbranch_execz .LBB124_46
; %bb.45:
	ds_read2_b64 v[140:143], v134 offset0:3 offset1:4
	ds_read2_b64 v[144:147], v134 offset0:5 offset1:6
	;; [unrolled: 1-line block ×3, first 2 shown]
	v_mul_f64 v[122:123], v[130:131], v[122:123]
	s_waitcnt lgkmcnt(0)
	v_fma_f64 v[120:121], -v[122:123], v[140:141], v[120:121]
	v_fma_f64 v[118:119], -v[122:123], v[142:143], v[118:119]
	ds_read2_b64 v[140:143], v134 offset0:9 offset1:10
	v_fma_f64 v[116:117], -v[122:123], v[144:145], v[116:117]
	v_fma_f64 v[114:115], -v[122:123], v[146:147], v[114:115]
	v_fma_f64 v[112:113], -v[122:123], v[148:149], v[112:113]
	ds_read2_b64 v[144:147], v134 offset0:11 offset1:12
	v_fma_f64 v[110:111], -v[122:123], v[150:151], v[110:111]
	ds_read2_b64 v[148:151], v134 offset0:13 offset1:14
	s_waitcnt lgkmcnt(0)
	v_fma_f64 v[108:109], -v[122:123], v[140:141], v[108:109]
	v_fma_f64 v[106:107], -v[122:123], v[142:143], v[106:107]
	v_fma_f64 v[104:105], -v[122:123], v[144:145], v[104:105]
	ds_read2_b64 v[140:143], v134 offset0:15 offset1:16
	v_fma_f64 v[102:103], -v[122:123], v[146:147], v[102:103]
	ds_read2_b64 v[144:147], v134 offset0:17 offset1:18
	v_fma_f64 v[100:101], -v[122:123], v[148:149], v[100:101]
	v_fma_f64 v[98:99], -v[122:123], v[150:151], v[98:99]
	ds_read2_b64 v[148:151], v134 offset0:19 offset1:20
	s_waitcnt lgkmcnt(0)
	v_fma_f64 v[96:97], -v[122:123], v[140:141], v[96:97]
	v_fma_f64 v[94:95], -v[122:123], v[142:143], v[94:95]
	ds_read2_b64 v[140:143], v134 offset0:21 offset1:22
	v_fma_f64 v[92:93], -v[122:123], v[144:145], v[92:93]
	v_fma_f64 v[90:91], -v[122:123], v[146:147], v[90:91]
	v_fma_f64 v[88:89], -v[122:123], v[148:149], v[88:89]
	ds_read2_b64 v[144:147], v134 offset0:23 offset1:24
	v_fma_f64 v[86:87], -v[122:123], v[150:151], v[86:87]
	ds_read2_b64 v[148:151], v134 offset0:25 offset1:26
	s_waitcnt lgkmcnt(0)
	v_fma_f64 v[84:85], -v[122:123], v[140:141], v[84:85]
	v_fma_f64 v[82:83], -v[122:123], v[142:143], v[82:83]
	v_fma_f64 v[80:81], -v[122:123], v[144:145], v[80:81]
	ds_read2_b64 v[140:143], v134 offset0:27 offset1:28
	v_fma_f64 v[78:79], -v[122:123], v[146:147], v[78:79]
	ds_read2_b64 v[144:147], v134 offset0:29 offset1:30
	v_fma_f64 v[76:77], -v[122:123], v[148:149], v[76:77]
	v_fma_f64 v[74:75], -v[122:123], v[150:151], v[74:75]
	ds_read2_b64 v[148:151], v134 offset0:31 offset1:32
	;; [unrolled: 20-line block ×4, first 2 shown]
	s_waitcnt lgkmcnt(0)
	v_fma_f64 v[24:25], -v[122:123], v[140:141], v[24:25]
	v_fma_f64 v[22:23], -v[122:123], v[142:143], v[22:23]
	ds_read2_b64 v[140:143], v134 offset0:57 offset1:58
	v_fma_f64 v[20:21], -v[122:123], v[144:145], v[20:21]
	v_fma_f64 v[18:19], -v[122:123], v[146:147], v[18:19]
	;; [unrolled: 1-line block ×3, first 2 shown]
	ds_read2_b64 v[144:147], v134 offset0:59 offset1:60
	v_fma_f64 v[14:15], -v[122:123], v[150:151], v[14:15]
	ds_read2_b64 v[148:151], v134 offset0:61 offset1:62
	s_waitcnt lgkmcnt(0)
	v_fma_f64 v[12:13], -v[122:123], v[140:141], v[12:13]
	v_fma_f64 v[10:11], -v[122:123], v[142:143], v[10:11]
	;; [unrolled: 1-line block ×6, first 2 shown]
.LBB124_46:
	s_or_b64 exec, exec, s[0:1]
	v_lshl_add_u32 v130, v135, 3, v134
	s_barrier
	ds_write_b64 v130, v[120:121]
	s_waitcnt lgkmcnt(0)
	s_barrier
	ds_read_b64 v[130:131], v134 offset:24
	s_cmp_lt_i32 s18, 5
	v_mov_b32_e32 v132, 3
	s_cbranch_scc1 .LBB124_49
; %bb.47:
	v_add3_u32 v140, v139, 0, 32
	s_mov_b32 s0, 4
	v_mov_b32_e32 v132, 3
.LBB124_48:                             ; =>This Inner Loop Header: Depth=1
	ds_read_b64 v[142:143], v140
	v_mov_b32_e32 v141, s0
	s_add_i32 s0, s0, 1
	v_add_u32_e32 v140, 8, v140
	s_cmp_lg_u32 s18, s0
	s_waitcnt lgkmcnt(0)
	v_cmp_lt_f64_e64 vcc, |v[130:131]|, |v[142:143]|
	v_cndmask_b32_e32 v131, v131, v143, vcc
	v_cndmask_b32_e32 v130, v130, v142, vcc
	;; [unrolled: 1-line block ×3, first 2 shown]
	s_cbranch_scc1 .LBB124_48
.LBB124_49:
	s_waitcnt lgkmcnt(0)
	v_cmp_eq_f64_e32 vcc, 0, v[130:131]
	s_and_saveexec_b64 s[0:1], vcc
	s_xor_b64 s[0:1], exec, s[0:1]
; %bb.50:
	v_cmp_ne_u32_e32 vcc, 0, v138
	v_cndmask_b32_e32 v138, 4, v138, vcc
; %bb.51:
	s_andn2_saveexec_b64 s[0:1], s[0:1]
; %bb.52:
	v_div_scale_f64 v[140:141], s[2:3], v[130:131], v[130:131], 1.0
	v_rcp_f64_e32 v[142:143], v[140:141]
	v_div_scale_f64 v[144:145], vcc, 1.0, v[130:131], 1.0
	v_fma_f64 v[146:147], -v[140:141], v[142:143], 1.0
	v_fmac_f64_e32 v[142:143], v[142:143], v[146:147]
	v_fma_f64 v[146:147], -v[140:141], v[142:143], 1.0
	v_fmac_f64_e32 v[142:143], v[142:143], v[146:147]
	v_mul_f64 v[146:147], v[144:145], v[142:143]
	v_fma_f64 v[140:141], -v[140:141], v[146:147], v[144:145]
	v_div_fmas_f64 v[140:141], v[140:141], v[142:143], v[146:147]
	v_div_fixup_f64 v[130:131], v[140:141], v[130:131], 1.0
; %bb.53:
	s_or_b64 exec, exec, s[0:1]
	v_cmp_ne_u32_e32 vcc, v135, v132
	s_and_saveexec_b64 s[0:1], vcc
	s_xor_b64 s[0:1], exec, s[0:1]
	s_cbranch_execz .LBB124_59
; %bb.54:
	v_cmp_eq_u32_e32 vcc, 3, v135
	s_and_saveexec_b64 s[2:3], vcc
	s_cbranch_execz .LBB124_58
; %bb.55:
	v_cmp_ne_u32_e32 vcc, 3, v132
	s_xor_b64 s[14:15], s[6:7], -1
	s_and_b64 s[16:17], s[14:15], vcc
	s_and_saveexec_b64 s[14:15], s[16:17]
	s_cbranch_execz .LBB124_57
; %bb.56:
	v_ashrrev_i32_e32 v133, 31, v132
	v_lshlrev_b64 v[140:141], 2, v[132:133]
	v_add_co_u32_e32 v140, vcc, v4, v140
	v_addc_co_u32_e32 v141, vcc, v5, v141, vcc
	flat_load_dword v133, v[140:141]
	flat_load_dword v135, v[4:5] offset:12
	s_waitcnt vmcnt(0) lgkmcnt(0)
	flat_store_dword v[4:5], v133 offset:12
	flat_store_dword v[140:141], v135
.LBB124_57:
	s_or_b64 exec, exec, s[14:15]
	v_mov_b32_e32 v133, v132
	v_mov_b32_e32 v135, v132
.LBB124_58:
	s_or_b64 exec, exec, s[2:3]
.LBB124_59:
	s_andn2_saveexec_b64 s[0:1], s[0:1]
	s_cbranch_execz .LBB124_61
; %bb.60:
	v_mov_b32_e32 v140, v118
	v_mov_b32_e32 v141, v119
	v_mov_b32_e32 v142, v116
	v_mov_b32_e32 v143, v117
	ds_write2_b64 v134, v[140:141], v[142:143] offset0:4 offset1:5
	v_mov_b32_e32 v140, v114
	v_mov_b32_e32 v141, v115
	v_mov_b32_e32 v142, v112
	v_mov_b32_e32 v143, v113
	ds_write2_b64 v134, v[140:141], v[142:143] offset0:6 offset1:7
	;; [unrolled: 5-line block ×28, first 2 shown]
	v_mov_b32_e32 v140, v6
	v_mov_b32_e32 v141, v7
	v_mov_b32_e32 v142, v0
	v_mov_b32_e32 v143, v1
	v_mov_b32_e32 v135, 3
	ds_write2_b64 v134, v[140:141], v[142:143] offset0:60 offset1:61
	ds_write_b64 v134, v[128:129] offset:496
.LBB124_61:
	s_or_b64 exec, exec, s[0:1]
	v_cmp_lt_i32_e32 vcc, 3, v135
	s_waitcnt lgkmcnt(0)
	s_barrier
	s_and_saveexec_b64 s[0:1], vcc
	s_cbranch_execz .LBB124_63
; %bb.62:
	ds_read2_b64 v[140:143], v134 offset0:4 offset1:5
	ds_read2_b64 v[144:147], v134 offset0:6 offset1:7
	v_mul_f64 v[120:121], v[130:131], v[120:121]
	ds_read2_b64 v[148:151], v134 offset0:8 offset1:9
	ds_read_b64 v[130:131], v134 offset:496
	s_waitcnt lgkmcnt(0)
	v_fma_f64 v[118:119], -v[120:121], v[140:141], v[118:119]
	v_fma_f64 v[116:117], -v[120:121], v[142:143], v[116:117]
	ds_read2_b64 v[140:143], v134 offset0:10 offset1:11
	v_fma_f64 v[114:115], -v[120:121], v[144:145], v[114:115]
	v_fma_f64 v[112:113], -v[120:121], v[146:147], v[112:113]
	ds_read2_b64 v[144:147], v134 offset0:12 offset1:13
	;; [unrolled: 3-line block ×3, first 2 shown]
	s_waitcnt lgkmcnt(0)
	v_fma_f64 v[106:107], -v[120:121], v[140:141], v[106:107]
	v_fma_f64 v[104:105], -v[120:121], v[142:143], v[104:105]
	;; [unrolled: 1-line block ×3, first 2 shown]
	ds_read2_b64 v[140:143], v134 offset0:16 offset1:17
	v_fma_f64 v[100:101], -v[120:121], v[146:147], v[100:101]
	ds_read2_b64 v[144:147], v134 offset0:18 offset1:19
	v_fma_f64 v[98:99], -v[120:121], v[148:149], v[98:99]
	v_fma_f64 v[96:97], -v[120:121], v[150:151], v[96:97]
	s_waitcnt lgkmcnt(0)
	v_fma_f64 v[94:95], -v[120:121], v[140:141], v[94:95]
	ds_read2_b64 v[148:151], v134 offset0:20 offset1:21
	v_fma_f64 v[92:93], -v[120:121], v[142:143], v[92:93]
	ds_read2_b64 v[140:143], v134 offset0:22 offset1:23
	v_fma_f64 v[90:91], -v[120:121], v[144:145], v[90:91]
	v_fma_f64 v[88:89], -v[120:121], v[146:147], v[88:89]
	ds_read2_b64 v[144:147], v134 offset0:24 offset1:25
	s_waitcnt lgkmcnt(0)
	v_fma_f64 v[86:87], -v[120:121], v[148:149], v[86:87]
	v_fma_f64 v[84:85], -v[120:121], v[150:151], v[84:85]
	ds_read2_b64 v[148:151], v134 offset0:26 offset1:27
	v_fma_f64 v[82:83], -v[120:121], v[140:141], v[82:83]
	v_fma_f64 v[80:81], -v[120:121], v[142:143], v[80:81]
	v_fma_f64 v[78:79], -v[120:121], v[144:145], v[78:79]
	ds_read2_b64 v[140:143], v134 offset0:28 offset1:29
	v_fma_f64 v[76:77], -v[120:121], v[146:147], v[76:77]
	ds_read2_b64 v[144:147], v134 offset0:30 offset1:31
	s_waitcnt lgkmcnt(0)
	v_fma_f64 v[74:75], -v[120:121], v[148:149], v[74:75]
	v_fma_f64 v[72:73], -v[120:121], v[150:151], v[72:73]
	v_fma_f64 v[70:71], -v[120:121], v[140:141], v[70:71]
	ds_read2_b64 v[148:151], v134 offset0:32 offset1:33
	v_fma_f64 v[68:69], -v[120:121], v[142:143], v[68:69]
	ds_read2_b64 v[140:143], v134 offset0:34 offset1:35
	v_fma_f64 v[66:67], -v[120:121], v[144:145], v[66:67]
	v_fma_f64 v[64:65], -v[120:121], v[146:147], v[64:65]
	ds_read2_b64 v[144:147], v134 offset0:36 offset1:37
	s_waitcnt lgkmcnt(0)
	v_fma_f64 v[62:63], -v[120:121], v[148:149], v[62:63]
	v_fma_f64 v[60:61], -v[120:121], v[150:151], v[60:61]
	ds_read2_b64 v[148:151], v134 offset0:38 offset1:39
	v_fma_f64 v[58:59], -v[120:121], v[140:141], v[58:59]
	v_fma_f64 v[56:57], -v[120:121], v[142:143], v[56:57]
	v_fma_f64 v[54:55], -v[120:121], v[144:145], v[54:55]
	ds_read2_b64 v[140:143], v134 offset0:40 offset1:41
	v_fma_f64 v[52:53], -v[120:121], v[146:147], v[52:53]
	ds_read2_b64 v[144:147], v134 offset0:42 offset1:43
	s_waitcnt lgkmcnt(0)
	v_fma_f64 v[50:51], -v[120:121], v[148:149], v[50:51]
	v_fma_f64 v[48:49], -v[120:121], v[150:151], v[48:49]
	;; [unrolled: 20-line block ×3, first 2 shown]
	v_fma_f64 v[22:23], -v[120:121], v[140:141], v[22:23]
	ds_read2_b64 v[148:151], v134 offset0:56 offset1:57
	v_fma_f64 v[20:21], -v[120:121], v[142:143], v[20:21]
	ds_read2_b64 v[140:143], v134 offset0:58 offset1:59
	v_fma_f64 v[18:19], -v[120:121], v[144:145], v[18:19]
	v_fma_f64 v[16:17], -v[120:121], v[146:147], v[16:17]
	ds_read2_b64 v[144:147], v134 offset0:60 offset1:61
	s_waitcnt lgkmcnt(0)
	v_fma_f64 v[14:15], -v[120:121], v[148:149], v[14:15]
	v_fma_f64 v[12:13], -v[120:121], v[150:151], v[12:13]
	;; [unrolled: 1-line block ×7, first 2 shown]
.LBB124_63:
	s_or_b64 exec, exec, s[0:1]
	v_lshl_add_u32 v130, v135, 3, v134
	s_barrier
	ds_write_b64 v130, v[118:119]
	s_waitcnt lgkmcnt(0)
	s_barrier
	ds_read_b64 v[130:131], v134 offset:32
	s_cmp_lt_i32 s18, 6
	v_mov_b32_e32 v132, 4
	s_cbranch_scc1 .LBB124_66
; %bb.64:
	v_add3_u32 v140, v139, 0, 40
	s_mov_b32 s0, 5
	v_mov_b32_e32 v132, 4
.LBB124_65:                             ; =>This Inner Loop Header: Depth=1
	ds_read_b64 v[142:143], v140
	v_mov_b32_e32 v141, s0
	s_add_i32 s0, s0, 1
	v_add_u32_e32 v140, 8, v140
	s_cmp_lg_u32 s18, s0
	s_waitcnt lgkmcnt(0)
	v_cmp_lt_f64_e64 vcc, |v[130:131]|, |v[142:143]|
	v_cndmask_b32_e32 v131, v131, v143, vcc
	v_cndmask_b32_e32 v130, v130, v142, vcc
	;; [unrolled: 1-line block ×3, first 2 shown]
	s_cbranch_scc1 .LBB124_65
.LBB124_66:
	s_waitcnt lgkmcnt(0)
	v_cmp_eq_f64_e32 vcc, 0, v[130:131]
	s_and_saveexec_b64 s[0:1], vcc
	s_xor_b64 s[0:1], exec, s[0:1]
; %bb.67:
	v_cmp_ne_u32_e32 vcc, 0, v138
	v_cndmask_b32_e32 v138, 5, v138, vcc
; %bb.68:
	s_andn2_saveexec_b64 s[0:1], s[0:1]
; %bb.69:
	v_div_scale_f64 v[140:141], s[2:3], v[130:131], v[130:131], 1.0
	v_rcp_f64_e32 v[142:143], v[140:141]
	v_div_scale_f64 v[144:145], vcc, 1.0, v[130:131], 1.0
	v_fma_f64 v[146:147], -v[140:141], v[142:143], 1.0
	v_fmac_f64_e32 v[142:143], v[142:143], v[146:147]
	v_fma_f64 v[146:147], -v[140:141], v[142:143], 1.0
	v_fmac_f64_e32 v[142:143], v[142:143], v[146:147]
	v_mul_f64 v[146:147], v[144:145], v[142:143]
	v_fma_f64 v[140:141], -v[140:141], v[146:147], v[144:145]
	v_div_fmas_f64 v[140:141], v[140:141], v[142:143], v[146:147]
	v_div_fixup_f64 v[130:131], v[140:141], v[130:131], 1.0
; %bb.70:
	s_or_b64 exec, exec, s[0:1]
	v_cmp_ne_u32_e32 vcc, v135, v132
	s_and_saveexec_b64 s[0:1], vcc
	s_xor_b64 s[0:1], exec, s[0:1]
	s_cbranch_execz .LBB124_76
; %bb.71:
	v_cmp_eq_u32_e32 vcc, 4, v135
	s_and_saveexec_b64 s[2:3], vcc
	s_cbranch_execz .LBB124_75
; %bb.72:
	v_cmp_ne_u32_e32 vcc, 4, v132
	s_xor_b64 s[14:15], s[6:7], -1
	s_and_b64 s[16:17], s[14:15], vcc
	s_and_saveexec_b64 s[14:15], s[16:17]
	s_cbranch_execz .LBB124_74
; %bb.73:
	v_ashrrev_i32_e32 v133, 31, v132
	v_lshlrev_b64 v[140:141], 2, v[132:133]
	v_add_co_u32_e32 v140, vcc, v4, v140
	v_addc_co_u32_e32 v141, vcc, v5, v141, vcc
	flat_load_dword v133, v[140:141]
	flat_load_dword v135, v[4:5] offset:16
	s_waitcnt vmcnt(0) lgkmcnt(0)
	flat_store_dword v[4:5], v133 offset:16
	flat_store_dword v[140:141], v135
.LBB124_74:
	s_or_b64 exec, exec, s[14:15]
	v_mov_b32_e32 v133, v132
	v_mov_b32_e32 v135, v132
.LBB124_75:
	s_or_b64 exec, exec, s[2:3]
.LBB124_76:
	s_andn2_saveexec_b64 s[0:1], s[0:1]
	s_cbranch_execz .LBB124_78
; %bb.77:
	v_mov_b32_e32 v135, 4
	ds_write2_b64 v134, v[116:117], v[114:115] offset0:5 offset1:6
	ds_write2_b64 v134, v[112:113], v[110:111] offset0:7 offset1:8
	;; [unrolled: 1-line block ×29, first 2 shown]
.LBB124_78:
	s_or_b64 exec, exec, s[0:1]
	v_cmp_lt_i32_e32 vcc, 4, v135
	s_waitcnt lgkmcnt(0)
	s_barrier
	s_and_saveexec_b64 s[0:1], vcc
	s_cbranch_execz .LBB124_80
; %bb.79:
	ds_read2_b64 v[140:143], v134 offset0:5 offset1:6
	ds_read2_b64 v[144:147], v134 offset0:7 offset1:8
	v_mul_f64 v[118:119], v[130:131], v[118:119]
	ds_read2_b64 v[148:151], v134 offset0:9 offset1:10
	s_waitcnt lgkmcnt(0)
	v_fma_f64 v[116:117], -v[118:119], v[140:141], v[116:117]
	v_fma_f64 v[114:115], -v[118:119], v[142:143], v[114:115]
	ds_read2_b64 v[140:143], v134 offset0:11 offset1:12
	v_fma_f64 v[112:113], -v[118:119], v[144:145], v[112:113]
	v_fma_f64 v[110:111], -v[118:119], v[146:147], v[110:111]
	ds_read2_b64 v[144:147], v134 offset0:13 offset1:14
	;; [unrolled: 3-line block ×3, first 2 shown]
	s_waitcnt lgkmcnt(0)
	v_fma_f64 v[104:105], -v[118:119], v[140:141], v[104:105]
	v_fma_f64 v[102:103], -v[118:119], v[142:143], v[102:103]
	;; [unrolled: 1-line block ×3, first 2 shown]
	ds_read2_b64 v[140:143], v134 offset0:17 offset1:18
	v_fma_f64 v[98:99], -v[118:119], v[146:147], v[98:99]
	ds_read2_b64 v[144:147], v134 offset0:19 offset1:20
	v_fma_f64 v[96:97], -v[118:119], v[148:149], v[96:97]
	v_fma_f64 v[94:95], -v[118:119], v[150:151], v[94:95]
	s_waitcnt lgkmcnt(0)
	v_fma_f64 v[92:93], -v[118:119], v[140:141], v[92:93]
	ds_read2_b64 v[148:151], v134 offset0:21 offset1:22
	v_fma_f64 v[90:91], -v[118:119], v[142:143], v[90:91]
	ds_read2_b64 v[140:143], v134 offset0:23 offset1:24
	v_fma_f64 v[88:89], -v[118:119], v[144:145], v[88:89]
	v_fma_f64 v[86:87], -v[118:119], v[146:147], v[86:87]
	ds_read2_b64 v[144:147], v134 offset0:25 offset1:26
	s_waitcnt lgkmcnt(0)
	v_fma_f64 v[84:85], -v[118:119], v[148:149], v[84:85]
	v_fma_f64 v[82:83], -v[118:119], v[150:151], v[82:83]
	ds_read2_b64 v[148:151], v134 offset0:27 offset1:28
	v_fma_f64 v[80:81], -v[118:119], v[140:141], v[80:81]
	v_fma_f64 v[78:79], -v[118:119], v[142:143], v[78:79]
	v_fma_f64 v[76:77], -v[118:119], v[144:145], v[76:77]
	ds_read2_b64 v[140:143], v134 offset0:29 offset1:30
	v_fma_f64 v[74:75], -v[118:119], v[146:147], v[74:75]
	ds_read2_b64 v[144:147], v134 offset0:31 offset1:32
	s_waitcnt lgkmcnt(0)
	v_fma_f64 v[72:73], -v[118:119], v[148:149], v[72:73]
	v_fma_f64 v[70:71], -v[118:119], v[150:151], v[70:71]
	v_fma_f64 v[68:69], -v[118:119], v[140:141], v[68:69]
	ds_read2_b64 v[148:151], v134 offset0:33 offset1:34
	v_fma_f64 v[66:67], -v[118:119], v[142:143], v[66:67]
	ds_read2_b64 v[140:143], v134 offset0:35 offset1:36
	v_fma_f64 v[64:65], -v[118:119], v[144:145], v[64:65]
	v_fma_f64 v[62:63], -v[118:119], v[146:147], v[62:63]
	ds_read2_b64 v[144:147], v134 offset0:37 offset1:38
	s_waitcnt lgkmcnt(0)
	v_fma_f64 v[60:61], -v[118:119], v[148:149], v[60:61]
	v_fma_f64 v[58:59], -v[118:119], v[150:151], v[58:59]
	ds_read2_b64 v[148:151], v134 offset0:39 offset1:40
	v_fma_f64 v[56:57], -v[118:119], v[140:141], v[56:57]
	v_fma_f64 v[54:55], -v[118:119], v[142:143], v[54:55]
	v_fma_f64 v[52:53], -v[118:119], v[144:145], v[52:53]
	ds_read2_b64 v[140:143], v134 offset0:41 offset1:42
	v_fma_f64 v[50:51], -v[118:119], v[146:147], v[50:51]
	ds_read2_b64 v[144:147], v134 offset0:43 offset1:44
	s_waitcnt lgkmcnt(0)
	v_fma_f64 v[48:49], -v[118:119], v[148:149], v[48:49]
	v_fma_f64 v[46:47], -v[118:119], v[150:151], v[46:47]
	;; [unrolled: 20-line block ×3, first 2 shown]
	v_fma_f64 v[20:21], -v[118:119], v[140:141], v[20:21]
	v_fma_f64 v[18:19], -v[118:119], v[142:143], v[18:19]
	ds_read2_b64 v[140:143], v134 offset0:57 offset1:58
	ds_read2_b64 v[148:151], v134 offset0:59 offset1:60
	v_fma_f64 v[16:17], -v[118:119], v[144:145], v[16:17]
	v_fma_f64 v[14:15], -v[118:119], v[146:147], v[14:15]
	ds_read2_b64 v[144:147], v134 offset0:61 offset1:62
	s_waitcnt lgkmcnt(0)
	v_fma_f64 v[12:13], -v[118:119], v[140:141], v[12:13]
	v_fma_f64 v[10:11], -v[118:119], v[142:143], v[10:11]
	;; [unrolled: 1-line block ×6, first 2 shown]
.LBB124_80:
	s_or_b64 exec, exec, s[0:1]
	v_lshl_add_u32 v130, v135, 3, v134
	s_barrier
	ds_write_b64 v130, v[116:117]
	s_waitcnt lgkmcnt(0)
	s_barrier
	ds_read_b64 v[130:131], v134 offset:40
	s_cmp_lt_i32 s18, 7
	v_mov_b32_e32 v132, 5
	s_cbranch_scc1 .LBB124_83
; %bb.81:
	v_add3_u32 v140, v139, 0, 48
	s_mov_b32 s0, 6
	v_mov_b32_e32 v132, 5
.LBB124_82:                             ; =>This Inner Loop Header: Depth=1
	ds_read_b64 v[142:143], v140
	v_mov_b32_e32 v141, s0
	s_add_i32 s0, s0, 1
	v_add_u32_e32 v140, 8, v140
	s_cmp_lg_u32 s18, s0
	s_waitcnt lgkmcnt(0)
	v_cmp_lt_f64_e64 vcc, |v[130:131]|, |v[142:143]|
	v_cndmask_b32_e32 v131, v131, v143, vcc
	v_cndmask_b32_e32 v130, v130, v142, vcc
	v_cndmask_b32_e32 v132, v132, v141, vcc
	s_cbranch_scc1 .LBB124_82
.LBB124_83:
	s_waitcnt lgkmcnt(0)
	v_cmp_eq_f64_e32 vcc, 0, v[130:131]
	s_and_saveexec_b64 s[0:1], vcc
	s_xor_b64 s[0:1], exec, s[0:1]
; %bb.84:
	v_cmp_ne_u32_e32 vcc, 0, v138
	v_cndmask_b32_e32 v138, 6, v138, vcc
; %bb.85:
	s_andn2_saveexec_b64 s[0:1], s[0:1]
; %bb.86:
	v_div_scale_f64 v[140:141], s[2:3], v[130:131], v[130:131], 1.0
	v_rcp_f64_e32 v[142:143], v[140:141]
	v_div_scale_f64 v[144:145], vcc, 1.0, v[130:131], 1.0
	v_fma_f64 v[146:147], -v[140:141], v[142:143], 1.0
	v_fmac_f64_e32 v[142:143], v[142:143], v[146:147]
	v_fma_f64 v[146:147], -v[140:141], v[142:143], 1.0
	v_fmac_f64_e32 v[142:143], v[142:143], v[146:147]
	v_mul_f64 v[146:147], v[144:145], v[142:143]
	v_fma_f64 v[140:141], -v[140:141], v[146:147], v[144:145]
	v_div_fmas_f64 v[140:141], v[140:141], v[142:143], v[146:147]
	v_div_fixup_f64 v[130:131], v[140:141], v[130:131], 1.0
; %bb.87:
	s_or_b64 exec, exec, s[0:1]
	v_cmp_ne_u32_e32 vcc, v135, v132
	s_and_saveexec_b64 s[0:1], vcc
	s_xor_b64 s[0:1], exec, s[0:1]
	s_cbranch_execz .LBB124_93
; %bb.88:
	v_cmp_eq_u32_e32 vcc, 5, v135
	s_and_saveexec_b64 s[2:3], vcc
	s_cbranch_execz .LBB124_92
; %bb.89:
	v_cmp_ne_u32_e32 vcc, 5, v132
	s_xor_b64 s[14:15], s[6:7], -1
	s_and_b64 s[16:17], s[14:15], vcc
	s_and_saveexec_b64 s[14:15], s[16:17]
	s_cbranch_execz .LBB124_91
; %bb.90:
	v_ashrrev_i32_e32 v133, 31, v132
	v_lshlrev_b64 v[140:141], 2, v[132:133]
	v_add_co_u32_e32 v140, vcc, v4, v140
	v_addc_co_u32_e32 v141, vcc, v5, v141, vcc
	flat_load_dword v133, v[140:141]
	flat_load_dword v135, v[4:5] offset:20
	s_waitcnt vmcnt(0) lgkmcnt(0)
	flat_store_dword v[4:5], v133 offset:20
	flat_store_dword v[140:141], v135
.LBB124_91:
	s_or_b64 exec, exec, s[14:15]
	v_mov_b32_e32 v133, v132
	v_mov_b32_e32 v135, v132
.LBB124_92:
	s_or_b64 exec, exec, s[2:3]
.LBB124_93:
	s_andn2_saveexec_b64 s[0:1], s[0:1]
	s_cbranch_execz .LBB124_95
; %bb.94:
	v_mov_b32_e32 v140, v114
	v_mov_b32_e32 v141, v115
	v_mov_b32_e32 v142, v112
	v_mov_b32_e32 v143, v113
	ds_write2_b64 v134, v[140:141], v[142:143] offset0:6 offset1:7
	v_mov_b32_e32 v140, v110
	v_mov_b32_e32 v141, v111
	v_mov_b32_e32 v142, v108
	v_mov_b32_e32 v143, v109
	ds_write2_b64 v134, v[140:141], v[142:143] offset0:8 offset1:9
	;; [unrolled: 5-line block ×27, first 2 shown]
	v_mov_b32_e32 v140, v6
	v_mov_b32_e32 v141, v7
	;; [unrolled: 1-line block ×5, first 2 shown]
	ds_write2_b64 v134, v[140:141], v[142:143] offset0:60 offset1:61
	ds_write_b64 v134, v[128:129] offset:496
.LBB124_95:
	s_or_b64 exec, exec, s[0:1]
	v_cmp_lt_i32_e32 vcc, 5, v135
	s_waitcnt lgkmcnt(0)
	s_barrier
	s_and_saveexec_b64 s[0:1], vcc
	s_cbranch_execz .LBB124_97
; %bb.96:
	ds_read2_b64 v[140:143], v134 offset0:6 offset1:7
	ds_read2_b64 v[144:147], v134 offset0:8 offset1:9
	v_mul_f64 v[116:117], v[130:131], v[116:117]
	ds_read2_b64 v[148:151], v134 offset0:10 offset1:11
	ds_read_b64 v[130:131], v134 offset:496
	s_waitcnt lgkmcnt(0)
	v_fma_f64 v[114:115], -v[116:117], v[140:141], v[114:115]
	v_fma_f64 v[112:113], -v[116:117], v[142:143], v[112:113]
	ds_read2_b64 v[140:143], v134 offset0:12 offset1:13
	v_fma_f64 v[110:111], -v[116:117], v[144:145], v[110:111]
	v_fma_f64 v[108:109], -v[116:117], v[146:147], v[108:109]
	;; [unrolled: 1-line block ×3, first 2 shown]
	ds_read2_b64 v[144:147], v134 offset0:14 offset1:15
	v_fma_f64 v[104:105], -v[116:117], v[150:151], v[104:105]
	ds_read2_b64 v[148:151], v134 offset0:16 offset1:17
	s_waitcnt lgkmcnt(0)
	v_fma_f64 v[102:103], -v[116:117], v[140:141], v[102:103]
	v_fma_f64 v[100:101], -v[116:117], v[142:143], v[100:101]
	ds_read2_b64 v[140:143], v134 offset0:18 offset1:19
	v_fma_f64 v[98:99], -v[116:117], v[144:145], v[98:99]
	v_fma_f64 v[96:97], -v[116:117], v[146:147], v[96:97]
	ds_read2_b64 v[144:147], v134 offset0:20 offset1:21
	v_fma_f64 v[94:95], -v[116:117], v[148:149], v[94:95]
	v_fma_f64 v[92:93], -v[116:117], v[150:151], v[92:93]
	s_waitcnt lgkmcnt(0)
	v_fma_f64 v[90:91], -v[116:117], v[140:141], v[90:91]
	ds_read2_b64 v[148:151], v134 offset0:22 offset1:23
	v_fma_f64 v[88:89], -v[116:117], v[142:143], v[88:89]
	ds_read2_b64 v[140:143], v134 offset0:24 offset1:25
	v_fma_f64 v[86:87], -v[116:117], v[144:145], v[86:87]
	v_fma_f64 v[84:85], -v[116:117], v[146:147], v[84:85]
	s_waitcnt lgkmcnt(0)
	v_fma_f64 v[82:83], -v[116:117], v[148:149], v[82:83]
	ds_read2_b64 v[144:147], v134 offset0:26 offset1:27
	v_fma_f64 v[80:81], -v[116:117], v[150:151], v[80:81]
	ds_read2_b64 v[148:151], v134 offset0:28 offset1:29
	v_fma_f64 v[78:79], -v[116:117], v[140:141], v[78:79]
	v_fma_f64 v[76:77], -v[116:117], v[142:143], v[76:77]
	ds_read2_b64 v[140:143], v134 offset0:30 offset1:31
	s_waitcnt lgkmcnt(0)
	v_fma_f64 v[74:75], -v[116:117], v[144:145], v[74:75]
	v_fma_f64 v[72:73], -v[116:117], v[146:147], v[72:73]
	ds_read2_b64 v[144:147], v134 offset0:32 offset1:33
	v_fma_f64 v[70:71], -v[116:117], v[148:149], v[70:71]
	v_fma_f64 v[68:69], -v[116:117], v[150:151], v[68:69]
	v_fma_f64 v[66:67], -v[116:117], v[140:141], v[66:67]
	ds_read2_b64 v[148:151], v134 offset0:34 offset1:35
	v_fma_f64 v[64:65], -v[116:117], v[142:143], v[64:65]
	ds_read2_b64 v[140:143], v134 offset0:36 offset1:37
	s_waitcnt lgkmcnt(0)
	v_fma_f64 v[62:63], -v[116:117], v[144:145], v[62:63]
	v_fma_f64 v[60:61], -v[116:117], v[146:147], v[60:61]
	;; [unrolled: 1-line block ×3, first 2 shown]
	ds_read2_b64 v[144:147], v134 offset0:38 offset1:39
	v_fma_f64 v[56:57], -v[116:117], v[150:151], v[56:57]
	ds_read2_b64 v[148:151], v134 offset0:40 offset1:41
	v_fma_f64 v[54:55], -v[116:117], v[140:141], v[54:55]
	v_fma_f64 v[52:53], -v[116:117], v[142:143], v[52:53]
	ds_read2_b64 v[140:143], v134 offset0:42 offset1:43
	s_waitcnt lgkmcnt(0)
	v_fma_f64 v[50:51], -v[116:117], v[144:145], v[50:51]
	v_fma_f64 v[48:49], -v[116:117], v[146:147], v[48:49]
	ds_read2_b64 v[144:147], v134 offset0:44 offset1:45
	v_fma_f64 v[46:47], -v[116:117], v[148:149], v[46:47]
	v_fma_f64 v[44:45], -v[116:117], v[150:151], v[44:45]
	;; [unrolled: 1-line block ×3, first 2 shown]
	ds_read2_b64 v[148:151], v134 offset0:46 offset1:47
	v_fma_f64 v[40:41], -v[116:117], v[142:143], v[40:41]
	ds_read2_b64 v[140:143], v134 offset0:48 offset1:49
	s_waitcnt lgkmcnt(0)
	v_fma_f64 v[38:39], -v[116:117], v[144:145], v[38:39]
	v_fma_f64 v[36:37], -v[116:117], v[146:147], v[36:37]
	;; [unrolled: 1-line block ×3, first 2 shown]
	ds_read2_b64 v[144:147], v134 offset0:50 offset1:51
	v_fma_f64 v[32:33], -v[116:117], v[150:151], v[32:33]
	ds_read2_b64 v[148:151], v134 offset0:52 offset1:53
	v_fma_f64 v[30:31], -v[116:117], v[140:141], v[30:31]
	v_fma_f64 v[28:29], -v[116:117], v[142:143], v[28:29]
	ds_read2_b64 v[140:143], v134 offset0:54 offset1:55
	s_waitcnt lgkmcnt(0)
	v_fma_f64 v[26:27], -v[116:117], v[144:145], v[26:27]
	v_fma_f64 v[24:25], -v[116:117], v[146:147], v[24:25]
	ds_read2_b64 v[144:147], v134 offset0:56 offset1:57
	v_fma_f64 v[22:23], -v[116:117], v[148:149], v[22:23]
	v_fma_f64 v[20:21], -v[116:117], v[150:151], v[20:21]
	v_fma_f64 v[18:19], -v[116:117], v[140:141], v[18:19]
	v_fma_f64 v[16:17], -v[116:117], v[142:143], v[16:17]
	ds_read2_b64 v[140:143], v134 offset0:58 offset1:59
	ds_read2_b64 v[148:151], v134 offset0:60 offset1:61
	s_waitcnt lgkmcnt(0)
	v_fma_f64 v[14:15], -v[116:117], v[144:145], v[14:15]
	v_fma_f64 v[12:13], -v[116:117], v[146:147], v[12:13]
	v_fma_f64 v[128:129], -v[116:117], v[130:131], v[128:129]
	v_fma_f64 v[10:11], -v[116:117], v[140:141], v[10:11]
	v_fma_f64 v[8:9], -v[116:117], v[142:143], v[8:9]
	v_fma_f64 v[6:7], -v[116:117], v[148:149], v[6:7]
	v_fma_f64 v[0:1], -v[116:117], v[150:151], v[0:1]
.LBB124_97:
	s_or_b64 exec, exec, s[0:1]
	v_lshl_add_u32 v130, v135, 3, v134
	s_barrier
	ds_write_b64 v130, v[114:115]
	s_waitcnt lgkmcnt(0)
	s_barrier
	ds_read_b64 v[130:131], v134 offset:48
	s_cmp_lt_i32 s18, 8
	v_mov_b32_e32 v132, 6
	s_cbranch_scc1 .LBB124_100
; %bb.98:
	v_add3_u32 v140, v139, 0, 56
	s_mov_b32 s0, 7
	v_mov_b32_e32 v132, 6
.LBB124_99:                             ; =>This Inner Loop Header: Depth=1
	ds_read_b64 v[142:143], v140
	v_mov_b32_e32 v141, s0
	s_add_i32 s0, s0, 1
	v_add_u32_e32 v140, 8, v140
	s_cmp_lg_u32 s18, s0
	s_waitcnt lgkmcnt(0)
	v_cmp_lt_f64_e64 vcc, |v[130:131]|, |v[142:143]|
	v_cndmask_b32_e32 v131, v131, v143, vcc
	v_cndmask_b32_e32 v130, v130, v142, vcc
	;; [unrolled: 1-line block ×3, first 2 shown]
	s_cbranch_scc1 .LBB124_99
.LBB124_100:
	s_waitcnt lgkmcnt(0)
	v_cmp_eq_f64_e32 vcc, 0, v[130:131]
	s_and_saveexec_b64 s[0:1], vcc
	s_xor_b64 s[0:1], exec, s[0:1]
; %bb.101:
	v_cmp_ne_u32_e32 vcc, 0, v138
	v_cndmask_b32_e32 v138, 7, v138, vcc
; %bb.102:
	s_andn2_saveexec_b64 s[0:1], s[0:1]
; %bb.103:
	v_div_scale_f64 v[140:141], s[2:3], v[130:131], v[130:131], 1.0
	v_rcp_f64_e32 v[142:143], v[140:141]
	v_div_scale_f64 v[144:145], vcc, 1.0, v[130:131], 1.0
	v_fma_f64 v[146:147], -v[140:141], v[142:143], 1.0
	v_fmac_f64_e32 v[142:143], v[142:143], v[146:147]
	v_fma_f64 v[146:147], -v[140:141], v[142:143], 1.0
	v_fmac_f64_e32 v[142:143], v[142:143], v[146:147]
	v_mul_f64 v[146:147], v[144:145], v[142:143]
	v_fma_f64 v[140:141], -v[140:141], v[146:147], v[144:145]
	v_div_fmas_f64 v[140:141], v[140:141], v[142:143], v[146:147]
	v_div_fixup_f64 v[130:131], v[140:141], v[130:131], 1.0
; %bb.104:
	s_or_b64 exec, exec, s[0:1]
	v_cmp_ne_u32_e32 vcc, v135, v132
	s_and_saveexec_b64 s[0:1], vcc
	s_xor_b64 s[0:1], exec, s[0:1]
	s_cbranch_execz .LBB124_110
; %bb.105:
	v_cmp_eq_u32_e32 vcc, 6, v135
	s_and_saveexec_b64 s[2:3], vcc
	s_cbranch_execz .LBB124_109
; %bb.106:
	v_cmp_ne_u32_e32 vcc, 6, v132
	s_xor_b64 s[14:15], s[6:7], -1
	s_and_b64 s[16:17], s[14:15], vcc
	s_and_saveexec_b64 s[14:15], s[16:17]
	s_cbranch_execz .LBB124_108
; %bb.107:
	v_ashrrev_i32_e32 v133, 31, v132
	v_lshlrev_b64 v[140:141], 2, v[132:133]
	v_add_co_u32_e32 v140, vcc, v4, v140
	v_addc_co_u32_e32 v141, vcc, v5, v141, vcc
	flat_load_dword v133, v[140:141]
	flat_load_dword v135, v[4:5] offset:24
	s_waitcnt vmcnt(0) lgkmcnt(0)
	flat_store_dword v[4:5], v133 offset:24
	flat_store_dword v[140:141], v135
.LBB124_108:
	s_or_b64 exec, exec, s[14:15]
	v_mov_b32_e32 v133, v132
	v_mov_b32_e32 v135, v132
.LBB124_109:
	s_or_b64 exec, exec, s[2:3]
.LBB124_110:
	s_andn2_saveexec_b64 s[0:1], s[0:1]
	s_cbranch_execz .LBB124_112
; %bb.111:
	v_mov_b32_e32 v135, 6
	ds_write2_b64 v134, v[112:113], v[110:111] offset0:7 offset1:8
	ds_write2_b64 v134, v[108:109], v[106:107] offset0:9 offset1:10
	;; [unrolled: 1-line block ×28, first 2 shown]
.LBB124_112:
	s_or_b64 exec, exec, s[0:1]
	v_cmp_lt_i32_e32 vcc, 6, v135
	s_waitcnt lgkmcnt(0)
	s_barrier
	s_and_saveexec_b64 s[0:1], vcc
	s_cbranch_execz .LBB124_114
; %bb.113:
	ds_read2_b64 v[140:143], v134 offset0:7 offset1:8
	ds_read2_b64 v[144:147], v134 offset0:9 offset1:10
	v_mul_f64 v[114:115], v[130:131], v[114:115]
	ds_read2_b64 v[148:151], v134 offset0:11 offset1:12
	s_waitcnt lgkmcnt(0)
	v_fma_f64 v[112:113], -v[114:115], v[140:141], v[112:113]
	v_fma_f64 v[110:111], -v[114:115], v[142:143], v[110:111]
	ds_read2_b64 v[140:143], v134 offset0:13 offset1:14
	v_fma_f64 v[108:109], -v[114:115], v[144:145], v[108:109]
	v_fma_f64 v[106:107], -v[114:115], v[146:147], v[106:107]
	;; [unrolled: 1-line block ×3, first 2 shown]
	ds_read2_b64 v[144:147], v134 offset0:15 offset1:16
	v_fma_f64 v[102:103], -v[114:115], v[150:151], v[102:103]
	ds_read2_b64 v[148:151], v134 offset0:17 offset1:18
	s_waitcnt lgkmcnt(0)
	v_fma_f64 v[100:101], -v[114:115], v[140:141], v[100:101]
	v_fma_f64 v[98:99], -v[114:115], v[142:143], v[98:99]
	ds_read2_b64 v[140:143], v134 offset0:19 offset1:20
	v_fma_f64 v[96:97], -v[114:115], v[144:145], v[96:97]
	v_fma_f64 v[94:95], -v[114:115], v[146:147], v[94:95]
	ds_read2_b64 v[144:147], v134 offset0:21 offset1:22
	v_fma_f64 v[92:93], -v[114:115], v[148:149], v[92:93]
	v_fma_f64 v[90:91], -v[114:115], v[150:151], v[90:91]
	s_waitcnt lgkmcnt(0)
	v_fma_f64 v[88:89], -v[114:115], v[140:141], v[88:89]
	ds_read2_b64 v[148:151], v134 offset0:23 offset1:24
	v_fma_f64 v[86:87], -v[114:115], v[142:143], v[86:87]
	ds_read2_b64 v[140:143], v134 offset0:25 offset1:26
	v_fma_f64 v[84:85], -v[114:115], v[144:145], v[84:85]
	v_fma_f64 v[82:83], -v[114:115], v[146:147], v[82:83]
	s_waitcnt lgkmcnt(0)
	v_fma_f64 v[80:81], -v[114:115], v[148:149], v[80:81]
	ds_read2_b64 v[144:147], v134 offset0:27 offset1:28
	v_fma_f64 v[78:79], -v[114:115], v[150:151], v[78:79]
	ds_read2_b64 v[148:151], v134 offset0:29 offset1:30
	v_fma_f64 v[76:77], -v[114:115], v[140:141], v[76:77]
	v_fma_f64 v[74:75], -v[114:115], v[142:143], v[74:75]
	ds_read2_b64 v[140:143], v134 offset0:31 offset1:32
	s_waitcnt lgkmcnt(0)
	v_fma_f64 v[72:73], -v[114:115], v[144:145], v[72:73]
	v_fma_f64 v[70:71], -v[114:115], v[146:147], v[70:71]
	ds_read2_b64 v[144:147], v134 offset0:33 offset1:34
	v_fma_f64 v[68:69], -v[114:115], v[148:149], v[68:69]
	v_fma_f64 v[66:67], -v[114:115], v[150:151], v[66:67]
	v_fma_f64 v[64:65], -v[114:115], v[140:141], v[64:65]
	ds_read2_b64 v[148:151], v134 offset0:35 offset1:36
	v_fma_f64 v[62:63], -v[114:115], v[142:143], v[62:63]
	ds_read2_b64 v[140:143], v134 offset0:37 offset1:38
	s_waitcnt lgkmcnt(0)
	v_fma_f64 v[60:61], -v[114:115], v[144:145], v[60:61]
	v_fma_f64 v[58:59], -v[114:115], v[146:147], v[58:59]
	v_fma_f64 v[56:57], -v[114:115], v[148:149], v[56:57]
	ds_read2_b64 v[144:147], v134 offset0:39 offset1:40
	v_fma_f64 v[54:55], -v[114:115], v[150:151], v[54:55]
	ds_read2_b64 v[148:151], v134 offset0:41 offset1:42
	v_fma_f64 v[52:53], -v[114:115], v[140:141], v[52:53]
	v_fma_f64 v[50:51], -v[114:115], v[142:143], v[50:51]
	ds_read2_b64 v[140:143], v134 offset0:43 offset1:44
	s_waitcnt lgkmcnt(0)
	v_fma_f64 v[48:49], -v[114:115], v[144:145], v[48:49]
	v_fma_f64 v[46:47], -v[114:115], v[146:147], v[46:47]
	ds_read2_b64 v[144:147], v134 offset0:45 offset1:46
	v_fma_f64 v[44:45], -v[114:115], v[148:149], v[44:45]
	v_fma_f64 v[42:43], -v[114:115], v[150:151], v[42:43]
	v_fma_f64 v[40:41], -v[114:115], v[140:141], v[40:41]
	ds_read2_b64 v[148:151], v134 offset0:47 offset1:48
	v_fma_f64 v[38:39], -v[114:115], v[142:143], v[38:39]
	ds_read2_b64 v[140:143], v134 offset0:49 offset1:50
	s_waitcnt lgkmcnt(0)
	v_fma_f64 v[36:37], -v[114:115], v[144:145], v[36:37]
	v_fma_f64 v[34:35], -v[114:115], v[146:147], v[34:35]
	v_fma_f64 v[32:33], -v[114:115], v[148:149], v[32:33]
	ds_read2_b64 v[144:147], v134 offset0:51 offset1:52
	v_fma_f64 v[30:31], -v[114:115], v[150:151], v[30:31]
	ds_read2_b64 v[148:151], v134 offset0:53 offset1:54
	v_fma_f64 v[28:29], -v[114:115], v[140:141], v[28:29]
	v_fma_f64 v[26:27], -v[114:115], v[142:143], v[26:27]
	ds_read2_b64 v[140:143], v134 offset0:55 offset1:56
	s_waitcnt lgkmcnt(0)
	v_fma_f64 v[24:25], -v[114:115], v[144:145], v[24:25]
	v_fma_f64 v[22:23], -v[114:115], v[146:147], v[22:23]
	ds_read2_b64 v[144:147], v134 offset0:57 offset1:58
	v_fma_f64 v[20:21], -v[114:115], v[148:149], v[20:21]
	v_fma_f64 v[18:19], -v[114:115], v[150:151], v[18:19]
	v_fma_f64 v[16:17], -v[114:115], v[140:141], v[16:17]
	ds_read2_b64 v[148:151], v134 offset0:59 offset1:60
	v_fma_f64 v[14:15], -v[114:115], v[142:143], v[14:15]
	ds_read2_b64 v[140:143], v134 offset0:61 offset1:62
	s_waitcnt lgkmcnt(0)
	v_fma_f64 v[12:13], -v[114:115], v[144:145], v[12:13]
	v_fma_f64 v[10:11], -v[114:115], v[146:147], v[10:11]
	v_fma_f64 v[8:9], -v[114:115], v[148:149], v[8:9]
	v_fma_f64 v[6:7], -v[114:115], v[150:151], v[6:7]
	;; [unrolled: 1-line block ×4, first 2 shown]
.LBB124_114:
	s_or_b64 exec, exec, s[0:1]
	v_lshl_add_u32 v130, v135, 3, v134
	s_barrier
	ds_write_b64 v130, v[112:113]
	s_waitcnt lgkmcnt(0)
	s_barrier
	ds_read_b64 v[130:131], v134 offset:56
	s_cmp_lt_i32 s18, 9
	v_mov_b32_e32 v132, 7
	s_cbranch_scc1 .LBB124_117
; %bb.115:
	v_add3_u32 v139, v139, 0, 64
	s_mov_b32 s0, 8
	v_mov_b32_e32 v132, 7
.LBB124_116:                            ; =>This Inner Loop Header: Depth=1
	ds_read_b64 v[140:141], v139
	v_mov_b32_e32 v142, s0
	s_add_i32 s0, s0, 1
	v_add_u32_e32 v139, 8, v139
	s_cmp_lg_u32 s18, s0
	s_waitcnt lgkmcnt(0)
	v_cmp_lt_f64_e64 vcc, |v[130:131]|, |v[140:141]|
	v_cndmask_b32_e32 v131, v131, v141, vcc
	v_cndmask_b32_e32 v130, v130, v140, vcc
	;; [unrolled: 1-line block ×3, first 2 shown]
	s_cbranch_scc1 .LBB124_116
.LBB124_117:
	s_waitcnt lgkmcnt(0)
	v_cmp_eq_f64_e32 vcc, 0, v[130:131]
	s_and_saveexec_b64 s[0:1], vcc
	s_xor_b64 s[0:1], exec, s[0:1]
; %bb.118:
	v_cmp_ne_u32_e32 vcc, 0, v138
	v_cndmask_b32_e32 v138, 8, v138, vcc
; %bb.119:
	s_andn2_saveexec_b64 s[0:1], s[0:1]
; %bb.120:
	v_div_scale_f64 v[140:141], s[2:3], v[130:131], v[130:131], 1.0
	v_rcp_f64_e32 v[142:143], v[140:141]
	v_div_scale_f64 v[144:145], vcc, 1.0, v[130:131], 1.0
	v_fma_f64 v[146:147], -v[140:141], v[142:143], 1.0
	v_fmac_f64_e32 v[142:143], v[142:143], v[146:147]
	v_fma_f64 v[146:147], -v[140:141], v[142:143], 1.0
	v_fmac_f64_e32 v[142:143], v[142:143], v[146:147]
	v_mul_f64 v[146:147], v[144:145], v[142:143]
	v_fma_f64 v[140:141], -v[140:141], v[146:147], v[144:145]
	v_div_fmas_f64 v[140:141], v[140:141], v[142:143], v[146:147]
	v_div_fixup_f64 v[130:131], v[140:141], v[130:131], 1.0
; %bb.121:
	s_or_b64 exec, exec, s[0:1]
	v_cmp_ne_u32_e32 vcc, v135, v132
	s_and_saveexec_b64 s[0:1], vcc
	s_xor_b64 s[0:1], exec, s[0:1]
	s_cbranch_execz .LBB124_127
; %bb.122:
	v_cmp_eq_u32_e32 vcc, 7, v135
	s_and_saveexec_b64 s[2:3], vcc
	s_cbranch_execz .LBB124_126
; %bb.123:
	v_cmp_ne_u32_e32 vcc, 7, v132
	s_xor_b64 s[14:15], s[6:7], -1
	s_and_b64 s[16:17], s[14:15], vcc
	s_and_saveexec_b64 s[14:15], s[16:17]
	s_cbranch_execz .LBB124_125
; %bb.124:
	v_ashrrev_i32_e32 v133, 31, v132
	v_lshlrev_b64 v[140:141], 2, v[132:133]
	v_add_co_u32_e32 v140, vcc, v4, v140
	v_addc_co_u32_e32 v141, vcc, v5, v141, vcc
	flat_load_dword v133, v[140:141]
	flat_load_dword v135, v[4:5] offset:28
	s_waitcnt vmcnt(0) lgkmcnt(0)
	flat_store_dword v[4:5], v133 offset:28
	flat_store_dword v[140:141], v135
.LBB124_125:
	s_or_b64 exec, exec, s[14:15]
	v_mov_b32_e32 v133, v132
	v_mov_b32_e32 v135, v132
.LBB124_126:
	s_or_b64 exec, exec, s[2:3]
.LBB124_127:
	s_andn2_saveexec_b64 s[0:1], s[0:1]
	s_cbranch_execz .LBB124_129
; %bb.128:
	v_mov_b32_e32 v140, v110
	v_mov_b32_e32 v141, v111
	v_mov_b32_e32 v142, v108
	v_mov_b32_e32 v143, v109
	ds_write2_b64 v134, v[140:141], v[142:143] offset0:8 offset1:9
	v_mov_b32_e32 v140, v106
	v_mov_b32_e32 v141, v107
	v_mov_b32_e32 v142, v104
	v_mov_b32_e32 v143, v105
	ds_write2_b64 v134, v[140:141], v[142:143] offset0:10 offset1:11
	;; [unrolled: 5-line block ×26, first 2 shown]
	v_mov_b32_e32 v140, v6
	v_mov_b32_e32 v141, v7
	v_mov_b32_e32 v142, v0
	v_mov_b32_e32 v143, v1
	v_mov_b32_e32 v135, 7
	ds_write2_b64 v134, v[140:141], v[142:143] offset0:60 offset1:61
	ds_write_b64 v134, v[128:129] offset:496
.LBB124_129:
	s_or_b64 exec, exec, s[0:1]
	v_cmp_lt_i32_e32 vcc, 7, v135
	s_waitcnt lgkmcnt(0)
	s_barrier
	s_and_saveexec_b64 s[0:1], vcc
	s_cbranch_execz .LBB124_131
; %bb.130:
	ds_read2_b64 v[140:143], v134 offset0:8 offset1:9
	ds_read2_b64 v[144:147], v134 offset0:10 offset1:11
	;; [unrolled: 1-line block ×3, first 2 shown]
	v_mul_f64 v[112:113], v[130:131], v[112:113]
	ds_read_b64 v[130:131], v134 offset:496
	s_waitcnt lgkmcnt(0)
	v_fma_f64 v[110:111], -v[112:113], v[140:141], v[110:111]
	v_fma_f64 v[108:109], -v[112:113], v[142:143], v[108:109]
	ds_read2_b64 v[140:143], v134 offset0:14 offset1:15
	v_fma_f64 v[106:107], -v[112:113], v[144:145], v[106:107]
	v_fma_f64 v[104:105], -v[112:113], v[146:147], v[104:105]
	v_fma_f64 v[102:103], -v[112:113], v[148:149], v[102:103]
	ds_read2_b64 v[144:147], v134 offset0:16 offset1:17
	v_fma_f64 v[100:101], -v[112:113], v[150:151], v[100:101]
	ds_read2_b64 v[148:151], v134 offset0:18 offset1:19
	s_waitcnt lgkmcnt(0)
	v_fma_f64 v[98:99], -v[112:113], v[140:141], v[98:99]
	v_fma_f64 v[96:97], -v[112:113], v[142:143], v[96:97]
	v_fma_f64 v[94:95], -v[112:113], v[144:145], v[94:95]
	ds_read2_b64 v[140:143], v134 offset0:20 offset1:21
	v_fma_f64 v[92:93], -v[112:113], v[146:147], v[92:93]
	ds_read2_b64 v[144:147], v134 offset0:22 offset1:23
	v_fma_f64 v[90:91], -v[112:113], v[148:149], v[90:91]
	v_fma_f64 v[88:89], -v[112:113], v[150:151], v[88:89]
	ds_read2_b64 v[148:151], v134 offset0:24 offset1:25
	s_waitcnt lgkmcnt(0)
	v_fma_f64 v[86:87], -v[112:113], v[140:141], v[86:87]
	v_fma_f64 v[84:85], -v[112:113], v[142:143], v[84:85]
	ds_read2_b64 v[140:143], v134 offset0:26 offset1:27
	v_fma_f64 v[82:83], -v[112:113], v[144:145], v[82:83]
	v_fma_f64 v[80:81], -v[112:113], v[146:147], v[80:81]
	v_fma_f64 v[78:79], -v[112:113], v[148:149], v[78:79]
	ds_read2_b64 v[144:147], v134 offset0:28 offset1:29
	v_fma_f64 v[76:77], -v[112:113], v[150:151], v[76:77]
	ds_read2_b64 v[148:151], v134 offset0:30 offset1:31
	s_waitcnt lgkmcnt(0)
	v_fma_f64 v[74:75], -v[112:113], v[140:141], v[74:75]
	v_fma_f64 v[72:73], -v[112:113], v[142:143], v[72:73]
	v_fma_f64 v[70:71], -v[112:113], v[144:145], v[70:71]
	ds_read2_b64 v[140:143], v134 offset0:32 offset1:33
	v_fma_f64 v[68:69], -v[112:113], v[146:147], v[68:69]
	ds_read2_b64 v[144:147], v134 offset0:34 offset1:35
	v_fma_f64 v[66:67], -v[112:113], v[148:149], v[66:67]
	v_fma_f64 v[64:65], -v[112:113], v[150:151], v[64:65]
	ds_read2_b64 v[148:151], v134 offset0:36 offset1:37
	;; [unrolled: 20-line block ×4, first 2 shown]
	s_waitcnt lgkmcnt(0)
	v_fma_f64 v[14:15], -v[112:113], v[140:141], v[14:15]
	v_fma_f64 v[12:13], -v[112:113], v[142:143], v[12:13]
	;; [unrolled: 1-line block ×7, first 2 shown]
.LBB124_131:
	s_or_b64 exec, exec, s[0:1]
	v_lshl_add_u32 v130, v135, 3, v134
	s_barrier
	ds_write_b64 v130, v[110:111]
	s_waitcnt lgkmcnt(0)
	s_barrier
	ds_read_b64 v[130:131], v134 offset:64
	s_cmp_lt_i32 s18, 10
	v_mov_b32_e32 v132, 8
	s_cbranch_scc1 .LBB124_134
; %bb.132:
	v_add_u32_e32 v139, 0x48, v134
	s_mov_b32 s0, 9
	v_mov_b32_e32 v132, 8
.LBB124_133:                            ; =>This Inner Loop Header: Depth=1
	ds_read_b64 v[140:141], v139
	v_mov_b32_e32 v142, s0
	s_add_i32 s0, s0, 1
	v_add_u32_e32 v139, 8, v139
	s_cmp_lg_u32 s18, s0
	s_waitcnt lgkmcnt(0)
	v_cmp_lt_f64_e64 vcc, |v[130:131]|, |v[140:141]|
	v_cndmask_b32_e32 v131, v131, v141, vcc
	v_cndmask_b32_e32 v130, v130, v140, vcc
	;; [unrolled: 1-line block ×3, first 2 shown]
	s_cbranch_scc1 .LBB124_133
.LBB124_134:
	s_waitcnt lgkmcnt(0)
	v_cmp_eq_f64_e32 vcc, 0, v[130:131]
	s_and_saveexec_b64 s[0:1], vcc
	s_xor_b64 s[0:1], exec, s[0:1]
; %bb.135:
	v_cmp_ne_u32_e32 vcc, 0, v138
	v_cndmask_b32_e32 v138, 9, v138, vcc
; %bb.136:
	s_andn2_saveexec_b64 s[0:1], s[0:1]
; %bb.137:
	v_div_scale_f64 v[140:141], s[2:3], v[130:131], v[130:131], 1.0
	v_rcp_f64_e32 v[142:143], v[140:141]
	v_div_scale_f64 v[144:145], vcc, 1.0, v[130:131], 1.0
	v_fma_f64 v[146:147], -v[140:141], v[142:143], 1.0
	v_fmac_f64_e32 v[142:143], v[142:143], v[146:147]
	v_fma_f64 v[146:147], -v[140:141], v[142:143], 1.0
	v_fmac_f64_e32 v[142:143], v[142:143], v[146:147]
	v_mul_f64 v[146:147], v[144:145], v[142:143]
	v_fma_f64 v[140:141], -v[140:141], v[146:147], v[144:145]
	v_div_fmas_f64 v[140:141], v[140:141], v[142:143], v[146:147]
	v_div_fixup_f64 v[130:131], v[140:141], v[130:131], 1.0
; %bb.138:
	s_or_b64 exec, exec, s[0:1]
	v_cmp_ne_u32_e32 vcc, v135, v132
	s_and_saveexec_b64 s[0:1], vcc
	s_xor_b64 s[0:1], exec, s[0:1]
	s_cbranch_execz .LBB124_144
; %bb.139:
	v_cmp_eq_u32_e32 vcc, 8, v135
	s_and_saveexec_b64 s[2:3], vcc
	s_cbranch_execz .LBB124_143
; %bb.140:
	v_cmp_ne_u32_e32 vcc, 8, v132
	s_xor_b64 s[14:15], s[6:7], -1
	s_and_b64 s[16:17], s[14:15], vcc
	s_and_saveexec_b64 s[14:15], s[16:17]
	s_cbranch_execz .LBB124_142
; %bb.141:
	v_ashrrev_i32_e32 v133, 31, v132
	v_lshlrev_b64 v[140:141], 2, v[132:133]
	v_add_co_u32_e32 v140, vcc, v4, v140
	v_addc_co_u32_e32 v141, vcc, v5, v141, vcc
	flat_load_dword v133, v[140:141]
	flat_load_dword v135, v[4:5] offset:32
	s_waitcnt vmcnt(0) lgkmcnt(0)
	flat_store_dword v[4:5], v133 offset:32
	flat_store_dword v[140:141], v135
.LBB124_142:
	s_or_b64 exec, exec, s[14:15]
	v_mov_b32_e32 v133, v132
	v_mov_b32_e32 v135, v132
.LBB124_143:
	s_or_b64 exec, exec, s[2:3]
.LBB124_144:
	s_andn2_saveexec_b64 s[0:1], s[0:1]
	s_cbranch_execz .LBB124_146
; %bb.145:
	v_mov_b32_e32 v135, 8
	ds_write2_b64 v134, v[108:109], v[106:107] offset0:9 offset1:10
	ds_write2_b64 v134, v[104:105], v[102:103] offset0:11 offset1:12
	;; [unrolled: 1-line block ×27, first 2 shown]
.LBB124_146:
	s_or_b64 exec, exec, s[0:1]
	v_cmp_lt_i32_e32 vcc, 8, v135
	s_waitcnt lgkmcnt(0)
	s_barrier
	s_and_saveexec_b64 s[0:1], vcc
	s_cbranch_execz .LBB124_148
; %bb.147:
	ds_read2_b64 v[140:143], v134 offset0:9 offset1:10
	ds_read2_b64 v[144:147], v134 offset0:11 offset1:12
	;; [unrolled: 1-line block ×3, first 2 shown]
	v_mul_f64 v[110:111], v[130:131], v[110:111]
	s_waitcnt lgkmcnt(0)
	v_fma_f64 v[108:109], -v[110:111], v[140:141], v[108:109]
	v_fma_f64 v[106:107], -v[110:111], v[142:143], v[106:107]
	ds_read2_b64 v[140:143], v134 offset0:15 offset1:16
	v_fma_f64 v[104:105], -v[110:111], v[144:145], v[104:105]
	v_fma_f64 v[102:103], -v[110:111], v[146:147], v[102:103]
	v_fma_f64 v[100:101], -v[110:111], v[148:149], v[100:101]
	ds_read2_b64 v[144:147], v134 offset0:17 offset1:18
	v_fma_f64 v[98:99], -v[110:111], v[150:151], v[98:99]
	ds_read2_b64 v[148:151], v134 offset0:19 offset1:20
	s_waitcnt lgkmcnt(0)
	v_fma_f64 v[96:97], -v[110:111], v[140:141], v[96:97]
	v_fma_f64 v[94:95], -v[110:111], v[142:143], v[94:95]
	v_fma_f64 v[92:93], -v[110:111], v[144:145], v[92:93]
	ds_read2_b64 v[140:143], v134 offset0:21 offset1:22
	v_fma_f64 v[90:91], -v[110:111], v[146:147], v[90:91]
	ds_read2_b64 v[144:147], v134 offset0:23 offset1:24
	v_fma_f64 v[88:89], -v[110:111], v[148:149], v[88:89]
	v_fma_f64 v[86:87], -v[110:111], v[150:151], v[86:87]
	ds_read2_b64 v[148:151], v134 offset0:25 offset1:26
	s_waitcnt lgkmcnt(0)
	v_fma_f64 v[84:85], -v[110:111], v[140:141], v[84:85]
	v_fma_f64 v[82:83], -v[110:111], v[142:143], v[82:83]
	ds_read2_b64 v[140:143], v134 offset0:27 offset1:28
	v_fma_f64 v[80:81], -v[110:111], v[144:145], v[80:81]
	v_fma_f64 v[78:79], -v[110:111], v[146:147], v[78:79]
	v_fma_f64 v[76:77], -v[110:111], v[148:149], v[76:77]
	ds_read2_b64 v[144:147], v134 offset0:29 offset1:30
	v_fma_f64 v[74:75], -v[110:111], v[150:151], v[74:75]
	ds_read2_b64 v[148:151], v134 offset0:31 offset1:32
	s_waitcnt lgkmcnt(0)
	v_fma_f64 v[72:73], -v[110:111], v[140:141], v[72:73]
	v_fma_f64 v[70:71], -v[110:111], v[142:143], v[70:71]
	v_fma_f64 v[68:69], -v[110:111], v[144:145], v[68:69]
	ds_read2_b64 v[140:143], v134 offset0:33 offset1:34
	v_fma_f64 v[66:67], -v[110:111], v[146:147], v[66:67]
	ds_read2_b64 v[144:147], v134 offset0:35 offset1:36
	v_fma_f64 v[64:65], -v[110:111], v[148:149], v[64:65]
	v_fma_f64 v[62:63], -v[110:111], v[150:151], v[62:63]
	ds_read2_b64 v[148:151], v134 offset0:37 offset1:38
	;; [unrolled: 20-line block ×3, first 2 shown]
	s_waitcnt lgkmcnt(0)
	v_fma_f64 v[36:37], -v[110:111], v[140:141], v[36:37]
	v_fma_f64 v[34:35], -v[110:111], v[142:143], v[34:35]
	ds_read2_b64 v[140:143], v134 offset0:51 offset1:52
	v_fma_f64 v[32:33], -v[110:111], v[144:145], v[32:33]
	v_fma_f64 v[30:31], -v[110:111], v[146:147], v[30:31]
	;; [unrolled: 1-line block ×3, first 2 shown]
	ds_read2_b64 v[144:147], v134 offset0:53 offset1:54
	v_fma_f64 v[26:27], -v[110:111], v[150:151], v[26:27]
	ds_read2_b64 v[148:151], v134 offset0:55 offset1:56
	s_waitcnt lgkmcnt(0)
	v_fma_f64 v[24:25], -v[110:111], v[140:141], v[24:25]
	v_fma_f64 v[22:23], -v[110:111], v[142:143], v[22:23]
	;; [unrolled: 1-line block ×4, first 2 shown]
	ds_read2_b64 v[140:143], v134 offset0:57 offset1:58
	ds_read2_b64 v[144:147], v134 offset0:59 offset1:60
	v_fma_f64 v[16:17], -v[110:111], v[148:149], v[16:17]
	v_fma_f64 v[14:15], -v[110:111], v[150:151], v[14:15]
	ds_read2_b64 v[148:151], v134 offset0:61 offset1:62
	s_waitcnt lgkmcnt(0)
	v_fma_f64 v[12:13], -v[110:111], v[140:141], v[12:13]
	v_fma_f64 v[10:11], -v[110:111], v[142:143], v[10:11]
	;; [unrolled: 1-line block ×6, first 2 shown]
.LBB124_148:
	s_or_b64 exec, exec, s[0:1]
	v_lshl_add_u32 v130, v135, 3, v134
	s_barrier
	ds_write_b64 v130, v[108:109]
	s_waitcnt lgkmcnt(0)
	s_barrier
	ds_read_b64 v[130:131], v134 offset:72
	s_cmp_lt_i32 s18, 11
	v_mov_b32_e32 v132, 9
	s_cbranch_scc1 .LBB124_151
; %bb.149:
	v_add_u32_e32 v139, 0x50, v134
	s_mov_b32 s0, 10
	v_mov_b32_e32 v132, 9
.LBB124_150:                            ; =>This Inner Loop Header: Depth=1
	ds_read_b64 v[140:141], v139
	v_mov_b32_e32 v142, s0
	s_add_i32 s0, s0, 1
	v_add_u32_e32 v139, 8, v139
	s_cmp_lg_u32 s18, s0
	s_waitcnt lgkmcnt(0)
	v_cmp_lt_f64_e64 vcc, |v[130:131]|, |v[140:141]|
	v_cndmask_b32_e32 v131, v131, v141, vcc
	v_cndmask_b32_e32 v130, v130, v140, vcc
	;; [unrolled: 1-line block ×3, first 2 shown]
	s_cbranch_scc1 .LBB124_150
.LBB124_151:
	s_waitcnt lgkmcnt(0)
	v_cmp_eq_f64_e32 vcc, 0, v[130:131]
	s_and_saveexec_b64 s[0:1], vcc
	s_xor_b64 s[0:1], exec, s[0:1]
; %bb.152:
	v_cmp_ne_u32_e32 vcc, 0, v138
	v_cndmask_b32_e32 v138, 10, v138, vcc
; %bb.153:
	s_andn2_saveexec_b64 s[0:1], s[0:1]
; %bb.154:
	v_div_scale_f64 v[140:141], s[2:3], v[130:131], v[130:131], 1.0
	v_rcp_f64_e32 v[142:143], v[140:141]
	v_div_scale_f64 v[144:145], vcc, 1.0, v[130:131], 1.0
	v_fma_f64 v[146:147], -v[140:141], v[142:143], 1.0
	v_fmac_f64_e32 v[142:143], v[142:143], v[146:147]
	v_fma_f64 v[146:147], -v[140:141], v[142:143], 1.0
	v_fmac_f64_e32 v[142:143], v[142:143], v[146:147]
	v_mul_f64 v[146:147], v[144:145], v[142:143]
	v_fma_f64 v[140:141], -v[140:141], v[146:147], v[144:145]
	v_div_fmas_f64 v[140:141], v[140:141], v[142:143], v[146:147]
	v_div_fixup_f64 v[130:131], v[140:141], v[130:131], 1.0
; %bb.155:
	s_or_b64 exec, exec, s[0:1]
	v_cmp_ne_u32_e32 vcc, v135, v132
	s_and_saveexec_b64 s[0:1], vcc
	s_xor_b64 s[0:1], exec, s[0:1]
	s_cbranch_execz .LBB124_161
; %bb.156:
	v_cmp_eq_u32_e32 vcc, 9, v135
	s_and_saveexec_b64 s[2:3], vcc
	s_cbranch_execz .LBB124_160
; %bb.157:
	v_cmp_ne_u32_e32 vcc, 9, v132
	s_xor_b64 s[14:15], s[6:7], -1
	s_and_b64 s[16:17], s[14:15], vcc
	s_and_saveexec_b64 s[14:15], s[16:17]
	s_cbranch_execz .LBB124_159
; %bb.158:
	v_ashrrev_i32_e32 v133, 31, v132
	v_lshlrev_b64 v[140:141], 2, v[132:133]
	v_add_co_u32_e32 v140, vcc, v4, v140
	v_addc_co_u32_e32 v141, vcc, v5, v141, vcc
	flat_load_dword v133, v[140:141]
	flat_load_dword v135, v[4:5] offset:36
	s_waitcnt vmcnt(0) lgkmcnt(0)
	flat_store_dword v[4:5], v133 offset:36
	flat_store_dword v[140:141], v135
.LBB124_159:
	s_or_b64 exec, exec, s[14:15]
	v_mov_b32_e32 v133, v132
	v_mov_b32_e32 v135, v132
.LBB124_160:
	s_or_b64 exec, exec, s[2:3]
.LBB124_161:
	s_andn2_saveexec_b64 s[0:1], s[0:1]
	s_cbranch_execz .LBB124_163
; %bb.162:
	v_mov_b32_e32 v140, v106
	v_mov_b32_e32 v141, v107
	v_mov_b32_e32 v142, v104
	v_mov_b32_e32 v143, v105
	ds_write2_b64 v134, v[140:141], v[142:143] offset0:10 offset1:11
	v_mov_b32_e32 v140, v102
	v_mov_b32_e32 v141, v103
	v_mov_b32_e32 v142, v100
	v_mov_b32_e32 v143, v101
	ds_write2_b64 v134, v[140:141], v[142:143] offset0:12 offset1:13
	;; [unrolled: 5-line block ×25, first 2 shown]
	v_mov_b32_e32 v140, v6
	v_mov_b32_e32 v141, v7
	;; [unrolled: 1-line block ×5, first 2 shown]
	ds_write2_b64 v134, v[140:141], v[142:143] offset0:60 offset1:61
	ds_write_b64 v134, v[128:129] offset:496
.LBB124_163:
	s_or_b64 exec, exec, s[0:1]
	v_cmp_lt_i32_e32 vcc, 9, v135
	s_waitcnt lgkmcnt(0)
	s_barrier
	s_and_saveexec_b64 s[0:1], vcc
	s_cbranch_execz .LBB124_165
; %bb.164:
	ds_read2_b64 v[140:143], v134 offset0:10 offset1:11
	ds_read2_b64 v[144:147], v134 offset0:12 offset1:13
	v_mul_f64 v[108:109], v[130:131], v[108:109]
	ds_read2_b64 v[148:151], v134 offset0:14 offset1:15
	ds_read_b64 v[130:131], v134 offset:496
	s_waitcnt lgkmcnt(0)
	v_fma_f64 v[106:107], -v[108:109], v[140:141], v[106:107]
	v_fma_f64 v[104:105], -v[108:109], v[142:143], v[104:105]
	ds_read2_b64 v[140:143], v134 offset0:16 offset1:17
	v_fma_f64 v[102:103], -v[108:109], v[144:145], v[102:103]
	v_fma_f64 v[100:101], -v[108:109], v[146:147], v[100:101]
	ds_read2_b64 v[144:147], v134 offset0:18 offset1:19
	;; [unrolled: 3-line block ×3, first 2 shown]
	s_waitcnt lgkmcnt(0)
	v_fma_f64 v[94:95], -v[108:109], v[140:141], v[94:95]
	v_fma_f64 v[92:93], -v[108:109], v[142:143], v[92:93]
	;; [unrolled: 1-line block ×3, first 2 shown]
	ds_read2_b64 v[140:143], v134 offset0:22 offset1:23
	v_fma_f64 v[88:89], -v[108:109], v[146:147], v[88:89]
	ds_read2_b64 v[144:147], v134 offset0:24 offset1:25
	v_fma_f64 v[86:87], -v[108:109], v[148:149], v[86:87]
	v_fma_f64 v[84:85], -v[108:109], v[150:151], v[84:85]
	s_waitcnt lgkmcnt(0)
	v_fma_f64 v[82:83], -v[108:109], v[140:141], v[82:83]
	ds_read2_b64 v[148:151], v134 offset0:26 offset1:27
	v_fma_f64 v[80:81], -v[108:109], v[142:143], v[80:81]
	ds_read2_b64 v[140:143], v134 offset0:28 offset1:29
	v_fma_f64 v[78:79], -v[108:109], v[144:145], v[78:79]
	v_fma_f64 v[76:77], -v[108:109], v[146:147], v[76:77]
	ds_read2_b64 v[144:147], v134 offset0:30 offset1:31
	s_waitcnt lgkmcnt(0)
	v_fma_f64 v[74:75], -v[108:109], v[148:149], v[74:75]
	v_fma_f64 v[72:73], -v[108:109], v[150:151], v[72:73]
	ds_read2_b64 v[148:151], v134 offset0:32 offset1:33
	v_fma_f64 v[70:71], -v[108:109], v[140:141], v[70:71]
	v_fma_f64 v[68:69], -v[108:109], v[142:143], v[68:69]
	;; [unrolled: 1-line block ×3, first 2 shown]
	ds_read2_b64 v[140:143], v134 offset0:34 offset1:35
	v_fma_f64 v[64:65], -v[108:109], v[146:147], v[64:65]
	ds_read2_b64 v[144:147], v134 offset0:36 offset1:37
	s_waitcnt lgkmcnt(0)
	v_fma_f64 v[62:63], -v[108:109], v[148:149], v[62:63]
	v_fma_f64 v[60:61], -v[108:109], v[150:151], v[60:61]
	;; [unrolled: 1-line block ×3, first 2 shown]
	ds_read2_b64 v[148:151], v134 offset0:38 offset1:39
	v_fma_f64 v[56:57], -v[108:109], v[142:143], v[56:57]
	ds_read2_b64 v[140:143], v134 offset0:40 offset1:41
	v_fma_f64 v[54:55], -v[108:109], v[144:145], v[54:55]
	v_fma_f64 v[52:53], -v[108:109], v[146:147], v[52:53]
	ds_read2_b64 v[144:147], v134 offset0:42 offset1:43
	s_waitcnt lgkmcnt(0)
	v_fma_f64 v[50:51], -v[108:109], v[148:149], v[50:51]
	v_fma_f64 v[48:49], -v[108:109], v[150:151], v[48:49]
	ds_read2_b64 v[148:151], v134 offset0:44 offset1:45
	v_fma_f64 v[46:47], -v[108:109], v[140:141], v[46:47]
	v_fma_f64 v[44:45], -v[108:109], v[142:143], v[44:45]
	;; [unrolled: 1-line block ×3, first 2 shown]
	ds_read2_b64 v[140:143], v134 offset0:46 offset1:47
	v_fma_f64 v[40:41], -v[108:109], v[146:147], v[40:41]
	ds_read2_b64 v[144:147], v134 offset0:48 offset1:49
	s_waitcnt lgkmcnt(0)
	v_fma_f64 v[38:39], -v[108:109], v[148:149], v[38:39]
	v_fma_f64 v[36:37], -v[108:109], v[150:151], v[36:37]
	;; [unrolled: 1-line block ×3, first 2 shown]
	ds_read2_b64 v[148:151], v134 offset0:50 offset1:51
	v_fma_f64 v[32:33], -v[108:109], v[142:143], v[32:33]
	ds_read2_b64 v[140:143], v134 offset0:52 offset1:53
	v_fma_f64 v[30:31], -v[108:109], v[144:145], v[30:31]
	v_fma_f64 v[28:29], -v[108:109], v[146:147], v[28:29]
	ds_read2_b64 v[144:147], v134 offset0:54 offset1:55
	s_waitcnt lgkmcnt(0)
	v_fma_f64 v[26:27], -v[108:109], v[148:149], v[26:27]
	v_fma_f64 v[24:25], -v[108:109], v[150:151], v[24:25]
	ds_read2_b64 v[148:151], v134 offset0:56 offset1:57
	v_fma_f64 v[22:23], -v[108:109], v[140:141], v[22:23]
	v_fma_f64 v[20:21], -v[108:109], v[142:143], v[20:21]
	v_fma_f64 v[18:19], -v[108:109], v[144:145], v[18:19]
	v_fma_f64 v[16:17], -v[108:109], v[146:147], v[16:17]
	ds_read2_b64 v[140:143], v134 offset0:58 offset1:59
	ds_read2_b64 v[144:147], v134 offset0:60 offset1:61
	s_waitcnt lgkmcnt(0)
	v_fma_f64 v[14:15], -v[108:109], v[148:149], v[14:15]
	v_fma_f64 v[12:13], -v[108:109], v[150:151], v[12:13]
	;; [unrolled: 1-line block ×7, first 2 shown]
.LBB124_165:
	s_or_b64 exec, exec, s[0:1]
	v_lshl_add_u32 v130, v135, 3, v134
	s_barrier
	ds_write_b64 v130, v[106:107]
	s_waitcnt lgkmcnt(0)
	s_barrier
	ds_read_b64 v[130:131], v134 offset:80
	s_cmp_lt_i32 s18, 12
	v_mov_b32_e32 v132, 10
	s_cbranch_scc1 .LBB124_168
; %bb.166:
	v_add_u32_e32 v139, 0x58, v134
	s_mov_b32 s0, 11
	v_mov_b32_e32 v132, 10
.LBB124_167:                            ; =>This Inner Loop Header: Depth=1
	ds_read_b64 v[140:141], v139
	v_mov_b32_e32 v142, s0
	s_add_i32 s0, s0, 1
	v_add_u32_e32 v139, 8, v139
	s_cmp_lg_u32 s18, s0
	s_waitcnt lgkmcnt(0)
	v_cmp_lt_f64_e64 vcc, |v[130:131]|, |v[140:141]|
	v_cndmask_b32_e32 v131, v131, v141, vcc
	v_cndmask_b32_e32 v130, v130, v140, vcc
	;; [unrolled: 1-line block ×3, first 2 shown]
	s_cbranch_scc1 .LBB124_167
.LBB124_168:
	s_waitcnt lgkmcnt(0)
	v_cmp_eq_f64_e32 vcc, 0, v[130:131]
	s_and_saveexec_b64 s[0:1], vcc
	s_xor_b64 s[0:1], exec, s[0:1]
; %bb.169:
	v_cmp_ne_u32_e32 vcc, 0, v138
	v_cndmask_b32_e32 v138, 11, v138, vcc
; %bb.170:
	s_andn2_saveexec_b64 s[0:1], s[0:1]
; %bb.171:
	v_div_scale_f64 v[140:141], s[2:3], v[130:131], v[130:131], 1.0
	v_rcp_f64_e32 v[142:143], v[140:141]
	v_div_scale_f64 v[144:145], vcc, 1.0, v[130:131], 1.0
	v_fma_f64 v[146:147], -v[140:141], v[142:143], 1.0
	v_fmac_f64_e32 v[142:143], v[142:143], v[146:147]
	v_fma_f64 v[146:147], -v[140:141], v[142:143], 1.0
	v_fmac_f64_e32 v[142:143], v[142:143], v[146:147]
	v_mul_f64 v[146:147], v[144:145], v[142:143]
	v_fma_f64 v[140:141], -v[140:141], v[146:147], v[144:145]
	v_div_fmas_f64 v[140:141], v[140:141], v[142:143], v[146:147]
	v_div_fixup_f64 v[130:131], v[140:141], v[130:131], 1.0
; %bb.172:
	s_or_b64 exec, exec, s[0:1]
	v_cmp_ne_u32_e32 vcc, v135, v132
	s_and_saveexec_b64 s[0:1], vcc
	s_xor_b64 s[0:1], exec, s[0:1]
	s_cbranch_execz .LBB124_178
; %bb.173:
	v_cmp_eq_u32_e32 vcc, 10, v135
	s_and_saveexec_b64 s[2:3], vcc
	s_cbranch_execz .LBB124_177
; %bb.174:
	v_cmp_ne_u32_e32 vcc, 10, v132
	s_xor_b64 s[14:15], s[6:7], -1
	s_and_b64 s[16:17], s[14:15], vcc
	s_and_saveexec_b64 s[14:15], s[16:17]
	s_cbranch_execz .LBB124_176
; %bb.175:
	v_ashrrev_i32_e32 v133, 31, v132
	v_lshlrev_b64 v[140:141], 2, v[132:133]
	v_add_co_u32_e32 v140, vcc, v4, v140
	v_addc_co_u32_e32 v141, vcc, v5, v141, vcc
	flat_load_dword v133, v[140:141]
	flat_load_dword v135, v[4:5] offset:40
	s_waitcnt vmcnt(0) lgkmcnt(0)
	flat_store_dword v[4:5], v133 offset:40
	flat_store_dword v[140:141], v135
.LBB124_176:
	s_or_b64 exec, exec, s[14:15]
	v_mov_b32_e32 v133, v132
	v_mov_b32_e32 v135, v132
.LBB124_177:
	s_or_b64 exec, exec, s[2:3]
.LBB124_178:
	s_andn2_saveexec_b64 s[0:1], s[0:1]
	s_cbranch_execz .LBB124_180
; %bb.179:
	v_mov_b32_e32 v135, 10
	ds_write2_b64 v134, v[104:105], v[102:103] offset0:11 offset1:12
	ds_write2_b64 v134, v[100:101], v[98:99] offset0:13 offset1:14
	;; [unrolled: 1-line block ×26, first 2 shown]
.LBB124_180:
	s_or_b64 exec, exec, s[0:1]
	v_cmp_lt_i32_e32 vcc, 10, v135
	s_waitcnt lgkmcnt(0)
	s_barrier
	s_and_saveexec_b64 s[0:1], vcc
	s_cbranch_execz .LBB124_182
; %bb.181:
	ds_read2_b64 v[140:143], v134 offset0:11 offset1:12
	ds_read2_b64 v[144:147], v134 offset0:13 offset1:14
	v_mul_f64 v[106:107], v[130:131], v[106:107]
	ds_read2_b64 v[148:151], v134 offset0:15 offset1:16
	s_waitcnt lgkmcnt(0)
	v_fma_f64 v[104:105], -v[106:107], v[140:141], v[104:105]
	v_fma_f64 v[102:103], -v[106:107], v[142:143], v[102:103]
	ds_read2_b64 v[140:143], v134 offset0:17 offset1:18
	v_fma_f64 v[100:101], -v[106:107], v[144:145], v[100:101]
	v_fma_f64 v[98:99], -v[106:107], v[146:147], v[98:99]
	ds_read2_b64 v[144:147], v134 offset0:19 offset1:20
	;; [unrolled: 3-line block ×3, first 2 shown]
	s_waitcnt lgkmcnt(0)
	v_fma_f64 v[92:93], -v[106:107], v[140:141], v[92:93]
	v_fma_f64 v[90:91], -v[106:107], v[142:143], v[90:91]
	;; [unrolled: 1-line block ×3, first 2 shown]
	ds_read2_b64 v[140:143], v134 offset0:23 offset1:24
	v_fma_f64 v[86:87], -v[106:107], v[146:147], v[86:87]
	ds_read2_b64 v[144:147], v134 offset0:25 offset1:26
	v_fma_f64 v[84:85], -v[106:107], v[148:149], v[84:85]
	v_fma_f64 v[82:83], -v[106:107], v[150:151], v[82:83]
	s_waitcnt lgkmcnt(0)
	v_fma_f64 v[80:81], -v[106:107], v[140:141], v[80:81]
	ds_read2_b64 v[148:151], v134 offset0:27 offset1:28
	v_fma_f64 v[78:79], -v[106:107], v[142:143], v[78:79]
	ds_read2_b64 v[140:143], v134 offset0:29 offset1:30
	v_fma_f64 v[76:77], -v[106:107], v[144:145], v[76:77]
	v_fma_f64 v[74:75], -v[106:107], v[146:147], v[74:75]
	ds_read2_b64 v[144:147], v134 offset0:31 offset1:32
	s_waitcnt lgkmcnt(0)
	v_fma_f64 v[72:73], -v[106:107], v[148:149], v[72:73]
	v_fma_f64 v[70:71], -v[106:107], v[150:151], v[70:71]
	ds_read2_b64 v[148:151], v134 offset0:33 offset1:34
	v_fma_f64 v[68:69], -v[106:107], v[140:141], v[68:69]
	v_fma_f64 v[66:67], -v[106:107], v[142:143], v[66:67]
	;; [unrolled: 1-line block ×3, first 2 shown]
	ds_read2_b64 v[140:143], v134 offset0:35 offset1:36
	v_fma_f64 v[62:63], -v[106:107], v[146:147], v[62:63]
	ds_read2_b64 v[144:147], v134 offset0:37 offset1:38
	s_waitcnt lgkmcnt(0)
	v_fma_f64 v[60:61], -v[106:107], v[148:149], v[60:61]
	v_fma_f64 v[58:59], -v[106:107], v[150:151], v[58:59]
	v_fma_f64 v[56:57], -v[106:107], v[140:141], v[56:57]
	ds_read2_b64 v[148:151], v134 offset0:39 offset1:40
	v_fma_f64 v[54:55], -v[106:107], v[142:143], v[54:55]
	ds_read2_b64 v[140:143], v134 offset0:41 offset1:42
	v_fma_f64 v[52:53], -v[106:107], v[144:145], v[52:53]
	v_fma_f64 v[50:51], -v[106:107], v[146:147], v[50:51]
	ds_read2_b64 v[144:147], v134 offset0:43 offset1:44
	s_waitcnt lgkmcnt(0)
	v_fma_f64 v[48:49], -v[106:107], v[148:149], v[48:49]
	v_fma_f64 v[46:47], -v[106:107], v[150:151], v[46:47]
	ds_read2_b64 v[148:151], v134 offset0:45 offset1:46
	v_fma_f64 v[44:45], -v[106:107], v[140:141], v[44:45]
	v_fma_f64 v[42:43], -v[106:107], v[142:143], v[42:43]
	;; [unrolled: 1-line block ×3, first 2 shown]
	ds_read2_b64 v[140:143], v134 offset0:47 offset1:48
	v_fma_f64 v[38:39], -v[106:107], v[146:147], v[38:39]
	ds_read2_b64 v[144:147], v134 offset0:49 offset1:50
	s_waitcnt lgkmcnt(0)
	v_fma_f64 v[36:37], -v[106:107], v[148:149], v[36:37]
	v_fma_f64 v[34:35], -v[106:107], v[150:151], v[34:35]
	;; [unrolled: 1-line block ×3, first 2 shown]
	ds_read2_b64 v[148:151], v134 offset0:51 offset1:52
	v_fma_f64 v[30:31], -v[106:107], v[142:143], v[30:31]
	ds_read2_b64 v[140:143], v134 offset0:53 offset1:54
	v_fma_f64 v[28:29], -v[106:107], v[144:145], v[28:29]
	v_fma_f64 v[26:27], -v[106:107], v[146:147], v[26:27]
	ds_read2_b64 v[144:147], v134 offset0:55 offset1:56
	s_waitcnt lgkmcnt(0)
	v_fma_f64 v[24:25], -v[106:107], v[148:149], v[24:25]
	v_fma_f64 v[22:23], -v[106:107], v[150:151], v[22:23]
	;; [unrolled: 1-line block ×4, first 2 shown]
	ds_read2_b64 v[140:143], v134 offset0:57 offset1:58
	v_fma_f64 v[16:17], -v[106:107], v[144:145], v[16:17]
	ds_read2_b64 v[148:151], v134 offset0:59 offset1:60
	v_fma_f64 v[14:15], -v[106:107], v[146:147], v[14:15]
	ds_read2_b64 v[144:147], v134 offset0:61 offset1:62
	s_waitcnt lgkmcnt(0)
	v_fma_f64 v[12:13], -v[106:107], v[140:141], v[12:13]
	v_fma_f64 v[10:11], -v[106:107], v[142:143], v[10:11]
	;; [unrolled: 1-line block ×6, first 2 shown]
.LBB124_182:
	s_or_b64 exec, exec, s[0:1]
	v_lshl_add_u32 v130, v135, 3, v134
	s_barrier
	ds_write_b64 v130, v[104:105]
	s_waitcnt lgkmcnt(0)
	s_barrier
	ds_read_b64 v[130:131], v134 offset:88
	s_cmp_lt_i32 s18, 13
	v_mov_b32_e32 v132, 11
	s_cbranch_scc1 .LBB124_185
; %bb.183:
	v_add_u32_e32 v139, 0x60, v134
	s_mov_b32 s0, 12
	v_mov_b32_e32 v132, 11
.LBB124_184:                            ; =>This Inner Loop Header: Depth=1
	ds_read_b64 v[140:141], v139
	v_mov_b32_e32 v142, s0
	s_add_i32 s0, s0, 1
	v_add_u32_e32 v139, 8, v139
	s_cmp_lg_u32 s18, s0
	s_waitcnt lgkmcnt(0)
	v_cmp_lt_f64_e64 vcc, |v[130:131]|, |v[140:141]|
	v_cndmask_b32_e32 v131, v131, v141, vcc
	v_cndmask_b32_e32 v130, v130, v140, vcc
	;; [unrolled: 1-line block ×3, first 2 shown]
	s_cbranch_scc1 .LBB124_184
.LBB124_185:
	s_waitcnt lgkmcnt(0)
	v_cmp_eq_f64_e32 vcc, 0, v[130:131]
	s_and_saveexec_b64 s[0:1], vcc
	s_xor_b64 s[0:1], exec, s[0:1]
; %bb.186:
	v_cmp_ne_u32_e32 vcc, 0, v138
	v_cndmask_b32_e32 v138, 12, v138, vcc
; %bb.187:
	s_andn2_saveexec_b64 s[0:1], s[0:1]
; %bb.188:
	v_div_scale_f64 v[140:141], s[2:3], v[130:131], v[130:131], 1.0
	v_rcp_f64_e32 v[142:143], v[140:141]
	v_div_scale_f64 v[144:145], vcc, 1.0, v[130:131], 1.0
	v_fma_f64 v[146:147], -v[140:141], v[142:143], 1.0
	v_fmac_f64_e32 v[142:143], v[142:143], v[146:147]
	v_fma_f64 v[146:147], -v[140:141], v[142:143], 1.0
	v_fmac_f64_e32 v[142:143], v[142:143], v[146:147]
	v_mul_f64 v[146:147], v[144:145], v[142:143]
	v_fma_f64 v[140:141], -v[140:141], v[146:147], v[144:145]
	v_div_fmas_f64 v[140:141], v[140:141], v[142:143], v[146:147]
	v_div_fixup_f64 v[130:131], v[140:141], v[130:131], 1.0
; %bb.189:
	s_or_b64 exec, exec, s[0:1]
	v_cmp_ne_u32_e32 vcc, v135, v132
	s_and_saveexec_b64 s[0:1], vcc
	s_xor_b64 s[0:1], exec, s[0:1]
	s_cbranch_execz .LBB124_195
; %bb.190:
	v_cmp_eq_u32_e32 vcc, 11, v135
	s_and_saveexec_b64 s[2:3], vcc
	s_cbranch_execz .LBB124_194
; %bb.191:
	v_cmp_ne_u32_e32 vcc, 11, v132
	s_xor_b64 s[14:15], s[6:7], -1
	s_and_b64 s[16:17], s[14:15], vcc
	s_and_saveexec_b64 s[14:15], s[16:17]
	s_cbranch_execz .LBB124_193
; %bb.192:
	v_ashrrev_i32_e32 v133, 31, v132
	v_lshlrev_b64 v[140:141], 2, v[132:133]
	v_add_co_u32_e32 v140, vcc, v4, v140
	v_addc_co_u32_e32 v141, vcc, v5, v141, vcc
	flat_load_dword v133, v[140:141]
	flat_load_dword v135, v[4:5] offset:44
	s_waitcnt vmcnt(0) lgkmcnt(0)
	flat_store_dword v[4:5], v133 offset:44
	flat_store_dword v[140:141], v135
.LBB124_193:
	s_or_b64 exec, exec, s[14:15]
	v_mov_b32_e32 v133, v132
	v_mov_b32_e32 v135, v132
.LBB124_194:
	s_or_b64 exec, exec, s[2:3]
.LBB124_195:
	s_andn2_saveexec_b64 s[0:1], s[0:1]
	s_cbranch_execz .LBB124_197
; %bb.196:
	v_mov_b32_e32 v140, v102
	v_mov_b32_e32 v141, v103
	v_mov_b32_e32 v142, v100
	v_mov_b32_e32 v143, v101
	ds_write2_b64 v134, v[140:141], v[142:143] offset0:12 offset1:13
	v_mov_b32_e32 v140, v98
	v_mov_b32_e32 v141, v99
	v_mov_b32_e32 v142, v96
	v_mov_b32_e32 v143, v97
	ds_write2_b64 v134, v[140:141], v[142:143] offset0:14 offset1:15
	;; [unrolled: 5-line block ×24, first 2 shown]
	v_mov_b32_e32 v140, v6
	v_mov_b32_e32 v141, v7
	v_mov_b32_e32 v142, v0
	v_mov_b32_e32 v143, v1
	v_mov_b32_e32 v135, 11
	ds_write2_b64 v134, v[140:141], v[142:143] offset0:60 offset1:61
	ds_write_b64 v134, v[128:129] offset:496
.LBB124_197:
	s_or_b64 exec, exec, s[0:1]
	v_cmp_lt_i32_e32 vcc, 11, v135
	s_waitcnt lgkmcnt(0)
	s_barrier
	s_and_saveexec_b64 s[0:1], vcc
	s_cbranch_execz .LBB124_199
; %bb.198:
	ds_read2_b64 v[140:143], v134 offset0:12 offset1:13
	ds_read2_b64 v[144:147], v134 offset0:14 offset1:15
	v_mul_f64 v[104:105], v[130:131], v[104:105]
	ds_read2_b64 v[148:151], v134 offset0:16 offset1:17
	ds_read_b64 v[130:131], v134 offset:496
	s_waitcnt lgkmcnt(0)
	v_fma_f64 v[102:103], -v[104:105], v[140:141], v[102:103]
	v_fma_f64 v[100:101], -v[104:105], v[142:143], v[100:101]
	ds_read2_b64 v[140:143], v134 offset0:18 offset1:19
	v_fma_f64 v[98:99], -v[104:105], v[144:145], v[98:99]
	v_fma_f64 v[96:97], -v[104:105], v[146:147], v[96:97]
	;; [unrolled: 1-line block ×3, first 2 shown]
	ds_read2_b64 v[144:147], v134 offset0:20 offset1:21
	v_fma_f64 v[92:93], -v[104:105], v[150:151], v[92:93]
	ds_read2_b64 v[148:151], v134 offset0:22 offset1:23
	s_waitcnt lgkmcnt(0)
	v_fma_f64 v[90:91], -v[104:105], v[140:141], v[90:91]
	v_fma_f64 v[88:89], -v[104:105], v[142:143], v[88:89]
	ds_read2_b64 v[140:143], v134 offset0:24 offset1:25
	v_fma_f64 v[86:87], -v[104:105], v[144:145], v[86:87]
	v_fma_f64 v[84:85], -v[104:105], v[146:147], v[84:85]
	ds_read2_b64 v[144:147], v134 offset0:26 offset1:27
	v_fma_f64 v[82:83], -v[104:105], v[148:149], v[82:83]
	v_fma_f64 v[80:81], -v[104:105], v[150:151], v[80:81]
	s_waitcnt lgkmcnt(0)
	v_fma_f64 v[78:79], -v[104:105], v[140:141], v[78:79]
	ds_read2_b64 v[148:151], v134 offset0:28 offset1:29
	v_fma_f64 v[76:77], -v[104:105], v[142:143], v[76:77]
	ds_read2_b64 v[140:143], v134 offset0:30 offset1:31
	v_fma_f64 v[74:75], -v[104:105], v[144:145], v[74:75]
	v_fma_f64 v[72:73], -v[104:105], v[146:147], v[72:73]
	s_waitcnt lgkmcnt(0)
	v_fma_f64 v[70:71], -v[104:105], v[148:149], v[70:71]
	ds_read2_b64 v[144:147], v134 offset0:32 offset1:33
	v_fma_f64 v[68:69], -v[104:105], v[150:151], v[68:69]
	ds_read2_b64 v[148:151], v134 offset0:34 offset1:35
	v_fma_f64 v[66:67], -v[104:105], v[140:141], v[66:67]
	v_fma_f64 v[64:65], -v[104:105], v[142:143], v[64:65]
	ds_read2_b64 v[140:143], v134 offset0:36 offset1:37
	s_waitcnt lgkmcnt(0)
	v_fma_f64 v[62:63], -v[104:105], v[144:145], v[62:63]
	v_fma_f64 v[60:61], -v[104:105], v[146:147], v[60:61]
	ds_read2_b64 v[144:147], v134 offset0:38 offset1:39
	v_fma_f64 v[58:59], -v[104:105], v[148:149], v[58:59]
	v_fma_f64 v[56:57], -v[104:105], v[150:151], v[56:57]
	;; [unrolled: 1-line block ×3, first 2 shown]
	ds_read2_b64 v[148:151], v134 offset0:40 offset1:41
	v_fma_f64 v[52:53], -v[104:105], v[142:143], v[52:53]
	ds_read2_b64 v[140:143], v134 offset0:42 offset1:43
	s_waitcnt lgkmcnt(0)
	v_fma_f64 v[50:51], -v[104:105], v[144:145], v[50:51]
	v_fma_f64 v[48:49], -v[104:105], v[146:147], v[48:49]
	;; [unrolled: 1-line block ×3, first 2 shown]
	ds_read2_b64 v[144:147], v134 offset0:44 offset1:45
	v_fma_f64 v[44:45], -v[104:105], v[150:151], v[44:45]
	ds_read2_b64 v[148:151], v134 offset0:46 offset1:47
	v_fma_f64 v[42:43], -v[104:105], v[140:141], v[42:43]
	v_fma_f64 v[40:41], -v[104:105], v[142:143], v[40:41]
	ds_read2_b64 v[140:143], v134 offset0:48 offset1:49
	s_waitcnt lgkmcnt(0)
	v_fma_f64 v[38:39], -v[104:105], v[144:145], v[38:39]
	v_fma_f64 v[36:37], -v[104:105], v[146:147], v[36:37]
	ds_read2_b64 v[144:147], v134 offset0:50 offset1:51
	v_fma_f64 v[34:35], -v[104:105], v[148:149], v[34:35]
	v_fma_f64 v[32:33], -v[104:105], v[150:151], v[32:33]
	;; [unrolled: 1-line block ×3, first 2 shown]
	ds_read2_b64 v[148:151], v134 offset0:52 offset1:53
	v_fma_f64 v[28:29], -v[104:105], v[142:143], v[28:29]
	ds_read2_b64 v[140:143], v134 offset0:54 offset1:55
	s_waitcnt lgkmcnt(0)
	v_fma_f64 v[26:27], -v[104:105], v[144:145], v[26:27]
	v_fma_f64 v[24:25], -v[104:105], v[146:147], v[24:25]
	;; [unrolled: 1-line block ×3, first 2 shown]
	ds_read2_b64 v[144:147], v134 offset0:56 offset1:57
	v_fma_f64 v[20:21], -v[104:105], v[150:151], v[20:21]
	v_fma_f64 v[18:19], -v[104:105], v[140:141], v[18:19]
	;; [unrolled: 1-line block ×3, first 2 shown]
	ds_read2_b64 v[140:143], v134 offset0:58 offset1:59
	ds_read2_b64 v[148:151], v134 offset0:60 offset1:61
	s_waitcnt lgkmcnt(0)
	v_fma_f64 v[14:15], -v[104:105], v[144:145], v[14:15]
	v_fma_f64 v[12:13], -v[104:105], v[146:147], v[12:13]
	;; [unrolled: 1-line block ×7, first 2 shown]
.LBB124_199:
	s_or_b64 exec, exec, s[0:1]
	v_lshl_add_u32 v130, v135, 3, v134
	s_barrier
	ds_write_b64 v130, v[102:103]
	s_waitcnt lgkmcnt(0)
	s_barrier
	ds_read_b64 v[130:131], v134 offset:96
	s_cmp_lt_i32 s18, 14
	v_mov_b32_e32 v132, 12
	s_cbranch_scc1 .LBB124_202
; %bb.200:
	v_add_u32_e32 v139, 0x68, v134
	s_mov_b32 s0, 13
	v_mov_b32_e32 v132, 12
.LBB124_201:                            ; =>This Inner Loop Header: Depth=1
	ds_read_b64 v[140:141], v139
	v_mov_b32_e32 v142, s0
	s_add_i32 s0, s0, 1
	v_add_u32_e32 v139, 8, v139
	s_cmp_lg_u32 s18, s0
	s_waitcnt lgkmcnt(0)
	v_cmp_lt_f64_e64 vcc, |v[130:131]|, |v[140:141]|
	v_cndmask_b32_e32 v131, v131, v141, vcc
	v_cndmask_b32_e32 v130, v130, v140, vcc
	;; [unrolled: 1-line block ×3, first 2 shown]
	s_cbranch_scc1 .LBB124_201
.LBB124_202:
	s_waitcnt lgkmcnt(0)
	v_cmp_eq_f64_e32 vcc, 0, v[130:131]
	s_and_saveexec_b64 s[0:1], vcc
	s_xor_b64 s[0:1], exec, s[0:1]
; %bb.203:
	v_cmp_ne_u32_e32 vcc, 0, v138
	v_cndmask_b32_e32 v138, 13, v138, vcc
; %bb.204:
	s_andn2_saveexec_b64 s[0:1], s[0:1]
; %bb.205:
	v_div_scale_f64 v[140:141], s[2:3], v[130:131], v[130:131], 1.0
	v_rcp_f64_e32 v[142:143], v[140:141]
	v_div_scale_f64 v[144:145], vcc, 1.0, v[130:131], 1.0
	v_fma_f64 v[146:147], -v[140:141], v[142:143], 1.0
	v_fmac_f64_e32 v[142:143], v[142:143], v[146:147]
	v_fma_f64 v[146:147], -v[140:141], v[142:143], 1.0
	v_fmac_f64_e32 v[142:143], v[142:143], v[146:147]
	v_mul_f64 v[146:147], v[144:145], v[142:143]
	v_fma_f64 v[140:141], -v[140:141], v[146:147], v[144:145]
	v_div_fmas_f64 v[140:141], v[140:141], v[142:143], v[146:147]
	v_div_fixup_f64 v[130:131], v[140:141], v[130:131], 1.0
; %bb.206:
	s_or_b64 exec, exec, s[0:1]
	v_cmp_ne_u32_e32 vcc, v135, v132
	s_and_saveexec_b64 s[0:1], vcc
	s_xor_b64 s[0:1], exec, s[0:1]
	s_cbranch_execz .LBB124_212
; %bb.207:
	v_cmp_eq_u32_e32 vcc, 12, v135
	s_and_saveexec_b64 s[2:3], vcc
	s_cbranch_execz .LBB124_211
; %bb.208:
	v_cmp_ne_u32_e32 vcc, 12, v132
	s_xor_b64 s[14:15], s[6:7], -1
	s_and_b64 s[16:17], s[14:15], vcc
	s_and_saveexec_b64 s[14:15], s[16:17]
	s_cbranch_execz .LBB124_210
; %bb.209:
	v_ashrrev_i32_e32 v133, 31, v132
	v_lshlrev_b64 v[140:141], 2, v[132:133]
	v_add_co_u32_e32 v140, vcc, v4, v140
	v_addc_co_u32_e32 v141, vcc, v5, v141, vcc
	flat_load_dword v133, v[140:141]
	flat_load_dword v135, v[4:5] offset:48
	s_waitcnt vmcnt(0) lgkmcnt(0)
	flat_store_dword v[4:5], v133 offset:48
	flat_store_dword v[140:141], v135
.LBB124_210:
	s_or_b64 exec, exec, s[14:15]
	v_mov_b32_e32 v133, v132
	v_mov_b32_e32 v135, v132
.LBB124_211:
	s_or_b64 exec, exec, s[2:3]
.LBB124_212:
	s_andn2_saveexec_b64 s[0:1], s[0:1]
	s_cbranch_execz .LBB124_214
; %bb.213:
	v_mov_b32_e32 v135, 12
	ds_write2_b64 v134, v[100:101], v[98:99] offset0:13 offset1:14
	ds_write2_b64 v134, v[96:97], v[94:95] offset0:15 offset1:16
	;; [unrolled: 1-line block ×25, first 2 shown]
.LBB124_214:
	s_or_b64 exec, exec, s[0:1]
	v_cmp_lt_i32_e32 vcc, 12, v135
	s_waitcnt lgkmcnt(0)
	s_barrier
	s_and_saveexec_b64 s[0:1], vcc
	s_cbranch_execz .LBB124_216
; %bb.215:
	ds_read2_b64 v[140:143], v134 offset0:13 offset1:14
	ds_read2_b64 v[144:147], v134 offset0:15 offset1:16
	v_mul_f64 v[102:103], v[130:131], v[102:103]
	ds_read2_b64 v[148:151], v134 offset0:17 offset1:18
	s_waitcnt lgkmcnt(0)
	v_fma_f64 v[100:101], -v[102:103], v[140:141], v[100:101]
	v_fma_f64 v[98:99], -v[102:103], v[142:143], v[98:99]
	ds_read2_b64 v[140:143], v134 offset0:19 offset1:20
	v_fma_f64 v[96:97], -v[102:103], v[144:145], v[96:97]
	v_fma_f64 v[94:95], -v[102:103], v[146:147], v[94:95]
	;; [unrolled: 1-line block ×3, first 2 shown]
	ds_read2_b64 v[144:147], v134 offset0:21 offset1:22
	v_fma_f64 v[90:91], -v[102:103], v[150:151], v[90:91]
	ds_read2_b64 v[148:151], v134 offset0:23 offset1:24
	s_waitcnt lgkmcnt(0)
	v_fma_f64 v[88:89], -v[102:103], v[140:141], v[88:89]
	v_fma_f64 v[86:87], -v[102:103], v[142:143], v[86:87]
	ds_read2_b64 v[140:143], v134 offset0:25 offset1:26
	v_fma_f64 v[84:85], -v[102:103], v[144:145], v[84:85]
	v_fma_f64 v[82:83], -v[102:103], v[146:147], v[82:83]
	ds_read2_b64 v[144:147], v134 offset0:27 offset1:28
	v_fma_f64 v[80:81], -v[102:103], v[148:149], v[80:81]
	v_fma_f64 v[78:79], -v[102:103], v[150:151], v[78:79]
	s_waitcnt lgkmcnt(0)
	v_fma_f64 v[76:77], -v[102:103], v[140:141], v[76:77]
	ds_read2_b64 v[148:151], v134 offset0:29 offset1:30
	v_fma_f64 v[74:75], -v[102:103], v[142:143], v[74:75]
	ds_read2_b64 v[140:143], v134 offset0:31 offset1:32
	v_fma_f64 v[72:73], -v[102:103], v[144:145], v[72:73]
	v_fma_f64 v[70:71], -v[102:103], v[146:147], v[70:71]
	s_waitcnt lgkmcnt(0)
	v_fma_f64 v[68:69], -v[102:103], v[148:149], v[68:69]
	ds_read2_b64 v[144:147], v134 offset0:33 offset1:34
	v_fma_f64 v[66:67], -v[102:103], v[150:151], v[66:67]
	ds_read2_b64 v[148:151], v134 offset0:35 offset1:36
	v_fma_f64 v[64:65], -v[102:103], v[140:141], v[64:65]
	v_fma_f64 v[62:63], -v[102:103], v[142:143], v[62:63]
	ds_read2_b64 v[140:143], v134 offset0:37 offset1:38
	s_waitcnt lgkmcnt(0)
	v_fma_f64 v[60:61], -v[102:103], v[144:145], v[60:61]
	v_fma_f64 v[58:59], -v[102:103], v[146:147], v[58:59]
	ds_read2_b64 v[144:147], v134 offset0:39 offset1:40
	v_fma_f64 v[56:57], -v[102:103], v[148:149], v[56:57]
	v_fma_f64 v[54:55], -v[102:103], v[150:151], v[54:55]
	;; [unrolled: 1-line block ×3, first 2 shown]
	ds_read2_b64 v[148:151], v134 offset0:41 offset1:42
	v_fma_f64 v[50:51], -v[102:103], v[142:143], v[50:51]
	ds_read2_b64 v[140:143], v134 offset0:43 offset1:44
	s_waitcnt lgkmcnt(0)
	v_fma_f64 v[48:49], -v[102:103], v[144:145], v[48:49]
	v_fma_f64 v[46:47], -v[102:103], v[146:147], v[46:47]
	;; [unrolled: 1-line block ×3, first 2 shown]
	ds_read2_b64 v[144:147], v134 offset0:45 offset1:46
	v_fma_f64 v[42:43], -v[102:103], v[150:151], v[42:43]
	ds_read2_b64 v[148:151], v134 offset0:47 offset1:48
	v_fma_f64 v[40:41], -v[102:103], v[140:141], v[40:41]
	v_fma_f64 v[38:39], -v[102:103], v[142:143], v[38:39]
	ds_read2_b64 v[140:143], v134 offset0:49 offset1:50
	s_waitcnt lgkmcnt(0)
	v_fma_f64 v[36:37], -v[102:103], v[144:145], v[36:37]
	v_fma_f64 v[34:35], -v[102:103], v[146:147], v[34:35]
	ds_read2_b64 v[144:147], v134 offset0:51 offset1:52
	v_fma_f64 v[32:33], -v[102:103], v[148:149], v[32:33]
	v_fma_f64 v[30:31], -v[102:103], v[150:151], v[30:31]
	;; [unrolled: 1-line block ×3, first 2 shown]
	ds_read2_b64 v[148:151], v134 offset0:53 offset1:54
	v_fma_f64 v[26:27], -v[102:103], v[142:143], v[26:27]
	ds_read2_b64 v[140:143], v134 offset0:55 offset1:56
	s_waitcnt lgkmcnt(0)
	v_fma_f64 v[24:25], -v[102:103], v[144:145], v[24:25]
	v_fma_f64 v[22:23], -v[102:103], v[146:147], v[22:23]
	;; [unrolled: 1-line block ×4, first 2 shown]
	ds_read2_b64 v[144:147], v134 offset0:57 offset1:58
	ds_read2_b64 v[148:151], v134 offset0:59 offset1:60
	v_fma_f64 v[16:17], -v[102:103], v[140:141], v[16:17]
	v_fma_f64 v[14:15], -v[102:103], v[142:143], v[14:15]
	ds_read2_b64 v[140:143], v134 offset0:61 offset1:62
	s_waitcnt lgkmcnt(0)
	v_fma_f64 v[12:13], -v[102:103], v[144:145], v[12:13]
	v_fma_f64 v[10:11], -v[102:103], v[146:147], v[10:11]
	;; [unrolled: 1-line block ×6, first 2 shown]
.LBB124_216:
	s_or_b64 exec, exec, s[0:1]
	v_lshl_add_u32 v130, v135, 3, v134
	s_barrier
	ds_write_b64 v130, v[100:101]
	s_waitcnt lgkmcnt(0)
	s_barrier
	ds_read_b64 v[130:131], v134 offset:104
	s_cmp_lt_i32 s18, 15
	v_mov_b32_e32 v132, 13
	s_cbranch_scc1 .LBB124_219
; %bb.217:
	v_add_u32_e32 v139, 0x70, v134
	s_mov_b32 s0, 14
	v_mov_b32_e32 v132, 13
.LBB124_218:                            ; =>This Inner Loop Header: Depth=1
	ds_read_b64 v[140:141], v139
	v_mov_b32_e32 v142, s0
	s_add_i32 s0, s0, 1
	v_add_u32_e32 v139, 8, v139
	s_cmp_lg_u32 s18, s0
	s_waitcnt lgkmcnt(0)
	v_cmp_lt_f64_e64 vcc, |v[130:131]|, |v[140:141]|
	v_cndmask_b32_e32 v131, v131, v141, vcc
	v_cndmask_b32_e32 v130, v130, v140, vcc
	;; [unrolled: 1-line block ×3, first 2 shown]
	s_cbranch_scc1 .LBB124_218
.LBB124_219:
	s_waitcnt lgkmcnt(0)
	v_cmp_eq_f64_e32 vcc, 0, v[130:131]
	s_and_saveexec_b64 s[0:1], vcc
	s_xor_b64 s[0:1], exec, s[0:1]
; %bb.220:
	v_cmp_ne_u32_e32 vcc, 0, v138
	v_cndmask_b32_e32 v138, 14, v138, vcc
; %bb.221:
	s_andn2_saveexec_b64 s[0:1], s[0:1]
; %bb.222:
	v_div_scale_f64 v[140:141], s[2:3], v[130:131], v[130:131], 1.0
	v_rcp_f64_e32 v[142:143], v[140:141]
	v_div_scale_f64 v[144:145], vcc, 1.0, v[130:131], 1.0
	v_fma_f64 v[146:147], -v[140:141], v[142:143], 1.0
	v_fmac_f64_e32 v[142:143], v[142:143], v[146:147]
	v_fma_f64 v[146:147], -v[140:141], v[142:143], 1.0
	v_fmac_f64_e32 v[142:143], v[142:143], v[146:147]
	v_mul_f64 v[146:147], v[144:145], v[142:143]
	v_fma_f64 v[140:141], -v[140:141], v[146:147], v[144:145]
	v_div_fmas_f64 v[140:141], v[140:141], v[142:143], v[146:147]
	v_div_fixup_f64 v[130:131], v[140:141], v[130:131], 1.0
; %bb.223:
	s_or_b64 exec, exec, s[0:1]
	v_cmp_ne_u32_e32 vcc, v135, v132
	s_and_saveexec_b64 s[0:1], vcc
	s_xor_b64 s[0:1], exec, s[0:1]
	s_cbranch_execz .LBB124_229
; %bb.224:
	v_cmp_eq_u32_e32 vcc, 13, v135
	s_and_saveexec_b64 s[2:3], vcc
	s_cbranch_execz .LBB124_228
; %bb.225:
	v_cmp_ne_u32_e32 vcc, 13, v132
	s_xor_b64 s[14:15], s[6:7], -1
	s_and_b64 s[16:17], s[14:15], vcc
	s_and_saveexec_b64 s[14:15], s[16:17]
	s_cbranch_execz .LBB124_227
; %bb.226:
	v_ashrrev_i32_e32 v133, 31, v132
	v_lshlrev_b64 v[140:141], 2, v[132:133]
	v_add_co_u32_e32 v140, vcc, v4, v140
	v_addc_co_u32_e32 v141, vcc, v5, v141, vcc
	flat_load_dword v133, v[140:141]
	flat_load_dword v135, v[4:5] offset:52
	s_waitcnt vmcnt(0) lgkmcnt(0)
	flat_store_dword v[4:5], v133 offset:52
	flat_store_dword v[140:141], v135
.LBB124_227:
	s_or_b64 exec, exec, s[14:15]
	v_mov_b32_e32 v133, v132
	v_mov_b32_e32 v135, v132
.LBB124_228:
	s_or_b64 exec, exec, s[2:3]
.LBB124_229:
	s_andn2_saveexec_b64 s[0:1], s[0:1]
	s_cbranch_execz .LBB124_231
; %bb.230:
	v_mov_b32_e32 v140, v98
	v_mov_b32_e32 v141, v99
	v_mov_b32_e32 v142, v96
	v_mov_b32_e32 v143, v97
	ds_write2_b64 v134, v[140:141], v[142:143] offset0:14 offset1:15
	v_mov_b32_e32 v140, v94
	v_mov_b32_e32 v141, v95
	v_mov_b32_e32 v142, v92
	v_mov_b32_e32 v143, v93
	ds_write2_b64 v134, v[140:141], v[142:143] offset0:16 offset1:17
	;; [unrolled: 5-line block ×23, first 2 shown]
	v_mov_b32_e32 v140, v6
	v_mov_b32_e32 v141, v7
	v_mov_b32_e32 v142, v0
	v_mov_b32_e32 v143, v1
	v_mov_b32_e32 v135, 13
	ds_write2_b64 v134, v[140:141], v[142:143] offset0:60 offset1:61
	ds_write_b64 v134, v[128:129] offset:496
.LBB124_231:
	s_or_b64 exec, exec, s[0:1]
	v_cmp_lt_i32_e32 vcc, 13, v135
	s_waitcnt lgkmcnt(0)
	s_barrier
	s_and_saveexec_b64 s[0:1], vcc
	s_cbranch_execz .LBB124_233
; %bb.232:
	ds_read2_b64 v[140:143], v134 offset0:14 offset1:15
	ds_read2_b64 v[144:147], v134 offset0:16 offset1:17
	;; [unrolled: 1-line block ×3, first 2 shown]
	v_mul_f64 v[100:101], v[130:131], v[100:101]
	ds_read_b64 v[130:131], v134 offset:496
	s_waitcnt lgkmcnt(0)
	v_fma_f64 v[98:99], -v[100:101], v[140:141], v[98:99]
	v_fma_f64 v[96:97], -v[100:101], v[142:143], v[96:97]
	ds_read2_b64 v[140:143], v134 offset0:20 offset1:21
	v_fma_f64 v[94:95], -v[100:101], v[144:145], v[94:95]
	v_fma_f64 v[92:93], -v[100:101], v[146:147], v[92:93]
	v_fma_f64 v[90:91], -v[100:101], v[148:149], v[90:91]
	ds_read2_b64 v[144:147], v134 offset0:22 offset1:23
	v_fma_f64 v[88:89], -v[100:101], v[150:151], v[88:89]
	ds_read2_b64 v[148:151], v134 offset0:24 offset1:25
	s_waitcnt lgkmcnt(0)
	v_fma_f64 v[86:87], -v[100:101], v[140:141], v[86:87]
	v_fma_f64 v[84:85], -v[100:101], v[142:143], v[84:85]
	v_fma_f64 v[82:83], -v[100:101], v[144:145], v[82:83]
	ds_read2_b64 v[140:143], v134 offset0:26 offset1:27
	v_fma_f64 v[80:81], -v[100:101], v[146:147], v[80:81]
	ds_read2_b64 v[144:147], v134 offset0:28 offset1:29
	v_fma_f64 v[78:79], -v[100:101], v[148:149], v[78:79]
	v_fma_f64 v[76:77], -v[100:101], v[150:151], v[76:77]
	ds_read2_b64 v[148:151], v134 offset0:30 offset1:31
	s_waitcnt lgkmcnt(0)
	v_fma_f64 v[74:75], -v[100:101], v[140:141], v[74:75]
	v_fma_f64 v[72:73], -v[100:101], v[142:143], v[72:73]
	ds_read2_b64 v[140:143], v134 offset0:32 offset1:33
	v_fma_f64 v[70:71], -v[100:101], v[144:145], v[70:71]
	v_fma_f64 v[68:69], -v[100:101], v[146:147], v[68:69]
	v_fma_f64 v[66:67], -v[100:101], v[148:149], v[66:67]
	ds_read2_b64 v[144:147], v134 offset0:34 offset1:35
	v_fma_f64 v[64:65], -v[100:101], v[150:151], v[64:65]
	ds_read2_b64 v[148:151], v134 offset0:36 offset1:37
	s_waitcnt lgkmcnt(0)
	v_fma_f64 v[62:63], -v[100:101], v[140:141], v[62:63]
	v_fma_f64 v[60:61], -v[100:101], v[142:143], v[60:61]
	v_fma_f64 v[58:59], -v[100:101], v[144:145], v[58:59]
	ds_read2_b64 v[140:143], v134 offset0:38 offset1:39
	v_fma_f64 v[56:57], -v[100:101], v[146:147], v[56:57]
	ds_read2_b64 v[144:147], v134 offset0:40 offset1:41
	v_fma_f64 v[54:55], -v[100:101], v[148:149], v[54:55]
	v_fma_f64 v[52:53], -v[100:101], v[150:151], v[52:53]
	ds_read2_b64 v[148:151], v134 offset0:42 offset1:43
	;; [unrolled: 20-line block ×3, first 2 shown]
	s_waitcnt lgkmcnt(0)
	v_fma_f64 v[26:27], -v[100:101], v[140:141], v[26:27]
	v_fma_f64 v[24:25], -v[100:101], v[142:143], v[24:25]
	ds_read2_b64 v[140:143], v134 offset0:56 offset1:57
	v_fma_f64 v[22:23], -v[100:101], v[144:145], v[22:23]
	v_fma_f64 v[20:21], -v[100:101], v[146:147], v[20:21]
	v_fma_f64 v[18:19], -v[100:101], v[148:149], v[18:19]
	v_fma_f64 v[16:17], -v[100:101], v[150:151], v[16:17]
	ds_read2_b64 v[144:147], v134 offset0:58 offset1:59
	ds_read2_b64 v[148:151], v134 offset0:60 offset1:61
	s_waitcnt lgkmcnt(0)
	v_fma_f64 v[14:15], -v[100:101], v[140:141], v[14:15]
	v_fma_f64 v[12:13], -v[100:101], v[142:143], v[12:13]
	;; [unrolled: 1-line block ×7, first 2 shown]
.LBB124_233:
	s_or_b64 exec, exec, s[0:1]
	v_lshl_add_u32 v130, v135, 3, v134
	s_barrier
	ds_write_b64 v130, v[98:99]
	s_waitcnt lgkmcnt(0)
	s_barrier
	ds_read_b64 v[130:131], v134 offset:112
	s_cmp_lt_i32 s18, 16
	v_mov_b32_e32 v132, 14
	s_cbranch_scc1 .LBB124_236
; %bb.234:
	v_add_u32_e32 v139, 0x78, v134
	s_mov_b32 s0, 15
	v_mov_b32_e32 v132, 14
.LBB124_235:                            ; =>This Inner Loop Header: Depth=1
	ds_read_b64 v[140:141], v139
	v_mov_b32_e32 v142, s0
	s_add_i32 s0, s0, 1
	v_add_u32_e32 v139, 8, v139
	s_cmp_lg_u32 s18, s0
	s_waitcnt lgkmcnt(0)
	v_cmp_lt_f64_e64 vcc, |v[130:131]|, |v[140:141]|
	v_cndmask_b32_e32 v131, v131, v141, vcc
	v_cndmask_b32_e32 v130, v130, v140, vcc
	;; [unrolled: 1-line block ×3, first 2 shown]
	s_cbranch_scc1 .LBB124_235
.LBB124_236:
	s_waitcnt lgkmcnt(0)
	v_cmp_eq_f64_e32 vcc, 0, v[130:131]
	s_and_saveexec_b64 s[0:1], vcc
	s_xor_b64 s[0:1], exec, s[0:1]
; %bb.237:
	v_cmp_ne_u32_e32 vcc, 0, v138
	v_cndmask_b32_e32 v138, 15, v138, vcc
; %bb.238:
	s_andn2_saveexec_b64 s[0:1], s[0:1]
; %bb.239:
	v_div_scale_f64 v[140:141], s[2:3], v[130:131], v[130:131], 1.0
	v_rcp_f64_e32 v[142:143], v[140:141]
	v_div_scale_f64 v[144:145], vcc, 1.0, v[130:131], 1.0
	v_fma_f64 v[146:147], -v[140:141], v[142:143], 1.0
	v_fmac_f64_e32 v[142:143], v[142:143], v[146:147]
	v_fma_f64 v[146:147], -v[140:141], v[142:143], 1.0
	v_fmac_f64_e32 v[142:143], v[142:143], v[146:147]
	v_mul_f64 v[146:147], v[144:145], v[142:143]
	v_fma_f64 v[140:141], -v[140:141], v[146:147], v[144:145]
	v_div_fmas_f64 v[140:141], v[140:141], v[142:143], v[146:147]
	v_div_fixup_f64 v[130:131], v[140:141], v[130:131], 1.0
; %bb.240:
	s_or_b64 exec, exec, s[0:1]
	v_cmp_ne_u32_e32 vcc, v135, v132
	s_and_saveexec_b64 s[0:1], vcc
	s_xor_b64 s[0:1], exec, s[0:1]
	s_cbranch_execz .LBB124_246
; %bb.241:
	v_cmp_eq_u32_e32 vcc, 14, v135
	s_and_saveexec_b64 s[2:3], vcc
	s_cbranch_execz .LBB124_245
; %bb.242:
	v_cmp_ne_u32_e32 vcc, 14, v132
	s_xor_b64 s[14:15], s[6:7], -1
	s_and_b64 s[16:17], s[14:15], vcc
	s_and_saveexec_b64 s[14:15], s[16:17]
	s_cbranch_execz .LBB124_244
; %bb.243:
	v_ashrrev_i32_e32 v133, 31, v132
	v_lshlrev_b64 v[140:141], 2, v[132:133]
	v_add_co_u32_e32 v140, vcc, v4, v140
	v_addc_co_u32_e32 v141, vcc, v5, v141, vcc
	flat_load_dword v133, v[140:141]
	flat_load_dword v135, v[4:5] offset:56
	s_waitcnt vmcnt(0) lgkmcnt(0)
	flat_store_dword v[4:5], v133 offset:56
	flat_store_dword v[140:141], v135
.LBB124_244:
	s_or_b64 exec, exec, s[14:15]
	v_mov_b32_e32 v133, v132
	v_mov_b32_e32 v135, v132
.LBB124_245:
	s_or_b64 exec, exec, s[2:3]
.LBB124_246:
	s_andn2_saveexec_b64 s[0:1], s[0:1]
	s_cbranch_execz .LBB124_248
; %bb.247:
	v_mov_b32_e32 v135, 14
	ds_write2_b64 v134, v[96:97], v[94:95] offset0:15 offset1:16
	ds_write2_b64 v134, v[92:93], v[90:91] offset0:17 offset1:18
	;; [unrolled: 1-line block ×24, first 2 shown]
.LBB124_248:
	s_or_b64 exec, exec, s[0:1]
	v_cmp_lt_i32_e32 vcc, 14, v135
	s_waitcnt lgkmcnt(0)
	s_barrier
	s_and_saveexec_b64 s[0:1], vcc
	s_cbranch_execz .LBB124_250
; %bb.249:
	ds_read2_b64 v[140:143], v134 offset0:15 offset1:16
	ds_read2_b64 v[144:147], v134 offset0:17 offset1:18
	;; [unrolled: 1-line block ×3, first 2 shown]
	v_mul_f64 v[98:99], v[130:131], v[98:99]
	s_waitcnt lgkmcnt(0)
	v_fma_f64 v[96:97], -v[98:99], v[140:141], v[96:97]
	v_fma_f64 v[94:95], -v[98:99], v[142:143], v[94:95]
	ds_read2_b64 v[140:143], v134 offset0:21 offset1:22
	v_fma_f64 v[92:93], -v[98:99], v[144:145], v[92:93]
	v_fma_f64 v[90:91], -v[98:99], v[146:147], v[90:91]
	v_fma_f64 v[88:89], -v[98:99], v[148:149], v[88:89]
	ds_read2_b64 v[144:147], v134 offset0:23 offset1:24
	v_fma_f64 v[86:87], -v[98:99], v[150:151], v[86:87]
	ds_read2_b64 v[148:151], v134 offset0:25 offset1:26
	s_waitcnt lgkmcnt(0)
	v_fma_f64 v[84:85], -v[98:99], v[140:141], v[84:85]
	v_fma_f64 v[82:83], -v[98:99], v[142:143], v[82:83]
	v_fma_f64 v[80:81], -v[98:99], v[144:145], v[80:81]
	ds_read2_b64 v[140:143], v134 offset0:27 offset1:28
	v_fma_f64 v[78:79], -v[98:99], v[146:147], v[78:79]
	ds_read2_b64 v[144:147], v134 offset0:29 offset1:30
	v_fma_f64 v[76:77], -v[98:99], v[148:149], v[76:77]
	v_fma_f64 v[74:75], -v[98:99], v[150:151], v[74:75]
	ds_read2_b64 v[148:151], v134 offset0:31 offset1:32
	s_waitcnt lgkmcnt(0)
	v_fma_f64 v[72:73], -v[98:99], v[140:141], v[72:73]
	v_fma_f64 v[70:71], -v[98:99], v[142:143], v[70:71]
	ds_read2_b64 v[140:143], v134 offset0:33 offset1:34
	v_fma_f64 v[68:69], -v[98:99], v[144:145], v[68:69]
	v_fma_f64 v[66:67], -v[98:99], v[146:147], v[66:67]
	v_fma_f64 v[64:65], -v[98:99], v[148:149], v[64:65]
	ds_read2_b64 v[144:147], v134 offset0:35 offset1:36
	v_fma_f64 v[62:63], -v[98:99], v[150:151], v[62:63]
	ds_read2_b64 v[148:151], v134 offset0:37 offset1:38
	s_waitcnt lgkmcnt(0)
	v_fma_f64 v[60:61], -v[98:99], v[140:141], v[60:61]
	v_fma_f64 v[58:59], -v[98:99], v[142:143], v[58:59]
	v_fma_f64 v[56:57], -v[98:99], v[144:145], v[56:57]
	ds_read2_b64 v[140:143], v134 offset0:39 offset1:40
	v_fma_f64 v[54:55], -v[98:99], v[146:147], v[54:55]
	ds_read2_b64 v[144:147], v134 offset0:41 offset1:42
	v_fma_f64 v[52:53], -v[98:99], v[148:149], v[52:53]
	v_fma_f64 v[50:51], -v[98:99], v[150:151], v[50:51]
	ds_read2_b64 v[148:151], v134 offset0:43 offset1:44
	;; [unrolled: 20-line block ×3, first 2 shown]
	s_waitcnt lgkmcnt(0)
	v_fma_f64 v[24:25], -v[98:99], v[140:141], v[24:25]
	v_fma_f64 v[22:23], -v[98:99], v[142:143], v[22:23]
	ds_read2_b64 v[140:143], v134 offset0:57 offset1:58
	v_fma_f64 v[20:21], -v[98:99], v[144:145], v[20:21]
	v_fma_f64 v[18:19], -v[98:99], v[146:147], v[18:19]
	;; [unrolled: 1-line block ×3, first 2 shown]
	ds_read2_b64 v[144:147], v134 offset0:59 offset1:60
	v_fma_f64 v[14:15], -v[98:99], v[150:151], v[14:15]
	ds_read2_b64 v[148:151], v134 offset0:61 offset1:62
	s_waitcnt lgkmcnt(0)
	v_fma_f64 v[12:13], -v[98:99], v[140:141], v[12:13]
	v_fma_f64 v[10:11], -v[98:99], v[142:143], v[10:11]
	;; [unrolled: 1-line block ×6, first 2 shown]
.LBB124_250:
	s_or_b64 exec, exec, s[0:1]
	v_lshl_add_u32 v130, v135, 3, v134
	s_barrier
	ds_write_b64 v130, v[96:97]
	s_waitcnt lgkmcnt(0)
	s_barrier
	ds_read_b64 v[130:131], v134 offset:120
	s_cmp_lt_i32 s18, 17
	v_mov_b32_e32 v132, 15
	s_cbranch_scc1 .LBB124_253
; %bb.251:
	v_add_u32_e32 v139, 0x80, v134
	s_mov_b32 s0, 16
	v_mov_b32_e32 v132, 15
.LBB124_252:                            ; =>This Inner Loop Header: Depth=1
	ds_read_b64 v[140:141], v139
	v_mov_b32_e32 v142, s0
	s_add_i32 s0, s0, 1
	v_add_u32_e32 v139, 8, v139
	s_cmp_lg_u32 s18, s0
	s_waitcnt lgkmcnt(0)
	v_cmp_lt_f64_e64 vcc, |v[130:131]|, |v[140:141]|
	v_cndmask_b32_e32 v131, v131, v141, vcc
	v_cndmask_b32_e32 v130, v130, v140, vcc
	v_cndmask_b32_e32 v132, v132, v142, vcc
	s_cbranch_scc1 .LBB124_252
.LBB124_253:
	s_waitcnt lgkmcnt(0)
	v_cmp_eq_f64_e32 vcc, 0, v[130:131]
	s_and_saveexec_b64 s[0:1], vcc
	s_xor_b64 s[0:1], exec, s[0:1]
; %bb.254:
	v_cmp_ne_u32_e32 vcc, 0, v138
	v_cndmask_b32_e32 v138, 16, v138, vcc
; %bb.255:
	s_andn2_saveexec_b64 s[0:1], s[0:1]
; %bb.256:
	v_div_scale_f64 v[140:141], s[2:3], v[130:131], v[130:131], 1.0
	v_rcp_f64_e32 v[142:143], v[140:141]
	v_div_scale_f64 v[144:145], vcc, 1.0, v[130:131], 1.0
	v_fma_f64 v[146:147], -v[140:141], v[142:143], 1.0
	v_fmac_f64_e32 v[142:143], v[142:143], v[146:147]
	v_fma_f64 v[146:147], -v[140:141], v[142:143], 1.0
	v_fmac_f64_e32 v[142:143], v[142:143], v[146:147]
	v_mul_f64 v[146:147], v[144:145], v[142:143]
	v_fma_f64 v[140:141], -v[140:141], v[146:147], v[144:145]
	v_div_fmas_f64 v[140:141], v[140:141], v[142:143], v[146:147]
	v_div_fixup_f64 v[130:131], v[140:141], v[130:131], 1.0
; %bb.257:
	s_or_b64 exec, exec, s[0:1]
	v_cmp_ne_u32_e32 vcc, v135, v132
	s_and_saveexec_b64 s[0:1], vcc
	s_xor_b64 s[0:1], exec, s[0:1]
	s_cbranch_execz .LBB124_263
; %bb.258:
	v_cmp_eq_u32_e32 vcc, 15, v135
	s_and_saveexec_b64 s[2:3], vcc
	s_cbranch_execz .LBB124_262
; %bb.259:
	v_cmp_ne_u32_e32 vcc, 15, v132
	s_xor_b64 s[14:15], s[6:7], -1
	s_and_b64 s[16:17], s[14:15], vcc
	s_and_saveexec_b64 s[14:15], s[16:17]
	s_cbranch_execz .LBB124_261
; %bb.260:
	v_ashrrev_i32_e32 v133, 31, v132
	v_lshlrev_b64 v[140:141], 2, v[132:133]
	v_add_co_u32_e32 v140, vcc, v4, v140
	v_addc_co_u32_e32 v141, vcc, v5, v141, vcc
	flat_load_dword v133, v[140:141]
	flat_load_dword v135, v[4:5] offset:60
	s_waitcnt vmcnt(0) lgkmcnt(0)
	flat_store_dword v[4:5], v133 offset:60
	flat_store_dword v[140:141], v135
.LBB124_261:
	s_or_b64 exec, exec, s[14:15]
	v_mov_b32_e32 v133, v132
	v_mov_b32_e32 v135, v132
.LBB124_262:
	s_or_b64 exec, exec, s[2:3]
.LBB124_263:
	s_andn2_saveexec_b64 s[0:1], s[0:1]
	s_cbranch_execz .LBB124_265
; %bb.264:
	v_mov_b32_e32 v140, v94
	v_mov_b32_e32 v141, v95
	v_mov_b32_e32 v142, v92
	v_mov_b32_e32 v143, v93
	ds_write2_b64 v134, v[140:141], v[142:143] offset0:16 offset1:17
	v_mov_b32_e32 v140, v90
	v_mov_b32_e32 v141, v91
	v_mov_b32_e32 v142, v88
	v_mov_b32_e32 v143, v89
	ds_write2_b64 v134, v[140:141], v[142:143] offset0:18 offset1:19
	;; [unrolled: 5-line block ×22, first 2 shown]
	v_mov_b32_e32 v140, v6
	v_mov_b32_e32 v141, v7
	;; [unrolled: 1-line block ×5, first 2 shown]
	ds_write2_b64 v134, v[140:141], v[142:143] offset0:60 offset1:61
	ds_write_b64 v134, v[128:129] offset:496
.LBB124_265:
	s_or_b64 exec, exec, s[0:1]
	v_cmp_lt_i32_e32 vcc, 15, v135
	s_waitcnt lgkmcnt(0)
	s_barrier
	s_and_saveexec_b64 s[0:1], vcc
	s_cbranch_execz .LBB124_267
; %bb.266:
	ds_read2_b64 v[140:143], v134 offset0:16 offset1:17
	ds_read2_b64 v[144:147], v134 offset0:18 offset1:19
	v_mul_f64 v[96:97], v[130:131], v[96:97]
	ds_read2_b64 v[148:151], v134 offset0:20 offset1:21
	ds_read_b64 v[130:131], v134 offset:496
	s_waitcnt lgkmcnt(0)
	v_fma_f64 v[94:95], -v[96:97], v[140:141], v[94:95]
	v_fma_f64 v[92:93], -v[96:97], v[142:143], v[92:93]
	ds_read2_b64 v[140:143], v134 offset0:22 offset1:23
	v_fma_f64 v[90:91], -v[96:97], v[144:145], v[90:91]
	v_fma_f64 v[88:89], -v[96:97], v[146:147], v[88:89]
	ds_read2_b64 v[144:147], v134 offset0:24 offset1:25
	;; [unrolled: 3-line block ×3, first 2 shown]
	s_waitcnt lgkmcnt(0)
	v_fma_f64 v[82:83], -v[96:97], v[140:141], v[82:83]
	v_fma_f64 v[80:81], -v[96:97], v[142:143], v[80:81]
	;; [unrolled: 1-line block ×3, first 2 shown]
	ds_read2_b64 v[140:143], v134 offset0:28 offset1:29
	v_fma_f64 v[76:77], -v[96:97], v[146:147], v[76:77]
	ds_read2_b64 v[144:147], v134 offset0:30 offset1:31
	v_fma_f64 v[74:75], -v[96:97], v[148:149], v[74:75]
	v_fma_f64 v[72:73], -v[96:97], v[150:151], v[72:73]
	s_waitcnt lgkmcnt(0)
	v_fma_f64 v[70:71], -v[96:97], v[140:141], v[70:71]
	ds_read2_b64 v[148:151], v134 offset0:32 offset1:33
	v_fma_f64 v[68:69], -v[96:97], v[142:143], v[68:69]
	ds_read2_b64 v[140:143], v134 offset0:34 offset1:35
	v_fma_f64 v[66:67], -v[96:97], v[144:145], v[66:67]
	v_fma_f64 v[64:65], -v[96:97], v[146:147], v[64:65]
	ds_read2_b64 v[144:147], v134 offset0:36 offset1:37
	s_waitcnt lgkmcnt(0)
	v_fma_f64 v[62:63], -v[96:97], v[148:149], v[62:63]
	v_fma_f64 v[60:61], -v[96:97], v[150:151], v[60:61]
	ds_read2_b64 v[148:151], v134 offset0:38 offset1:39
	v_fma_f64 v[58:59], -v[96:97], v[140:141], v[58:59]
	v_fma_f64 v[56:57], -v[96:97], v[142:143], v[56:57]
	;; [unrolled: 1-line block ×3, first 2 shown]
	ds_read2_b64 v[140:143], v134 offset0:40 offset1:41
	v_fma_f64 v[52:53], -v[96:97], v[146:147], v[52:53]
	ds_read2_b64 v[144:147], v134 offset0:42 offset1:43
	s_waitcnt lgkmcnt(0)
	v_fma_f64 v[50:51], -v[96:97], v[148:149], v[50:51]
	v_fma_f64 v[48:49], -v[96:97], v[150:151], v[48:49]
	;; [unrolled: 1-line block ×3, first 2 shown]
	ds_read2_b64 v[148:151], v134 offset0:44 offset1:45
	v_fma_f64 v[44:45], -v[96:97], v[142:143], v[44:45]
	ds_read2_b64 v[140:143], v134 offset0:46 offset1:47
	v_fma_f64 v[42:43], -v[96:97], v[144:145], v[42:43]
	v_fma_f64 v[40:41], -v[96:97], v[146:147], v[40:41]
	ds_read2_b64 v[144:147], v134 offset0:48 offset1:49
	s_waitcnt lgkmcnt(0)
	v_fma_f64 v[38:39], -v[96:97], v[148:149], v[38:39]
	v_fma_f64 v[36:37], -v[96:97], v[150:151], v[36:37]
	ds_read2_b64 v[148:151], v134 offset0:50 offset1:51
	v_fma_f64 v[34:35], -v[96:97], v[140:141], v[34:35]
	v_fma_f64 v[32:33], -v[96:97], v[142:143], v[32:33]
	;; [unrolled: 1-line block ×3, first 2 shown]
	ds_read2_b64 v[140:143], v134 offset0:52 offset1:53
	v_fma_f64 v[28:29], -v[96:97], v[146:147], v[28:29]
	ds_read2_b64 v[144:147], v134 offset0:54 offset1:55
	s_waitcnt lgkmcnt(0)
	v_fma_f64 v[26:27], -v[96:97], v[148:149], v[26:27]
	v_fma_f64 v[24:25], -v[96:97], v[150:151], v[24:25]
	;; [unrolled: 1-line block ×3, first 2 shown]
	ds_read2_b64 v[148:151], v134 offset0:56 offset1:57
	v_fma_f64 v[20:21], -v[96:97], v[142:143], v[20:21]
	ds_read2_b64 v[140:143], v134 offset0:58 offset1:59
	v_fma_f64 v[18:19], -v[96:97], v[144:145], v[18:19]
	v_fma_f64 v[16:17], -v[96:97], v[146:147], v[16:17]
	ds_read2_b64 v[144:147], v134 offset0:60 offset1:61
	s_waitcnt lgkmcnt(0)
	v_fma_f64 v[14:15], -v[96:97], v[148:149], v[14:15]
	v_fma_f64 v[12:13], -v[96:97], v[150:151], v[12:13]
	;; [unrolled: 1-line block ×7, first 2 shown]
.LBB124_267:
	s_or_b64 exec, exec, s[0:1]
	v_lshl_add_u32 v130, v135, 3, v134
	s_barrier
	ds_write_b64 v130, v[94:95]
	s_waitcnt lgkmcnt(0)
	s_barrier
	ds_read_b64 v[130:131], v134 offset:128
	s_cmp_lt_i32 s18, 18
	v_mov_b32_e32 v132, 16
	s_cbranch_scc1 .LBB124_270
; %bb.268:
	v_add_u32_e32 v139, 0x88, v134
	s_mov_b32 s0, 17
	v_mov_b32_e32 v132, 16
.LBB124_269:                            ; =>This Inner Loop Header: Depth=1
	ds_read_b64 v[140:141], v139
	v_mov_b32_e32 v142, s0
	s_add_i32 s0, s0, 1
	v_add_u32_e32 v139, 8, v139
	s_cmp_lg_u32 s18, s0
	s_waitcnt lgkmcnt(0)
	v_cmp_lt_f64_e64 vcc, |v[130:131]|, |v[140:141]|
	v_cndmask_b32_e32 v131, v131, v141, vcc
	v_cndmask_b32_e32 v130, v130, v140, vcc
	;; [unrolled: 1-line block ×3, first 2 shown]
	s_cbranch_scc1 .LBB124_269
.LBB124_270:
	s_waitcnt lgkmcnt(0)
	v_cmp_eq_f64_e32 vcc, 0, v[130:131]
	s_and_saveexec_b64 s[0:1], vcc
	s_xor_b64 s[0:1], exec, s[0:1]
; %bb.271:
	v_cmp_ne_u32_e32 vcc, 0, v138
	v_cndmask_b32_e32 v138, 17, v138, vcc
; %bb.272:
	s_andn2_saveexec_b64 s[0:1], s[0:1]
; %bb.273:
	v_div_scale_f64 v[140:141], s[2:3], v[130:131], v[130:131], 1.0
	v_rcp_f64_e32 v[142:143], v[140:141]
	v_div_scale_f64 v[144:145], vcc, 1.0, v[130:131], 1.0
	v_fma_f64 v[146:147], -v[140:141], v[142:143], 1.0
	v_fmac_f64_e32 v[142:143], v[142:143], v[146:147]
	v_fma_f64 v[146:147], -v[140:141], v[142:143], 1.0
	v_fmac_f64_e32 v[142:143], v[142:143], v[146:147]
	v_mul_f64 v[146:147], v[144:145], v[142:143]
	v_fma_f64 v[140:141], -v[140:141], v[146:147], v[144:145]
	v_div_fmas_f64 v[140:141], v[140:141], v[142:143], v[146:147]
	v_div_fixup_f64 v[130:131], v[140:141], v[130:131], 1.0
; %bb.274:
	s_or_b64 exec, exec, s[0:1]
	v_cmp_ne_u32_e32 vcc, v135, v132
	s_and_saveexec_b64 s[0:1], vcc
	s_xor_b64 s[0:1], exec, s[0:1]
	s_cbranch_execz .LBB124_280
; %bb.275:
	v_cmp_eq_u32_e32 vcc, 16, v135
	s_and_saveexec_b64 s[2:3], vcc
	s_cbranch_execz .LBB124_279
; %bb.276:
	v_cmp_ne_u32_e32 vcc, 16, v132
	s_xor_b64 s[14:15], s[6:7], -1
	s_and_b64 s[16:17], s[14:15], vcc
	s_and_saveexec_b64 s[14:15], s[16:17]
	s_cbranch_execz .LBB124_278
; %bb.277:
	v_ashrrev_i32_e32 v133, 31, v132
	v_lshlrev_b64 v[140:141], 2, v[132:133]
	v_add_co_u32_e32 v140, vcc, v4, v140
	v_addc_co_u32_e32 v141, vcc, v5, v141, vcc
	flat_load_dword v133, v[140:141]
	flat_load_dword v135, v[4:5] offset:64
	s_waitcnt vmcnt(0) lgkmcnt(0)
	flat_store_dword v[4:5], v133 offset:64
	flat_store_dword v[140:141], v135
.LBB124_278:
	s_or_b64 exec, exec, s[14:15]
	v_mov_b32_e32 v133, v132
	v_mov_b32_e32 v135, v132
.LBB124_279:
	s_or_b64 exec, exec, s[2:3]
.LBB124_280:
	s_andn2_saveexec_b64 s[0:1], s[0:1]
	s_cbranch_execz .LBB124_282
; %bb.281:
	v_mov_b32_e32 v135, 16
	ds_write2_b64 v134, v[92:93], v[90:91] offset0:17 offset1:18
	ds_write2_b64 v134, v[88:89], v[86:87] offset0:19 offset1:20
	;; [unrolled: 1-line block ×23, first 2 shown]
.LBB124_282:
	s_or_b64 exec, exec, s[0:1]
	v_cmp_lt_i32_e32 vcc, 16, v135
	s_waitcnt lgkmcnt(0)
	s_barrier
	s_and_saveexec_b64 s[0:1], vcc
	s_cbranch_execz .LBB124_284
; %bb.283:
	ds_read2_b64 v[140:143], v134 offset0:17 offset1:18
	ds_read2_b64 v[144:147], v134 offset0:19 offset1:20
	v_mul_f64 v[94:95], v[130:131], v[94:95]
	ds_read2_b64 v[148:151], v134 offset0:21 offset1:22
	s_waitcnt lgkmcnt(0)
	v_fma_f64 v[92:93], -v[94:95], v[140:141], v[92:93]
	v_fma_f64 v[90:91], -v[94:95], v[142:143], v[90:91]
	ds_read2_b64 v[140:143], v134 offset0:23 offset1:24
	v_fma_f64 v[88:89], -v[94:95], v[144:145], v[88:89]
	v_fma_f64 v[86:87], -v[94:95], v[146:147], v[86:87]
	ds_read2_b64 v[144:147], v134 offset0:25 offset1:26
	;; [unrolled: 3-line block ×3, first 2 shown]
	s_waitcnt lgkmcnt(0)
	v_fma_f64 v[80:81], -v[94:95], v[140:141], v[80:81]
	v_fma_f64 v[78:79], -v[94:95], v[142:143], v[78:79]
	;; [unrolled: 1-line block ×3, first 2 shown]
	ds_read2_b64 v[140:143], v134 offset0:29 offset1:30
	v_fma_f64 v[74:75], -v[94:95], v[146:147], v[74:75]
	ds_read2_b64 v[144:147], v134 offset0:31 offset1:32
	v_fma_f64 v[72:73], -v[94:95], v[148:149], v[72:73]
	v_fma_f64 v[70:71], -v[94:95], v[150:151], v[70:71]
	s_waitcnt lgkmcnt(0)
	v_fma_f64 v[68:69], -v[94:95], v[140:141], v[68:69]
	ds_read2_b64 v[148:151], v134 offset0:33 offset1:34
	v_fma_f64 v[66:67], -v[94:95], v[142:143], v[66:67]
	ds_read2_b64 v[140:143], v134 offset0:35 offset1:36
	v_fma_f64 v[64:65], -v[94:95], v[144:145], v[64:65]
	v_fma_f64 v[62:63], -v[94:95], v[146:147], v[62:63]
	ds_read2_b64 v[144:147], v134 offset0:37 offset1:38
	s_waitcnt lgkmcnt(0)
	v_fma_f64 v[60:61], -v[94:95], v[148:149], v[60:61]
	v_fma_f64 v[58:59], -v[94:95], v[150:151], v[58:59]
	ds_read2_b64 v[148:151], v134 offset0:39 offset1:40
	v_fma_f64 v[56:57], -v[94:95], v[140:141], v[56:57]
	v_fma_f64 v[54:55], -v[94:95], v[142:143], v[54:55]
	;; [unrolled: 1-line block ×3, first 2 shown]
	ds_read2_b64 v[140:143], v134 offset0:41 offset1:42
	v_fma_f64 v[50:51], -v[94:95], v[146:147], v[50:51]
	ds_read2_b64 v[144:147], v134 offset0:43 offset1:44
	s_waitcnt lgkmcnt(0)
	v_fma_f64 v[48:49], -v[94:95], v[148:149], v[48:49]
	v_fma_f64 v[46:47], -v[94:95], v[150:151], v[46:47]
	;; [unrolled: 1-line block ×3, first 2 shown]
	ds_read2_b64 v[148:151], v134 offset0:45 offset1:46
	v_fma_f64 v[42:43], -v[94:95], v[142:143], v[42:43]
	ds_read2_b64 v[140:143], v134 offset0:47 offset1:48
	v_fma_f64 v[40:41], -v[94:95], v[144:145], v[40:41]
	v_fma_f64 v[38:39], -v[94:95], v[146:147], v[38:39]
	ds_read2_b64 v[144:147], v134 offset0:49 offset1:50
	s_waitcnt lgkmcnt(0)
	v_fma_f64 v[36:37], -v[94:95], v[148:149], v[36:37]
	v_fma_f64 v[34:35], -v[94:95], v[150:151], v[34:35]
	ds_read2_b64 v[148:151], v134 offset0:51 offset1:52
	v_fma_f64 v[32:33], -v[94:95], v[140:141], v[32:33]
	v_fma_f64 v[30:31], -v[94:95], v[142:143], v[30:31]
	;; [unrolled: 1-line block ×3, first 2 shown]
	ds_read2_b64 v[140:143], v134 offset0:53 offset1:54
	v_fma_f64 v[26:27], -v[94:95], v[146:147], v[26:27]
	ds_read2_b64 v[144:147], v134 offset0:55 offset1:56
	s_waitcnt lgkmcnt(0)
	v_fma_f64 v[24:25], -v[94:95], v[148:149], v[24:25]
	v_fma_f64 v[22:23], -v[94:95], v[150:151], v[22:23]
	;; [unrolled: 1-line block ×4, first 2 shown]
	ds_read2_b64 v[140:143], v134 offset0:57 offset1:58
	ds_read2_b64 v[148:151], v134 offset0:59 offset1:60
	v_fma_f64 v[16:17], -v[94:95], v[144:145], v[16:17]
	v_fma_f64 v[14:15], -v[94:95], v[146:147], v[14:15]
	ds_read2_b64 v[144:147], v134 offset0:61 offset1:62
	s_waitcnt lgkmcnt(0)
	v_fma_f64 v[12:13], -v[94:95], v[140:141], v[12:13]
	v_fma_f64 v[10:11], -v[94:95], v[142:143], v[10:11]
	;; [unrolled: 1-line block ×6, first 2 shown]
.LBB124_284:
	s_or_b64 exec, exec, s[0:1]
	v_lshl_add_u32 v130, v135, 3, v134
	s_barrier
	ds_write_b64 v130, v[92:93]
	s_waitcnt lgkmcnt(0)
	s_barrier
	ds_read_b64 v[130:131], v134 offset:136
	s_cmp_lt_i32 s18, 19
	v_mov_b32_e32 v132, 17
	s_cbranch_scc1 .LBB124_287
; %bb.285:
	v_add_u32_e32 v139, 0x90, v134
	s_mov_b32 s0, 18
	v_mov_b32_e32 v132, 17
.LBB124_286:                            ; =>This Inner Loop Header: Depth=1
	ds_read_b64 v[140:141], v139
	v_mov_b32_e32 v142, s0
	s_add_i32 s0, s0, 1
	v_add_u32_e32 v139, 8, v139
	s_cmp_lg_u32 s18, s0
	s_waitcnt lgkmcnt(0)
	v_cmp_lt_f64_e64 vcc, |v[130:131]|, |v[140:141]|
	v_cndmask_b32_e32 v131, v131, v141, vcc
	v_cndmask_b32_e32 v130, v130, v140, vcc
	;; [unrolled: 1-line block ×3, first 2 shown]
	s_cbranch_scc1 .LBB124_286
.LBB124_287:
	s_waitcnt lgkmcnt(0)
	v_cmp_eq_f64_e32 vcc, 0, v[130:131]
	s_and_saveexec_b64 s[0:1], vcc
	s_xor_b64 s[0:1], exec, s[0:1]
; %bb.288:
	v_cmp_ne_u32_e32 vcc, 0, v138
	v_cndmask_b32_e32 v138, 18, v138, vcc
; %bb.289:
	s_andn2_saveexec_b64 s[0:1], s[0:1]
; %bb.290:
	v_div_scale_f64 v[140:141], s[2:3], v[130:131], v[130:131], 1.0
	v_rcp_f64_e32 v[142:143], v[140:141]
	v_div_scale_f64 v[144:145], vcc, 1.0, v[130:131], 1.0
	v_fma_f64 v[146:147], -v[140:141], v[142:143], 1.0
	v_fmac_f64_e32 v[142:143], v[142:143], v[146:147]
	v_fma_f64 v[146:147], -v[140:141], v[142:143], 1.0
	v_fmac_f64_e32 v[142:143], v[142:143], v[146:147]
	v_mul_f64 v[146:147], v[144:145], v[142:143]
	v_fma_f64 v[140:141], -v[140:141], v[146:147], v[144:145]
	v_div_fmas_f64 v[140:141], v[140:141], v[142:143], v[146:147]
	v_div_fixup_f64 v[130:131], v[140:141], v[130:131], 1.0
; %bb.291:
	s_or_b64 exec, exec, s[0:1]
	v_cmp_ne_u32_e32 vcc, v135, v132
	s_and_saveexec_b64 s[0:1], vcc
	s_xor_b64 s[0:1], exec, s[0:1]
	s_cbranch_execz .LBB124_297
; %bb.292:
	v_cmp_eq_u32_e32 vcc, 17, v135
	s_and_saveexec_b64 s[2:3], vcc
	s_cbranch_execz .LBB124_296
; %bb.293:
	v_cmp_ne_u32_e32 vcc, 17, v132
	s_xor_b64 s[14:15], s[6:7], -1
	s_and_b64 s[16:17], s[14:15], vcc
	s_and_saveexec_b64 s[14:15], s[16:17]
	s_cbranch_execz .LBB124_295
; %bb.294:
	v_ashrrev_i32_e32 v133, 31, v132
	v_lshlrev_b64 v[140:141], 2, v[132:133]
	v_add_co_u32_e32 v140, vcc, v4, v140
	v_addc_co_u32_e32 v141, vcc, v5, v141, vcc
	flat_load_dword v133, v[140:141]
	flat_load_dword v135, v[4:5] offset:68
	s_waitcnt vmcnt(0) lgkmcnt(0)
	flat_store_dword v[4:5], v133 offset:68
	flat_store_dword v[140:141], v135
.LBB124_295:
	s_or_b64 exec, exec, s[14:15]
	v_mov_b32_e32 v133, v132
	v_mov_b32_e32 v135, v132
.LBB124_296:
	s_or_b64 exec, exec, s[2:3]
.LBB124_297:
	s_andn2_saveexec_b64 s[0:1], s[0:1]
	s_cbranch_execz .LBB124_299
; %bb.298:
	v_mov_b32_e32 v140, v90
	v_mov_b32_e32 v141, v91
	v_mov_b32_e32 v142, v88
	v_mov_b32_e32 v143, v89
	ds_write2_b64 v134, v[140:141], v[142:143] offset0:18 offset1:19
	v_mov_b32_e32 v140, v86
	v_mov_b32_e32 v141, v87
	v_mov_b32_e32 v142, v84
	v_mov_b32_e32 v143, v85
	ds_write2_b64 v134, v[140:141], v[142:143] offset0:20 offset1:21
	v_mov_b32_e32 v140, v82
	v_mov_b32_e32 v141, v83
	v_mov_b32_e32 v142, v80
	v_mov_b32_e32 v143, v81
	ds_write2_b64 v134, v[140:141], v[142:143] offset0:22 offset1:23
	v_mov_b32_e32 v140, v78
	v_mov_b32_e32 v141, v79
	v_mov_b32_e32 v142, v76
	v_mov_b32_e32 v143, v77
	ds_write2_b64 v134, v[140:141], v[142:143] offset0:24 offset1:25
	v_mov_b32_e32 v140, v74
	v_mov_b32_e32 v141, v75
	v_mov_b32_e32 v142, v72
	v_mov_b32_e32 v143, v73
	ds_write2_b64 v134, v[140:141], v[142:143] offset0:26 offset1:27
	v_mov_b32_e32 v140, v70
	v_mov_b32_e32 v141, v71
	v_mov_b32_e32 v142, v68
	v_mov_b32_e32 v143, v69
	ds_write2_b64 v134, v[140:141], v[142:143] offset0:28 offset1:29
	v_mov_b32_e32 v140, v66
	v_mov_b32_e32 v141, v67
	v_mov_b32_e32 v142, v64
	v_mov_b32_e32 v143, v65
	ds_write2_b64 v134, v[140:141], v[142:143] offset0:30 offset1:31
	v_mov_b32_e32 v140, v62
	v_mov_b32_e32 v141, v63
	v_mov_b32_e32 v142, v60
	v_mov_b32_e32 v143, v61
	ds_write2_b64 v134, v[140:141], v[142:143] offset0:32 offset1:33
	v_mov_b32_e32 v140, v58
	v_mov_b32_e32 v141, v59
	v_mov_b32_e32 v142, v56
	v_mov_b32_e32 v143, v57
	ds_write2_b64 v134, v[140:141], v[142:143] offset0:34 offset1:35
	v_mov_b32_e32 v140, v54
	v_mov_b32_e32 v141, v55
	v_mov_b32_e32 v142, v52
	v_mov_b32_e32 v143, v53
	ds_write2_b64 v134, v[140:141], v[142:143] offset0:36 offset1:37
	v_mov_b32_e32 v140, v50
	v_mov_b32_e32 v141, v51
	v_mov_b32_e32 v142, v48
	v_mov_b32_e32 v143, v49
	ds_write2_b64 v134, v[140:141], v[142:143] offset0:38 offset1:39
	v_mov_b32_e32 v140, v46
	v_mov_b32_e32 v141, v47
	v_mov_b32_e32 v142, v44
	v_mov_b32_e32 v143, v45
	ds_write2_b64 v134, v[140:141], v[142:143] offset0:40 offset1:41
	v_mov_b32_e32 v140, v42
	v_mov_b32_e32 v141, v43
	v_mov_b32_e32 v142, v40
	v_mov_b32_e32 v143, v41
	ds_write2_b64 v134, v[140:141], v[142:143] offset0:42 offset1:43
	v_mov_b32_e32 v140, v38
	v_mov_b32_e32 v141, v39
	v_mov_b32_e32 v142, v36
	v_mov_b32_e32 v143, v37
	ds_write2_b64 v134, v[140:141], v[142:143] offset0:44 offset1:45
	v_mov_b32_e32 v140, v34
	v_mov_b32_e32 v141, v35
	v_mov_b32_e32 v142, v32
	v_mov_b32_e32 v143, v33
	ds_write2_b64 v134, v[140:141], v[142:143] offset0:46 offset1:47
	v_mov_b32_e32 v140, v30
	v_mov_b32_e32 v141, v31
	v_mov_b32_e32 v142, v28
	v_mov_b32_e32 v143, v29
	ds_write2_b64 v134, v[140:141], v[142:143] offset0:48 offset1:49
	v_mov_b32_e32 v140, v26
	v_mov_b32_e32 v141, v27
	v_mov_b32_e32 v142, v24
	v_mov_b32_e32 v143, v25
	ds_write2_b64 v134, v[140:141], v[142:143] offset0:50 offset1:51
	v_mov_b32_e32 v140, v22
	v_mov_b32_e32 v141, v23
	v_mov_b32_e32 v142, v20
	v_mov_b32_e32 v143, v21
	ds_write2_b64 v134, v[140:141], v[142:143] offset0:52 offset1:53
	v_mov_b32_e32 v140, v18
	v_mov_b32_e32 v141, v19
	v_mov_b32_e32 v142, v16
	v_mov_b32_e32 v143, v17
	ds_write2_b64 v134, v[140:141], v[142:143] offset0:54 offset1:55
	v_mov_b32_e32 v140, v14
	v_mov_b32_e32 v141, v15
	v_mov_b32_e32 v142, v12
	v_mov_b32_e32 v143, v13
	ds_write2_b64 v134, v[140:141], v[142:143] offset0:56 offset1:57
	v_mov_b32_e32 v140, v10
	v_mov_b32_e32 v141, v11
	v_mov_b32_e32 v142, v8
	v_mov_b32_e32 v143, v9
	ds_write2_b64 v134, v[140:141], v[142:143] offset0:58 offset1:59
	v_mov_b32_e32 v140, v6
	v_mov_b32_e32 v141, v7
	;; [unrolled: 1-line block ×5, first 2 shown]
	ds_write2_b64 v134, v[140:141], v[142:143] offset0:60 offset1:61
	ds_write_b64 v134, v[128:129] offset:496
.LBB124_299:
	s_or_b64 exec, exec, s[0:1]
	v_cmp_lt_i32_e32 vcc, 17, v135
	s_waitcnt lgkmcnt(0)
	s_barrier
	s_and_saveexec_b64 s[0:1], vcc
	s_cbranch_execz .LBB124_301
; %bb.300:
	ds_read2_b64 v[140:143], v134 offset0:18 offset1:19
	ds_read2_b64 v[144:147], v134 offset0:20 offset1:21
	v_mul_f64 v[92:93], v[130:131], v[92:93]
	ds_read2_b64 v[148:151], v134 offset0:22 offset1:23
	ds_read_b64 v[130:131], v134 offset:496
	s_waitcnt lgkmcnt(0)
	v_fma_f64 v[90:91], -v[92:93], v[140:141], v[90:91]
	v_fma_f64 v[88:89], -v[92:93], v[142:143], v[88:89]
	ds_read2_b64 v[140:143], v134 offset0:24 offset1:25
	v_fma_f64 v[86:87], -v[92:93], v[144:145], v[86:87]
	v_fma_f64 v[84:85], -v[92:93], v[146:147], v[84:85]
	;; [unrolled: 1-line block ×3, first 2 shown]
	ds_read2_b64 v[144:147], v134 offset0:26 offset1:27
	v_fma_f64 v[80:81], -v[92:93], v[150:151], v[80:81]
	ds_read2_b64 v[148:151], v134 offset0:28 offset1:29
	s_waitcnt lgkmcnt(0)
	v_fma_f64 v[78:79], -v[92:93], v[140:141], v[78:79]
	v_fma_f64 v[76:77], -v[92:93], v[142:143], v[76:77]
	ds_read2_b64 v[140:143], v134 offset0:30 offset1:31
	v_fma_f64 v[74:75], -v[92:93], v[144:145], v[74:75]
	v_fma_f64 v[72:73], -v[92:93], v[146:147], v[72:73]
	ds_read2_b64 v[144:147], v134 offset0:32 offset1:33
	v_fma_f64 v[70:71], -v[92:93], v[148:149], v[70:71]
	v_fma_f64 v[68:69], -v[92:93], v[150:151], v[68:69]
	s_waitcnt lgkmcnt(0)
	v_fma_f64 v[66:67], -v[92:93], v[140:141], v[66:67]
	ds_read2_b64 v[148:151], v134 offset0:34 offset1:35
	v_fma_f64 v[64:65], -v[92:93], v[142:143], v[64:65]
	ds_read2_b64 v[140:143], v134 offset0:36 offset1:37
	v_fma_f64 v[62:63], -v[92:93], v[144:145], v[62:63]
	v_fma_f64 v[60:61], -v[92:93], v[146:147], v[60:61]
	s_waitcnt lgkmcnt(0)
	v_fma_f64 v[58:59], -v[92:93], v[148:149], v[58:59]
	ds_read2_b64 v[144:147], v134 offset0:38 offset1:39
	v_fma_f64 v[56:57], -v[92:93], v[150:151], v[56:57]
	ds_read2_b64 v[148:151], v134 offset0:40 offset1:41
	v_fma_f64 v[54:55], -v[92:93], v[140:141], v[54:55]
	v_fma_f64 v[52:53], -v[92:93], v[142:143], v[52:53]
	ds_read2_b64 v[140:143], v134 offset0:42 offset1:43
	s_waitcnt lgkmcnt(0)
	v_fma_f64 v[50:51], -v[92:93], v[144:145], v[50:51]
	v_fma_f64 v[48:49], -v[92:93], v[146:147], v[48:49]
	ds_read2_b64 v[144:147], v134 offset0:44 offset1:45
	v_fma_f64 v[46:47], -v[92:93], v[148:149], v[46:47]
	v_fma_f64 v[44:45], -v[92:93], v[150:151], v[44:45]
	;; [unrolled: 1-line block ×3, first 2 shown]
	ds_read2_b64 v[148:151], v134 offset0:46 offset1:47
	v_fma_f64 v[40:41], -v[92:93], v[142:143], v[40:41]
	ds_read2_b64 v[140:143], v134 offset0:48 offset1:49
	s_waitcnt lgkmcnt(0)
	v_fma_f64 v[38:39], -v[92:93], v[144:145], v[38:39]
	v_fma_f64 v[36:37], -v[92:93], v[146:147], v[36:37]
	v_fma_f64 v[34:35], -v[92:93], v[148:149], v[34:35]
	ds_read2_b64 v[144:147], v134 offset0:50 offset1:51
	v_fma_f64 v[32:33], -v[92:93], v[150:151], v[32:33]
	ds_read2_b64 v[148:151], v134 offset0:52 offset1:53
	v_fma_f64 v[30:31], -v[92:93], v[140:141], v[30:31]
	v_fma_f64 v[28:29], -v[92:93], v[142:143], v[28:29]
	ds_read2_b64 v[140:143], v134 offset0:54 offset1:55
	s_waitcnt lgkmcnt(0)
	v_fma_f64 v[26:27], -v[92:93], v[144:145], v[26:27]
	v_fma_f64 v[24:25], -v[92:93], v[146:147], v[24:25]
	ds_read2_b64 v[144:147], v134 offset0:56 offset1:57
	v_fma_f64 v[22:23], -v[92:93], v[148:149], v[22:23]
	v_fma_f64 v[20:21], -v[92:93], v[150:151], v[20:21]
	;; [unrolled: 1-line block ×4, first 2 shown]
	ds_read2_b64 v[140:143], v134 offset0:58 offset1:59
	ds_read2_b64 v[148:151], v134 offset0:60 offset1:61
	s_waitcnt lgkmcnt(0)
	v_fma_f64 v[14:15], -v[92:93], v[144:145], v[14:15]
	v_fma_f64 v[12:13], -v[92:93], v[146:147], v[12:13]
	;; [unrolled: 1-line block ×7, first 2 shown]
.LBB124_301:
	s_or_b64 exec, exec, s[0:1]
	v_lshl_add_u32 v130, v135, 3, v134
	s_barrier
	ds_write_b64 v130, v[90:91]
	s_waitcnt lgkmcnt(0)
	s_barrier
	ds_read_b64 v[130:131], v134 offset:144
	s_cmp_lt_i32 s18, 20
	v_mov_b32_e32 v132, 18
	s_cbranch_scc1 .LBB124_304
; %bb.302:
	v_add_u32_e32 v139, 0x98, v134
	s_mov_b32 s0, 19
	v_mov_b32_e32 v132, 18
.LBB124_303:                            ; =>This Inner Loop Header: Depth=1
	ds_read_b64 v[140:141], v139
	v_mov_b32_e32 v142, s0
	s_add_i32 s0, s0, 1
	v_add_u32_e32 v139, 8, v139
	s_cmp_lg_u32 s18, s0
	s_waitcnt lgkmcnt(0)
	v_cmp_lt_f64_e64 vcc, |v[130:131]|, |v[140:141]|
	v_cndmask_b32_e32 v131, v131, v141, vcc
	v_cndmask_b32_e32 v130, v130, v140, vcc
	;; [unrolled: 1-line block ×3, first 2 shown]
	s_cbranch_scc1 .LBB124_303
.LBB124_304:
	s_waitcnt lgkmcnt(0)
	v_cmp_eq_f64_e32 vcc, 0, v[130:131]
	s_and_saveexec_b64 s[0:1], vcc
	s_xor_b64 s[0:1], exec, s[0:1]
; %bb.305:
	v_cmp_ne_u32_e32 vcc, 0, v138
	v_cndmask_b32_e32 v138, 19, v138, vcc
; %bb.306:
	s_andn2_saveexec_b64 s[0:1], s[0:1]
; %bb.307:
	v_div_scale_f64 v[140:141], s[2:3], v[130:131], v[130:131], 1.0
	v_rcp_f64_e32 v[142:143], v[140:141]
	v_div_scale_f64 v[144:145], vcc, 1.0, v[130:131], 1.0
	v_fma_f64 v[146:147], -v[140:141], v[142:143], 1.0
	v_fmac_f64_e32 v[142:143], v[142:143], v[146:147]
	v_fma_f64 v[146:147], -v[140:141], v[142:143], 1.0
	v_fmac_f64_e32 v[142:143], v[142:143], v[146:147]
	v_mul_f64 v[146:147], v[144:145], v[142:143]
	v_fma_f64 v[140:141], -v[140:141], v[146:147], v[144:145]
	v_div_fmas_f64 v[140:141], v[140:141], v[142:143], v[146:147]
	v_div_fixup_f64 v[130:131], v[140:141], v[130:131], 1.0
; %bb.308:
	s_or_b64 exec, exec, s[0:1]
	v_cmp_ne_u32_e32 vcc, v135, v132
	s_and_saveexec_b64 s[0:1], vcc
	s_xor_b64 s[0:1], exec, s[0:1]
	s_cbranch_execz .LBB124_314
; %bb.309:
	v_cmp_eq_u32_e32 vcc, 18, v135
	s_and_saveexec_b64 s[2:3], vcc
	s_cbranch_execz .LBB124_313
; %bb.310:
	v_cmp_ne_u32_e32 vcc, 18, v132
	s_xor_b64 s[14:15], s[6:7], -1
	s_and_b64 s[16:17], s[14:15], vcc
	s_and_saveexec_b64 s[14:15], s[16:17]
	s_cbranch_execz .LBB124_312
; %bb.311:
	v_ashrrev_i32_e32 v133, 31, v132
	v_lshlrev_b64 v[140:141], 2, v[132:133]
	v_add_co_u32_e32 v140, vcc, v4, v140
	v_addc_co_u32_e32 v141, vcc, v5, v141, vcc
	flat_load_dword v133, v[140:141]
	flat_load_dword v135, v[4:5] offset:72
	s_waitcnt vmcnt(0) lgkmcnt(0)
	flat_store_dword v[4:5], v133 offset:72
	flat_store_dword v[140:141], v135
.LBB124_312:
	s_or_b64 exec, exec, s[14:15]
	v_mov_b32_e32 v133, v132
	v_mov_b32_e32 v135, v132
.LBB124_313:
	s_or_b64 exec, exec, s[2:3]
.LBB124_314:
	s_andn2_saveexec_b64 s[0:1], s[0:1]
	s_cbranch_execz .LBB124_316
; %bb.315:
	v_mov_b32_e32 v135, 18
	ds_write2_b64 v134, v[88:89], v[86:87] offset0:19 offset1:20
	ds_write2_b64 v134, v[84:85], v[82:83] offset0:21 offset1:22
	;; [unrolled: 1-line block ×22, first 2 shown]
.LBB124_316:
	s_or_b64 exec, exec, s[0:1]
	v_cmp_lt_i32_e32 vcc, 18, v135
	s_waitcnt lgkmcnt(0)
	s_barrier
	s_and_saveexec_b64 s[0:1], vcc
	s_cbranch_execz .LBB124_318
; %bb.317:
	ds_read2_b64 v[140:143], v134 offset0:19 offset1:20
	ds_read2_b64 v[144:147], v134 offset0:21 offset1:22
	v_mul_f64 v[90:91], v[130:131], v[90:91]
	ds_read2_b64 v[148:151], v134 offset0:23 offset1:24
	s_waitcnt lgkmcnt(0)
	v_fma_f64 v[88:89], -v[90:91], v[140:141], v[88:89]
	v_fma_f64 v[86:87], -v[90:91], v[142:143], v[86:87]
	ds_read2_b64 v[140:143], v134 offset0:25 offset1:26
	v_fma_f64 v[84:85], -v[90:91], v[144:145], v[84:85]
	v_fma_f64 v[82:83], -v[90:91], v[146:147], v[82:83]
	;; [unrolled: 1-line block ×3, first 2 shown]
	ds_read2_b64 v[144:147], v134 offset0:27 offset1:28
	v_fma_f64 v[78:79], -v[90:91], v[150:151], v[78:79]
	ds_read2_b64 v[148:151], v134 offset0:29 offset1:30
	s_waitcnt lgkmcnt(0)
	v_fma_f64 v[76:77], -v[90:91], v[140:141], v[76:77]
	v_fma_f64 v[74:75], -v[90:91], v[142:143], v[74:75]
	ds_read2_b64 v[140:143], v134 offset0:31 offset1:32
	v_fma_f64 v[72:73], -v[90:91], v[144:145], v[72:73]
	v_fma_f64 v[70:71], -v[90:91], v[146:147], v[70:71]
	ds_read2_b64 v[144:147], v134 offset0:33 offset1:34
	v_fma_f64 v[68:69], -v[90:91], v[148:149], v[68:69]
	v_fma_f64 v[66:67], -v[90:91], v[150:151], v[66:67]
	s_waitcnt lgkmcnt(0)
	v_fma_f64 v[64:65], -v[90:91], v[140:141], v[64:65]
	ds_read2_b64 v[148:151], v134 offset0:35 offset1:36
	v_fma_f64 v[62:63], -v[90:91], v[142:143], v[62:63]
	ds_read2_b64 v[140:143], v134 offset0:37 offset1:38
	v_fma_f64 v[60:61], -v[90:91], v[144:145], v[60:61]
	v_fma_f64 v[58:59], -v[90:91], v[146:147], v[58:59]
	s_waitcnt lgkmcnt(0)
	v_fma_f64 v[56:57], -v[90:91], v[148:149], v[56:57]
	ds_read2_b64 v[144:147], v134 offset0:39 offset1:40
	v_fma_f64 v[54:55], -v[90:91], v[150:151], v[54:55]
	ds_read2_b64 v[148:151], v134 offset0:41 offset1:42
	v_fma_f64 v[52:53], -v[90:91], v[140:141], v[52:53]
	v_fma_f64 v[50:51], -v[90:91], v[142:143], v[50:51]
	ds_read2_b64 v[140:143], v134 offset0:43 offset1:44
	s_waitcnt lgkmcnt(0)
	v_fma_f64 v[48:49], -v[90:91], v[144:145], v[48:49]
	v_fma_f64 v[46:47], -v[90:91], v[146:147], v[46:47]
	ds_read2_b64 v[144:147], v134 offset0:45 offset1:46
	v_fma_f64 v[44:45], -v[90:91], v[148:149], v[44:45]
	v_fma_f64 v[42:43], -v[90:91], v[150:151], v[42:43]
	v_fma_f64 v[40:41], -v[90:91], v[140:141], v[40:41]
	ds_read2_b64 v[148:151], v134 offset0:47 offset1:48
	v_fma_f64 v[38:39], -v[90:91], v[142:143], v[38:39]
	ds_read2_b64 v[140:143], v134 offset0:49 offset1:50
	s_waitcnt lgkmcnt(0)
	v_fma_f64 v[36:37], -v[90:91], v[144:145], v[36:37]
	v_fma_f64 v[34:35], -v[90:91], v[146:147], v[34:35]
	;; [unrolled: 1-line block ×3, first 2 shown]
	ds_read2_b64 v[144:147], v134 offset0:51 offset1:52
	v_fma_f64 v[30:31], -v[90:91], v[150:151], v[30:31]
	ds_read2_b64 v[148:151], v134 offset0:53 offset1:54
	v_fma_f64 v[28:29], -v[90:91], v[140:141], v[28:29]
	v_fma_f64 v[26:27], -v[90:91], v[142:143], v[26:27]
	ds_read2_b64 v[140:143], v134 offset0:55 offset1:56
	s_waitcnt lgkmcnt(0)
	v_fma_f64 v[24:25], -v[90:91], v[144:145], v[24:25]
	v_fma_f64 v[22:23], -v[90:91], v[146:147], v[22:23]
	ds_read2_b64 v[144:147], v134 offset0:57 offset1:58
	v_fma_f64 v[20:21], -v[90:91], v[148:149], v[20:21]
	v_fma_f64 v[18:19], -v[90:91], v[150:151], v[18:19]
	;; [unrolled: 1-line block ×3, first 2 shown]
	ds_read2_b64 v[148:151], v134 offset0:59 offset1:60
	v_fma_f64 v[14:15], -v[90:91], v[142:143], v[14:15]
	ds_read2_b64 v[140:143], v134 offset0:61 offset1:62
	s_waitcnt lgkmcnt(0)
	v_fma_f64 v[12:13], -v[90:91], v[144:145], v[12:13]
	v_fma_f64 v[10:11], -v[90:91], v[146:147], v[10:11]
	;; [unrolled: 1-line block ×6, first 2 shown]
.LBB124_318:
	s_or_b64 exec, exec, s[0:1]
	v_lshl_add_u32 v130, v135, 3, v134
	s_barrier
	ds_write_b64 v130, v[88:89]
	s_waitcnt lgkmcnt(0)
	s_barrier
	ds_read_b64 v[130:131], v134 offset:152
	s_cmp_lt_i32 s18, 21
	v_mov_b32_e32 v132, 19
	s_cbranch_scc1 .LBB124_321
; %bb.319:
	v_add_u32_e32 v139, 0xa0, v134
	s_mov_b32 s0, 20
	v_mov_b32_e32 v132, 19
.LBB124_320:                            ; =>This Inner Loop Header: Depth=1
	ds_read_b64 v[140:141], v139
	v_mov_b32_e32 v142, s0
	s_add_i32 s0, s0, 1
	v_add_u32_e32 v139, 8, v139
	s_cmp_lg_u32 s18, s0
	s_waitcnt lgkmcnt(0)
	v_cmp_lt_f64_e64 vcc, |v[130:131]|, |v[140:141]|
	v_cndmask_b32_e32 v131, v131, v141, vcc
	v_cndmask_b32_e32 v130, v130, v140, vcc
	;; [unrolled: 1-line block ×3, first 2 shown]
	s_cbranch_scc1 .LBB124_320
.LBB124_321:
	s_waitcnt lgkmcnt(0)
	v_cmp_eq_f64_e32 vcc, 0, v[130:131]
	s_and_saveexec_b64 s[0:1], vcc
	s_xor_b64 s[0:1], exec, s[0:1]
; %bb.322:
	v_cmp_ne_u32_e32 vcc, 0, v138
	v_cndmask_b32_e32 v138, 20, v138, vcc
; %bb.323:
	s_andn2_saveexec_b64 s[0:1], s[0:1]
; %bb.324:
	v_div_scale_f64 v[140:141], s[2:3], v[130:131], v[130:131], 1.0
	v_rcp_f64_e32 v[142:143], v[140:141]
	v_div_scale_f64 v[144:145], vcc, 1.0, v[130:131], 1.0
	v_fma_f64 v[146:147], -v[140:141], v[142:143], 1.0
	v_fmac_f64_e32 v[142:143], v[142:143], v[146:147]
	v_fma_f64 v[146:147], -v[140:141], v[142:143], 1.0
	v_fmac_f64_e32 v[142:143], v[142:143], v[146:147]
	v_mul_f64 v[146:147], v[144:145], v[142:143]
	v_fma_f64 v[140:141], -v[140:141], v[146:147], v[144:145]
	v_div_fmas_f64 v[140:141], v[140:141], v[142:143], v[146:147]
	v_div_fixup_f64 v[130:131], v[140:141], v[130:131], 1.0
; %bb.325:
	s_or_b64 exec, exec, s[0:1]
	v_cmp_ne_u32_e32 vcc, v135, v132
	s_and_saveexec_b64 s[0:1], vcc
	s_xor_b64 s[0:1], exec, s[0:1]
	s_cbranch_execz .LBB124_331
; %bb.326:
	v_cmp_eq_u32_e32 vcc, 19, v135
	s_and_saveexec_b64 s[2:3], vcc
	s_cbranch_execz .LBB124_330
; %bb.327:
	v_cmp_ne_u32_e32 vcc, 19, v132
	s_xor_b64 s[14:15], s[6:7], -1
	s_and_b64 s[16:17], s[14:15], vcc
	s_and_saveexec_b64 s[14:15], s[16:17]
	s_cbranch_execz .LBB124_329
; %bb.328:
	v_ashrrev_i32_e32 v133, 31, v132
	v_lshlrev_b64 v[140:141], 2, v[132:133]
	v_add_co_u32_e32 v140, vcc, v4, v140
	v_addc_co_u32_e32 v141, vcc, v5, v141, vcc
	flat_load_dword v133, v[140:141]
	flat_load_dword v135, v[4:5] offset:76
	s_waitcnt vmcnt(0) lgkmcnt(0)
	flat_store_dword v[4:5], v133 offset:76
	flat_store_dword v[140:141], v135
.LBB124_329:
	s_or_b64 exec, exec, s[14:15]
	v_mov_b32_e32 v133, v132
	v_mov_b32_e32 v135, v132
.LBB124_330:
	s_or_b64 exec, exec, s[2:3]
.LBB124_331:
	s_andn2_saveexec_b64 s[0:1], s[0:1]
	s_cbranch_execz .LBB124_333
; %bb.332:
	v_mov_b32_e32 v140, v86
	v_mov_b32_e32 v141, v87
	v_mov_b32_e32 v142, v84
	v_mov_b32_e32 v143, v85
	ds_write2_b64 v134, v[140:141], v[142:143] offset0:20 offset1:21
	v_mov_b32_e32 v140, v82
	v_mov_b32_e32 v141, v83
	v_mov_b32_e32 v142, v80
	v_mov_b32_e32 v143, v81
	ds_write2_b64 v134, v[140:141], v[142:143] offset0:22 offset1:23
	;; [unrolled: 5-line block ×20, first 2 shown]
	v_mov_b32_e32 v140, v6
	v_mov_b32_e32 v141, v7
	v_mov_b32_e32 v142, v0
	v_mov_b32_e32 v143, v1
	v_mov_b32_e32 v135, 19
	ds_write2_b64 v134, v[140:141], v[142:143] offset0:60 offset1:61
	ds_write_b64 v134, v[128:129] offset:496
.LBB124_333:
	s_or_b64 exec, exec, s[0:1]
	v_cmp_lt_i32_e32 vcc, 19, v135
	s_waitcnt lgkmcnt(0)
	s_barrier
	s_and_saveexec_b64 s[0:1], vcc
	s_cbranch_execz .LBB124_335
; %bb.334:
	ds_read2_b64 v[140:143], v134 offset0:20 offset1:21
	ds_read2_b64 v[144:147], v134 offset0:22 offset1:23
	;; [unrolled: 1-line block ×3, first 2 shown]
	v_mul_f64 v[88:89], v[130:131], v[88:89]
	ds_read_b64 v[130:131], v134 offset:496
	s_waitcnt lgkmcnt(0)
	v_fma_f64 v[86:87], -v[88:89], v[140:141], v[86:87]
	v_fma_f64 v[84:85], -v[88:89], v[142:143], v[84:85]
	ds_read2_b64 v[140:143], v134 offset0:26 offset1:27
	v_fma_f64 v[82:83], -v[88:89], v[144:145], v[82:83]
	v_fma_f64 v[80:81], -v[88:89], v[146:147], v[80:81]
	v_fma_f64 v[78:79], -v[88:89], v[148:149], v[78:79]
	ds_read2_b64 v[144:147], v134 offset0:28 offset1:29
	v_fma_f64 v[76:77], -v[88:89], v[150:151], v[76:77]
	ds_read2_b64 v[148:151], v134 offset0:30 offset1:31
	s_waitcnt lgkmcnt(0)
	v_fma_f64 v[74:75], -v[88:89], v[140:141], v[74:75]
	v_fma_f64 v[72:73], -v[88:89], v[142:143], v[72:73]
	v_fma_f64 v[70:71], -v[88:89], v[144:145], v[70:71]
	ds_read2_b64 v[140:143], v134 offset0:32 offset1:33
	v_fma_f64 v[68:69], -v[88:89], v[146:147], v[68:69]
	ds_read2_b64 v[144:147], v134 offset0:34 offset1:35
	v_fma_f64 v[66:67], -v[88:89], v[148:149], v[66:67]
	v_fma_f64 v[64:65], -v[88:89], v[150:151], v[64:65]
	ds_read2_b64 v[148:151], v134 offset0:36 offset1:37
	s_waitcnt lgkmcnt(0)
	v_fma_f64 v[62:63], -v[88:89], v[140:141], v[62:63]
	v_fma_f64 v[60:61], -v[88:89], v[142:143], v[60:61]
	ds_read2_b64 v[140:143], v134 offset0:38 offset1:39
	v_fma_f64 v[58:59], -v[88:89], v[144:145], v[58:59]
	v_fma_f64 v[56:57], -v[88:89], v[146:147], v[56:57]
	v_fma_f64 v[54:55], -v[88:89], v[148:149], v[54:55]
	ds_read2_b64 v[144:147], v134 offset0:40 offset1:41
	v_fma_f64 v[52:53], -v[88:89], v[150:151], v[52:53]
	ds_read2_b64 v[148:151], v134 offset0:42 offset1:43
	s_waitcnt lgkmcnt(0)
	v_fma_f64 v[50:51], -v[88:89], v[140:141], v[50:51]
	v_fma_f64 v[48:49], -v[88:89], v[142:143], v[48:49]
	v_fma_f64 v[46:47], -v[88:89], v[144:145], v[46:47]
	ds_read2_b64 v[140:143], v134 offset0:44 offset1:45
	v_fma_f64 v[44:45], -v[88:89], v[146:147], v[44:45]
	ds_read2_b64 v[144:147], v134 offset0:46 offset1:47
	v_fma_f64 v[42:43], -v[88:89], v[148:149], v[42:43]
	v_fma_f64 v[40:41], -v[88:89], v[150:151], v[40:41]
	ds_read2_b64 v[148:151], v134 offset0:48 offset1:49
	;; [unrolled: 20-line block ×3, first 2 shown]
	s_waitcnt lgkmcnt(0)
	v_fma_f64 v[14:15], -v[88:89], v[140:141], v[14:15]
	v_fma_f64 v[12:13], -v[88:89], v[142:143], v[12:13]
	;; [unrolled: 1-line block ×7, first 2 shown]
.LBB124_335:
	s_or_b64 exec, exec, s[0:1]
	v_lshl_add_u32 v130, v135, 3, v134
	s_barrier
	ds_write_b64 v130, v[86:87]
	s_waitcnt lgkmcnt(0)
	s_barrier
	ds_read_b64 v[130:131], v134 offset:160
	s_cmp_lt_i32 s18, 22
	v_mov_b32_e32 v132, 20
	s_cbranch_scc1 .LBB124_338
; %bb.336:
	v_add_u32_e32 v139, 0xa8, v134
	s_mov_b32 s0, 21
	v_mov_b32_e32 v132, 20
.LBB124_337:                            ; =>This Inner Loop Header: Depth=1
	ds_read_b64 v[140:141], v139
	v_mov_b32_e32 v142, s0
	s_add_i32 s0, s0, 1
	v_add_u32_e32 v139, 8, v139
	s_cmp_lg_u32 s18, s0
	s_waitcnt lgkmcnt(0)
	v_cmp_lt_f64_e64 vcc, |v[130:131]|, |v[140:141]|
	v_cndmask_b32_e32 v131, v131, v141, vcc
	v_cndmask_b32_e32 v130, v130, v140, vcc
	;; [unrolled: 1-line block ×3, first 2 shown]
	s_cbranch_scc1 .LBB124_337
.LBB124_338:
	s_waitcnt lgkmcnt(0)
	v_cmp_eq_f64_e32 vcc, 0, v[130:131]
	s_and_saveexec_b64 s[0:1], vcc
	s_xor_b64 s[0:1], exec, s[0:1]
; %bb.339:
	v_cmp_ne_u32_e32 vcc, 0, v138
	v_cndmask_b32_e32 v138, 21, v138, vcc
; %bb.340:
	s_andn2_saveexec_b64 s[0:1], s[0:1]
; %bb.341:
	v_div_scale_f64 v[140:141], s[2:3], v[130:131], v[130:131], 1.0
	v_rcp_f64_e32 v[142:143], v[140:141]
	v_div_scale_f64 v[144:145], vcc, 1.0, v[130:131], 1.0
	v_fma_f64 v[146:147], -v[140:141], v[142:143], 1.0
	v_fmac_f64_e32 v[142:143], v[142:143], v[146:147]
	v_fma_f64 v[146:147], -v[140:141], v[142:143], 1.0
	v_fmac_f64_e32 v[142:143], v[142:143], v[146:147]
	v_mul_f64 v[146:147], v[144:145], v[142:143]
	v_fma_f64 v[140:141], -v[140:141], v[146:147], v[144:145]
	v_div_fmas_f64 v[140:141], v[140:141], v[142:143], v[146:147]
	v_div_fixup_f64 v[130:131], v[140:141], v[130:131], 1.0
; %bb.342:
	s_or_b64 exec, exec, s[0:1]
	v_cmp_ne_u32_e32 vcc, v135, v132
	s_and_saveexec_b64 s[0:1], vcc
	s_xor_b64 s[0:1], exec, s[0:1]
	s_cbranch_execz .LBB124_348
; %bb.343:
	v_cmp_eq_u32_e32 vcc, 20, v135
	s_and_saveexec_b64 s[2:3], vcc
	s_cbranch_execz .LBB124_347
; %bb.344:
	v_cmp_ne_u32_e32 vcc, 20, v132
	s_xor_b64 s[14:15], s[6:7], -1
	s_and_b64 s[16:17], s[14:15], vcc
	s_and_saveexec_b64 s[14:15], s[16:17]
	s_cbranch_execz .LBB124_346
; %bb.345:
	v_ashrrev_i32_e32 v133, 31, v132
	v_lshlrev_b64 v[140:141], 2, v[132:133]
	v_add_co_u32_e32 v140, vcc, v4, v140
	v_addc_co_u32_e32 v141, vcc, v5, v141, vcc
	flat_load_dword v133, v[140:141]
	flat_load_dword v135, v[4:5] offset:80
	s_waitcnt vmcnt(0) lgkmcnt(0)
	flat_store_dword v[4:5], v133 offset:80
	flat_store_dword v[140:141], v135
.LBB124_346:
	s_or_b64 exec, exec, s[14:15]
	v_mov_b32_e32 v133, v132
	v_mov_b32_e32 v135, v132
.LBB124_347:
	s_or_b64 exec, exec, s[2:3]
.LBB124_348:
	s_andn2_saveexec_b64 s[0:1], s[0:1]
	s_cbranch_execz .LBB124_350
; %bb.349:
	v_mov_b32_e32 v135, 20
	ds_write2_b64 v134, v[84:85], v[82:83] offset0:21 offset1:22
	ds_write2_b64 v134, v[80:81], v[78:79] offset0:23 offset1:24
	ds_write2_b64 v134, v[76:77], v[74:75] offset0:25 offset1:26
	ds_write2_b64 v134, v[72:73], v[70:71] offset0:27 offset1:28
	ds_write2_b64 v134, v[68:69], v[66:67] offset0:29 offset1:30
	ds_write2_b64 v134, v[64:65], v[62:63] offset0:31 offset1:32
	ds_write2_b64 v134, v[60:61], v[58:59] offset0:33 offset1:34
	ds_write2_b64 v134, v[56:57], v[54:55] offset0:35 offset1:36
	ds_write2_b64 v134, v[52:53], v[50:51] offset0:37 offset1:38
	ds_write2_b64 v134, v[48:49], v[46:47] offset0:39 offset1:40
	ds_write2_b64 v134, v[44:45], v[42:43] offset0:41 offset1:42
	ds_write2_b64 v134, v[40:41], v[38:39] offset0:43 offset1:44
	ds_write2_b64 v134, v[36:37], v[34:35] offset0:45 offset1:46
	ds_write2_b64 v134, v[32:33], v[30:31] offset0:47 offset1:48
	ds_write2_b64 v134, v[28:29], v[26:27] offset0:49 offset1:50
	ds_write2_b64 v134, v[24:25], v[22:23] offset0:51 offset1:52
	ds_write2_b64 v134, v[20:21], v[18:19] offset0:53 offset1:54
	ds_write2_b64 v134, v[16:17], v[14:15] offset0:55 offset1:56
	ds_write2_b64 v134, v[12:13], v[10:11] offset0:57 offset1:58
	ds_write2_b64 v134, v[8:9], v[6:7] offset0:59 offset1:60
	ds_write2_b64 v134, v[0:1], v[128:129] offset0:61 offset1:62
.LBB124_350:
	s_or_b64 exec, exec, s[0:1]
	v_cmp_lt_i32_e32 vcc, 20, v135
	s_waitcnt lgkmcnt(0)
	s_barrier
	s_and_saveexec_b64 s[0:1], vcc
	s_cbranch_execz .LBB124_352
; %bb.351:
	ds_read2_b64 v[140:143], v134 offset0:21 offset1:22
	ds_read2_b64 v[144:147], v134 offset0:23 offset1:24
	;; [unrolled: 1-line block ×3, first 2 shown]
	v_mul_f64 v[86:87], v[130:131], v[86:87]
	s_waitcnt lgkmcnt(0)
	v_fma_f64 v[84:85], -v[86:87], v[140:141], v[84:85]
	v_fma_f64 v[82:83], -v[86:87], v[142:143], v[82:83]
	ds_read2_b64 v[140:143], v134 offset0:27 offset1:28
	v_fma_f64 v[80:81], -v[86:87], v[144:145], v[80:81]
	v_fma_f64 v[78:79], -v[86:87], v[146:147], v[78:79]
	;; [unrolled: 1-line block ×3, first 2 shown]
	ds_read2_b64 v[144:147], v134 offset0:29 offset1:30
	v_fma_f64 v[74:75], -v[86:87], v[150:151], v[74:75]
	ds_read2_b64 v[148:151], v134 offset0:31 offset1:32
	s_waitcnt lgkmcnt(0)
	v_fma_f64 v[72:73], -v[86:87], v[140:141], v[72:73]
	v_fma_f64 v[70:71], -v[86:87], v[142:143], v[70:71]
	;; [unrolled: 1-line block ×3, first 2 shown]
	ds_read2_b64 v[140:143], v134 offset0:33 offset1:34
	v_fma_f64 v[66:67], -v[86:87], v[146:147], v[66:67]
	ds_read2_b64 v[144:147], v134 offset0:35 offset1:36
	v_fma_f64 v[64:65], -v[86:87], v[148:149], v[64:65]
	v_fma_f64 v[62:63], -v[86:87], v[150:151], v[62:63]
	ds_read2_b64 v[148:151], v134 offset0:37 offset1:38
	s_waitcnt lgkmcnt(0)
	v_fma_f64 v[60:61], -v[86:87], v[140:141], v[60:61]
	v_fma_f64 v[58:59], -v[86:87], v[142:143], v[58:59]
	ds_read2_b64 v[140:143], v134 offset0:39 offset1:40
	v_fma_f64 v[56:57], -v[86:87], v[144:145], v[56:57]
	v_fma_f64 v[54:55], -v[86:87], v[146:147], v[54:55]
	;; [unrolled: 1-line block ×3, first 2 shown]
	ds_read2_b64 v[144:147], v134 offset0:41 offset1:42
	v_fma_f64 v[50:51], -v[86:87], v[150:151], v[50:51]
	ds_read2_b64 v[148:151], v134 offset0:43 offset1:44
	s_waitcnt lgkmcnt(0)
	v_fma_f64 v[48:49], -v[86:87], v[140:141], v[48:49]
	v_fma_f64 v[46:47], -v[86:87], v[142:143], v[46:47]
	;; [unrolled: 1-line block ×3, first 2 shown]
	ds_read2_b64 v[140:143], v134 offset0:45 offset1:46
	v_fma_f64 v[42:43], -v[86:87], v[146:147], v[42:43]
	ds_read2_b64 v[144:147], v134 offset0:47 offset1:48
	v_fma_f64 v[40:41], -v[86:87], v[148:149], v[40:41]
	v_fma_f64 v[38:39], -v[86:87], v[150:151], v[38:39]
	ds_read2_b64 v[148:151], v134 offset0:49 offset1:50
	s_waitcnt lgkmcnt(0)
	v_fma_f64 v[36:37], -v[86:87], v[140:141], v[36:37]
	v_fma_f64 v[34:35], -v[86:87], v[142:143], v[34:35]
	ds_read2_b64 v[140:143], v134 offset0:51 offset1:52
	v_fma_f64 v[32:33], -v[86:87], v[144:145], v[32:33]
	v_fma_f64 v[30:31], -v[86:87], v[146:147], v[30:31]
	;; [unrolled: 1-line block ×3, first 2 shown]
	ds_read2_b64 v[144:147], v134 offset0:53 offset1:54
	v_fma_f64 v[26:27], -v[86:87], v[150:151], v[26:27]
	ds_read2_b64 v[148:151], v134 offset0:55 offset1:56
	s_waitcnt lgkmcnt(0)
	v_fma_f64 v[24:25], -v[86:87], v[140:141], v[24:25]
	v_fma_f64 v[22:23], -v[86:87], v[142:143], v[22:23]
	;; [unrolled: 1-line block ×4, first 2 shown]
	ds_read2_b64 v[140:143], v134 offset0:57 offset1:58
	ds_read2_b64 v[144:147], v134 offset0:59 offset1:60
	v_fma_f64 v[16:17], -v[86:87], v[148:149], v[16:17]
	v_fma_f64 v[14:15], -v[86:87], v[150:151], v[14:15]
	ds_read2_b64 v[148:151], v134 offset0:61 offset1:62
	s_waitcnt lgkmcnt(0)
	v_fma_f64 v[12:13], -v[86:87], v[140:141], v[12:13]
	v_fma_f64 v[10:11], -v[86:87], v[142:143], v[10:11]
	;; [unrolled: 1-line block ×6, first 2 shown]
.LBB124_352:
	s_or_b64 exec, exec, s[0:1]
	v_lshl_add_u32 v130, v135, 3, v134
	s_barrier
	ds_write_b64 v130, v[84:85]
	s_waitcnt lgkmcnt(0)
	s_barrier
	ds_read_b64 v[130:131], v134 offset:168
	s_cmp_lt_i32 s18, 23
	v_mov_b32_e32 v132, 21
	s_cbranch_scc1 .LBB124_355
; %bb.353:
	v_add_u32_e32 v139, 0xb0, v134
	s_mov_b32 s0, 22
	v_mov_b32_e32 v132, 21
.LBB124_354:                            ; =>This Inner Loop Header: Depth=1
	ds_read_b64 v[140:141], v139
	v_mov_b32_e32 v142, s0
	s_add_i32 s0, s0, 1
	v_add_u32_e32 v139, 8, v139
	s_cmp_lg_u32 s18, s0
	s_waitcnt lgkmcnt(0)
	v_cmp_lt_f64_e64 vcc, |v[130:131]|, |v[140:141]|
	v_cndmask_b32_e32 v131, v131, v141, vcc
	v_cndmask_b32_e32 v130, v130, v140, vcc
	;; [unrolled: 1-line block ×3, first 2 shown]
	s_cbranch_scc1 .LBB124_354
.LBB124_355:
	s_waitcnt lgkmcnt(0)
	v_cmp_eq_f64_e32 vcc, 0, v[130:131]
	s_and_saveexec_b64 s[0:1], vcc
	s_xor_b64 s[0:1], exec, s[0:1]
; %bb.356:
	v_cmp_ne_u32_e32 vcc, 0, v138
	v_cndmask_b32_e32 v138, 22, v138, vcc
; %bb.357:
	s_andn2_saveexec_b64 s[0:1], s[0:1]
; %bb.358:
	v_div_scale_f64 v[140:141], s[2:3], v[130:131], v[130:131], 1.0
	v_rcp_f64_e32 v[142:143], v[140:141]
	v_div_scale_f64 v[144:145], vcc, 1.0, v[130:131], 1.0
	v_fma_f64 v[146:147], -v[140:141], v[142:143], 1.0
	v_fmac_f64_e32 v[142:143], v[142:143], v[146:147]
	v_fma_f64 v[146:147], -v[140:141], v[142:143], 1.0
	v_fmac_f64_e32 v[142:143], v[142:143], v[146:147]
	v_mul_f64 v[146:147], v[144:145], v[142:143]
	v_fma_f64 v[140:141], -v[140:141], v[146:147], v[144:145]
	v_div_fmas_f64 v[140:141], v[140:141], v[142:143], v[146:147]
	v_div_fixup_f64 v[130:131], v[140:141], v[130:131], 1.0
; %bb.359:
	s_or_b64 exec, exec, s[0:1]
	v_cmp_ne_u32_e32 vcc, v135, v132
	s_and_saveexec_b64 s[0:1], vcc
	s_xor_b64 s[0:1], exec, s[0:1]
	s_cbranch_execz .LBB124_365
; %bb.360:
	v_cmp_eq_u32_e32 vcc, 21, v135
	s_and_saveexec_b64 s[2:3], vcc
	s_cbranch_execz .LBB124_364
; %bb.361:
	v_cmp_ne_u32_e32 vcc, 21, v132
	s_xor_b64 s[14:15], s[6:7], -1
	s_and_b64 s[16:17], s[14:15], vcc
	s_and_saveexec_b64 s[14:15], s[16:17]
	s_cbranch_execz .LBB124_363
; %bb.362:
	v_ashrrev_i32_e32 v133, 31, v132
	v_lshlrev_b64 v[140:141], 2, v[132:133]
	v_add_co_u32_e32 v140, vcc, v4, v140
	v_addc_co_u32_e32 v141, vcc, v5, v141, vcc
	flat_load_dword v133, v[140:141]
	flat_load_dword v135, v[4:5] offset:84
	s_waitcnt vmcnt(0) lgkmcnt(0)
	flat_store_dword v[4:5], v133 offset:84
	flat_store_dword v[140:141], v135
.LBB124_363:
	s_or_b64 exec, exec, s[14:15]
	v_mov_b32_e32 v133, v132
	v_mov_b32_e32 v135, v132
.LBB124_364:
	s_or_b64 exec, exec, s[2:3]
.LBB124_365:
	s_andn2_saveexec_b64 s[0:1], s[0:1]
	s_cbranch_execz .LBB124_367
; %bb.366:
	v_mov_b32_e32 v140, v82
	v_mov_b32_e32 v141, v83
	v_mov_b32_e32 v142, v80
	v_mov_b32_e32 v143, v81
	ds_write2_b64 v134, v[140:141], v[142:143] offset0:22 offset1:23
	v_mov_b32_e32 v140, v78
	v_mov_b32_e32 v141, v79
	v_mov_b32_e32 v142, v76
	v_mov_b32_e32 v143, v77
	ds_write2_b64 v134, v[140:141], v[142:143] offset0:24 offset1:25
	;; [unrolled: 5-line block ×19, first 2 shown]
	v_mov_b32_e32 v140, v6
	v_mov_b32_e32 v141, v7
	;; [unrolled: 1-line block ×5, first 2 shown]
	ds_write2_b64 v134, v[140:141], v[142:143] offset0:60 offset1:61
	ds_write_b64 v134, v[128:129] offset:496
.LBB124_367:
	s_or_b64 exec, exec, s[0:1]
	v_cmp_lt_i32_e32 vcc, 21, v135
	s_waitcnt lgkmcnt(0)
	s_barrier
	s_and_saveexec_b64 s[0:1], vcc
	s_cbranch_execz .LBB124_369
; %bb.368:
	ds_read2_b64 v[140:143], v134 offset0:22 offset1:23
	ds_read2_b64 v[144:147], v134 offset0:24 offset1:25
	v_mul_f64 v[84:85], v[130:131], v[84:85]
	ds_read2_b64 v[148:151], v134 offset0:26 offset1:27
	ds_read_b64 v[130:131], v134 offset:496
	s_waitcnt lgkmcnt(0)
	v_fma_f64 v[82:83], -v[84:85], v[140:141], v[82:83]
	v_fma_f64 v[80:81], -v[84:85], v[142:143], v[80:81]
	ds_read2_b64 v[140:143], v134 offset0:28 offset1:29
	v_fma_f64 v[78:79], -v[84:85], v[144:145], v[78:79]
	v_fma_f64 v[76:77], -v[84:85], v[146:147], v[76:77]
	ds_read2_b64 v[144:147], v134 offset0:30 offset1:31
	;; [unrolled: 3-line block ×3, first 2 shown]
	s_waitcnt lgkmcnt(0)
	v_fma_f64 v[70:71], -v[84:85], v[140:141], v[70:71]
	v_fma_f64 v[68:69], -v[84:85], v[142:143], v[68:69]
	;; [unrolled: 1-line block ×3, first 2 shown]
	ds_read2_b64 v[140:143], v134 offset0:34 offset1:35
	v_fma_f64 v[64:65], -v[84:85], v[146:147], v[64:65]
	ds_read2_b64 v[144:147], v134 offset0:36 offset1:37
	v_fma_f64 v[62:63], -v[84:85], v[148:149], v[62:63]
	v_fma_f64 v[60:61], -v[84:85], v[150:151], v[60:61]
	s_waitcnt lgkmcnt(0)
	v_fma_f64 v[58:59], -v[84:85], v[140:141], v[58:59]
	ds_read2_b64 v[148:151], v134 offset0:38 offset1:39
	v_fma_f64 v[56:57], -v[84:85], v[142:143], v[56:57]
	ds_read2_b64 v[140:143], v134 offset0:40 offset1:41
	v_fma_f64 v[54:55], -v[84:85], v[144:145], v[54:55]
	v_fma_f64 v[52:53], -v[84:85], v[146:147], v[52:53]
	ds_read2_b64 v[144:147], v134 offset0:42 offset1:43
	s_waitcnt lgkmcnt(0)
	v_fma_f64 v[50:51], -v[84:85], v[148:149], v[50:51]
	v_fma_f64 v[48:49], -v[84:85], v[150:151], v[48:49]
	ds_read2_b64 v[148:151], v134 offset0:44 offset1:45
	v_fma_f64 v[46:47], -v[84:85], v[140:141], v[46:47]
	v_fma_f64 v[44:45], -v[84:85], v[142:143], v[44:45]
	;; [unrolled: 1-line block ×3, first 2 shown]
	ds_read2_b64 v[140:143], v134 offset0:46 offset1:47
	v_fma_f64 v[40:41], -v[84:85], v[146:147], v[40:41]
	ds_read2_b64 v[144:147], v134 offset0:48 offset1:49
	s_waitcnt lgkmcnt(0)
	v_fma_f64 v[38:39], -v[84:85], v[148:149], v[38:39]
	v_fma_f64 v[36:37], -v[84:85], v[150:151], v[36:37]
	;; [unrolled: 1-line block ×3, first 2 shown]
	ds_read2_b64 v[148:151], v134 offset0:50 offset1:51
	v_fma_f64 v[32:33], -v[84:85], v[142:143], v[32:33]
	ds_read2_b64 v[140:143], v134 offset0:52 offset1:53
	v_fma_f64 v[30:31], -v[84:85], v[144:145], v[30:31]
	v_fma_f64 v[28:29], -v[84:85], v[146:147], v[28:29]
	ds_read2_b64 v[144:147], v134 offset0:54 offset1:55
	s_waitcnt lgkmcnt(0)
	v_fma_f64 v[26:27], -v[84:85], v[148:149], v[26:27]
	v_fma_f64 v[24:25], -v[84:85], v[150:151], v[24:25]
	ds_read2_b64 v[148:151], v134 offset0:56 offset1:57
	v_fma_f64 v[22:23], -v[84:85], v[140:141], v[22:23]
	v_fma_f64 v[20:21], -v[84:85], v[142:143], v[20:21]
	;; [unrolled: 1-line block ×4, first 2 shown]
	ds_read2_b64 v[140:143], v134 offset0:58 offset1:59
	ds_read2_b64 v[144:147], v134 offset0:60 offset1:61
	s_waitcnt lgkmcnt(0)
	v_fma_f64 v[14:15], -v[84:85], v[148:149], v[14:15]
	v_fma_f64 v[12:13], -v[84:85], v[150:151], v[12:13]
	;; [unrolled: 1-line block ×7, first 2 shown]
.LBB124_369:
	s_or_b64 exec, exec, s[0:1]
	v_lshl_add_u32 v130, v135, 3, v134
	s_barrier
	ds_write_b64 v130, v[82:83]
	s_waitcnt lgkmcnt(0)
	s_barrier
	ds_read_b64 v[130:131], v134 offset:176
	s_cmp_lt_i32 s18, 24
	v_mov_b32_e32 v132, 22
	s_cbranch_scc1 .LBB124_372
; %bb.370:
	v_add_u32_e32 v139, 0xb8, v134
	s_mov_b32 s0, 23
	v_mov_b32_e32 v132, 22
.LBB124_371:                            ; =>This Inner Loop Header: Depth=1
	ds_read_b64 v[140:141], v139
	v_mov_b32_e32 v142, s0
	s_add_i32 s0, s0, 1
	v_add_u32_e32 v139, 8, v139
	s_cmp_lg_u32 s18, s0
	s_waitcnt lgkmcnt(0)
	v_cmp_lt_f64_e64 vcc, |v[130:131]|, |v[140:141]|
	v_cndmask_b32_e32 v131, v131, v141, vcc
	v_cndmask_b32_e32 v130, v130, v140, vcc
	;; [unrolled: 1-line block ×3, first 2 shown]
	s_cbranch_scc1 .LBB124_371
.LBB124_372:
	s_waitcnt lgkmcnt(0)
	v_cmp_eq_f64_e32 vcc, 0, v[130:131]
	s_and_saveexec_b64 s[0:1], vcc
	s_xor_b64 s[0:1], exec, s[0:1]
; %bb.373:
	v_cmp_ne_u32_e32 vcc, 0, v138
	v_cndmask_b32_e32 v138, 23, v138, vcc
; %bb.374:
	s_andn2_saveexec_b64 s[0:1], s[0:1]
; %bb.375:
	v_div_scale_f64 v[140:141], s[2:3], v[130:131], v[130:131], 1.0
	v_rcp_f64_e32 v[142:143], v[140:141]
	v_div_scale_f64 v[144:145], vcc, 1.0, v[130:131], 1.0
	v_fma_f64 v[146:147], -v[140:141], v[142:143], 1.0
	v_fmac_f64_e32 v[142:143], v[142:143], v[146:147]
	v_fma_f64 v[146:147], -v[140:141], v[142:143], 1.0
	v_fmac_f64_e32 v[142:143], v[142:143], v[146:147]
	v_mul_f64 v[146:147], v[144:145], v[142:143]
	v_fma_f64 v[140:141], -v[140:141], v[146:147], v[144:145]
	v_div_fmas_f64 v[140:141], v[140:141], v[142:143], v[146:147]
	v_div_fixup_f64 v[130:131], v[140:141], v[130:131], 1.0
; %bb.376:
	s_or_b64 exec, exec, s[0:1]
	v_cmp_ne_u32_e32 vcc, v135, v132
	s_and_saveexec_b64 s[0:1], vcc
	s_xor_b64 s[0:1], exec, s[0:1]
	s_cbranch_execz .LBB124_382
; %bb.377:
	v_cmp_eq_u32_e32 vcc, 22, v135
	s_and_saveexec_b64 s[2:3], vcc
	s_cbranch_execz .LBB124_381
; %bb.378:
	v_cmp_ne_u32_e32 vcc, 22, v132
	s_xor_b64 s[14:15], s[6:7], -1
	s_and_b64 s[16:17], s[14:15], vcc
	s_and_saveexec_b64 s[14:15], s[16:17]
	s_cbranch_execz .LBB124_380
; %bb.379:
	v_ashrrev_i32_e32 v133, 31, v132
	v_lshlrev_b64 v[140:141], 2, v[132:133]
	v_add_co_u32_e32 v140, vcc, v4, v140
	v_addc_co_u32_e32 v141, vcc, v5, v141, vcc
	flat_load_dword v133, v[140:141]
	flat_load_dword v135, v[4:5] offset:88
	s_waitcnt vmcnt(0) lgkmcnt(0)
	flat_store_dword v[4:5], v133 offset:88
	flat_store_dword v[140:141], v135
.LBB124_380:
	s_or_b64 exec, exec, s[14:15]
	v_mov_b32_e32 v133, v132
	v_mov_b32_e32 v135, v132
.LBB124_381:
	s_or_b64 exec, exec, s[2:3]
.LBB124_382:
	s_andn2_saveexec_b64 s[0:1], s[0:1]
	s_cbranch_execz .LBB124_384
; %bb.383:
	v_mov_b32_e32 v135, 22
	ds_write2_b64 v134, v[80:81], v[78:79] offset0:23 offset1:24
	ds_write2_b64 v134, v[76:77], v[74:75] offset0:25 offset1:26
	;; [unrolled: 1-line block ×20, first 2 shown]
.LBB124_384:
	s_or_b64 exec, exec, s[0:1]
	v_cmp_lt_i32_e32 vcc, 22, v135
	s_waitcnt lgkmcnt(0)
	s_barrier
	s_and_saveexec_b64 s[0:1], vcc
	s_cbranch_execz .LBB124_386
; %bb.385:
	ds_read2_b64 v[140:143], v134 offset0:23 offset1:24
	ds_read2_b64 v[144:147], v134 offset0:25 offset1:26
	v_mul_f64 v[82:83], v[130:131], v[82:83]
	ds_read2_b64 v[148:151], v134 offset0:27 offset1:28
	s_waitcnt lgkmcnt(0)
	v_fma_f64 v[80:81], -v[82:83], v[140:141], v[80:81]
	v_fma_f64 v[78:79], -v[82:83], v[142:143], v[78:79]
	ds_read2_b64 v[140:143], v134 offset0:29 offset1:30
	v_fma_f64 v[76:77], -v[82:83], v[144:145], v[76:77]
	v_fma_f64 v[74:75], -v[82:83], v[146:147], v[74:75]
	ds_read2_b64 v[144:147], v134 offset0:31 offset1:32
	;; [unrolled: 3-line block ×3, first 2 shown]
	s_waitcnt lgkmcnt(0)
	v_fma_f64 v[68:69], -v[82:83], v[140:141], v[68:69]
	v_fma_f64 v[66:67], -v[82:83], v[142:143], v[66:67]
	;; [unrolled: 1-line block ×3, first 2 shown]
	ds_read2_b64 v[140:143], v134 offset0:35 offset1:36
	v_fma_f64 v[62:63], -v[82:83], v[146:147], v[62:63]
	ds_read2_b64 v[144:147], v134 offset0:37 offset1:38
	v_fma_f64 v[60:61], -v[82:83], v[148:149], v[60:61]
	v_fma_f64 v[58:59], -v[82:83], v[150:151], v[58:59]
	s_waitcnt lgkmcnt(0)
	v_fma_f64 v[56:57], -v[82:83], v[140:141], v[56:57]
	ds_read2_b64 v[148:151], v134 offset0:39 offset1:40
	v_fma_f64 v[54:55], -v[82:83], v[142:143], v[54:55]
	ds_read2_b64 v[140:143], v134 offset0:41 offset1:42
	v_fma_f64 v[52:53], -v[82:83], v[144:145], v[52:53]
	v_fma_f64 v[50:51], -v[82:83], v[146:147], v[50:51]
	ds_read2_b64 v[144:147], v134 offset0:43 offset1:44
	s_waitcnt lgkmcnt(0)
	v_fma_f64 v[48:49], -v[82:83], v[148:149], v[48:49]
	v_fma_f64 v[46:47], -v[82:83], v[150:151], v[46:47]
	ds_read2_b64 v[148:151], v134 offset0:45 offset1:46
	v_fma_f64 v[44:45], -v[82:83], v[140:141], v[44:45]
	v_fma_f64 v[42:43], -v[82:83], v[142:143], v[42:43]
	;; [unrolled: 1-line block ×3, first 2 shown]
	ds_read2_b64 v[140:143], v134 offset0:47 offset1:48
	v_fma_f64 v[38:39], -v[82:83], v[146:147], v[38:39]
	ds_read2_b64 v[144:147], v134 offset0:49 offset1:50
	s_waitcnt lgkmcnt(0)
	v_fma_f64 v[36:37], -v[82:83], v[148:149], v[36:37]
	v_fma_f64 v[34:35], -v[82:83], v[150:151], v[34:35]
	;; [unrolled: 1-line block ×3, first 2 shown]
	ds_read2_b64 v[148:151], v134 offset0:51 offset1:52
	v_fma_f64 v[30:31], -v[82:83], v[142:143], v[30:31]
	ds_read2_b64 v[140:143], v134 offset0:53 offset1:54
	v_fma_f64 v[28:29], -v[82:83], v[144:145], v[28:29]
	v_fma_f64 v[26:27], -v[82:83], v[146:147], v[26:27]
	ds_read2_b64 v[144:147], v134 offset0:55 offset1:56
	s_waitcnt lgkmcnt(0)
	v_fma_f64 v[24:25], -v[82:83], v[148:149], v[24:25]
	v_fma_f64 v[22:23], -v[82:83], v[150:151], v[22:23]
	;; [unrolled: 1-line block ×4, first 2 shown]
	ds_read2_b64 v[140:143], v134 offset0:57 offset1:58
	v_fma_f64 v[16:17], -v[82:83], v[144:145], v[16:17]
	ds_read2_b64 v[148:151], v134 offset0:59 offset1:60
	v_fma_f64 v[14:15], -v[82:83], v[146:147], v[14:15]
	ds_read2_b64 v[144:147], v134 offset0:61 offset1:62
	s_waitcnt lgkmcnt(0)
	v_fma_f64 v[12:13], -v[82:83], v[140:141], v[12:13]
	v_fma_f64 v[10:11], -v[82:83], v[142:143], v[10:11]
	v_fma_f64 v[8:9], -v[82:83], v[148:149], v[8:9]
	v_fma_f64 v[6:7], -v[82:83], v[150:151], v[6:7]
	v_fma_f64 v[0:1], -v[82:83], v[144:145], v[0:1]
	v_fma_f64 v[128:129], -v[82:83], v[146:147], v[128:129]
.LBB124_386:
	s_or_b64 exec, exec, s[0:1]
	v_lshl_add_u32 v130, v135, 3, v134
	s_barrier
	ds_write_b64 v130, v[80:81]
	s_waitcnt lgkmcnt(0)
	s_barrier
	ds_read_b64 v[130:131], v134 offset:184
	s_cmp_lt_i32 s18, 25
	v_mov_b32_e32 v132, 23
	s_cbranch_scc1 .LBB124_389
; %bb.387:
	v_add_u32_e32 v139, 0xc0, v134
	s_mov_b32 s0, 24
	v_mov_b32_e32 v132, 23
.LBB124_388:                            ; =>This Inner Loop Header: Depth=1
	ds_read_b64 v[140:141], v139
	v_mov_b32_e32 v142, s0
	s_add_i32 s0, s0, 1
	v_add_u32_e32 v139, 8, v139
	s_cmp_lg_u32 s18, s0
	s_waitcnt lgkmcnt(0)
	v_cmp_lt_f64_e64 vcc, |v[130:131]|, |v[140:141]|
	v_cndmask_b32_e32 v131, v131, v141, vcc
	v_cndmask_b32_e32 v130, v130, v140, vcc
	;; [unrolled: 1-line block ×3, first 2 shown]
	s_cbranch_scc1 .LBB124_388
.LBB124_389:
	s_waitcnt lgkmcnt(0)
	v_cmp_eq_f64_e32 vcc, 0, v[130:131]
	s_and_saveexec_b64 s[0:1], vcc
	s_xor_b64 s[0:1], exec, s[0:1]
; %bb.390:
	v_cmp_ne_u32_e32 vcc, 0, v138
	v_cndmask_b32_e32 v138, 24, v138, vcc
; %bb.391:
	s_andn2_saveexec_b64 s[0:1], s[0:1]
; %bb.392:
	v_div_scale_f64 v[140:141], s[2:3], v[130:131], v[130:131], 1.0
	v_rcp_f64_e32 v[142:143], v[140:141]
	v_div_scale_f64 v[144:145], vcc, 1.0, v[130:131], 1.0
	v_fma_f64 v[146:147], -v[140:141], v[142:143], 1.0
	v_fmac_f64_e32 v[142:143], v[142:143], v[146:147]
	v_fma_f64 v[146:147], -v[140:141], v[142:143], 1.0
	v_fmac_f64_e32 v[142:143], v[142:143], v[146:147]
	v_mul_f64 v[146:147], v[144:145], v[142:143]
	v_fma_f64 v[140:141], -v[140:141], v[146:147], v[144:145]
	v_div_fmas_f64 v[140:141], v[140:141], v[142:143], v[146:147]
	v_div_fixup_f64 v[130:131], v[140:141], v[130:131], 1.0
; %bb.393:
	s_or_b64 exec, exec, s[0:1]
	v_cmp_ne_u32_e32 vcc, v135, v132
	s_and_saveexec_b64 s[0:1], vcc
	s_xor_b64 s[0:1], exec, s[0:1]
	s_cbranch_execz .LBB124_399
; %bb.394:
	v_cmp_eq_u32_e32 vcc, 23, v135
	s_and_saveexec_b64 s[2:3], vcc
	s_cbranch_execz .LBB124_398
; %bb.395:
	v_cmp_ne_u32_e32 vcc, 23, v132
	s_xor_b64 s[14:15], s[6:7], -1
	s_and_b64 s[16:17], s[14:15], vcc
	s_and_saveexec_b64 s[14:15], s[16:17]
	s_cbranch_execz .LBB124_397
; %bb.396:
	v_ashrrev_i32_e32 v133, 31, v132
	v_lshlrev_b64 v[140:141], 2, v[132:133]
	v_add_co_u32_e32 v140, vcc, v4, v140
	v_addc_co_u32_e32 v141, vcc, v5, v141, vcc
	flat_load_dword v133, v[140:141]
	flat_load_dword v135, v[4:5] offset:92
	s_waitcnt vmcnt(0) lgkmcnt(0)
	flat_store_dword v[4:5], v133 offset:92
	flat_store_dword v[140:141], v135
.LBB124_397:
	s_or_b64 exec, exec, s[14:15]
	v_mov_b32_e32 v133, v132
	v_mov_b32_e32 v135, v132
.LBB124_398:
	s_or_b64 exec, exec, s[2:3]
.LBB124_399:
	s_andn2_saveexec_b64 s[0:1], s[0:1]
	s_cbranch_execz .LBB124_401
; %bb.400:
	v_mov_b32_e32 v140, v78
	v_mov_b32_e32 v141, v79
	v_mov_b32_e32 v142, v76
	v_mov_b32_e32 v143, v77
	ds_write2_b64 v134, v[140:141], v[142:143] offset0:24 offset1:25
	v_mov_b32_e32 v140, v74
	v_mov_b32_e32 v141, v75
	v_mov_b32_e32 v142, v72
	v_mov_b32_e32 v143, v73
	ds_write2_b64 v134, v[140:141], v[142:143] offset0:26 offset1:27
	;; [unrolled: 5-line block ×18, first 2 shown]
	v_mov_b32_e32 v140, v6
	v_mov_b32_e32 v141, v7
	v_mov_b32_e32 v142, v0
	v_mov_b32_e32 v143, v1
	v_mov_b32_e32 v135, 23
	ds_write2_b64 v134, v[140:141], v[142:143] offset0:60 offset1:61
	ds_write_b64 v134, v[128:129] offset:496
.LBB124_401:
	s_or_b64 exec, exec, s[0:1]
	v_cmp_lt_i32_e32 vcc, 23, v135
	s_waitcnt lgkmcnt(0)
	s_barrier
	s_and_saveexec_b64 s[0:1], vcc
	s_cbranch_execz .LBB124_403
; %bb.402:
	ds_read2_b64 v[140:143], v134 offset0:24 offset1:25
	ds_read2_b64 v[144:147], v134 offset0:26 offset1:27
	v_mul_f64 v[80:81], v[130:131], v[80:81]
	ds_read2_b64 v[148:151], v134 offset0:28 offset1:29
	ds_read_b64 v[130:131], v134 offset:496
	s_waitcnt lgkmcnt(0)
	v_fma_f64 v[78:79], -v[80:81], v[140:141], v[78:79]
	v_fma_f64 v[76:77], -v[80:81], v[142:143], v[76:77]
	ds_read2_b64 v[140:143], v134 offset0:30 offset1:31
	v_fma_f64 v[74:75], -v[80:81], v[144:145], v[74:75]
	v_fma_f64 v[72:73], -v[80:81], v[146:147], v[72:73]
	v_fma_f64 v[70:71], -v[80:81], v[148:149], v[70:71]
	ds_read2_b64 v[144:147], v134 offset0:32 offset1:33
	v_fma_f64 v[68:69], -v[80:81], v[150:151], v[68:69]
	ds_read2_b64 v[148:151], v134 offset0:34 offset1:35
	s_waitcnt lgkmcnt(0)
	v_fma_f64 v[66:67], -v[80:81], v[140:141], v[66:67]
	v_fma_f64 v[64:65], -v[80:81], v[142:143], v[64:65]
	ds_read2_b64 v[140:143], v134 offset0:36 offset1:37
	v_fma_f64 v[62:63], -v[80:81], v[144:145], v[62:63]
	v_fma_f64 v[60:61], -v[80:81], v[146:147], v[60:61]
	ds_read2_b64 v[144:147], v134 offset0:38 offset1:39
	v_fma_f64 v[58:59], -v[80:81], v[148:149], v[58:59]
	v_fma_f64 v[56:57], -v[80:81], v[150:151], v[56:57]
	s_waitcnt lgkmcnt(0)
	v_fma_f64 v[54:55], -v[80:81], v[140:141], v[54:55]
	ds_read2_b64 v[148:151], v134 offset0:40 offset1:41
	v_fma_f64 v[52:53], -v[80:81], v[142:143], v[52:53]
	ds_read2_b64 v[140:143], v134 offset0:42 offset1:43
	v_fma_f64 v[50:51], -v[80:81], v[144:145], v[50:51]
	v_fma_f64 v[48:49], -v[80:81], v[146:147], v[48:49]
	s_waitcnt lgkmcnt(0)
	v_fma_f64 v[46:47], -v[80:81], v[148:149], v[46:47]
	ds_read2_b64 v[144:147], v134 offset0:44 offset1:45
	v_fma_f64 v[44:45], -v[80:81], v[150:151], v[44:45]
	ds_read2_b64 v[148:151], v134 offset0:46 offset1:47
	v_fma_f64 v[42:43], -v[80:81], v[140:141], v[42:43]
	v_fma_f64 v[40:41], -v[80:81], v[142:143], v[40:41]
	ds_read2_b64 v[140:143], v134 offset0:48 offset1:49
	s_waitcnt lgkmcnt(0)
	v_fma_f64 v[38:39], -v[80:81], v[144:145], v[38:39]
	v_fma_f64 v[36:37], -v[80:81], v[146:147], v[36:37]
	ds_read2_b64 v[144:147], v134 offset0:50 offset1:51
	v_fma_f64 v[34:35], -v[80:81], v[148:149], v[34:35]
	v_fma_f64 v[32:33], -v[80:81], v[150:151], v[32:33]
	;; [unrolled: 1-line block ×3, first 2 shown]
	ds_read2_b64 v[148:151], v134 offset0:52 offset1:53
	v_fma_f64 v[28:29], -v[80:81], v[142:143], v[28:29]
	ds_read2_b64 v[140:143], v134 offset0:54 offset1:55
	s_waitcnt lgkmcnt(0)
	v_fma_f64 v[26:27], -v[80:81], v[144:145], v[26:27]
	v_fma_f64 v[24:25], -v[80:81], v[146:147], v[24:25]
	v_fma_f64 v[22:23], -v[80:81], v[148:149], v[22:23]
	ds_read2_b64 v[144:147], v134 offset0:56 offset1:57
	v_fma_f64 v[20:21], -v[80:81], v[150:151], v[20:21]
	v_fma_f64 v[18:19], -v[80:81], v[140:141], v[18:19]
	;; [unrolled: 1-line block ×3, first 2 shown]
	ds_read2_b64 v[140:143], v134 offset0:58 offset1:59
	ds_read2_b64 v[148:151], v134 offset0:60 offset1:61
	s_waitcnt lgkmcnt(0)
	v_fma_f64 v[14:15], -v[80:81], v[144:145], v[14:15]
	v_fma_f64 v[12:13], -v[80:81], v[146:147], v[12:13]
	;; [unrolled: 1-line block ×7, first 2 shown]
.LBB124_403:
	s_or_b64 exec, exec, s[0:1]
	v_lshl_add_u32 v130, v135, 3, v134
	s_barrier
	ds_write_b64 v130, v[78:79]
	s_waitcnt lgkmcnt(0)
	s_barrier
	ds_read_b64 v[130:131], v134 offset:192
	s_cmp_lt_i32 s18, 26
	v_mov_b32_e32 v132, 24
	s_cbranch_scc1 .LBB124_406
; %bb.404:
	v_add_u32_e32 v139, 0xc8, v134
	s_mov_b32 s0, 25
	v_mov_b32_e32 v132, 24
.LBB124_405:                            ; =>This Inner Loop Header: Depth=1
	ds_read_b64 v[140:141], v139
	v_mov_b32_e32 v142, s0
	s_add_i32 s0, s0, 1
	v_add_u32_e32 v139, 8, v139
	s_cmp_lg_u32 s18, s0
	s_waitcnt lgkmcnt(0)
	v_cmp_lt_f64_e64 vcc, |v[130:131]|, |v[140:141]|
	v_cndmask_b32_e32 v131, v131, v141, vcc
	v_cndmask_b32_e32 v130, v130, v140, vcc
	;; [unrolled: 1-line block ×3, first 2 shown]
	s_cbranch_scc1 .LBB124_405
.LBB124_406:
	s_waitcnt lgkmcnt(0)
	v_cmp_eq_f64_e32 vcc, 0, v[130:131]
	s_and_saveexec_b64 s[0:1], vcc
	s_xor_b64 s[0:1], exec, s[0:1]
; %bb.407:
	v_cmp_ne_u32_e32 vcc, 0, v138
	v_cndmask_b32_e32 v138, 25, v138, vcc
; %bb.408:
	s_andn2_saveexec_b64 s[0:1], s[0:1]
; %bb.409:
	v_div_scale_f64 v[140:141], s[2:3], v[130:131], v[130:131], 1.0
	v_rcp_f64_e32 v[142:143], v[140:141]
	v_div_scale_f64 v[144:145], vcc, 1.0, v[130:131], 1.0
	v_fma_f64 v[146:147], -v[140:141], v[142:143], 1.0
	v_fmac_f64_e32 v[142:143], v[142:143], v[146:147]
	v_fma_f64 v[146:147], -v[140:141], v[142:143], 1.0
	v_fmac_f64_e32 v[142:143], v[142:143], v[146:147]
	v_mul_f64 v[146:147], v[144:145], v[142:143]
	v_fma_f64 v[140:141], -v[140:141], v[146:147], v[144:145]
	v_div_fmas_f64 v[140:141], v[140:141], v[142:143], v[146:147]
	v_div_fixup_f64 v[130:131], v[140:141], v[130:131], 1.0
; %bb.410:
	s_or_b64 exec, exec, s[0:1]
	v_cmp_ne_u32_e32 vcc, v135, v132
	s_and_saveexec_b64 s[0:1], vcc
	s_xor_b64 s[0:1], exec, s[0:1]
	s_cbranch_execz .LBB124_416
; %bb.411:
	v_cmp_eq_u32_e32 vcc, 24, v135
	s_and_saveexec_b64 s[2:3], vcc
	s_cbranch_execz .LBB124_415
; %bb.412:
	v_cmp_ne_u32_e32 vcc, 24, v132
	s_xor_b64 s[14:15], s[6:7], -1
	s_and_b64 s[16:17], s[14:15], vcc
	s_and_saveexec_b64 s[14:15], s[16:17]
	s_cbranch_execz .LBB124_414
; %bb.413:
	v_ashrrev_i32_e32 v133, 31, v132
	v_lshlrev_b64 v[140:141], 2, v[132:133]
	v_add_co_u32_e32 v140, vcc, v4, v140
	v_addc_co_u32_e32 v141, vcc, v5, v141, vcc
	flat_load_dword v133, v[140:141]
	flat_load_dword v135, v[4:5] offset:96
	s_waitcnt vmcnt(0) lgkmcnt(0)
	flat_store_dword v[4:5], v133 offset:96
	flat_store_dword v[140:141], v135
.LBB124_414:
	s_or_b64 exec, exec, s[14:15]
	v_mov_b32_e32 v133, v132
	v_mov_b32_e32 v135, v132
.LBB124_415:
	s_or_b64 exec, exec, s[2:3]
.LBB124_416:
	s_andn2_saveexec_b64 s[0:1], s[0:1]
	s_cbranch_execz .LBB124_418
; %bb.417:
	v_mov_b32_e32 v135, 24
	ds_write2_b64 v134, v[76:77], v[74:75] offset0:25 offset1:26
	ds_write2_b64 v134, v[72:73], v[70:71] offset0:27 offset1:28
	ds_write2_b64 v134, v[68:69], v[66:67] offset0:29 offset1:30
	ds_write2_b64 v134, v[64:65], v[62:63] offset0:31 offset1:32
	ds_write2_b64 v134, v[60:61], v[58:59] offset0:33 offset1:34
	ds_write2_b64 v134, v[56:57], v[54:55] offset0:35 offset1:36
	ds_write2_b64 v134, v[52:53], v[50:51] offset0:37 offset1:38
	ds_write2_b64 v134, v[48:49], v[46:47] offset0:39 offset1:40
	ds_write2_b64 v134, v[44:45], v[42:43] offset0:41 offset1:42
	ds_write2_b64 v134, v[40:41], v[38:39] offset0:43 offset1:44
	ds_write2_b64 v134, v[36:37], v[34:35] offset0:45 offset1:46
	ds_write2_b64 v134, v[32:33], v[30:31] offset0:47 offset1:48
	ds_write2_b64 v134, v[28:29], v[26:27] offset0:49 offset1:50
	ds_write2_b64 v134, v[24:25], v[22:23] offset0:51 offset1:52
	ds_write2_b64 v134, v[20:21], v[18:19] offset0:53 offset1:54
	ds_write2_b64 v134, v[16:17], v[14:15] offset0:55 offset1:56
	ds_write2_b64 v134, v[12:13], v[10:11] offset0:57 offset1:58
	ds_write2_b64 v134, v[8:9], v[6:7] offset0:59 offset1:60
	ds_write2_b64 v134, v[0:1], v[128:129] offset0:61 offset1:62
.LBB124_418:
	s_or_b64 exec, exec, s[0:1]
	v_cmp_lt_i32_e32 vcc, 24, v135
	s_waitcnt lgkmcnt(0)
	s_barrier
	s_and_saveexec_b64 s[0:1], vcc
	s_cbranch_execz .LBB124_420
; %bb.419:
	ds_read2_b64 v[140:143], v134 offset0:25 offset1:26
	ds_read2_b64 v[144:147], v134 offset0:27 offset1:28
	v_mul_f64 v[78:79], v[130:131], v[78:79]
	ds_read2_b64 v[148:151], v134 offset0:29 offset1:30
	s_waitcnt lgkmcnt(0)
	v_fma_f64 v[76:77], -v[78:79], v[140:141], v[76:77]
	v_fma_f64 v[74:75], -v[78:79], v[142:143], v[74:75]
	ds_read2_b64 v[140:143], v134 offset0:31 offset1:32
	v_fma_f64 v[72:73], -v[78:79], v[144:145], v[72:73]
	v_fma_f64 v[70:71], -v[78:79], v[146:147], v[70:71]
	;; [unrolled: 1-line block ×3, first 2 shown]
	ds_read2_b64 v[144:147], v134 offset0:33 offset1:34
	v_fma_f64 v[66:67], -v[78:79], v[150:151], v[66:67]
	ds_read2_b64 v[148:151], v134 offset0:35 offset1:36
	s_waitcnt lgkmcnt(0)
	v_fma_f64 v[64:65], -v[78:79], v[140:141], v[64:65]
	v_fma_f64 v[62:63], -v[78:79], v[142:143], v[62:63]
	ds_read2_b64 v[140:143], v134 offset0:37 offset1:38
	v_fma_f64 v[60:61], -v[78:79], v[144:145], v[60:61]
	v_fma_f64 v[58:59], -v[78:79], v[146:147], v[58:59]
	ds_read2_b64 v[144:147], v134 offset0:39 offset1:40
	v_fma_f64 v[56:57], -v[78:79], v[148:149], v[56:57]
	v_fma_f64 v[54:55], -v[78:79], v[150:151], v[54:55]
	s_waitcnt lgkmcnt(0)
	v_fma_f64 v[52:53], -v[78:79], v[140:141], v[52:53]
	ds_read2_b64 v[148:151], v134 offset0:41 offset1:42
	v_fma_f64 v[50:51], -v[78:79], v[142:143], v[50:51]
	ds_read2_b64 v[140:143], v134 offset0:43 offset1:44
	v_fma_f64 v[48:49], -v[78:79], v[144:145], v[48:49]
	v_fma_f64 v[46:47], -v[78:79], v[146:147], v[46:47]
	s_waitcnt lgkmcnt(0)
	v_fma_f64 v[44:45], -v[78:79], v[148:149], v[44:45]
	ds_read2_b64 v[144:147], v134 offset0:45 offset1:46
	v_fma_f64 v[42:43], -v[78:79], v[150:151], v[42:43]
	ds_read2_b64 v[148:151], v134 offset0:47 offset1:48
	v_fma_f64 v[40:41], -v[78:79], v[140:141], v[40:41]
	v_fma_f64 v[38:39], -v[78:79], v[142:143], v[38:39]
	ds_read2_b64 v[140:143], v134 offset0:49 offset1:50
	s_waitcnt lgkmcnt(0)
	v_fma_f64 v[36:37], -v[78:79], v[144:145], v[36:37]
	v_fma_f64 v[34:35], -v[78:79], v[146:147], v[34:35]
	ds_read2_b64 v[144:147], v134 offset0:51 offset1:52
	v_fma_f64 v[32:33], -v[78:79], v[148:149], v[32:33]
	v_fma_f64 v[30:31], -v[78:79], v[150:151], v[30:31]
	;; [unrolled: 1-line block ×3, first 2 shown]
	ds_read2_b64 v[148:151], v134 offset0:53 offset1:54
	v_fma_f64 v[26:27], -v[78:79], v[142:143], v[26:27]
	ds_read2_b64 v[140:143], v134 offset0:55 offset1:56
	s_waitcnt lgkmcnt(0)
	v_fma_f64 v[24:25], -v[78:79], v[144:145], v[24:25]
	v_fma_f64 v[22:23], -v[78:79], v[146:147], v[22:23]
	;; [unrolled: 1-line block ×4, first 2 shown]
	ds_read2_b64 v[144:147], v134 offset0:57 offset1:58
	ds_read2_b64 v[148:151], v134 offset0:59 offset1:60
	v_fma_f64 v[16:17], -v[78:79], v[140:141], v[16:17]
	v_fma_f64 v[14:15], -v[78:79], v[142:143], v[14:15]
	ds_read2_b64 v[140:143], v134 offset0:61 offset1:62
	s_waitcnt lgkmcnt(0)
	v_fma_f64 v[12:13], -v[78:79], v[144:145], v[12:13]
	v_fma_f64 v[10:11], -v[78:79], v[146:147], v[10:11]
	;; [unrolled: 1-line block ×6, first 2 shown]
.LBB124_420:
	s_or_b64 exec, exec, s[0:1]
	v_lshl_add_u32 v130, v135, 3, v134
	s_barrier
	ds_write_b64 v130, v[76:77]
	s_waitcnt lgkmcnt(0)
	s_barrier
	ds_read_b64 v[130:131], v134 offset:200
	s_cmp_lt_i32 s18, 27
	v_mov_b32_e32 v132, 25
	s_cbranch_scc1 .LBB124_423
; %bb.421:
	v_add_u32_e32 v139, 0xd0, v134
	s_mov_b32 s0, 26
	v_mov_b32_e32 v132, 25
.LBB124_422:                            ; =>This Inner Loop Header: Depth=1
	ds_read_b64 v[140:141], v139
	v_mov_b32_e32 v142, s0
	s_add_i32 s0, s0, 1
	v_add_u32_e32 v139, 8, v139
	s_cmp_lg_u32 s18, s0
	s_waitcnt lgkmcnt(0)
	v_cmp_lt_f64_e64 vcc, |v[130:131]|, |v[140:141]|
	v_cndmask_b32_e32 v131, v131, v141, vcc
	v_cndmask_b32_e32 v130, v130, v140, vcc
	;; [unrolled: 1-line block ×3, first 2 shown]
	s_cbranch_scc1 .LBB124_422
.LBB124_423:
	s_waitcnt lgkmcnt(0)
	v_cmp_eq_f64_e32 vcc, 0, v[130:131]
	s_and_saveexec_b64 s[0:1], vcc
	s_xor_b64 s[0:1], exec, s[0:1]
; %bb.424:
	v_cmp_ne_u32_e32 vcc, 0, v138
	v_cndmask_b32_e32 v138, 26, v138, vcc
; %bb.425:
	s_andn2_saveexec_b64 s[0:1], s[0:1]
; %bb.426:
	v_div_scale_f64 v[140:141], s[2:3], v[130:131], v[130:131], 1.0
	v_rcp_f64_e32 v[142:143], v[140:141]
	v_div_scale_f64 v[144:145], vcc, 1.0, v[130:131], 1.0
	v_fma_f64 v[146:147], -v[140:141], v[142:143], 1.0
	v_fmac_f64_e32 v[142:143], v[142:143], v[146:147]
	v_fma_f64 v[146:147], -v[140:141], v[142:143], 1.0
	v_fmac_f64_e32 v[142:143], v[142:143], v[146:147]
	v_mul_f64 v[146:147], v[144:145], v[142:143]
	v_fma_f64 v[140:141], -v[140:141], v[146:147], v[144:145]
	v_div_fmas_f64 v[140:141], v[140:141], v[142:143], v[146:147]
	v_div_fixup_f64 v[130:131], v[140:141], v[130:131], 1.0
; %bb.427:
	s_or_b64 exec, exec, s[0:1]
	v_cmp_ne_u32_e32 vcc, v135, v132
	s_and_saveexec_b64 s[0:1], vcc
	s_xor_b64 s[0:1], exec, s[0:1]
	s_cbranch_execz .LBB124_433
; %bb.428:
	v_cmp_eq_u32_e32 vcc, 25, v135
	s_and_saveexec_b64 s[2:3], vcc
	s_cbranch_execz .LBB124_432
; %bb.429:
	v_cmp_ne_u32_e32 vcc, 25, v132
	s_xor_b64 s[14:15], s[6:7], -1
	s_and_b64 s[16:17], s[14:15], vcc
	s_and_saveexec_b64 s[14:15], s[16:17]
	s_cbranch_execz .LBB124_431
; %bb.430:
	v_ashrrev_i32_e32 v133, 31, v132
	v_lshlrev_b64 v[140:141], 2, v[132:133]
	v_add_co_u32_e32 v140, vcc, v4, v140
	v_addc_co_u32_e32 v141, vcc, v5, v141, vcc
	flat_load_dword v133, v[140:141]
	flat_load_dword v135, v[4:5] offset:100
	s_waitcnt vmcnt(0) lgkmcnt(0)
	flat_store_dword v[4:5], v133 offset:100
	flat_store_dword v[140:141], v135
.LBB124_431:
	s_or_b64 exec, exec, s[14:15]
	v_mov_b32_e32 v133, v132
	v_mov_b32_e32 v135, v132
.LBB124_432:
	s_or_b64 exec, exec, s[2:3]
.LBB124_433:
	s_andn2_saveexec_b64 s[0:1], s[0:1]
	s_cbranch_execz .LBB124_435
; %bb.434:
	v_mov_b32_e32 v140, v74
	v_mov_b32_e32 v141, v75
	v_mov_b32_e32 v142, v72
	v_mov_b32_e32 v143, v73
	ds_write2_b64 v134, v[140:141], v[142:143] offset0:26 offset1:27
	v_mov_b32_e32 v140, v70
	v_mov_b32_e32 v141, v71
	v_mov_b32_e32 v142, v68
	v_mov_b32_e32 v143, v69
	ds_write2_b64 v134, v[140:141], v[142:143] offset0:28 offset1:29
	;; [unrolled: 5-line block ×17, first 2 shown]
	v_mov_b32_e32 v140, v6
	v_mov_b32_e32 v141, v7
	;; [unrolled: 1-line block ×5, first 2 shown]
	ds_write2_b64 v134, v[140:141], v[142:143] offset0:60 offset1:61
	ds_write_b64 v134, v[128:129] offset:496
.LBB124_435:
	s_or_b64 exec, exec, s[0:1]
	v_cmp_lt_i32_e32 vcc, 25, v135
	s_waitcnt lgkmcnt(0)
	s_barrier
	s_and_saveexec_b64 s[0:1], vcc
	s_cbranch_execz .LBB124_437
; %bb.436:
	ds_read2_b64 v[140:143], v134 offset0:26 offset1:27
	ds_read2_b64 v[144:147], v134 offset0:28 offset1:29
	;; [unrolled: 1-line block ×3, first 2 shown]
	v_mul_f64 v[76:77], v[130:131], v[76:77]
	ds_read_b64 v[130:131], v134 offset:496
	s_waitcnt lgkmcnt(0)
	v_fma_f64 v[74:75], -v[76:77], v[140:141], v[74:75]
	v_fma_f64 v[72:73], -v[76:77], v[142:143], v[72:73]
	ds_read2_b64 v[140:143], v134 offset0:32 offset1:33
	v_fma_f64 v[70:71], -v[76:77], v[144:145], v[70:71]
	v_fma_f64 v[68:69], -v[76:77], v[146:147], v[68:69]
	;; [unrolled: 1-line block ×3, first 2 shown]
	ds_read2_b64 v[144:147], v134 offset0:34 offset1:35
	v_fma_f64 v[64:65], -v[76:77], v[150:151], v[64:65]
	ds_read2_b64 v[148:151], v134 offset0:36 offset1:37
	s_waitcnt lgkmcnt(0)
	v_fma_f64 v[62:63], -v[76:77], v[140:141], v[62:63]
	v_fma_f64 v[60:61], -v[76:77], v[142:143], v[60:61]
	;; [unrolled: 1-line block ×3, first 2 shown]
	ds_read2_b64 v[140:143], v134 offset0:38 offset1:39
	v_fma_f64 v[56:57], -v[76:77], v[146:147], v[56:57]
	ds_read2_b64 v[144:147], v134 offset0:40 offset1:41
	v_fma_f64 v[54:55], -v[76:77], v[148:149], v[54:55]
	v_fma_f64 v[52:53], -v[76:77], v[150:151], v[52:53]
	ds_read2_b64 v[148:151], v134 offset0:42 offset1:43
	s_waitcnt lgkmcnt(0)
	v_fma_f64 v[50:51], -v[76:77], v[140:141], v[50:51]
	v_fma_f64 v[48:49], -v[76:77], v[142:143], v[48:49]
	ds_read2_b64 v[140:143], v134 offset0:44 offset1:45
	v_fma_f64 v[46:47], -v[76:77], v[144:145], v[46:47]
	v_fma_f64 v[44:45], -v[76:77], v[146:147], v[44:45]
	;; [unrolled: 1-line block ×3, first 2 shown]
	ds_read2_b64 v[144:147], v134 offset0:46 offset1:47
	v_fma_f64 v[40:41], -v[76:77], v[150:151], v[40:41]
	ds_read2_b64 v[148:151], v134 offset0:48 offset1:49
	s_waitcnt lgkmcnt(0)
	v_fma_f64 v[38:39], -v[76:77], v[140:141], v[38:39]
	v_fma_f64 v[36:37], -v[76:77], v[142:143], v[36:37]
	;; [unrolled: 1-line block ×3, first 2 shown]
	ds_read2_b64 v[140:143], v134 offset0:50 offset1:51
	v_fma_f64 v[32:33], -v[76:77], v[146:147], v[32:33]
	ds_read2_b64 v[144:147], v134 offset0:52 offset1:53
	v_fma_f64 v[30:31], -v[76:77], v[148:149], v[30:31]
	v_fma_f64 v[28:29], -v[76:77], v[150:151], v[28:29]
	ds_read2_b64 v[148:151], v134 offset0:54 offset1:55
	s_waitcnt lgkmcnt(0)
	v_fma_f64 v[26:27], -v[76:77], v[140:141], v[26:27]
	v_fma_f64 v[24:25], -v[76:77], v[142:143], v[24:25]
	ds_read2_b64 v[140:143], v134 offset0:56 offset1:57
	v_fma_f64 v[22:23], -v[76:77], v[144:145], v[22:23]
	v_fma_f64 v[20:21], -v[76:77], v[146:147], v[20:21]
	;; [unrolled: 1-line block ×4, first 2 shown]
	ds_read2_b64 v[144:147], v134 offset0:58 offset1:59
	ds_read2_b64 v[148:151], v134 offset0:60 offset1:61
	s_waitcnt lgkmcnt(0)
	v_fma_f64 v[14:15], -v[76:77], v[140:141], v[14:15]
	v_fma_f64 v[12:13], -v[76:77], v[142:143], v[12:13]
	;; [unrolled: 1-line block ×7, first 2 shown]
.LBB124_437:
	s_or_b64 exec, exec, s[0:1]
	v_lshl_add_u32 v130, v135, 3, v134
	s_barrier
	ds_write_b64 v130, v[74:75]
	s_waitcnt lgkmcnt(0)
	s_barrier
	ds_read_b64 v[130:131], v134 offset:208
	s_cmp_lt_i32 s18, 28
	v_mov_b32_e32 v132, 26
	s_cbranch_scc1 .LBB124_440
; %bb.438:
	v_add_u32_e32 v139, 0xd8, v134
	s_mov_b32 s0, 27
	v_mov_b32_e32 v132, 26
.LBB124_439:                            ; =>This Inner Loop Header: Depth=1
	ds_read_b64 v[140:141], v139
	v_mov_b32_e32 v142, s0
	s_add_i32 s0, s0, 1
	v_add_u32_e32 v139, 8, v139
	s_cmp_lg_u32 s18, s0
	s_waitcnt lgkmcnt(0)
	v_cmp_lt_f64_e64 vcc, |v[130:131]|, |v[140:141]|
	v_cndmask_b32_e32 v131, v131, v141, vcc
	v_cndmask_b32_e32 v130, v130, v140, vcc
	;; [unrolled: 1-line block ×3, first 2 shown]
	s_cbranch_scc1 .LBB124_439
.LBB124_440:
	s_waitcnt lgkmcnt(0)
	v_cmp_eq_f64_e32 vcc, 0, v[130:131]
	s_and_saveexec_b64 s[0:1], vcc
	s_xor_b64 s[0:1], exec, s[0:1]
; %bb.441:
	v_cmp_ne_u32_e32 vcc, 0, v138
	v_cndmask_b32_e32 v138, 27, v138, vcc
; %bb.442:
	s_andn2_saveexec_b64 s[0:1], s[0:1]
; %bb.443:
	v_div_scale_f64 v[140:141], s[2:3], v[130:131], v[130:131], 1.0
	v_rcp_f64_e32 v[142:143], v[140:141]
	v_div_scale_f64 v[144:145], vcc, 1.0, v[130:131], 1.0
	v_fma_f64 v[146:147], -v[140:141], v[142:143], 1.0
	v_fmac_f64_e32 v[142:143], v[142:143], v[146:147]
	v_fma_f64 v[146:147], -v[140:141], v[142:143], 1.0
	v_fmac_f64_e32 v[142:143], v[142:143], v[146:147]
	v_mul_f64 v[146:147], v[144:145], v[142:143]
	v_fma_f64 v[140:141], -v[140:141], v[146:147], v[144:145]
	v_div_fmas_f64 v[140:141], v[140:141], v[142:143], v[146:147]
	v_div_fixup_f64 v[130:131], v[140:141], v[130:131], 1.0
; %bb.444:
	s_or_b64 exec, exec, s[0:1]
	v_cmp_ne_u32_e32 vcc, v135, v132
	s_and_saveexec_b64 s[0:1], vcc
	s_xor_b64 s[0:1], exec, s[0:1]
	s_cbranch_execz .LBB124_450
; %bb.445:
	v_cmp_eq_u32_e32 vcc, 26, v135
	s_and_saveexec_b64 s[2:3], vcc
	s_cbranch_execz .LBB124_449
; %bb.446:
	v_cmp_ne_u32_e32 vcc, 26, v132
	s_xor_b64 s[14:15], s[6:7], -1
	s_and_b64 s[16:17], s[14:15], vcc
	s_and_saveexec_b64 s[14:15], s[16:17]
	s_cbranch_execz .LBB124_448
; %bb.447:
	v_ashrrev_i32_e32 v133, 31, v132
	v_lshlrev_b64 v[140:141], 2, v[132:133]
	v_add_co_u32_e32 v140, vcc, v4, v140
	v_addc_co_u32_e32 v141, vcc, v5, v141, vcc
	flat_load_dword v133, v[140:141]
	flat_load_dword v135, v[4:5] offset:104
	s_waitcnt vmcnt(0) lgkmcnt(0)
	flat_store_dword v[4:5], v133 offset:104
	flat_store_dword v[140:141], v135
.LBB124_448:
	s_or_b64 exec, exec, s[14:15]
	v_mov_b32_e32 v133, v132
	v_mov_b32_e32 v135, v132
.LBB124_449:
	s_or_b64 exec, exec, s[2:3]
.LBB124_450:
	s_andn2_saveexec_b64 s[0:1], s[0:1]
	s_cbranch_execz .LBB124_452
; %bb.451:
	v_mov_b32_e32 v135, 26
	ds_write2_b64 v134, v[72:73], v[70:71] offset0:27 offset1:28
	ds_write2_b64 v134, v[68:69], v[66:67] offset0:29 offset1:30
	;; [unrolled: 1-line block ×18, first 2 shown]
.LBB124_452:
	s_or_b64 exec, exec, s[0:1]
	v_cmp_lt_i32_e32 vcc, 26, v135
	s_waitcnt lgkmcnt(0)
	s_barrier
	s_and_saveexec_b64 s[0:1], vcc
	s_cbranch_execz .LBB124_454
; %bb.453:
	ds_read2_b64 v[140:143], v134 offset0:27 offset1:28
	ds_read2_b64 v[144:147], v134 offset0:29 offset1:30
	;; [unrolled: 1-line block ×3, first 2 shown]
	v_mul_f64 v[74:75], v[130:131], v[74:75]
	s_waitcnt lgkmcnt(0)
	v_fma_f64 v[72:73], -v[74:75], v[140:141], v[72:73]
	v_fma_f64 v[70:71], -v[74:75], v[142:143], v[70:71]
	ds_read2_b64 v[140:143], v134 offset0:33 offset1:34
	v_fma_f64 v[68:69], -v[74:75], v[144:145], v[68:69]
	v_fma_f64 v[66:67], -v[74:75], v[146:147], v[66:67]
	;; [unrolled: 1-line block ×3, first 2 shown]
	ds_read2_b64 v[144:147], v134 offset0:35 offset1:36
	v_fma_f64 v[62:63], -v[74:75], v[150:151], v[62:63]
	ds_read2_b64 v[148:151], v134 offset0:37 offset1:38
	s_waitcnt lgkmcnt(0)
	v_fma_f64 v[60:61], -v[74:75], v[140:141], v[60:61]
	v_fma_f64 v[58:59], -v[74:75], v[142:143], v[58:59]
	;; [unrolled: 1-line block ×3, first 2 shown]
	ds_read2_b64 v[140:143], v134 offset0:39 offset1:40
	v_fma_f64 v[54:55], -v[74:75], v[146:147], v[54:55]
	ds_read2_b64 v[144:147], v134 offset0:41 offset1:42
	v_fma_f64 v[52:53], -v[74:75], v[148:149], v[52:53]
	v_fma_f64 v[50:51], -v[74:75], v[150:151], v[50:51]
	ds_read2_b64 v[148:151], v134 offset0:43 offset1:44
	s_waitcnt lgkmcnt(0)
	v_fma_f64 v[48:49], -v[74:75], v[140:141], v[48:49]
	v_fma_f64 v[46:47], -v[74:75], v[142:143], v[46:47]
	ds_read2_b64 v[140:143], v134 offset0:45 offset1:46
	v_fma_f64 v[44:45], -v[74:75], v[144:145], v[44:45]
	v_fma_f64 v[42:43], -v[74:75], v[146:147], v[42:43]
	;; [unrolled: 1-line block ×3, first 2 shown]
	ds_read2_b64 v[144:147], v134 offset0:47 offset1:48
	v_fma_f64 v[38:39], -v[74:75], v[150:151], v[38:39]
	ds_read2_b64 v[148:151], v134 offset0:49 offset1:50
	s_waitcnt lgkmcnt(0)
	v_fma_f64 v[36:37], -v[74:75], v[140:141], v[36:37]
	v_fma_f64 v[34:35], -v[74:75], v[142:143], v[34:35]
	;; [unrolled: 1-line block ×3, first 2 shown]
	ds_read2_b64 v[140:143], v134 offset0:51 offset1:52
	v_fma_f64 v[30:31], -v[74:75], v[146:147], v[30:31]
	ds_read2_b64 v[144:147], v134 offset0:53 offset1:54
	v_fma_f64 v[28:29], -v[74:75], v[148:149], v[28:29]
	v_fma_f64 v[26:27], -v[74:75], v[150:151], v[26:27]
	ds_read2_b64 v[148:151], v134 offset0:55 offset1:56
	s_waitcnt lgkmcnt(0)
	v_fma_f64 v[24:25], -v[74:75], v[140:141], v[24:25]
	v_fma_f64 v[22:23], -v[74:75], v[142:143], v[22:23]
	ds_read2_b64 v[140:143], v134 offset0:57 offset1:58
	v_fma_f64 v[20:21], -v[74:75], v[144:145], v[20:21]
	v_fma_f64 v[18:19], -v[74:75], v[146:147], v[18:19]
	;; [unrolled: 1-line block ×3, first 2 shown]
	ds_read2_b64 v[144:147], v134 offset0:59 offset1:60
	v_fma_f64 v[14:15], -v[74:75], v[150:151], v[14:15]
	ds_read2_b64 v[148:151], v134 offset0:61 offset1:62
	s_waitcnt lgkmcnt(0)
	v_fma_f64 v[12:13], -v[74:75], v[140:141], v[12:13]
	v_fma_f64 v[10:11], -v[74:75], v[142:143], v[10:11]
	v_fma_f64 v[8:9], -v[74:75], v[144:145], v[8:9]
	v_fma_f64 v[6:7], -v[74:75], v[146:147], v[6:7]
	v_fma_f64 v[0:1], -v[74:75], v[148:149], v[0:1]
	v_fma_f64 v[128:129], -v[74:75], v[150:151], v[128:129]
.LBB124_454:
	s_or_b64 exec, exec, s[0:1]
	v_lshl_add_u32 v130, v135, 3, v134
	s_barrier
	ds_write_b64 v130, v[72:73]
	s_waitcnt lgkmcnt(0)
	s_barrier
	ds_read_b64 v[130:131], v134 offset:216
	s_cmp_lt_i32 s18, 29
	v_mov_b32_e32 v132, 27
	s_cbranch_scc1 .LBB124_457
; %bb.455:
	v_add_u32_e32 v139, 0xe0, v134
	s_mov_b32 s0, 28
	v_mov_b32_e32 v132, 27
.LBB124_456:                            ; =>This Inner Loop Header: Depth=1
	ds_read_b64 v[140:141], v139
	v_mov_b32_e32 v142, s0
	s_add_i32 s0, s0, 1
	v_add_u32_e32 v139, 8, v139
	s_cmp_lg_u32 s18, s0
	s_waitcnt lgkmcnt(0)
	v_cmp_lt_f64_e64 vcc, |v[130:131]|, |v[140:141]|
	v_cndmask_b32_e32 v131, v131, v141, vcc
	v_cndmask_b32_e32 v130, v130, v140, vcc
	;; [unrolled: 1-line block ×3, first 2 shown]
	s_cbranch_scc1 .LBB124_456
.LBB124_457:
	s_waitcnt lgkmcnt(0)
	v_cmp_eq_f64_e32 vcc, 0, v[130:131]
	s_and_saveexec_b64 s[0:1], vcc
	s_xor_b64 s[0:1], exec, s[0:1]
; %bb.458:
	v_cmp_ne_u32_e32 vcc, 0, v138
	v_cndmask_b32_e32 v138, 28, v138, vcc
; %bb.459:
	s_andn2_saveexec_b64 s[0:1], s[0:1]
; %bb.460:
	v_div_scale_f64 v[140:141], s[2:3], v[130:131], v[130:131], 1.0
	v_rcp_f64_e32 v[142:143], v[140:141]
	v_div_scale_f64 v[144:145], vcc, 1.0, v[130:131], 1.0
	v_fma_f64 v[146:147], -v[140:141], v[142:143], 1.0
	v_fmac_f64_e32 v[142:143], v[142:143], v[146:147]
	v_fma_f64 v[146:147], -v[140:141], v[142:143], 1.0
	v_fmac_f64_e32 v[142:143], v[142:143], v[146:147]
	v_mul_f64 v[146:147], v[144:145], v[142:143]
	v_fma_f64 v[140:141], -v[140:141], v[146:147], v[144:145]
	v_div_fmas_f64 v[140:141], v[140:141], v[142:143], v[146:147]
	v_div_fixup_f64 v[130:131], v[140:141], v[130:131], 1.0
; %bb.461:
	s_or_b64 exec, exec, s[0:1]
	v_cmp_ne_u32_e32 vcc, v135, v132
	s_and_saveexec_b64 s[0:1], vcc
	s_xor_b64 s[0:1], exec, s[0:1]
	s_cbranch_execz .LBB124_467
; %bb.462:
	v_cmp_eq_u32_e32 vcc, 27, v135
	s_and_saveexec_b64 s[2:3], vcc
	s_cbranch_execz .LBB124_466
; %bb.463:
	v_cmp_ne_u32_e32 vcc, 27, v132
	s_xor_b64 s[14:15], s[6:7], -1
	s_and_b64 s[16:17], s[14:15], vcc
	s_and_saveexec_b64 s[14:15], s[16:17]
	s_cbranch_execz .LBB124_465
; %bb.464:
	v_ashrrev_i32_e32 v133, 31, v132
	v_lshlrev_b64 v[140:141], 2, v[132:133]
	v_add_co_u32_e32 v140, vcc, v4, v140
	v_addc_co_u32_e32 v141, vcc, v5, v141, vcc
	flat_load_dword v133, v[140:141]
	flat_load_dword v135, v[4:5] offset:108
	s_waitcnt vmcnt(0) lgkmcnt(0)
	flat_store_dword v[4:5], v133 offset:108
	flat_store_dword v[140:141], v135
.LBB124_465:
	s_or_b64 exec, exec, s[14:15]
	v_mov_b32_e32 v133, v132
	v_mov_b32_e32 v135, v132
.LBB124_466:
	s_or_b64 exec, exec, s[2:3]
.LBB124_467:
	s_andn2_saveexec_b64 s[0:1], s[0:1]
	s_cbranch_execz .LBB124_469
; %bb.468:
	v_mov_b32_e32 v140, v70
	v_mov_b32_e32 v141, v71
	v_mov_b32_e32 v142, v68
	v_mov_b32_e32 v143, v69
	ds_write2_b64 v134, v[140:141], v[142:143] offset0:28 offset1:29
	v_mov_b32_e32 v140, v66
	v_mov_b32_e32 v141, v67
	v_mov_b32_e32 v142, v64
	v_mov_b32_e32 v143, v65
	ds_write2_b64 v134, v[140:141], v[142:143] offset0:30 offset1:31
	;; [unrolled: 5-line block ×16, first 2 shown]
	v_mov_b32_e32 v140, v6
	v_mov_b32_e32 v141, v7
	;; [unrolled: 1-line block ×5, first 2 shown]
	ds_write2_b64 v134, v[140:141], v[142:143] offset0:60 offset1:61
	ds_write_b64 v134, v[128:129] offset:496
.LBB124_469:
	s_or_b64 exec, exec, s[0:1]
	v_cmp_lt_i32_e32 vcc, 27, v135
	s_waitcnt lgkmcnt(0)
	s_barrier
	s_and_saveexec_b64 s[0:1], vcc
	s_cbranch_execz .LBB124_471
; %bb.470:
	ds_read2_b64 v[140:143], v134 offset0:28 offset1:29
	ds_read2_b64 v[144:147], v134 offset0:30 offset1:31
	v_mul_f64 v[72:73], v[130:131], v[72:73]
	ds_read2_b64 v[148:151], v134 offset0:32 offset1:33
	ds_read_b64 v[130:131], v134 offset:496
	s_waitcnt lgkmcnt(0)
	v_fma_f64 v[70:71], -v[72:73], v[140:141], v[70:71]
	v_fma_f64 v[68:69], -v[72:73], v[142:143], v[68:69]
	ds_read2_b64 v[140:143], v134 offset0:34 offset1:35
	v_fma_f64 v[66:67], -v[72:73], v[144:145], v[66:67]
	v_fma_f64 v[64:65], -v[72:73], v[146:147], v[64:65]
	ds_read2_b64 v[144:147], v134 offset0:36 offset1:37
	;; [unrolled: 3-line block ×3, first 2 shown]
	s_waitcnt lgkmcnt(0)
	v_fma_f64 v[58:59], -v[72:73], v[140:141], v[58:59]
	v_fma_f64 v[56:57], -v[72:73], v[142:143], v[56:57]
	;; [unrolled: 1-line block ×3, first 2 shown]
	ds_read2_b64 v[140:143], v134 offset0:40 offset1:41
	v_fma_f64 v[52:53], -v[72:73], v[146:147], v[52:53]
	ds_read2_b64 v[144:147], v134 offset0:42 offset1:43
	v_fma_f64 v[50:51], -v[72:73], v[148:149], v[50:51]
	v_fma_f64 v[48:49], -v[72:73], v[150:151], v[48:49]
	s_waitcnt lgkmcnt(0)
	v_fma_f64 v[46:47], -v[72:73], v[140:141], v[46:47]
	ds_read2_b64 v[148:151], v134 offset0:44 offset1:45
	v_fma_f64 v[44:45], -v[72:73], v[142:143], v[44:45]
	ds_read2_b64 v[140:143], v134 offset0:46 offset1:47
	v_fma_f64 v[42:43], -v[72:73], v[144:145], v[42:43]
	v_fma_f64 v[40:41], -v[72:73], v[146:147], v[40:41]
	ds_read2_b64 v[144:147], v134 offset0:48 offset1:49
	s_waitcnt lgkmcnt(0)
	v_fma_f64 v[38:39], -v[72:73], v[148:149], v[38:39]
	v_fma_f64 v[36:37], -v[72:73], v[150:151], v[36:37]
	ds_read2_b64 v[148:151], v134 offset0:50 offset1:51
	v_fma_f64 v[34:35], -v[72:73], v[140:141], v[34:35]
	v_fma_f64 v[32:33], -v[72:73], v[142:143], v[32:33]
	;; [unrolled: 1-line block ×3, first 2 shown]
	ds_read2_b64 v[140:143], v134 offset0:52 offset1:53
	v_fma_f64 v[28:29], -v[72:73], v[146:147], v[28:29]
	ds_read2_b64 v[144:147], v134 offset0:54 offset1:55
	s_waitcnt lgkmcnt(0)
	v_fma_f64 v[26:27], -v[72:73], v[148:149], v[26:27]
	v_fma_f64 v[24:25], -v[72:73], v[150:151], v[24:25]
	;; [unrolled: 1-line block ×3, first 2 shown]
	ds_read2_b64 v[148:151], v134 offset0:56 offset1:57
	v_fma_f64 v[20:21], -v[72:73], v[142:143], v[20:21]
	ds_read2_b64 v[140:143], v134 offset0:58 offset1:59
	v_fma_f64 v[18:19], -v[72:73], v[144:145], v[18:19]
	v_fma_f64 v[16:17], -v[72:73], v[146:147], v[16:17]
	ds_read2_b64 v[144:147], v134 offset0:60 offset1:61
	s_waitcnt lgkmcnt(0)
	v_fma_f64 v[14:15], -v[72:73], v[148:149], v[14:15]
	v_fma_f64 v[12:13], -v[72:73], v[150:151], v[12:13]
	;; [unrolled: 1-line block ×7, first 2 shown]
.LBB124_471:
	s_or_b64 exec, exec, s[0:1]
	v_lshl_add_u32 v130, v135, 3, v134
	s_barrier
	ds_write_b64 v130, v[70:71]
	s_waitcnt lgkmcnt(0)
	s_barrier
	ds_read_b64 v[130:131], v134 offset:224
	s_cmp_lt_i32 s18, 30
	v_mov_b32_e32 v132, 28
	s_cbranch_scc1 .LBB124_474
; %bb.472:
	v_add_u32_e32 v139, 0xe8, v134
	s_mov_b32 s0, 29
	v_mov_b32_e32 v132, 28
.LBB124_473:                            ; =>This Inner Loop Header: Depth=1
	ds_read_b64 v[140:141], v139
	v_mov_b32_e32 v142, s0
	s_add_i32 s0, s0, 1
	v_add_u32_e32 v139, 8, v139
	s_cmp_lg_u32 s18, s0
	s_waitcnt lgkmcnt(0)
	v_cmp_lt_f64_e64 vcc, |v[130:131]|, |v[140:141]|
	v_cndmask_b32_e32 v131, v131, v141, vcc
	v_cndmask_b32_e32 v130, v130, v140, vcc
	;; [unrolled: 1-line block ×3, first 2 shown]
	s_cbranch_scc1 .LBB124_473
.LBB124_474:
	s_waitcnt lgkmcnt(0)
	v_cmp_eq_f64_e32 vcc, 0, v[130:131]
	s_and_saveexec_b64 s[0:1], vcc
	s_xor_b64 s[0:1], exec, s[0:1]
; %bb.475:
	v_cmp_ne_u32_e32 vcc, 0, v138
	v_cndmask_b32_e32 v138, 29, v138, vcc
; %bb.476:
	s_andn2_saveexec_b64 s[0:1], s[0:1]
; %bb.477:
	v_div_scale_f64 v[140:141], s[2:3], v[130:131], v[130:131], 1.0
	v_rcp_f64_e32 v[142:143], v[140:141]
	v_div_scale_f64 v[144:145], vcc, 1.0, v[130:131], 1.0
	v_fma_f64 v[146:147], -v[140:141], v[142:143], 1.0
	v_fmac_f64_e32 v[142:143], v[142:143], v[146:147]
	v_fma_f64 v[146:147], -v[140:141], v[142:143], 1.0
	v_fmac_f64_e32 v[142:143], v[142:143], v[146:147]
	v_mul_f64 v[146:147], v[144:145], v[142:143]
	v_fma_f64 v[140:141], -v[140:141], v[146:147], v[144:145]
	v_div_fmas_f64 v[140:141], v[140:141], v[142:143], v[146:147]
	v_div_fixup_f64 v[130:131], v[140:141], v[130:131], 1.0
; %bb.478:
	s_or_b64 exec, exec, s[0:1]
	v_cmp_ne_u32_e32 vcc, v135, v132
	s_and_saveexec_b64 s[0:1], vcc
	s_xor_b64 s[0:1], exec, s[0:1]
	s_cbranch_execz .LBB124_484
; %bb.479:
	v_cmp_eq_u32_e32 vcc, 28, v135
	s_and_saveexec_b64 s[2:3], vcc
	s_cbranch_execz .LBB124_483
; %bb.480:
	v_cmp_ne_u32_e32 vcc, 28, v132
	s_xor_b64 s[14:15], s[6:7], -1
	s_and_b64 s[16:17], s[14:15], vcc
	s_and_saveexec_b64 s[14:15], s[16:17]
	s_cbranch_execz .LBB124_482
; %bb.481:
	v_ashrrev_i32_e32 v133, 31, v132
	v_lshlrev_b64 v[140:141], 2, v[132:133]
	v_add_co_u32_e32 v140, vcc, v4, v140
	v_addc_co_u32_e32 v141, vcc, v5, v141, vcc
	flat_load_dword v133, v[140:141]
	flat_load_dword v135, v[4:5] offset:112
	s_waitcnt vmcnt(0) lgkmcnt(0)
	flat_store_dword v[4:5], v133 offset:112
	flat_store_dword v[140:141], v135
.LBB124_482:
	s_or_b64 exec, exec, s[14:15]
	v_mov_b32_e32 v133, v132
	v_mov_b32_e32 v135, v132
.LBB124_483:
	s_or_b64 exec, exec, s[2:3]
.LBB124_484:
	s_andn2_saveexec_b64 s[0:1], s[0:1]
	s_cbranch_execz .LBB124_486
; %bb.485:
	v_mov_b32_e32 v135, 28
	ds_write2_b64 v134, v[68:69], v[66:67] offset0:29 offset1:30
	ds_write2_b64 v134, v[64:65], v[62:63] offset0:31 offset1:32
	;; [unrolled: 1-line block ×17, first 2 shown]
.LBB124_486:
	s_or_b64 exec, exec, s[0:1]
	v_cmp_lt_i32_e32 vcc, 28, v135
	s_waitcnt lgkmcnt(0)
	s_barrier
	s_and_saveexec_b64 s[0:1], vcc
	s_cbranch_execz .LBB124_488
; %bb.487:
	ds_read2_b64 v[140:143], v134 offset0:29 offset1:30
	ds_read2_b64 v[144:147], v134 offset0:31 offset1:32
	v_mul_f64 v[70:71], v[130:131], v[70:71]
	ds_read2_b64 v[148:151], v134 offset0:33 offset1:34
	s_waitcnt lgkmcnt(0)
	v_fma_f64 v[68:69], -v[70:71], v[140:141], v[68:69]
	v_fma_f64 v[66:67], -v[70:71], v[142:143], v[66:67]
	ds_read2_b64 v[140:143], v134 offset0:35 offset1:36
	v_fma_f64 v[64:65], -v[70:71], v[144:145], v[64:65]
	v_fma_f64 v[62:63], -v[70:71], v[146:147], v[62:63]
	ds_read2_b64 v[144:147], v134 offset0:37 offset1:38
	;; [unrolled: 3-line block ×3, first 2 shown]
	s_waitcnt lgkmcnt(0)
	v_fma_f64 v[56:57], -v[70:71], v[140:141], v[56:57]
	v_fma_f64 v[54:55], -v[70:71], v[142:143], v[54:55]
	;; [unrolled: 1-line block ×3, first 2 shown]
	ds_read2_b64 v[140:143], v134 offset0:41 offset1:42
	v_fma_f64 v[50:51], -v[70:71], v[146:147], v[50:51]
	ds_read2_b64 v[144:147], v134 offset0:43 offset1:44
	v_fma_f64 v[48:49], -v[70:71], v[148:149], v[48:49]
	v_fma_f64 v[46:47], -v[70:71], v[150:151], v[46:47]
	s_waitcnt lgkmcnt(0)
	v_fma_f64 v[44:45], -v[70:71], v[140:141], v[44:45]
	ds_read2_b64 v[148:151], v134 offset0:45 offset1:46
	v_fma_f64 v[42:43], -v[70:71], v[142:143], v[42:43]
	ds_read2_b64 v[140:143], v134 offset0:47 offset1:48
	v_fma_f64 v[40:41], -v[70:71], v[144:145], v[40:41]
	v_fma_f64 v[38:39], -v[70:71], v[146:147], v[38:39]
	ds_read2_b64 v[144:147], v134 offset0:49 offset1:50
	s_waitcnt lgkmcnt(0)
	v_fma_f64 v[36:37], -v[70:71], v[148:149], v[36:37]
	v_fma_f64 v[34:35], -v[70:71], v[150:151], v[34:35]
	ds_read2_b64 v[148:151], v134 offset0:51 offset1:52
	v_fma_f64 v[32:33], -v[70:71], v[140:141], v[32:33]
	v_fma_f64 v[30:31], -v[70:71], v[142:143], v[30:31]
	;; [unrolled: 1-line block ×3, first 2 shown]
	ds_read2_b64 v[140:143], v134 offset0:53 offset1:54
	v_fma_f64 v[26:27], -v[70:71], v[146:147], v[26:27]
	ds_read2_b64 v[144:147], v134 offset0:55 offset1:56
	s_waitcnt lgkmcnt(0)
	v_fma_f64 v[24:25], -v[70:71], v[148:149], v[24:25]
	v_fma_f64 v[22:23], -v[70:71], v[150:151], v[22:23]
	;; [unrolled: 1-line block ×4, first 2 shown]
	ds_read2_b64 v[140:143], v134 offset0:57 offset1:58
	ds_read2_b64 v[148:151], v134 offset0:59 offset1:60
	v_fma_f64 v[16:17], -v[70:71], v[144:145], v[16:17]
	v_fma_f64 v[14:15], -v[70:71], v[146:147], v[14:15]
	ds_read2_b64 v[144:147], v134 offset0:61 offset1:62
	s_waitcnt lgkmcnt(0)
	v_fma_f64 v[12:13], -v[70:71], v[140:141], v[12:13]
	v_fma_f64 v[10:11], -v[70:71], v[142:143], v[10:11]
	;; [unrolled: 1-line block ×6, first 2 shown]
.LBB124_488:
	s_or_b64 exec, exec, s[0:1]
	v_lshl_add_u32 v130, v135, 3, v134
	s_barrier
	ds_write_b64 v130, v[68:69]
	s_waitcnt lgkmcnt(0)
	s_barrier
	ds_read_b64 v[130:131], v134 offset:232
	s_cmp_lt_i32 s18, 31
	v_mov_b32_e32 v132, 29
	s_cbranch_scc1 .LBB124_491
; %bb.489:
	v_add_u32_e32 v139, 0xf0, v134
	s_mov_b32 s0, 30
	v_mov_b32_e32 v132, 29
.LBB124_490:                            ; =>This Inner Loop Header: Depth=1
	ds_read_b64 v[140:141], v139
	v_mov_b32_e32 v142, s0
	s_add_i32 s0, s0, 1
	v_add_u32_e32 v139, 8, v139
	s_cmp_lg_u32 s18, s0
	s_waitcnt lgkmcnt(0)
	v_cmp_lt_f64_e64 vcc, |v[130:131]|, |v[140:141]|
	v_cndmask_b32_e32 v131, v131, v141, vcc
	v_cndmask_b32_e32 v130, v130, v140, vcc
	;; [unrolled: 1-line block ×3, first 2 shown]
	s_cbranch_scc1 .LBB124_490
.LBB124_491:
	s_waitcnt lgkmcnt(0)
	v_cmp_eq_f64_e32 vcc, 0, v[130:131]
	s_and_saveexec_b64 s[0:1], vcc
	s_xor_b64 s[0:1], exec, s[0:1]
; %bb.492:
	v_cmp_ne_u32_e32 vcc, 0, v138
	v_cndmask_b32_e32 v138, 30, v138, vcc
; %bb.493:
	s_andn2_saveexec_b64 s[0:1], s[0:1]
; %bb.494:
	v_div_scale_f64 v[140:141], s[2:3], v[130:131], v[130:131], 1.0
	v_rcp_f64_e32 v[142:143], v[140:141]
	v_div_scale_f64 v[144:145], vcc, 1.0, v[130:131], 1.0
	v_fma_f64 v[146:147], -v[140:141], v[142:143], 1.0
	v_fmac_f64_e32 v[142:143], v[142:143], v[146:147]
	v_fma_f64 v[146:147], -v[140:141], v[142:143], 1.0
	v_fmac_f64_e32 v[142:143], v[142:143], v[146:147]
	v_mul_f64 v[146:147], v[144:145], v[142:143]
	v_fma_f64 v[140:141], -v[140:141], v[146:147], v[144:145]
	v_div_fmas_f64 v[140:141], v[140:141], v[142:143], v[146:147]
	v_div_fixup_f64 v[130:131], v[140:141], v[130:131], 1.0
; %bb.495:
	s_or_b64 exec, exec, s[0:1]
	v_cmp_ne_u32_e32 vcc, v135, v132
	s_and_saveexec_b64 s[0:1], vcc
	s_xor_b64 s[0:1], exec, s[0:1]
	s_cbranch_execz .LBB124_501
; %bb.496:
	v_cmp_eq_u32_e32 vcc, 29, v135
	s_and_saveexec_b64 s[2:3], vcc
	s_cbranch_execz .LBB124_500
; %bb.497:
	v_cmp_ne_u32_e32 vcc, 29, v132
	s_xor_b64 s[14:15], s[6:7], -1
	s_and_b64 s[16:17], s[14:15], vcc
	s_and_saveexec_b64 s[14:15], s[16:17]
	s_cbranch_execz .LBB124_499
; %bb.498:
	v_ashrrev_i32_e32 v133, 31, v132
	v_lshlrev_b64 v[140:141], 2, v[132:133]
	v_add_co_u32_e32 v140, vcc, v4, v140
	v_addc_co_u32_e32 v141, vcc, v5, v141, vcc
	flat_load_dword v133, v[140:141]
	flat_load_dword v135, v[4:5] offset:116
	s_waitcnt vmcnt(0) lgkmcnt(0)
	flat_store_dword v[4:5], v133 offset:116
	flat_store_dword v[140:141], v135
.LBB124_499:
	s_or_b64 exec, exec, s[14:15]
	v_mov_b32_e32 v133, v132
	v_mov_b32_e32 v135, v132
.LBB124_500:
	s_or_b64 exec, exec, s[2:3]
.LBB124_501:
	s_andn2_saveexec_b64 s[0:1], s[0:1]
	s_cbranch_execz .LBB124_503
; %bb.502:
	v_mov_b32_e32 v140, v66
	v_mov_b32_e32 v141, v67
	v_mov_b32_e32 v142, v64
	v_mov_b32_e32 v143, v65
	ds_write2_b64 v134, v[140:141], v[142:143] offset0:30 offset1:31
	v_mov_b32_e32 v140, v62
	v_mov_b32_e32 v141, v63
	v_mov_b32_e32 v142, v60
	v_mov_b32_e32 v143, v61
	ds_write2_b64 v134, v[140:141], v[142:143] offset0:32 offset1:33
	;; [unrolled: 5-line block ×15, first 2 shown]
	v_mov_b32_e32 v140, v6
	v_mov_b32_e32 v141, v7
	v_mov_b32_e32 v142, v0
	v_mov_b32_e32 v143, v1
	v_mov_b32_e32 v135, 29
	ds_write2_b64 v134, v[140:141], v[142:143] offset0:60 offset1:61
	ds_write_b64 v134, v[128:129] offset:496
.LBB124_503:
	s_or_b64 exec, exec, s[0:1]
	v_cmp_lt_i32_e32 vcc, 29, v135
	s_waitcnt lgkmcnt(0)
	s_barrier
	s_and_saveexec_b64 s[0:1], vcc
	s_cbranch_execz .LBB124_505
; %bb.504:
	ds_read2_b64 v[140:143], v134 offset0:30 offset1:31
	ds_read2_b64 v[144:147], v134 offset0:32 offset1:33
	v_mul_f64 v[68:69], v[130:131], v[68:69]
	ds_read2_b64 v[148:151], v134 offset0:34 offset1:35
	ds_read_b64 v[130:131], v134 offset:496
	s_waitcnt lgkmcnt(0)
	v_fma_f64 v[66:67], -v[68:69], v[140:141], v[66:67]
	v_fma_f64 v[64:65], -v[68:69], v[142:143], v[64:65]
	ds_read2_b64 v[140:143], v134 offset0:36 offset1:37
	v_fma_f64 v[62:63], -v[68:69], v[144:145], v[62:63]
	v_fma_f64 v[60:61], -v[68:69], v[146:147], v[60:61]
	;; [unrolled: 1-line block ×3, first 2 shown]
	ds_read2_b64 v[144:147], v134 offset0:38 offset1:39
	v_fma_f64 v[56:57], -v[68:69], v[150:151], v[56:57]
	ds_read2_b64 v[148:151], v134 offset0:40 offset1:41
	s_waitcnt lgkmcnt(0)
	v_fma_f64 v[54:55], -v[68:69], v[140:141], v[54:55]
	v_fma_f64 v[52:53], -v[68:69], v[142:143], v[52:53]
	ds_read2_b64 v[140:143], v134 offset0:42 offset1:43
	v_fma_f64 v[50:51], -v[68:69], v[144:145], v[50:51]
	v_fma_f64 v[48:49], -v[68:69], v[146:147], v[48:49]
	ds_read2_b64 v[144:147], v134 offset0:44 offset1:45
	v_fma_f64 v[46:47], -v[68:69], v[148:149], v[46:47]
	v_fma_f64 v[44:45], -v[68:69], v[150:151], v[44:45]
	s_waitcnt lgkmcnt(0)
	v_fma_f64 v[42:43], -v[68:69], v[140:141], v[42:43]
	ds_read2_b64 v[148:151], v134 offset0:46 offset1:47
	v_fma_f64 v[40:41], -v[68:69], v[142:143], v[40:41]
	ds_read2_b64 v[140:143], v134 offset0:48 offset1:49
	v_fma_f64 v[38:39], -v[68:69], v[144:145], v[38:39]
	v_fma_f64 v[36:37], -v[68:69], v[146:147], v[36:37]
	s_waitcnt lgkmcnt(0)
	v_fma_f64 v[34:35], -v[68:69], v[148:149], v[34:35]
	ds_read2_b64 v[144:147], v134 offset0:50 offset1:51
	v_fma_f64 v[32:33], -v[68:69], v[150:151], v[32:33]
	ds_read2_b64 v[148:151], v134 offset0:52 offset1:53
	v_fma_f64 v[30:31], -v[68:69], v[140:141], v[30:31]
	v_fma_f64 v[28:29], -v[68:69], v[142:143], v[28:29]
	ds_read2_b64 v[140:143], v134 offset0:54 offset1:55
	s_waitcnt lgkmcnt(0)
	v_fma_f64 v[26:27], -v[68:69], v[144:145], v[26:27]
	v_fma_f64 v[24:25], -v[68:69], v[146:147], v[24:25]
	ds_read2_b64 v[144:147], v134 offset0:56 offset1:57
	v_fma_f64 v[22:23], -v[68:69], v[148:149], v[22:23]
	v_fma_f64 v[20:21], -v[68:69], v[150:151], v[20:21]
	;; [unrolled: 1-line block ×4, first 2 shown]
	ds_read2_b64 v[140:143], v134 offset0:58 offset1:59
	ds_read2_b64 v[148:151], v134 offset0:60 offset1:61
	s_waitcnt lgkmcnt(0)
	v_fma_f64 v[14:15], -v[68:69], v[144:145], v[14:15]
	v_fma_f64 v[12:13], -v[68:69], v[146:147], v[12:13]
	v_fma_f64 v[128:129], -v[68:69], v[130:131], v[128:129]
	v_fma_f64 v[10:11], -v[68:69], v[140:141], v[10:11]
	v_fma_f64 v[8:9], -v[68:69], v[142:143], v[8:9]
	v_fma_f64 v[6:7], -v[68:69], v[148:149], v[6:7]
	v_fma_f64 v[0:1], -v[68:69], v[150:151], v[0:1]
.LBB124_505:
	s_or_b64 exec, exec, s[0:1]
	v_lshl_add_u32 v130, v135, 3, v134
	s_barrier
	ds_write_b64 v130, v[66:67]
	s_waitcnt lgkmcnt(0)
	s_barrier
	ds_read_b64 v[130:131], v134 offset:240
	s_cmp_lt_i32 s18, 32
	v_mov_b32_e32 v132, 30
	s_cbranch_scc1 .LBB124_508
; %bb.506:
	v_add_u32_e32 v139, 0xf8, v134
	s_mov_b32 s0, 31
	v_mov_b32_e32 v132, 30
.LBB124_507:                            ; =>This Inner Loop Header: Depth=1
	ds_read_b64 v[140:141], v139
	v_mov_b32_e32 v142, s0
	s_add_i32 s0, s0, 1
	v_add_u32_e32 v139, 8, v139
	s_cmp_lg_u32 s18, s0
	s_waitcnt lgkmcnt(0)
	v_cmp_lt_f64_e64 vcc, |v[130:131]|, |v[140:141]|
	v_cndmask_b32_e32 v131, v131, v141, vcc
	v_cndmask_b32_e32 v130, v130, v140, vcc
	;; [unrolled: 1-line block ×3, first 2 shown]
	s_cbranch_scc1 .LBB124_507
.LBB124_508:
	s_waitcnt lgkmcnt(0)
	v_cmp_eq_f64_e32 vcc, 0, v[130:131]
	s_and_saveexec_b64 s[0:1], vcc
	s_xor_b64 s[0:1], exec, s[0:1]
; %bb.509:
	v_cmp_ne_u32_e32 vcc, 0, v138
	v_cndmask_b32_e32 v138, 31, v138, vcc
; %bb.510:
	s_andn2_saveexec_b64 s[0:1], s[0:1]
; %bb.511:
	v_div_scale_f64 v[140:141], s[2:3], v[130:131], v[130:131], 1.0
	v_rcp_f64_e32 v[142:143], v[140:141]
	v_div_scale_f64 v[144:145], vcc, 1.0, v[130:131], 1.0
	v_fma_f64 v[146:147], -v[140:141], v[142:143], 1.0
	v_fmac_f64_e32 v[142:143], v[142:143], v[146:147]
	v_fma_f64 v[146:147], -v[140:141], v[142:143], 1.0
	v_fmac_f64_e32 v[142:143], v[142:143], v[146:147]
	v_mul_f64 v[146:147], v[144:145], v[142:143]
	v_fma_f64 v[140:141], -v[140:141], v[146:147], v[144:145]
	v_div_fmas_f64 v[140:141], v[140:141], v[142:143], v[146:147]
	v_div_fixup_f64 v[130:131], v[140:141], v[130:131], 1.0
; %bb.512:
	s_or_b64 exec, exec, s[0:1]
	v_cmp_ne_u32_e32 vcc, v135, v132
	s_and_saveexec_b64 s[0:1], vcc
	s_xor_b64 s[0:1], exec, s[0:1]
	s_cbranch_execz .LBB124_518
; %bb.513:
	v_cmp_eq_u32_e32 vcc, 30, v135
	s_and_saveexec_b64 s[2:3], vcc
	s_cbranch_execz .LBB124_517
; %bb.514:
	v_cmp_ne_u32_e32 vcc, 30, v132
	s_xor_b64 s[14:15], s[6:7], -1
	s_and_b64 s[16:17], s[14:15], vcc
	s_and_saveexec_b64 s[14:15], s[16:17]
	s_cbranch_execz .LBB124_516
; %bb.515:
	v_ashrrev_i32_e32 v133, 31, v132
	v_lshlrev_b64 v[140:141], 2, v[132:133]
	v_add_co_u32_e32 v140, vcc, v4, v140
	v_addc_co_u32_e32 v141, vcc, v5, v141, vcc
	flat_load_dword v133, v[140:141]
	flat_load_dword v135, v[4:5] offset:120
	s_waitcnt vmcnt(0) lgkmcnt(0)
	flat_store_dword v[4:5], v133 offset:120
	flat_store_dword v[140:141], v135
.LBB124_516:
	s_or_b64 exec, exec, s[14:15]
	v_mov_b32_e32 v133, v132
	v_mov_b32_e32 v135, v132
.LBB124_517:
	s_or_b64 exec, exec, s[2:3]
.LBB124_518:
	s_andn2_saveexec_b64 s[0:1], s[0:1]
	s_cbranch_execz .LBB124_520
; %bb.519:
	v_mov_b32_e32 v135, 30
	ds_write2_b64 v134, v[64:65], v[62:63] offset0:31 offset1:32
	ds_write2_b64 v134, v[60:61], v[58:59] offset0:33 offset1:34
	;; [unrolled: 1-line block ×16, first 2 shown]
.LBB124_520:
	s_or_b64 exec, exec, s[0:1]
	v_cmp_lt_i32_e32 vcc, 30, v135
	s_waitcnt lgkmcnt(0)
	s_barrier
	s_and_saveexec_b64 s[0:1], vcc
	s_cbranch_execz .LBB124_522
; %bb.521:
	ds_read2_b64 v[140:143], v134 offset0:31 offset1:32
	ds_read2_b64 v[144:147], v134 offset0:33 offset1:34
	v_mul_f64 v[66:67], v[130:131], v[66:67]
	ds_read2_b64 v[148:151], v134 offset0:35 offset1:36
	s_waitcnt lgkmcnt(0)
	v_fma_f64 v[64:65], -v[66:67], v[140:141], v[64:65]
	v_fma_f64 v[62:63], -v[66:67], v[142:143], v[62:63]
	ds_read2_b64 v[140:143], v134 offset0:37 offset1:38
	v_fma_f64 v[60:61], -v[66:67], v[144:145], v[60:61]
	v_fma_f64 v[58:59], -v[66:67], v[146:147], v[58:59]
	v_fma_f64 v[56:57], -v[66:67], v[148:149], v[56:57]
	ds_read2_b64 v[144:147], v134 offset0:39 offset1:40
	v_fma_f64 v[54:55], -v[66:67], v[150:151], v[54:55]
	ds_read2_b64 v[148:151], v134 offset0:41 offset1:42
	s_waitcnt lgkmcnt(0)
	v_fma_f64 v[52:53], -v[66:67], v[140:141], v[52:53]
	v_fma_f64 v[50:51], -v[66:67], v[142:143], v[50:51]
	ds_read2_b64 v[140:143], v134 offset0:43 offset1:44
	v_fma_f64 v[48:49], -v[66:67], v[144:145], v[48:49]
	v_fma_f64 v[46:47], -v[66:67], v[146:147], v[46:47]
	ds_read2_b64 v[144:147], v134 offset0:45 offset1:46
	v_fma_f64 v[44:45], -v[66:67], v[148:149], v[44:45]
	v_fma_f64 v[42:43], -v[66:67], v[150:151], v[42:43]
	s_waitcnt lgkmcnt(0)
	v_fma_f64 v[40:41], -v[66:67], v[140:141], v[40:41]
	ds_read2_b64 v[148:151], v134 offset0:47 offset1:48
	v_fma_f64 v[38:39], -v[66:67], v[142:143], v[38:39]
	ds_read2_b64 v[140:143], v134 offset0:49 offset1:50
	v_fma_f64 v[36:37], -v[66:67], v[144:145], v[36:37]
	v_fma_f64 v[34:35], -v[66:67], v[146:147], v[34:35]
	s_waitcnt lgkmcnt(0)
	v_fma_f64 v[32:33], -v[66:67], v[148:149], v[32:33]
	ds_read2_b64 v[144:147], v134 offset0:51 offset1:52
	v_fma_f64 v[30:31], -v[66:67], v[150:151], v[30:31]
	ds_read2_b64 v[148:151], v134 offset0:53 offset1:54
	v_fma_f64 v[28:29], -v[66:67], v[140:141], v[28:29]
	v_fma_f64 v[26:27], -v[66:67], v[142:143], v[26:27]
	ds_read2_b64 v[140:143], v134 offset0:55 offset1:56
	s_waitcnt lgkmcnt(0)
	v_fma_f64 v[24:25], -v[66:67], v[144:145], v[24:25]
	v_fma_f64 v[22:23], -v[66:67], v[146:147], v[22:23]
	ds_read2_b64 v[144:147], v134 offset0:57 offset1:58
	v_fma_f64 v[20:21], -v[66:67], v[148:149], v[20:21]
	v_fma_f64 v[18:19], -v[66:67], v[150:151], v[18:19]
	;; [unrolled: 1-line block ×3, first 2 shown]
	ds_read2_b64 v[148:151], v134 offset0:59 offset1:60
	v_fma_f64 v[14:15], -v[66:67], v[142:143], v[14:15]
	ds_read2_b64 v[140:143], v134 offset0:61 offset1:62
	s_waitcnt lgkmcnt(0)
	v_fma_f64 v[12:13], -v[66:67], v[144:145], v[12:13]
	v_fma_f64 v[10:11], -v[66:67], v[146:147], v[10:11]
	;; [unrolled: 1-line block ×6, first 2 shown]
.LBB124_522:
	s_or_b64 exec, exec, s[0:1]
	v_lshl_add_u32 v130, v135, 3, v134
	s_barrier
	ds_write_b64 v130, v[64:65]
	s_waitcnt lgkmcnt(0)
	s_barrier
	ds_read_b64 v[130:131], v134 offset:248
	s_cmp_lt_i32 s18, 33
	v_mov_b32_e32 v132, 31
	s_cbranch_scc1 .LBB124_525
; %bb.523:
	v_add_u32_e32 v139, 0x100, v134
	s_mov_b32 s0, 32
	v_mov_b32_e32 v132, 31
.LBB124_524:                            ; =>This Inner Loop Header: Depth=1
	ds_read_b64 v[140:141], v139
	v_mov_b32_e32 v142, s0
	s_add_i32 s0, s0, 1
	v_add_u32_e32 v139, 8, v139
	s_cmp_lg_u32 s18, s0
	s_waitcnt lgkmcnt(0)
	v_cmp_lt_f64_e64 vcc, |v[130:131]|, |v[140:141]|
	v_cndmask_b32_e32 v131, v131, v141, vcc
	v_cndmask_b32_e32 v130, v130, v140, vcc
	;; [unrolled: 1-line block ×3, first 2 shown]
	s_cbranch_scc1 .LBB124_524
.LBB124_525:
	s_waitcnt lgkmcnt(0)
	v_cmp_eq_f64_e32 vcc, 0, v[130:131]
	s_and_saveexec_b64 s[0:1], vcc
	s_xor_b64 s[0:1], exec, s[0:1]
; %bb.526:
	v_cmp_ne_u32_e32 vcc, 0, v138
	v_cndmask_b32_e32 v138, 32, v138, vcc
; %bb.527:
	s_andn2_saveexec_b64 s[0:1], s[0:1]
; %bb.528:
	v_div_scale_f64 v[140:141], s[2:3], v[130:131], v[130:131], 1.0
	v_rcp_f64_e32 v[142:143], v[140:141]
	v_div_scale_f64 v[144:145], vcc, 1.0, v[130:131], 1.0
	v_fma_f64 v[146:147], -v[140:141], v[142:143], 1.0
	v_fmac_f64_e32 v[142:143], v[142:143], v[146:147]
	v_fma_f64 v[146:147], -v[140:141], v[142:143], 1.0
	v_fmac_f64_e32 v[142:143], v[142:143], v[146:147]
	v_mul_f64 v[146:147], v[144:145], v[142:143]
	v_fma_f64 v[140:141], -v[140:141], v[146:147], v[144:145]
	v_div_fmas_f64 v[140:141], v[140:141], v[142:143], v[146:147]
	v_div_fixup_f64 v[130:131], v[140:141], v[130:131], 1.0
; %bb.529:
	s_or_b64 exec, exec, s[0:1]
	v_cmp_ne_u32_e32 vcc, v135, v132
	s_and_saveexec_b64 s[0:1], vcc
	s_xor_b64 s[0:1], exec, s[0:1]
	s_cbranch_execz .LBB124_535
; %bb.530:
	v_cmp_eq_u32_e32 vcc, 31, v135
	s_and_saveexec_b64 s[2:3], vcc
	s_cbranch_execz .LBB124_534
; %bb.531:
	v_cmp_ne_u32_e32 vcc, 31, v132
	s_xor_b64 s[14:15], s[6:7], -1
	s_and_b64 s[16:17], s[14:15], vcc
	s_and_saveexec_b64 s[14:15], s[16:17]
	s_cbranch_execz .LBB124_533
; %bb.532:
	v_ashrrev_i32_e32 v133, 31, v132
	v_lshlrev_b64 v[140:141], 2, v[132:133]
	v_add_co_u32_e32 v140, vcc, v4, v140
	v_addc_co_u32_e32 v141, vcc, v5, v141, vcc
	flat_load_dword v133, v[140:141]
	flat_load_dword v135, v[4:5] offset:124
	s_waitcnt vmcnt(0) lgkmcnt(0)
	flat_store_dword v[4:5], v133 offset:124
	flat_store_dword v[140:141], v135
.LBB124_533:
	s_or_b64 exec, exec, s[14:15]
	v_mov_b32_e32 v133, v132
	v_mov_b32_e32 v135, v132
.LBB124_534:
	s_or_b64 exec, exec, s[2:3]
.LBB124_535:
	s_andn2_saveexec_b64 s[0:1], s[0:1]
	s_cbranch_execz .LBB124_537
; %bb.536:
	v_mov_b32_e32 v140, v62
	v_mov_b32_e32 v141, v63
	v_mov_b32_e32 v142, v60
	v_mov_b32_e32 v143, v61
	ds_write2_b64 v134, v[140:141], v[142:143] offset0:32 offset1:33
	v_mov_b32_e32 v140, v58
	v_mov_b32_e32 v141, v59
	v_mov_b32_e32 v142, v56
	v_mov_b32_e32 v143, v57
	ds_write2_b64 v134, v[140:141], v[142:143] offset0:34 offset1:35
	;; [unrolled: 5-line block ×14, first 2 shown]
	v_mov_b32_e32 v140, v6
	v_mov_b32_e32 v141, v7
	;; [unrolled: 1-line block ×5, first 2 shown]
	ds_write2_b64 v134, v[140:141], v[142:143] offset0:60 offset1:61
	ds_write_b64 v134, v[128:129] offset:496
.LBB124_537:
	s_or_b64 exec, exec, s[0:1]
	v_cmp_lt_i32_e32 vcc, 31, v135
	s_waitcnt lgkmcnt(0)
	s_barrier
	s_and_saveexec_b64 s[0:1], vcc
	s_cbranch_execz .LBB124_539
; %bb.538:
	ds_read2_b64 v[140:143], v134 offset0:32 offset1:33
	ds_read2_b64 v[144:147], v134 offset0:34 offset1:35
	;; [unrolled: 1-line block ×3, first 2 shown]
	v_mul_f64 v[64:65], v[130:131], v[64:65]
	ds_read_b64 v[130:131], v134 offset:496
	s_waitcnt lgkmcnt(0)
	v_fma_f64 v[62:63], -v[64:65], v[140:141], v[62:63]
	v_fma_f64 v[60:61], -v[64:65], v[142:143], v[60:61]
	ds_read2_b64 v[140:143], v134 offset0:38 offset1:39
	v_fma_f64 v[58:59], -v[64:65], v[144:145], v[58:59]
	v_fma_f64 v[56:57], -v[64:65], v[146:147], v[56:57]
	;; [unrolled: 1-line block ×3, first 2 shown]
	ds_read2_b64 v[144:147], v134 offset0:40 offset1:41
	v_fma_f64 v[52:53], -v[64:65], v[150:151], v[52:53]
	ds_read2_b64 v[148:151], v134 offset0:42 offset1:43
	s_waitcnt lgkmcnt(0)
	v_fma_f64 v[50:51], -v[64:65], v[140:141], v[50:51]
	v_fma_f64 v[48:49], -v[64:65], v[142:143], v[48:49]
	;; [unrolled: 1-line block ×3, first 2 shown]
	ds_read2_b64 v[140:143], v134 offset0:44 offset1:45
	v_fma_f64 v[44:45], -v[64:65], v[146:147], v[44:45]
	ds_read2_b64 v[144:147], v134 offset0:46 offset1:47
	v_fma_f64 v[42:43], -v[64:65], v[148:149], v[42:43]
	v_fma_f64 v[40:41], -v[64:65], v[150:151], v[40:41]
	ds_read2_b64 v[148:151], v134 offset0:48 offset1:49
	s_waitcnt lgkmcnt(0)
	v_fma_f64 v[38:39], -v[64:65], v[140:141], v[38:39]
	v_fma_f64 v[36:37], -v[64:65], v[142:143], v[36:37]
	ds_read2_b64 v[140:143], v134 offset0:50 offset1:51
	v_fma_f64 v[34:35], -v[64:65], v[144:145], v[34:35]
	v_fma_f64 v[32:33], -v[64:65], v[146:147], v[32:33]
	;; [unrolled: 1-line block ×3, first 2 shown]
	ds_read2_b64 v[144:147], v134 offset0:52 offset1:53
	v_fma_f64 v[28:29], -v[64:65], v[150:151], v[28:29]
	ds_read2_b64 v[148:151], v134 offset0:54 offset1:55
	s_waitcnt lgkmcnt(0)
	v_fma_f64 v[26:27], -v[64:65], v[140:141], v[26:27]
	v_fma_f64 v[24:25], -v[64:65], v[142:143], v[24:25]
	;; [unrolled: 1-line block ×3, first 2 shown]
	ds_read2_b64 v[140:143], v134 offset0:56 offset1:57
	v_fma_f64 v[20:21], -v[64:65], v[146:147], v[20:21]
	ds_read2_b64 v[144:147], v134 offset0:58 offset1:59
	v_fma_f64 v[18:19], -v[64:65], v[148:149], v[18:19]
	v_fma_f64 v[16:17], -v[64:65], v[150:151], v[16:17]
	ds_read2_b64 v[148:151], v134 offset0:60 offset1:61
	s_waitcnt lgkmcnt(0)
	v_fma_f64 v[14:15], -v[64:65], v[140:141], v[14:15]
	v_fma_f64 v[12:13], -v[64:65], v[142:143], v[12:13]
	v_fma_f64 v[10:11], -v[64:65], v[144:145], v[10:11]
	v_fma_f64 v[8:9], -v[64:65], v[146:147], v[8:9]
	v_fma_f64 v[6:7], -v[64:65], v[148:149], v[6:7]
	v_fma_f64 v[0:1], -v[64:65], v[150:151], v[0:1]
	v_fma_f64 v[128:129], -v[64:65], v[130:131], v[128:129]
.LBB124_539:
	s_or_b64 exec, exec, s[0:1]
	v_lshl_add_u32 v130, v135, 3, v134
	s_barrier
	ds_write_b64 v130, v[62:63]
	s_waitcnt lgkmcnt(0)
	s_barrier
	ds_read_b64 v[130:131], v134 offset:256
	s_cmp_lt_i32 s18, 34
	v_mov_b32_e32 v132, 32
	s_cbranch_scc1 .LBB124_542
; %bb.540:
	v_add_u32_e32 v139, 0x108, v134
	s_mov_b32 s0, 33
	v_mov_b32_e32 v132, 32
.LBB124_541:                            ; =>This Inner Loop Header: Depth=1
	ds_read_b64 v[140:141], v139
	v_mov_b32_e32 v142, s0
	s_add_i32 s0, s0, 1
	v_add_u32_e32 v139, 8, v139
	s_cmp_lg_u32 s18, s0
	s_waitcnt lgkmcnt(0)
	v_cmp_lt_f64_e64 vcc, |v[130:131]|, |v[140:141]|
	v_cndmask_b32_e32 v131, v131, v141, vcc
	v_cndmask_b32_e32 v130, v130, v140, vcc
	;; [unrolled: 1-line block ×3, first 2 shown]
	s_cbranch_scc1 .LBB124_541
.LBB124_542:
	s_waitcnt lgkmcnt(0)
	v_cmp_eq_f64_e32 vcc, 0, v[130:131]
	s_and_saveexec_b64 s[0:1], vcc
	s_xor_b64 s[0:1], exec, s[0:1]
; %bb.543:
	v_cmp_ne_u32_e32 vcc, 0, v138
	v_cndmask_b32_e32 v138, 33, v138, vcc
; %bb.544:
	s_andn2_saveexec_b64 s[0:1], s[0:1]
; %bb.545:
	v_div_scale_f64 v[140:141], s[2:3], v[130:131], v[130:131], 1.0
	v_rcp_f64_e32 v[142:143], v[140:141]
	v_div_scale_f64 v[144:145], vcc, 1.0, v[130:131], 1.0
	v_fma_f64 v[146:147], -v[140:141], v[142:143], 1.0
	v_fmac_f64_e32 v[142:143], v[142:143], v[146:147]
	v_fma_f64 v[146:147], -v[140:141], v[142:143], 1.0
	v_fmac_f64_e32 v[142:143], v[142:143], v[146:147]
	v_mul_f64 v[146:147], v[144:145], v[142:143]
	v_fma_f64 v[140:141], -v[140:141], v[146:147], v[144:145]
	v_div_fmas_f64 v[140:141], v[140:141], v[142:143], v[146:147]
	v_div_fixup_f64 v[130:131], v[140:141], v[130:131], 1.0
; %bb.546:
	s_or_b64 exec, exec, s[0:1]
	v_cmp_ne_u32_e32 vcc, v135, v132
	s_and_saveexec_b64 s[0:1], vcc
	s_xor_b64 s[0:1], exec, s[0:1]
	s_cbranch_execz .LBB124_552
; %bb.547:
	v_cmp_eq_u32_e32 vcc, 32, v135
	s_and_saveexec_b64 s[2:3], vcc
	s_cbranch_execz .LBB124_551
; %bb.548:
	v_cmp_ne_u32_e32 vcc, 32, v132
	s_xor_b64 s[14:15], s[6:7], -1
	s_and_b64 s[16:17], s[14:15], vcc
	s_and_saveexec_b64 s[14:15], s[16:17]
	s_cbranch_execz .LBB124_550
; %bb.549:
	v_ashrrev_i32_e32 v133, 31, v132
	v_lshlrev_b64 v[140:141], 2, v[132:133]
	v_add_co_u32_e32 v140, vcc, v4, v140
	v_addc_co_u32_e32 v141, vcc, v5, v141, vcc
	flat_load_dword v133, v[140:141]
	flat_load_dword v135, v[4:5] offset:128
	s_waitcnt vmcnt(0) lgkmcnt(0)
	flat_store_dword v[4:5], v133 offset:128
	flat_store_dword v[140:141], v135
.LBB124_550:
	s_or_b64 exec, exec, s[14:15]
	v_mov_b32_e32 v133, v132
	v_mov_b32_e32 v135, v132
.LBB124_551:
	s_or_b64 exec, exec, s[2:3]
.LBB124_552:
	s_andn2_saveexec_b64 s[0:1], s[0:1]
	s_cbranch_execz .LBB124_554
; %bb.553:
	v_mov_b32_e32 v135, 32
	ds_write2_b64 v134, v[60:61], v[58:59] offset0:33 offset1:34
	ds_write2_b64 v134, v[56:57], v[54:55] offset0:35 offset1:36
	;; [unrolled: 1-line block ×15, first 2 shown]
.LBB124_554:
	s_or_b64 exec, exec, s[0:1]
	v_cmp_lt_i32_e32 vcc, 32, v135
	s_waitcnt lgkmcnt(0)
	s_barrier
	s_and_saveexec_b64 s[0:1], vcc
	s_cbranch_execz .LBB124_556
; %bb.555:
	ds_read2_b64 v[140:143], v134 offset0:33 offset1:34
	ds_read2_b64 v[144:147], v134 offset0:35 offset1:36
	;; [unrolled: 1-line block ×3, first 2 shown]
	v_mul_f64 v[62:63], v[130:131], v[62:63]
	s_waitcnt lgkmcnt(0)
	v_fma_f64 v[60:61], -v[62:63], v[140:141], v[60:61]
	v_fma_f64 v[58:59], -v[62:63], v[142:143], v[58:59]
	ds_read2_b64 v[140:143], v134 offset0:39 offset1:40
	v_fma_f64 v[56:57], -v[62:63], v[144:145], v[56:57]
	v_fma_f64 v[54:55], -v[62:63], v[146:147], v[54:55]
	;; [unrolled: 1-line block ×3, first 2 shown]
	ds_read2_b64 v[144:147], v134 offset0:41 offset1:42
	v_fma_f64 v[50:51], -v[62:63], v[150:151], v[50:51]
	ds_read2_b64 v[148:151], v134 offset0:43 offset1:44
	s_waitcnt lgkmcnt(0)
	v_fma_f64 v[48:49], -v[62:63], v[140:141], v[48:49]
	v_fma_f64 v[46:47], -v[62:63], v[142:143], v[46:47]
	;; [unrolled: 1-line block ×3, first 2 shown]
	ds_read2_b64 v[140:143], v134 offset0:45 offset1:46
	v_fma_f64 v[42:43], -v[62:63], v[146:147], v[42:43]
	ds_read2_b64 v[144:147], v134 offset0:47 offset1:48
	v_fma_f64 v[40:41], -v[62:63], v[148:149], v[40:41]
	v_fma_f64 v[38:39], -v[62:63], v[150:151], v[38:39]
	ds_read2_b64 v[148:151], v134 offset0:49 offset1:50
	s_waitcnt lgkmcnt(0)
	v_fma_f64 v[36:37], -v[62:63], v[140:141], v[36:37]
	v_fma_f64 v[34:35], -v[62:63], v[142:143], v[34:35]
	ds_read2_b64 v[140:143], v134 offset0:51 offset1:52
	v_fma_f64 v[32:33], -v[62:63], v[144:145], v[32:33]
	v_fma_f64 v[30:31], -v[62:63], v[146:147], v[30:31]
	;; [unrolled: 1-line block ×3, first 2 shown]
	ds_read2_b64 v[144:147], v134 offset0:53 offset1:54
	v_fma_f64 v[26:27], -v[62:63], v[150:151], v[26:27]
	ds_read2_b64 v[148:151], v134 offset0:55 offset1:56
	s_waitcnt lgkmcnt(0)
	v_fma_f64 v[24:25], -v[62:63], v[140:141], v[24:25]
	v_fma_f64 v[22:23], -v[62:63], v[142:143], v[22:23]
	;; [unrolled: 1-line block ×4, first 2 shown]
	ds_read2_b64 v[140:143], v134 offset0:57 offset1:58
	ds_read2_b64 v[144:147], v134 offset0:59 offset1:60
	v_fma_f64 v[16:17], -v[62:63], v[148:149], v[16:17]
	v_fma_f64 v[14:15], -v[62:63], v[150:151], v[14:15]
	ds_read2_b64 v[148:151], v134 offset0:61 offset1:62
	s_waitcnt lgkmcnt(0)
	v_fma_f64 v[12:13], -v[62:63], v[140:141], v[12:13]
	v_fma_f64 v[10:11], -v[62:63], v[142:143], v[10:11]
	;; [unrolled: 1-line block ×6, first 2 shown]
.LBB124_556:
	s_or_b64 exec, exec, s[0:1]
	v_lshl_add_u32 v130, v135, 3, v134
	s_barrier
	ds_write_b64 v130, v[60:61]
	s_waitcnt lgkmcnt(0)
	s_barrier
	ds_read_b64 v[130:131], v134 offset:264
	s_cmp_lt_i32 s18, 35
	v_mov_b32_e32 v132, 33
	s_cbranch_scc1 .LBB124_559
; %bb.557:
	v_add_u32_e32 v139, 0x110, v134
	s_mov_b32 s0, 34
	v_mov_b32_e32 v132, 33
.LBB124_558:                            ; =>This Inner Loop Header: Depth=1
	ds_read_b64 v[140:141], v139
	v_mov_b32_e32 v142, s0
	s_add_i32 s0, s0, 1
	v_add_u32_e32 v139, 8, v139
	s_cmp_lg_u32 s18, s0
	s_waitcnt lgkmcnt(0)
	v_cmp_lt_f64_e64 vcc, |v[130:131]|, |v[140:141]|
	v_cndmask_b32_e32 v131, v131, v141, vcc
	v_cndmask_b32_e32 v130, v130, v140, vcc
	;; [unrolled: 1-line block ×3, first 2 shown]
	s_cbranch_scc1 .LBB124_558
.LBB124_559:
	s_waitcnt lgkmcnt(0)
	v_cmp_eq_f64_e32 vcc, 0, v[130:131]
	s_and_saveexec_b64 s[0:1], vcc
	s_xor_b64 s[0:1], exec, s[0:1]
; %bb.560:
	v_cmp_ne_u32_e32 vcc, 0, v138
	v_cndmask_b32_e32 v138, 34, v138, vcc
; %bb.561:
	s_andn2_saveexec_b64 s[0:1], s[0:1]
; %bb.562:
	v_div_scale_f64 v[140:141], s[2:3], v[130:131], v[130:131], 1.0
	v_rcp_f64_e32 v[142:143], v[140:141]
	v_div_scale_f64 v[144:145], vcc, 1.0, v[130:131], 1.0
	v_fma_f64 v[146:147], -v[140:141], v[142:143], 1.0
	v_fmac_f64_e32 v[142:143], v[142:143], v[146:147]
	v_fma_f64 v[146:147], -v[140:141], v[142:143], 1.0
	v_fmac_f64_e32 v[142:143], v[142:143], v[146:147]
	v_mul_f64 v[146:147], v[144:145], v[142:143]
	v_fma_f64 v[140:141], -v[140:141], v[146:147], v[144:145]
	v_div_fmas_f64 v[140:141], v[140:141], v[142:143], v[146:147]
	v_div_fixup_f64 v[130:131], v[140:141], v[130:131], 1.0
; %bb.563:
	s_or_b64 exec, exec, s[0:1]
	v_cmp_ne_u32_e32 vcc, v135, v132
	s_and_saveexec_b64 s[0:1], vcc
	s_xor_b64 s[0:1], exec, s[0:1]
	s_cbranch_execz .LBB124_569
; %bb.564:
	v_cmp_eq_u32_e32 vcc, 33, v135
	s_and_saveexec_b64 s[2:3], vcc
	s_cbranch_execz .LBB124_568
; %bb.565:
	v_cmp_ne_u32_e32 vcc, 33, v132
	s_xor_b64 s[14:15], s[6:7], -1
	s_and_b64 s[16:17], s[14:15], vcc
	s_and_saveexec_b64 s[14:15], s[16:17]
	s_cbranch_execz .LBB124_567
; %bb.566:
	v_ashrrev_i32_e32 v133, 31, v132
	v_lshlrev_b64 v[140:141], 2, v[132:133]
	v_add_co_u32_e32 v140, vcc, v4, v140
	v_addc_co_u32_e32 v141, vcc, v5, v141, vcc
	flat_load_dword v133, v[140:141]
	flat_load_dword v135, v[4:5] offset:132
	s_waitcnt vmcnt(0) lgkmcnt(0)
	flat_store_dword v[4:5], v133 offset:132
	flat_store_dword v[140:141], v135
.LBB124_567:
	s_or_b64 exec, exec, s[14:15]
	v_mov_b32_e32 v133, v132
	v_mov_b32_e32 v135, v132
.LBB124_568:
	s_or_b64 exec, exec, s[2:3]
.LBB124_569:
	s_andn2_saveexec_b64 s[0:1], s[0:1]
	s_cbranch_execz .LBB124_571
; %bb.570:
	v_mov_b32_e32 v140, v58
	v_mov_b32_e32 v141, v59
	v_mov_b32_e32 v142, v56
	v_mov_b32_e32 v143, v57
	ds_write2_b64 v134, v[140:141], v[142:143] offset0:34 offset1:35
	v_mov_b32_e32 v140, v54
	v_mov_b32_e32 v141, v55
	v_mov_b32_e32 v142, v52
	v_mov_b32_e32 v143, v53
	ds_write2_b64 v134, v[140:141], v[142:143] offset0:36 offset1:37
	;; [unrolled: 5-line block ×13, first 2 shown]
	v_mov_b32_e32 v140, v6
	v_mov_b32_e32 v141, v7
	;; [unrolled: 1-line block ×5, first 2 shown]
	ds_write2_b64 v134, v[140:141], v[142:143] offset0:60 offset1:61
	ds_write_b64 v134, v[128:129] offset:496
.LBB124_571:
	s_or_b64 exec, exec, s[0:1]
	v_cmp_lt_i32_e32 vcc, 33, v135
	s_waitcnt lgkmcnt(0)
	s_barrier
	s_and_saveexec_b64 s[0:1], vcc
	s_cbranch_execz .LBB124_573
; %bb.572:
	ds_read2_b64 v[140:143], v134 offset0:34 offset1:35
	ds_read2_b64 v[144:147], v134 offset0:36 offset1:37
	v_mul_f64 v[60:61], v[130:131], v[60:61]
	ds_read2_b64 v[148:151], v134 offset0:38 offset1:39
	ds_read_b64 v[130:131], v134 offset:496
	s_waitcnt lgkmcnt(0)
	v_fma_f64 v[58:59], -v[60:61], v[140:141], v[58:59]
	v_fma_f64 v[56:57], -v[60:61], v[142:143], v[56:57]
	ds_read2_b64 v[140:143], v134 offset0:40 offset1:41
	v_fma_f64 v[54:55], -v[60:61], v[144:145], v[54:55]
	v_fma_f64 v[52:53], -v[60:61], v[146:147], v[52:53]
	ds_read2_b64 v[144:147], v134 offset0:42 offset1:43
	;; [unrolled: 3-line block ×3, first 2 shown]
	s_waitcnt lgkmcnt(0)
	v_fma_f64 v[46:47], -v[60:61], v[140:141], v[46:47]
	v_fma_f64 v[44:45], -v[60:61], v[142:143], v[44:45]
	;; [unrolled: 1-line block ×3, first 2 shown]
	ds_read2_b64 v[140:143], v134 offset0:46 offset1:47
	v_fma_f64 v[40:41], -v[60:61], v[146:147], v[40:41]
	ds_read2_b64 v[144:147], v134 offset0:48 offset1:49
	v_fma_f64 v[38:39], -v[60:61], v[148:149], v[38:39]
	v_fma_f64 v[36:37], -v[60:61], v[150:151], v[36:37]
	s_waitcnt lgkmcnt(0)
	v_fma_f64 v[34:35], -v[60:61], v[140:141], v[34:35]
	ds_read2_b64 v[148:151], v134 offset0:50 offset1:51
	v_fma_f64 v[32:33], -v[60:61], v[142:143], v[32:33]
	ds_read2_b64 v[140:143], v134 offset0:52 offset1:53
	v_fma_f64 v[30:31], -v[60:61], v[144:145], v[30:31]
	v_fma_f64 v[28:29], -v[60:61], v[146:147], v[28:29]
	ds_read2_b64 v[144:147], v134 offset0:54 offset1:55
	s_waitcnt lgkmcnt(0)
	v_fma_f64 v[26:27], -v[60:61], v[148:149], v[26:27]
	v_fma_f64 v[24:25], -v[60:61], v[150:151], v[24:25]
	ds_read2_b64 v[148:151], v134 offset0:56 offset1:57
	v_fma_f64 v[22:23], -v[60:61], v[140:141], v[22:23]
	v_fma_f64 v[20:21], -v[60:61], v[142:143], v[20:21]
	;; [unrolled: 1-line block ×4, first 2 shown]
	ds_read2_b64 v[140:143], v134 offset0:58 offset1:59
	ds_read2_b64 v[144:147], v134 offset0:60 offset1:61
	s_waitcnt lgkmcnt(0)
	v_fma_f64 v[14:15], -v[60:61], v[148:149], v[14:15]
	v_fma_f64 v[12:13], -v[60:61], v[150:151], v[12:13]
	v_fma_f64 v[128:129], -v[60:61], v[130:131], v[128:129]
	v_fma_f64 v[10:11], -v[60:61], v[140:141], v[10:11]
	v_fma_f64 v[8:9], -v[60:61], v[142:143], v[8:9]
	v_fma_f64 v[6:7], -v[60:61], v[144:145], v[6:7]
	v_fma_f64 v[0:1], -v[60:61], v[146:147], v[0:1]
.LBB124_573:
	s_or_b64 exec, exec, s[0:1]
	v_lshl_add_u32 v130, v135, 3, v134
	s_barrier
	ds_write_b64 v130, v[58:59]
	s_waitcnt lgkmcnt(0)
	s_barrier
	ds_read_b64 v[130:131], v134 offset:272
	s_cmp_lt_i32 s18, 36
	v_mov_b32_e32 v132, 34
	s_cbranch_scc1 .LBB124_576
; %bb.574:
	v_add_u32_e32 v139, 0x118, v134
	s_mov_b32 s0, 35
	v_mov_b32_e32 v132, 34
.LBB124_575:                            ; =>This Inner Loop Header: Depth=1
	ds_read_b64 v[140:141], v139
	v_mov_b32_e32 v142, s0
	s_add_i32 s0, s0, 1
	v_add_u32_e32 v139, 8, v139
	s_cmp_lg_u32 s18, s0
	s_waitcnt lgkmcnt(0)
	v_cmp_lt_f64_e64 vcc, |v[130:131]|, |v[140:141]|
	v_cndmask_b32_e32 v131, v131, v141, vcc
	v_cndmask_b32_e32 v130, v130, v140, vcc
	;; [unrolled: 1-line block ×3, first 2 shown]
	s_cbranch_scc1 .LBB124_575
.LBB124_576:
	s_waitcnt lgkmcnt(0)
	v_cmp_eq_f64_e32 vcc, 0, v[130:131]
	s_and_saveexec_b64 s[0:1], vcc
	s_xor_b64 s[0:1], exec, s[0:1]
; %bb.577:
	v_cmp_ne_u32_e32 vcc, 0, v138
	v_cndmask_b32_e32 v138, 35, v138, vcc
; %bb.578:
	s_andn2_saveexec_b64 s[0:1], s[0:1]
; %bb.579:
	v_div_scale_f64 v[140:141], s[2:3], v[130:131], v[130:131], 1.0
	v_rcp_f64_e32 v[142:143], v[140:141]
	v_div_scale_f64 v[144:145], vcc, 1.0, v[130:131], 1.0
	v_fma_f64 v[146:147], -v[140:141], v[142:143], 1.0
	v_fmac_f64_e32 v[142:143], v[142:143], v[146:147]
	v_fma_f64 v[146:147], -v[140:141], v[142:143], 1.0
	v_fmac_f64_e32 v[142:143], v[142:143], v[146:147]
	v_mul_f64 v[146:147], v[144:145], v[142:143]
	v_fma_f64 v[140:141], -v[140:141], v[146:147], v[144:145]
	v_div_fmas_f64 v[140:141], v[140:141], v[142:143], v[146:147]
	v_div_fixup_f64 v[130:131], v[140:141], v[130:131], 1.0
; %bb.580:
	s_or_b64 exec, exec, s[0:1]
	v_cmp_ne_u32_e32 vcc, v135, v132
	s_and_saveexec_b64 s[0:1], vcc
	s_xor_b64 s[0:1], exec, s[0:1]
	s_cbranch_execz .LBB124_586
; %bb.581:
	v_cmp_eq_u32_e32 vcc, 34, v135
	s_and_saveexec_b64 s[2:3], vcc
	s_cbranch_execz .LBB124_585
; %bb.582:
	v_cmp_ne_u32_e32 vcc, 34, v132
	s_xor_b64 s[14:15], s[6:7], -1
	s_and_b64 s[16:17], s[14:15], vcc
	s_and_saveexec_b64 s[14:15], s[16:17]
	s_cbranch_execz .LBB124_584
; %bb.583:
	v_ashrrev_i32_e32 v133, 31, v132
	v_lshlrev_b64 v[140:141], 2, v[132:133]
	v_add_co_u32_e32 v140, vcc, v4, v140
	v_addc_co_u32_e32 v141, vcc, v5, v141, vcc
	flat_load_dword v133, v[140:141]
	flat_load_dword v135, v[4:5] offset:136
	s_waitcnt vmcnt(0) lgkmcnt(0)
	flat_store_dword v[4:5], v133 offset:136
	flat_store_dword v[140:141], v135
.LBB124_584:
	s_or_b64 exec, exec, s[14:15]
	v_mov_b32_e32 v133, v132
	v_mov_b32_e32 v135, v132
.LBB124_585:
	s_or_b64 exec, exec, s[2:3]
.LBB124_586:
	s_andn2_saveexec_b64 s[0:1], s[0:1]
	s_cbranch_execz .LBB124_588
; %bb.587:
	v_mov_b32_e32 v135, 34
	ds_write2_b64 v134, v[56:57], v[54:55] offset0:35 offset1:36
	ds_write2_b64 v134, v[52:53], v[50:51] offset0:37 offset1:38
	;; [unrolled: 1-line block ×14, first 2 shown]
.LBB124_588:
	s_or_b64 exec, exec, s[0:1]
	v_cmp_lt_i32_e32 vcc, 34, v135
	s_waitcnt lgkmcnt(0)
	s_barrier
	s_and_saveexec_b64 s[0:1], vcc
	s_cbranch_execz .LBB124_590
; %bb.589:
	ds_read2_b64 v[140:143], v134 offset0:35 offset1:36
	ds_read2_b64 v[144:147], v134 offset0:37 offset1:38
	v_mul_f64 v[58:59], v[130:131], v[58:59]
	ds_read2_b64 v[148:151], v134 offset0:39 offset1:40
	s_waitcnt lgkmcnt(0)
	v_fma_f64 v[56:57], -v[58:59], v[140:141], v[56:57]
	v_fma_f64 v[54:55], -v[58:59], v[142:143], v[54:55]
	ds_read2_b64 v[140:143], v134 offset0:41 offset1:42
	v_fma_f64 v[52:53], -v[58:59], v[144:145], v[52:53]
	v_fma_f64 v[50:51], -v[58:59], v[146:147], v[50:51]
	ds_read2_b64 v[144:147], v134 offset0:43 offset1:44
	;; [unrolled: 3-line block ×3, first 2 shown]
	s_waitcnt lgkmcnt(0)
	v_fma_f64 v[44:45], -v[58:59], v[140:141], v[44:45]
	v_fma_f64 v[42:43], -v[58:59], v[142:143], v[42:43]
	v_fma_f64 v[40:41], -v[58:59], v[144:145], v[40:41]
	ds_read2_b64 v[140:143], v134 offset0:47 offset1:48
	v_fma_f64 v[38:39], -v[58:59], v[146:147], v[38:39]
	ds_read2_b64 v[144:147], v134 offset0:49 offset1:50
	v_fma_f64 v[36:37], -v[58:59], v[148:149], v[36:37]
	v_fma_f64 v[34:35], -v[58:59], v[150:151], v[34:35]
	s_waitcnt lgkmcnt(0)
	v_fma_f64 v[32:33], -v[58:59], v[140:141], v[32:33]
	ds_read2_b64 v[148:151], v134 offset0:51 offset1:52
	v_fma_f64 v[30:31], -v[58:59], v[142:143], v[30:31]
	ds_read2_b64 v[140:143], v134 offset0:53 offset1:54
	v_fma_f64 v[28:29], -v[58:59], v[144:145], v[28:29]
	v_fma_f64 v[26:27], -v[58:59], v[146:147], v[26:27]
	ds_read2_b64 v[144:147], v134 offset0:55 offset1:56
	s_waitcnt lgkmcnt(0)
	v_fma_f64 v[24:25], -v[58:59], v[148:149], v[24:25]
	v_fma_f64 v[22:23], -v[58:59], v[150:151], v[22:23]
	;; [unrolled: 1-line block ×4, first 2 shown]
	ds_read2_b64 v[140:143], v134 offset0:57 offset1:58
	v_fma_f64 v[16:17], -v[58:59], v[144:145], v[16:17]
	ds_read2_b64 v[148:151], v134 offset0:59 offset1:60
	v_fma_f64 v[14:15], -v[58:59], v[146:147], v[14:15]
	ds_read2_b64 v[144:147], v134 offset0:61 offset1:62
	s_waitcnt lgkmcnt(0)
	v_fma_f64 v[12:13], -v[58:59], v[140:141], v[12:13]
	v_fma_f64 v[10:11], -v[58:59], v[142:143], v[10:11]
	;; [unrolled: 1-line block ×6, first 2 shown]
.LBB124_590:
	s_or_b64 exec, exec, s[0:1]
	v_lshl_add_u32 v130, v135, 3, v134
	s_barrier
	ds_write_b64 v130, v[56:57]
	s_waitcnt lgkmcnt(0)
	s_barrier
	ds_read_b64 v[130:131], v134 offset:280
	s_cmp_lt_i32 s18, 37
	v_mov_b32_e32 v132, 35
	s_cbranch_scc1 .LBB124_593
; %bb.591:
	v_add_u32_e32 v139, 0x120, v134
	s_mov_b32 s0, 36
	v_mov_b32_e32 v132, 35
.LBB124_592:                            ; =>This Inner Loop Header: Depth=1
	ds_read_b64 v[140:141], v139
	v_mov_b32_e32 v142, s0
	s_add_i32 s0, s0, 1
	v_add_u32_e32 v139, 8, v139
	s_cmp_lg_u32 s18, s0
	s_waitcnt lgkmcnt(0)
	v_cmp_lt_f64_e64 vcc, |v[130:131]|, |v[140:141]|
	v_cndmask_b32_e32 v131, v131, v141, vcc
	v_cndmask_b32_e32 v130, v130, v140, vcc
	;; [unrolled: 1-line block ×3, first 2 shown]
	s_cbranch_scc1 .LBB124_592
.LBB124_593:
	s_waitcnt lgkmcnt(0)
	v_cmp_eq_f64_e32 vcc, 0, v[130:131]
	s_and_saveexec_b64 s[0:1], vcc
	s_xor_b64 s[0:1], exec, s[0:1]
; %bb.594:
	v_cmp_ne_u32_e32 vcc, 0, v138
	v_cndmask_b32_e32 v138, 36, v138, vcc
; %bb.595:
	s_andn2_saveexec_b64 s[0:1], s[0:1]
; %bb.596:
	v_div_scale_f64 v[140:141], s[2:3], v[130:131], v[130:131], 1.0
	v_rcp_f64_e32 v[142:143], v[140:141]
	v_div_scale_f64 v[144:145], vcc, 1.0, v[130:131], 1.0
	v_fma_f64 v[146:147], -v[140:141], v[142:143], 1.0
	v_fmac_f64_e32 v[142:143], v[142:143], v[146:147]
	v_fma_f64 v[146:147], -v[140:141], v[142:143], 1.0
	v_fmac_f64_e32 v[142:143], v[142:143], v[146:147]
	v_mul_f64 v[146:147], v[144:145], v[142:143]
	v_fma_f64 v[140:141], -v[140:141], v[146:147], v[144:145]
	v_div_fmas_f64 v[140:141], v[140:141], v[142:143], v[146:147]
	v_div_fixup_f64 v[130:131], v[140:141], v[130:131], 1.0
; %bb.597:
	s_or_b64 exec, exec, s[0:1]
	v_cmp_ne_u32_e32 vcc, v135, v132
	s_and_saveexec_b64 s[0:1], vcc
	s_xor_b64 s[0:1], exec, s[0:1]
	s_cbranch_execz .LBB124_603
; %bb.598:
	v_cmp_eq_u32_e32 vcc, 35, v135
	s_and_saveexec_b64 s[2:3], vcc
	s_cbranch_execz .LBB124_602
; %bb.599:
	v_cmp_ne_u32_e32 vcc, 35, v132
	s_xor_b64 s[14:15], s[6:7], -1
	s_and_b64 s[16:17], s[14:15], vcc
	s_and_saveexec_b64 s[14:15], s[16:17]
	s_cbranch_execz .LBB124_601
; %bb.600:
	v_ashrrev_i32_e32 v133, 31, v132
	v_lshlrev_b64 v[140:141], 2, v[132:133]
	v_add_co_u32_e32 v140, vcc, v4, v140
	v_addc_co_u32_e32 v141, vcc, v5, v141, vcc
	flat_load_dword v133, v[140:141]
	flat_load_dword v135, v[4:5] offset:140
	s_waitcnt vmcnt(0) lgkmcnt(0)
	flat_store_dword v[4:5], v133 offset:140
	flat_store_dword v[140:141], v135
.LBB124_601:
	s_or_b64 exec, exec, s[14:15]
	v_mov_b32_e32 v133, v132
	v_mov_b32_e32 v135, v132
.LBB124_602:
	s_or_b64 exec, exec, s[2:3]
.LBB124_603:
	s_andn2_saveexec_b64 s[0:1], s[0:1]
	s_cbranch_execz .LBB124_605
; %bb.604:
	v_mov_b32_e32 v140, v54
	v_mov_b32_e32 v141, v55
	v_mov_b32_e32 v142, v52
	v_mov_b32_e32 v143, v53
	ds_write2_b64 v134, v[140:141], v[142:143] offset0:36 offset1:37
	v_mov_b32_e32 v140, v50
	v_mov_b32_e32 v141, v51
	v_mov_b32_e32 v142, v48
	v_mov_b32_e32 v143, v49
	ds_write2_b64 v134, v[140:141], v[142:143] offset0:38 offset1:39
	;; [unrolled: 5-line block ×12, first 2 shown]
	v_mov_b32_e32 v140, v6
	v_mov_b32_e32 v141, v7
	;; [unrolled: 1-line block ×5, first 2 shown]
	ds_write2_b64 v134, v[140:141], v[142:143] offset0:60 offset1:61
	ds_write_b64 v134, v[128:129] offset:496
.LBB124_605:
	s_or_b64 exec, exec, s[0:1]
	v_cmp_lt_i32_e32 vcc, 35, v135
	s_waitcnt lgkmcnt(0)
	s_barrier
	s_and_saveexec_b64 s[0:1], vcc
	s_cbranch_execz .LBB124_607
; %bb.606:
	ds_read2_b64 v[140:143], v134 offset0:36 offset1:37
	ds_read2_b64 v[144:147], v134 offset0:38 offset1:39
	v_mul_f64 v[56:57], v[130:131], v[56:57]
	ds_read2_b64 v[148:151], v134 offset0:40 offset1:41
	ds_read_b64 v[130:131], v134 offset:496
	s_waitcnt lgkmcnt(0)
	v_fma_f64 v[54:55], -v[56:57], v[140:141], v[54:55]
	v_fma_f64 v[52:53], -v[56:57], v[142:143], v[52:53]
	ds_read2_b64 v[140:143], v134 offset0:42 offset1:43
	v_fma_f64 v[50:51], -v[56:57], v[144:145], v[50:51]
	v_fma_f64 v[48:49], -v[56:57], v[146:147], v[48:49]
	;; [unrolled: 1-line block ×3, first 2 shown]
	ds_read2_b64 v[144:147], v134 offset0:44 offset1:45
	v_fma_f64 v[44:45], -v[56:57], v[150:151], v[44:45]
	ds_read2_b64 v[148:151], v134 offset0:46 offset1:47
	s_waitcnt lgkmcnt(0)
	v_fma_f64 v[42:43], -v[56:57], v[140:141], v[42:43]
	v_fma_f64 v[40:41], -v[56:57], v[142:143], v[40:41]
	ds_read2_b64 v[140:143], v134 offset0:48 offset1:49
	v_fma_f64 v[38:39], -v[56:57], v[144:145], v[38:39]
	v_fma_f64 v[36:37], -v[56:57], v[146:147], v[36:37]
	ds_read2_b64 v[144:147], v134 offset0:50 offset1:51
	v_fma_f64 v[34:35], -v[56:57], v[148:149], v[34:35]
	v_fma_f64 v[32:33], -v[56:57], v[150:151], v[32:33]
	s_waitcnt lgkmcnt(0)
	v_fma_f64 v[30:31], -v[56:57], v[140:141], v[30:31]
	ds_read2_b64 v[148:151], v134 offset0:52 offset1:53
	v_fma_f64 v[28:29], -v[56:57], v[142:143], v[28:29]
	ds_read2_b64 v[140:143], v134 offset0:54 offset1:55
	v_fma_f64 v[26:27], -v[56:57], v[144:145], v[26:27]
	v_fma_f64 v[24:25], -v[56:57], v[146:147], v[24:25]
	s_waitcnt lgkmcnt(0)
	v_fma_f64 v[22:23], -v[56:57], v[148:149], v[22:23]
	ds_read2_b64 v[144:147], v134 offset0:56 offset1:57
	v_fma_f64 v[20:21], -v[56:57], v[150:151], v[20:21]
	v_fma_f64 v[18:19], -v[56:57], v[140:141], v[18:19]
	;; [unrolled: 1-line block ×3, first 2 shown]
	ds_read2_b64 v[140:143], v134 offset0:58 offset1:59
	ds_read2_b64 v[148:151], v134 offset0:60 offset1:61
	s_waitcnt lgkmcnt(0)
	v_fma_f64 v[14:15], -v[56:57], v[144:145], v[14:15]
	v_fma_f64 v[12:13], -v[56:57], v[146:147], v[12:13]
	;; [unrolled: 1-line block ×7, first 2 shown]
.LBB124_607:
	s_or_b64 exec, exec, s[0:1]
	v_lshl_add_u32 v130, v135, 3, v134
	s_barrier
	ds_write_b64 v130, v[54:55]
	s_waitcnt lgkmcnt(0)
	s_barrier
	ds_read_b64 v[130:131], v134 offset:288
	s_cmp_lt_i32 s18, 38
	v_mov_b32_e32 v132, 36
	s_cbranch_scc1 .LBB124_610
; %bb.608:
	v_add_u32_e32 v139, 0x128, v134
	s_mov_b32 s0, 37
	v_mov_b32_e32 v132, 36
.LBB124_609:                            ; =>This Inner Loop Header: Depth=1
	ds_read_b64 v[140:141], v139
	v_mov_b32_e32 v142, s0
	s_add_i32 s0, s0, 1
	v_add_u32_e32 v139, 8, v139
	s_cmp_lg_u32 s18, s0
	s_waitcnt lgkmcnt(0)
	v_cmp_lt_f64_e64 vcc, |v[130:131]|, |v[140:141]|
	v_cndmask_b32_e32 v131, v131, v141, vcc
	v_cndmask_b32_e32 v130, v130, v140, vcc
	;; [unrolled: 1-line block ×3, first 2 shown]
	s_cbranch_scc1 .LBB124_609
.LBB124_610:
	s_waitcnt lgkmcnt(0)
	v_cmp_eq_f64_e32 vcc, 0, v[130:131]
	s_and_saveexec_b64 s[0:1], vcc
	s_xor_b64 s[0:1], exec, s[0:1]
; %bb.611:
	v_cmp_ne_u32_e32 vcc, 0, v138
	v_cndmask_b32_e32 v138, 37, v138, vcc
; %bb.612:
	s_andn2_saveexec_b64 s[0:1], s[0:1]
; %bb.613:
	v_div_scale_f64 v[140:141], s[2:3], v[130:131], v[130:131], 1.0
	v_rcp_f64_e32 v[142:143], v[140:141]
	v_div_scale_f64 v[144:145], vcc, 1.0, v[130:131], 1.0
	v_fma_f64 v[146:147], -v[140:141], v[142:143], 1.0
	v_fmac_f64_e32 v[142:143], v[142:143], v[146:147]
	v_fma_f64 v[146:147], -v[140:141], v[142:143], 1.0
	v_fmac_f64_e32 v[142:143], v[142:143], v[146:147]
	v_mul_f64 v[146:147], v[144:145], v[142:143]
	v_fma_f64 v[140:141], -v[140:141], v[146:147], v[144:145]
	v_div_fmas_f64 v[140:141], v[140:141], v[142:143], v[146:147]
	v_div_fixup_f64 v[130:131], v[140:141], v[130:131], 1.0
; %bb.614:
	s_or_b64 exec, exec, s[0:1]
	v_cmp_ne_u32_e32 vcc, v135, v132
	s_and_saveexec_b64 s[0:1], vcc
	s_xor_b64 s[0:1], exec, s[0:1]
	s_cbranch_execz .LBB124_620
; %bb.615:
	v_cmp_eq_u32_e32 vcc, 36, v135
	s_and_saveexec_b64 s[2:3], vcc
	s_cbranch_execz .LBB124_619
; %bb.616:
	v_cmp_ne_u32_e32 vcc, 36, v132
	s_xor_b64 s[14:15], s[6:7], -1
	s_and_b64 s[16:17], s[14:15], vcc
	s_and_saveexec_b64 s[14:15], s[16:17]
	s_cbranch_execz .LBB124_618
; %bb.617:
	v_ashrrev_i32_e32 v133, 31, v132
	v_lshlrev_b64 v[140:141], 2, v[132:133]
	v_add_co_u32_e32 v140, vcc, v4, v140
	v_addc_co_u32_e32 v141, vcc, v5, v141, vcc
	flat_load_dword v133, v[140:141]
	flat_load_dword v135, v[4:5] offset:144
	s_waitcnt vmcnt(0) lgkmcnt(0)
	flat_store_dword v[4:5], v133 offset:144
	flat_store_dword v[140:141], v135
.LBB124_618:
	s_or_b64 exec, exec, s[14:15]
	v_mov_b32_e32 v133, v132
	v_mov_b32_e32 v135, v132
.LBB124_619:
	s_or_b64 exec, exec, s[2:3]
.LBB124_620:
	s_andn2_saveexec_b64 s[0:1], s[0:1]
	s_cbranch_execz .LBB124_622
; %bb.621:
	v_mov_b32_e32 v135, 36
	ds_write2_b64 v134, v[52:53], v[50:51] offset0:37 offset1:38
	ds_write2_b64 v134, v[48:49], v[46:47] offset0:39 offset1:40
	;; [unrolled: 1-line block ×13, first 2 shown]
.LBB124_622:
	s_or_b64 exec, exec, s[0:1]
	v_cmp_lt_i32_e32 vcc, 36, v135
	s_waitcnt lgkmcnt(0)
	s_barrier
	s_and_saveexec_b64 s[0:1], vcc
	s_cbranch_execz .LBB124_624
; %bb.623:
	ds_read2_b64 v[140:143], v134 offset0:37 offset1:38
	ds_read2_b64 v[144:147], v134 offset0:39 offset1:40
	v_mul_f64 v[54:55], v[130:131], v[54:55]
	ds_read2_b64 v[148:151], v134 offset0:41 offset1:42
	s_waitcnt lgkmcnt(0)
	v_fma_f64 v[52:53], -v[54:55], v[140:141], v[52:53]
	v_fma_f64 v[50:51], -v[54:55], v[142:143], v[50:51]
	ds_read2_b64 v[140:143], v134 offset0:43 offset1:44
	v_fma_f64 v[48:49], -v[54:55], v[144:145], v[48:49]
	v_fma_f64 v[46:47], -v[54:55], v[146:147], v[46:47]
	;; [unrolled: 1-line block ×3, first 2 shown]
	ds_read2_b64 v[144:147], v134 offset0:45 offset1:46
	v_fma_f64 v[42:43], -v[54:55], v[150:151], v[42:43]
	ds_read2_b64 v[148:151], v134 offset0:47 offset1:48
	s_waitcnt lgkmcnt(0)
	v_fma_f64 v[40:41], -v[54:55], v[140:141], v[40:41]
	v_fma_f64 v[38:39], -v[54:55], v[142:143], v[38:39]
	ds_read2_b64 v[140:143], v134 offset0:49 offset1:50
	v_fma_f64 v[36:37], -v[54:55], v[144:145], v[36:37]
	v_fma_f64 v[34:35], -v[54:55], v[146:147], v[34:35]
	ds_read2_b64 v[144:147], v134 offset0:51 offset1:52
	v_fma_f64 v[32:33], -v[54:55], v[148:149], v[32:33]
	v_fma_f64 v[30:31], -v[54:55], v[150:151], v[30:31]
	s_waitcnt lgkmcnt(0)
	v_fma_f64 v[28:29], -v[54:55], v[140:141], v[28:29]
	ds_read2_b64 v[148:151], v134 offset0:53 offset1:54
	v_fma_f64 v[26:27], -v[54:55], v[142:143], v[26:27]
	ds_read2_b64 v[140:143], v134 offset0:55 offset1:56
	v_fma_f64 v[24:25], -v[54:55], v[144:145], v[24:25]
	v_fma_f64 v[22:23], -v[54:55], v[146:147], v[22:23]
	s_waitcnt lgkmcnt(0)
	v_fma_f64 v[20:21], -v[54:55], v[148:149], v[20:21]
	v_fma_f64 v[18:19], -v[54:55], v[150:151], v[18:19]
	ds_read2_b64 v[144:147], v134 offset0:57 offset1:58
	ds_read2_b64 v[148:151], v134 offset0:59 offset1:60
	v_fma_f64 v[16:17], -v[54:55], v[140:141], v[16:17]
	v_fma_f64 v[14:15], -v[54:55], v[142:143], v[14:15]
	ds_read2_b64 v[140:143], v134 offset0:61 offset1:62
	s_waitcnt lgkmcnt(0)
	v_fma_f64 v[12:13], -v[54:55], v[144:145], v[12:13]
	v_fma_f64 v[10:11], -v[54:55], v[146:147], v[10:11]
	;; [unrolled: 1-line block ×6, first 2 shown]
.LBB124_624:
	s_or_b64 exec, exec, s[0:1]
	v_lshl_add_u32 v130, v135, 3, v134
	s_barrier
	ds_write_b64 v130, v[52:53]
	s_waitcnt lgkmcnt(0)
	s_barrier
	ds_read_b64 v[130:131], v134 offset:296
	s_cmp_lt_i32 s18, 39
	v_mov_b32_e32 v132, 37
	s_cbranch_scc1 .LBB124_627
; %bb.625:
	v_add_u32_e32 v139, 0x130, v134
	s_mov_b32 s0, 38
	v_mov_b32_e32 v132, 37
.LBB124_626:                            ; =>This Inner Loop Header: Depth=1
	ds_read_b64 v[140:141], v139
	v_mov_b32_e32 v142, s0
	s_add_i32 s0, s0, 1
	v_add_u32_e32 v139, 8, v139
	s_cmp_lg_u32 s18, s0
	s_waitcnt lgkmcnt(0)
	v_cmp_lt_f64_e64 vcc, |v[130:131]|, |v[140:141]|
	v_cndmask_b32_e32 v131, v131, v141, vcc
	v_cndmask_b32_e32 v130, v130, v140, vcc
	;; [unrolled: 1-line block ×3, first 2 shown]
	s_cbranch_scc1 .LBB124_626
.LBB124_627:
	s_waitcnt lgkmcnt(0)
	v_cmp_eq_f64_e32 vcc, 0, v[130:131]
	s_and_saveexec_b64 s[0:1], vcc
	s_xor_b64 s[0:1], exec, s[0:1]
; %bb.628:
	v_cmp_ne_u32_e32 vcc, 0, v138
	v_cndmask_b32_e32 v138, 38, v138, vcc
; %bb.629:
	s_andn2_saveexec_b64 s[0:1], s[0:1]
; %bb.630:
	v_div_scale_f64 v[140:141], s[2:3], v[130:131], v[130:131], 1.0
	v_rcp_f64_e32 v[142:143], v[140:141]
	v_div_scale_f64 v[144:145], vcc, 1.0, v[130:131], 1.0
	v_fma_f64 v[146:147], -v[140:141], v[142:143], 1.0
	v_fmac_f64_e32 v[142:143], v[142:143], v[146:147]
	v_fma_f64 v[146:147], -v[140:141], v[142:143], 1.0
	v_fmac_f64_e32 v[142:143], v[142:143], v[146:147]
	v_mul_f64 v[146:147], v[144:145], v[142:143]
	v_fma_f64 v[140:141], -v[140:141], v[146:147], v[144:145]
	v_div_fmas_f64 v[140:141], v[140:141], v[142:143], v[146:147]
	v_div_fixup_f64 v[130:131], v[140:141], v[130:131], 1.0
; %bb.631:
	s_or_b64 exec, exec, s[0:1]
	v_cmp_ne_u32_e32 vcc, v135, v132
	s_and_saveexec_b64 s[0:1], vcc
	s_xor_b64 s[0:1], exec, s[0:1]
	s_cbranch_execz .LBB124_637
; %bb.632:
	v_cmp_eq_u32_e32 vcc, 37, v135
	s_and_saveexec_b64 s[2:3], vcc
	s_cbranch_execz .LBB124_636
; %bb.633:
	v_cmp_ne_u32_e32 vcc, 37, v132
	s_xor_b64 s[14:15], s[6:7], -1
	s_and_b64 s[16:17], s[14:15], vcc
	s_and_saveexec_b64 s[14:15], s[16:17]
	s_cbranch_execz .LBB124_635
; %bb.634:
	v_ashrrev_i32_e32 v133, 31, v132
	v_lshlrev_b64 v[140:141], 2, v[132:133]
	v_add_co_u32_e32 v140, vcc, v4, v140
	v_addc_co_u32_e32 v141, vcc, v5, v141, vcc
	flat_load_dword v133, v[140:141]
	flat_load_dword v135, v[4:5] offset:148
	s_waitcnt vmcnt(0) lgkmcnt(0)
	flat_store_dword v[4:5], v133 offset:148
	flat_store_dword v[140:141], v135
.LBB124_635:
	s_or_b64 exec, exec, s[14:15]
	v_mov_b32_e32 v133, v132
	v_mov_b32_e32 v135, v132
.LBB124_636:
	s_or_b64 exec, exec, s[2:3]
.LBB124_637:
	s_andn2_saveexec_b64 s[0:1], s[0:1]
	s_cbranch_execz .LBB124_639
; %bb.638:
	v_mov_b32_e32 v140, v50
	v_mov_b32_e32 v141, v51
	v_mov_b32_e32 v142, v48
	v_mov_b32_e32 v143, v49
	ds_write2_b64 v134, v[140:141], v[142:143] offset0:38 offset1:39
	v_mov_b32_e32 v140, v46
	v_mov_b32_e32 v141, v47
	v_mov_b32_e32 v142, v44
	v_mov_b32_e32 v143, v45
	ds_write2_b64 v134, v[140:141], v[142:143] offset0:40 offset1:41
	;; [unrolled: 5-line block ×11, first 2 shown]
	v_mov_b32_e32 v140, v6
	v_mov_b32_e32 v141, v7
	;; [unrolled: 1-line block ×5, first 2 shown]
	ds_write2_b64 v134, v[140:141], v[142:143] offset0:60 offset1:61
	ds_write_b64 v134, v[128:129] offset:496
.LBB124_639:
	s_or_b64 exec, exec, s[0:1]
	v_cmp_lt_i32_e32 vcc, 37, v135
	s_waitcnt lgkmcnt(0)
	s_barrier
	s_and_saveexec_b64 s[0:1], vcc
	s_cbranch_execz .LBB124_641
; %bb.640:
	ds_read2_b64 v[140:143], v134 offset0:38 offset1:39
	ds_read2_b64 v[144:147], v134 offset0:40 offset1:41
	;; [unrolled: 1-line block ×3, first 2 shown]
	v_mul_f64 v[52:53], v[130:131], v[52:53]
	ds_read_b64 v[130:131], v134 offset:496
	s_waitcnt lgkmcnt(0)
	v_fma_f64 v[50:51], -v[52:53], v[140:141], v[50:51]
	v_fma_f64 v[48:49], -v[52:53], v[142:143], v[48:49]
	ds_read2_b64 v[140:143], v134 offset0:44 offset1:45
	v_fma_f64 v[46:47], -v[52:53], v[144:145], v[46:47]
	v_fma_f64 v[44:45], -v[52:53], v[146:147], v[44:45]
	;; [unrolled: 1-line block ×3, first 2 shown]
	ds_read2_b64 v[144:147], v134 offset0:46 offset1:47
	v_fma_f64 v[40:41], -v[52:53], v[150:151], v[40:41]
	ds_read2_b64 v[148:151], v134 offset0:48 offset1:49
	s_waitcnt lgkmcnt(0)
	v_fma_f64 v[38:39], -v[52:53], v[140:141], v[38:39]
	v_fma_f64 v[36:37], -v[52:53], v[142:143], v[36:37]
	;; [unrolled: 1-line block ×3, first 2 shown]
	ds_read2_b64 v[140:143], v134 offset0:50 offset1:51
	v_fma_f64 v[32:33], -v[52:53], v[146:147], v[32:33]
	ds_read2_b64 v[144:147], v134 offset0:52 offset1:53
	v_fma_f64 v[30:31], -v[52:53], v[148:149], v[30:31]
	v_fma_f64 v[28:29], -v[52:53], v[150:151], v[28:29]
	ds_read2_b64 v[148:151], v134 offset0:54 offset1:55
	s_waitcnt lgkmcnt(0)
	v_fma_f64 v[26:27], -v[52:53], v[140:141], v[26:27]
	v_fma_f64 v[24:25], -v[52:53], v[142:143], v[24:25]
	ds_read2_b64 v[140:143], v134 offset0:56 offset1:57
	v_fma_f64 v[22:23], -v[52:53], v[144:145], v[22:23]
	v_fma_f64 v[20:21], -v[52:53], v[146:147], v[20:21]
	;; [unrolled: 1-line block ×4, first 2 shown]
	ds_read2_b64 v[144:147], v134 offset0:58 offset1:59
	ds_read2_b64 v[148:151], v134 offset0:60 offset1:61
	s_waitcnt lgkmcnt(0)
	v_fma_f64 v[14:15], -v[52:53], v[140:141], v[14:15]
	v_fma_f64 v[12:13], -v[52:53], v[142:143], v[12:13]
	;; [unrolled: 1-line block ×7, first 2 shown]
.LBB124_641:
	s_or_b64 exec, exec, s[0:1]
	v_lshl_add_u32 v130, v135, 3, v134
	s_barrier
	ds_write_b64 v130, v[50:51]
	s_waitcnt lgkmcnt(0)
	s_barrier
	ds_read_b64 v[130:131], v134 offset:304
	s_cmp_lt_i32 s18, 40
	v_mov_b32_e32 v132, 38
	s_cbranch_scc1 .LBB124_644
; %bb.642:
	v_add_u32_e32 v139, 0x138, v134
	s_mov_b32 s0, 39
	v_mov_b32_e32 v132, 38
.LBB124_643:                            ; =>This Inner Loop Header: Depth=1
	ds_read_b64 v[140:141], v139
	v_mov_b32_e32 v142, s0
	s_add_i32 s0, s0, 1
	v_add_u32_e32 v139, 8, v139
	s_cmp_lg_u32 s18, s0
	s_waitcnt lgkmcnt(0)
	v_cmp_lt_f64_e64 vcc, |v[130:131]|, |v[140:141]|
	v_cndmask_b32_e32 v131, v131, v141, vcc
	v_cndmask_b32_e32 v130, v130, v140, vcc
	;; [unrolled: 1-line block ×3, first 2 shown]
	s_cbranch_scc1 .LBB124_643
.LBB124_644:
	s_waitcnt lgkmcnt(0)
	v_cmp_eq_f64_e32 vcc, 0, v[130:131]
	s_and_saveexec_b64 s[0:1], vcc
	s_xor_b64 s[0:1], exec, s[0:1]
; %bb.645:
	v_cmp_ne_u32_e32 vcc, 0, v138
	v_cndmask_b32_e32 v138, 39, v138, vcc
; %bb.646:
	s_andn2_saveexec_b64 s[0:1], s[0:1]
; %bb.647:
	v_div_scale_f64 v[140:141], s[2:3], v[130:131], v[130:131], 1.0
	v_rcp_f64_e32 v[142:143], v[140:141]
	v_div_scale_f64 v[144:145], vcc, 1.0, v[130:131], 1.0
	v_fma_f64 v[146:147], -v[140:141], v[142:143], 1.0
	v_fmac_f64_e32 v[142:143], v[142:143], v[146:147]
	v_fma_f64 v[146:147], -v[140:141], v[142:143], 1.0
	v_fmac_f64_e32 v[142:143], v[142:143], v[146:147]
	v_mul_f64 v[146:147], v[144:145], v[142:143]
	v_fma_f64 v[140:141], -v[140:141], v[146:147], v[144:145]
	v_div_fmas_f64 v[140:141], v[140:141], v[142:143], v[146:147]
	v_div_fixup_f64 v[130:131], v[140:141], v[130:131], 1.0
; %bb.648:
	s_or_b64 exec, exec, s[0:1]
	v_cmp_ne_u32_e32 vcc, v135, v132
	s_and_saveexec_b64 s[0:1], vcc
	s_xor_b64 s[0:1], exec, s[0:1]
	s_cbranch_execz .LBB124_654
; %bb.649:
	v_cmp_eq_u32_e32 vcc, 38, v135
	s_and_saveexec_b64 s[2:3], vcc
	s_cbranch_execz .LBB124_653
; %bb.650:
	v_cmp_ne_u32_e32 vcc, 38, v132
	s_xor_b64 s[14:15], s[6:7], -1
	s_and_b64 s[16:17], s[14:15], vcc
	s_and_saveexec_b64 s[14:15], s[16:17]
	s_cbranch_execz .LBB124_652
; %bb.651:
	v_ashrrev_i32_e32 v133, 31, v132
	v_lshlrev_b64 v[140:141], 2, v[132:133]
	v_add_co_u32_e32 v140, vcc, v4, v140
	v_addc_co_u32_e32 v141, vcc, v5, v141, vcc
	flat_load_dword v133, v[140:141]
	flat_load_dword v135, v[4:5] offset:152
	s_waitcnt vmcnt(0) lgkmcnt(0)
	flat_store_dword v[4:5], v133 offset:152
	flat_store_dword v[140:141], v135
.LBB124_652:
	s_or_b64 exec, exec, s[14:15]
	v_mov_b32_e32 v133, v132
	v_mov_b32_e32 v135, v132
.LBB124_653:
	s_or_b64 exec, exec, s[2:3]
.LBB124_654:
	s_andn2_saveexec_b64 s[0:1], s[0:1]
	s_cbranch_execz .LBB124_656
; %bb.655:
	v_mov_b32_e32 v135, 38
	ds_write2_b64 v134, v[48:49], v[46:47] offset0:39 offset1:40
	ds_write2_b64 v134, v[44:45], v[42:43] offset0:41 offset1:42
	;; [unrolled: 1-line block ×12, first 2 shown]
.LBB124_656:
	s_or_b64 exec, exec, s[0:1]
	v_cmp_lt_i32_e32 vcc, 38, v135
	s_waitcnt lgkmcnt(0)
	s_barrier
	s_and_saveexec_b64 s[0:1], vcc
	s_cbranch_execz .LBB124_658
; %bb.657:
	ds_read2_b64 v[140:143], v134 offset0:39 offset1:40
	ds_read2_b64 v[144:147], v134 offset0:41 offset1:42
	;; [unrolled: 1-line block ×3, first 2 shown]
	v_mul_f64 v[50:51], v[130:131], v[50:51]
	s_waitcnt lgkmcnt(0)
	v_fma_f64 v[48:49], -v[50:51], v[140:141], v[48:49]
	v_fma_f64 v[46:47], -v[50:51], v[142:143], v[46:47]
	ds_read2_b64 v[140:143], v134 offset0:45 offset1:46
	v_fma_f64 v[44:45], -v[50:51], v[144:145], v[44:45]
	v_fma_f64 v[42:43], -v[50:51], v[146:147], v[42:43]
	;; [unrolled: 1-line block ×3, first 2 shown]
	ds_read2_b64 v[144:147], v134 offset0:47 offset1:48
	v_fma_f64 v[38:39], -v[50:51], v[150:151], v[38:39]
	ds_read2_b64 v[148:151], v134 offset0:49 offset1:50
	s_waitcnt lgkmcnt(0)
	v_fma_f64 v[36:37], -v[50:51], v[140:141], v[36:37]
	v_fma_f64 v[34:35], -v[50:51], v[142:143], v[34:35]
	;; [unrolled: 1-line block ×3, first 2 shown]
	ds_read2_b64 v[140:143], v134 offset0:51 offset1:52
	v_fma_f64 v[30:31], -v[50:51], v[146:147], v[30:31]
	ds_read2_b64 v[144:147], v134 offset0:53 offset1:54
	v_fma_f64 v[28:29], -v[50:51], v[148:149], v[28:29]
	v_fma_f64 v[26:27], -v[50:51], v[150:151], v[26:27]
	ds_read2_b64 v[148:151], v134 offset0:55 offset1:56
	s_waitcnt lgkmcnt(0)
	v_fma_f64 v[24:25], -v[50:51], v[140:141], v[24:25]
	v_fma_f64 v[22:23], -v[50:51], v[142:143], v[22:23]
	ds_read2_b64 v[140:143], v134 offset0:57 offset1:58
	v_fma_f64 v[20:21], -v[50:51], v[144:145], v[20:21]
	v_fma_f64 v[18:19], -v[50:51], v[146:147], v[18:19]
	;; [unrolled: 1-line block ×3, first 2 shown]
	ds_read2_b64 v[144:147], v134 offset0:59 offset1:60
	v_fma_f64 v[14:15], -v[50:51], v[150:151], v[14:15]
	ds_read2_b64 v[148:151], v134 offset0:61 offset1:62
	s_waitcnt lgkmcnt(0)
	v_fma_f64 v[12:13], -v[50:51], v[140:141], v[12:13]
	v_fma_f64 v[10:11], -v[50:51], v[142:143], v[10:11]
	;; [unrolled: 1-line block ×6, first 2 shown]
.LBB124_658:
	s_or_b64 exec, exec, s[0:1]
	v_lshl_add_u32 v130, v135, 3, v134
	s_barrier
	ds_write_b64 v130, v[48:49]
	s_waitcnt lgkmcnt(0)
	s_barrier
	ds_read_b64 v[130:131], v134 offset:312
	s_cmp_lt_i32 s18, 41
	v_mov_b32_e32 v132, 39
	s_cbranch_scc1 .LBB124_661
; %bb.659:
	v_add_u32_e32 v139, 0x140, v134
	s_mov_b32 s0, 40
	v_mov_b32_e32 v132, 39
.LBB124_660:                            ; =>This Inner Loop Header: Depth=1
	ds_read_b64 v[140:141], v139
	v_mov_b32_e32 v142, s0
	s_add_i32 s0, s0, 1
	v_add_u32_e32 v139, 8, v139
	s_cmp_lg_u32 s18, s0
	s_waitcnt lgkmcnt(0)
	v_cmp_lt_f64_e64 vcc, |v[130:131]|, |v[140:141]|
	v_cndmask_b32_e32 v131, v131, v141, vcc
	v_cndmask_b32_e32 v130, v130, v140, vcc
	;; [unrolled: 1-line block ×3, first 2 shown]
	s_cbranch_scc1 .LBB124_660
.LBB124_661:
	s_waitcnt lgkmcnt(0)
	v_cmp_eq_f64_e32 vcc, 0, v[130:131]
	s_and_saveexec_b64 s[0:1], vcc
	s_xor_b64 s[0:1], exec, s[0:1]
; %bb.662:
	v_cmp_ne_u32_e32 vcc, 0, v138
	v_cndmask_b32_e32 v138, 40, v138, vcc
; %bb.663:
	s_andn2_saveexec_b64 s[0:1], s[0:1]
; %bb.664:
	v_div_scale_f64 v[140:141], s[2:3], v[130:131], v[130:131], 1.0
	v_rcp_f64_e32 v[142:143], v[140:141]
	v_div_scale_f64 v[144:145], vcc, 1.0, v[130:131], 1.0
	v_fma_f64 v[146:147], -v[140:141], v[142:143], 1.0
	v_fmac_f64_e32 v[142:143], v[142:143], v[146:147]
	v_fma_f64 v[146:147], -v[140:141], v[142:143], 1.0
	v_fmac_f64_e32 v[142:143], v[142:143], v[146:147]
	v_mul_f64 v[146:147], v[144:145], v[142:143]
	v_fma_f64 v[140:141], -v[140:141], v[146:147], v[144:145]
	v_div_fmas_f64 v[140:141], v[140:141], v[142:143], v[146:147]
	v_div_fixup_f64 v[130:131], v[140:141], v[130:131], 1.0
; %bb.665:
	s_or_b64 exec, exec, s[0:1]
	v_cmp_ne_u32_e32 vcc, v135, v132
	s_and_saveexec_b64 s[0:1], vcc
	s_xor_b64 s[0:1], exec, s[0:1]
	s_cbranch_execz .LBB124_671
; %bb.666:
	v_cmp_eq_u32_e32 vcc, 39, v135
	s_and_saveexec_b64 s[2:3], vcc
	s_cbranch_execz .LBB124_670
; %bb.667:
	v_cmp_ne_u32_e32 vcc, 39, v132
	s_xor_b64 s[14:15], s[6:7], -1
	s_and_b64 s[16:17], s[14:15], vcc
	s_and_saveexec_b64 s[14:15], s[16:17]
	s_cbranch_execz .LBB124_669
; %bb.668:
	v_ashrrev_i32_e32 v133, 31, v132
	v_lshlrev_b64 v[140:141], 2, v[132:133]
	v_add_co_u32_e32 v140, vcc, v4, v140
	v_addc_co_u32_e32 v141, vcc, v5, v141, vcc
	flat_load_dword v133, v[140:141]
	flat_load_dword v135, v[4:5] offset:156
	s_waitcnt vmcnt(0) lgkmcnt(0)
	flat_store_dword v[4:5], v133 offset:156
	flat_store_dword v[140:141], v135
.LBB124_669:
	s_or_b64 exec, exec, s[14:15]
	v_mov_b32_e32 v133, v132
	v_mov_b32_e32 v135, v132
.LBB124_670:
	s_or_b64 exec, exec, s[2:3]
.LBB124_671:
	s_andn2_saveexec_b64 s[0:1], s[0:1]
	s_cbranch_execz .LBB124_673
; %bb.672:
	v_mov_b32_e32 v140, v46
	v_mov_b32_e32 v141, v47
	v_mov_b32_e32 v142, v44
	v_mov_b32_e32 v143, v45
	ds_write2_b64 v134, v[140:141], v[142:143] offset0:40 offset1:41
	v_mov_b32_e32 v140, v42
	v_mov_b32_e32 v141, v43
	v_mov_b32_e32 v142, v40
	v_mov_b32_e32 v143, v41
	ds_write2_b64 v134, v[140:141], v[142:143] offset0:42 offset1:43
	;; [unrolled: 5-line block ×10, first 2 shown]
	v_mov_b32_e32 v140, v6
	v_mov_b32_e32 v141, v7
	v_mov_b32_e32 v142, v0
	v_mov_b32_e32 v143, v1
	v_mov_b32_e32 v135, 39
	ds_write2_b64 v134, v[140:141], v[142:143] offset0:60 offset1:61
	ds_write_b64 v134, v[128:129] offset:496
.LBB124_673:
	s_or_b64 exec, exec, s[0:1]
	v_cmp_lt_i32_e32 vcc, 39, v135
	s_waitcnt lgkmcnt(0)
	s_barrier
	s_and_saveexec_b64 s[0:1], vcc
	s_cbranch_execz .LBB124_675
; %bb.674:
	ds_read2_b64 v[140:143], v134 offset0:40 offset1:41
	ds_read2_b64 v[144:147], v134 offset0:42 offset1:43
	v_mul_f64 v[48:49], v[130:131], v[48:49]
	ds_read2_b64 v[148:151], v134 offset0:44 offset1:45
	ds_read_b64 v[130:131], v134 offset:496
	s_waitcnt lgkmcnt(0)
	v_fma_f64 v[46:47], -v[48:49], v[140:141], v[46:47]
	v_fma_f64 v[44:45], -v[48:49], v[142:143], v[44:45]
	ds_read2_b64 v[140:143], v134 offset0:46 offset1:47
	v_fma_f64 v[42:43], -v[48:49], v[144:145], v[42:43]
	v_fma_f64 v[40:41], -v[48:49], v[146:147], v[40:41]
	ds_read2_b64 v[144:147], v134 offset0:48 offset1:49
	v_fma_f64 v[38:39], -v[48:49], v[148:149], v[38:39]
	v_fma_f64 v[36:37], -v[48:49], v[150:151], v[36:37]
	ds_read2_b64 v[148:151], v134 offset0:50 offset1:51
	s_waitcnt lgkmcnt(0)
	v_fma_f64 v[34:35], -v[48:49], v[140:141], v[34:35]
	v_fma_f64 v[32:33], -v[48:49], v[142:143], v[32:33]
	;; [unrolled: 1-line block ×3, first 2 shown]
	ds_read2_b64 v[140:143], v134 offset0:52 offset1:53
	v_fma_f64 v[28:29], -v[48:49], v[146:147], v[28:29]
	ds_read2_b64 v[144:147], v134 offset0:54 offset1:55
	v_fma_f64 v[26:27], -v[48:49], v[148:149], v[26:27]
	v_fma_f64 v[24:25], -v[48:49], v[150:151], v[24:25]
	s_waitcnt lgkmcnt(0)
	v_fma_f64 v[22:23], -v[48:49], v[140:141], v[22:23]
	ds_read2_b64 v[148:151], v134 offset0:56 offset1:57
	v_fma_f64 v[20:21], -v[48:49], v[142:143], v[20:21]
	ds_read2_b64 v[140:143], v134 offset0:58 offset1:59
	v_fma_f64 v[18:19], -v[48:49], v[144:145], v[18:19]
	v_fma_f64 v[16:17], -v[48:49], v[146:147], v[16:17]
	ds_read2_b64 v[144:147], v134 offset0:60 offset1:61
	s_waitcnt lgkmcnt(0)
	v_fma_f64 v[14:15], -v[48:49], v[148:149], v[14:15]
	v_fma_f64 v[12:13], -v[48:49], v[150:151], v[12:13]
	;; [unrolled: 1-line block ×7, first 2 shown]
.LBB124_675:
	s_or_b64 exec, exec, s[0:1]
	v_lshl_add_u32 v130, v135, 3, v134
	s_barrier
	ds_write_b64 v130, v[46:47]
	s_waitcnt lgkmcnt(0)
	s_barrier
	ds_read_b64 v[130:131], v134 offset:320
	s_cmp_lt_i32 s18, 42
	v_mov_b32_e32 v132, 40
	s_cbranch_scc1 .LBB124_678
; %bb.676:
	v_add_u32_e32 v139, 0x148, v134
	s_mov_b32 s0, 41
	v_mov_b32_e32 v132, 40
.LBB124_677:                            ; =>This Inner Loop Header: Depth=1
	ds_read_b64 v[140:141], v139
	v_mov_b32_e32 v142, s0
	s_add_i32 s0, s0, 1
	v_add_u32_e32 v139, 8, v139
	s_cmp_lg_u32 s18, s0
	s_waitcnt lgkmcnt(0)
	v_cmp_lt_f64_e64 vcc, |v[130:131]|, |v[140:141]|
	v_cndmask_b32_e32 v131, v131, v141, vcc
	v_cndmask_b32_e32 v130, v130, v140, vcc
	;; [unrolled: 1-line block ×3, first 2 shown]
	s_cbranch_scc1 .LBB124_677
.LBB124_678:
	s_waitcnt lgkmcnt(0)
	v_cmp_eq_f64_e32 vcc, 0, v[130:131]
	s_and_saveexec_b64 s[0:1], vcc
	s_xor_b64 s[0:1], exec, s[0:1]
; %bb.679:
	v_cmp_ne_u32_e32 vcc, 0, v138
	v_cndmask_b32_e32 v138, 41, v138, vcc
; %bb.680:
	s_andn2_saveexec_b64 s[0:1], s[0:1]
; %bb.681:
	v_div_scale_f64 v[140:141], s[2:3], v[130:131], v[130:131], 1.0
	v_rcp_f64_e32 v[142:143], v[140:141]
	v_div_scale_f64 v[144:145], vcc, 1.0, v[130:131], 1.0
	v_fma_f64 v[146:147], -v[140:141], v[142:143], 1.0
	v_fmac_f64_e32 v[142:143], v[142:143], v[146:147]
	v_fma_f64 v[146:147], -v[140:141], v[142:143], 1.0
	v_fmac_f64_e32 v[142:143], v[142:143], v[146:147]
	v_mul_f64 v[146:147], v[144:145], v[142:143]
	v_fma_f64 v[140:141], -v[140:141], v[146:147], v[144:145]
	v_div_fmas_f64 v[140:141], v[140:141], v[142:143], v[146:147]
	v_div_fixup_f64 v[130:131], v[140:141], v[130:131], 1.0
; %bb.682:
	s_or_b64 exec, exec, s[0:1]
	v_cmp_ne_u32_e32 vcc, v135, v132
	s_and_saveexec_b64 s[0:1], vcc
	s_xor_b64 s[0:1], exec, s[0:1]
	s_cbranch_execz .LBB124_688
; %bb.683:
	v_cmp_eq_u32_e32 vcc, 40, v135
	s_and_saveexec_b64 s[2:3], vcc
	s_cbranch_execz .LBB124_687
; %bb.684:
	v_cmp_ne_u32_e32 vcc, 40, v132
	s_xor_b64 s[14:15], s[6:7], -1
	s_and_b64 s[16:17], s[14:15], vcc
	s_and_saveexec_b64 s[14:15], s[16:17]
	s_cbranch_execz .LBB124_686
; %bb.685:
	v_ashrrev_i32_e32 v133, 31, v132
	v_lshlrev_b64 v[140:141], 2, v[132:133]
	v_add_co_u32_e32 v140, vcc, v4, v140
	v_addc_co_u32_e32 v141, vcc, v5, v141, vcc
	flat_load_dword v133, v[140:141]
	flat_load_dword v135, v[4:5] offset:160
	s_waitcnt vmcnt(0) lgkmcnt(0)
	flat_store_dword v[4:5], v133 offset:160
	flat_store_dword v[140:141], v135
.LBB124_686:
	s_or_b64 exec, exec, s[14:15]
	v_mov_b32_e32 v133, v132
	v_mov_b32_e32 v135, v132
.LBB124_687:
	s_or_b64 exec, exec, s[2:3]
.LBB124_688:
	s_andn2_saveexec_b64 s[0:1], s[0:1]
	s_cbranch_execz .LBB124_690
; %bb.689:
	v_mov_b32_e32 v135, 40
	ds_write2_b64 v134, v[44:45], v[42:43] offset0:41 offset1:42
	ds_write2_b64 v134, v[40:41], v[38:39] offset0:43 offset1:44
	;; [unrolled: 1-line block ×11, first 2 shown]
.LBB124_690:
	s_or_b64 exec, exec, s[0:1]
	v_cmp_lt_i32_e32 vcc, 40, v135
	s_waitcnt lgkmcnt(0)
	s_barrier
	s_and_saveexec_b64 s[0:1], vcc
	s_cbranch_execz .LBB124_692
; %bb.691:
	ds_read2_b64 v[140:143], v134 offset0:41 offset1:42
	ds_read2_b64 v[144:147], v134 offset0:43 offset1:44
	v_mul_f64 v[46:47], v[130:131], v[46:47]
	ds_read2_b64 v[148:151], v134 offset0:45 offset1:46
	s_waitcnt lgkmcnt(0)
	v_fma_f64 v[44:45], -v[46:47], v[140:141], v[44:45]
	v_fma_f64 v[42:43], -v[46:47], v[142:143], v[42:43]
	ds_read2_b64 v[140:143], v134 offset0:47 offset1:48
	v_fma_f64 v[40:41], -v[46:47], v[144:145], v[40:41]
	v_fma_f64 v[38:39], -v[46:47], v[146:147], v[38:39]
	ds_read2_b64 v[144:147], v134 offset0:49 offset1:50
	;; [unrolled: 3-line block ×3, first 2 shown]
	s_waitcnt lgkmcnt(0)
	v_fma_f64 v[32:33], -v[46:47], v[140:141], v[32:33]
	v_fma_f64 v[30:31], -v[46:47], v[142:143], v[30:31]
	;; [unrolled: 1-line block ×3, first 2 shown]
	ds_read2_b64 v[140:143], v134 offset0:53 offset1:54
	v_fma_f64 v[26:27], -v[46:47], v[146:147], v[26:27]
	ds_read2_b64 v[144:147], v134 offset0:55 offset1:56
	v_fma_f64 v[24:25], -v[46:47], v[148:149], v[24:25]
	v_fma_f64 v[22:23], -v[46:47], v[150:151], v[22:23]
	s_waitcnt lgkmcnt(0)
	v_fma_f64 v[20:21], -v[46:47], v[140:141], v[20:21]
	v_fma_f64 v[18:19], -v[46:47], v[142:143], v[18:19]
	ds_read2_b64 v[140:143], v134 offset0:57 offset1:58
	ds_read2_b64 v[148:151], v134 offset0:59 offset1:60
	v_fma_f64 v[16:17], -v[46:47], v[144:145], v[16:17]
	v_fma_f64 v[14:15], -v[46:47], v[146:147], v[14:15]
	ds_read2_b64 v[144:147], v134 offset0:61 offset1:62
	s_waitcnt lgkmcnt(0)
	v_fma_f64 v[12:13], -v[46:47], v[140:141], v[12:13]
	v_fma_f64 v[10:11], -v[46:47], v[142:143], v[10:11]
	;; [unrolled: 1-line block ×6, first 2 shown]
.LBB124_692:
	s_or_b64 exec, exec, s[0:1]
	v_lshl_add_u32 v130, v135, 3, v134
	s_barrier
	ds_write_b64 v130, v[44:45]
	s_waitcnt lgkmcnt(0)
	s_barrier
	ds_read_b64 v[130:131], v134 offset:328
	s_cmp_lt_i32 s18, 43
	v_mov_b32_e32 v132, 41
	s_cbranch_scc1 .LBB124_695
; %bb.693:
	v_add_u32_e32 v139, 0x150, v134
	s_mov_b32 s0, 42
	v_mov_b32_e32 v132, 41
.LBB124_694:                            ; =>This Inner Loop Header: Depth=1
	ds_read_b64 v[140:141], v139
	v_mov_b32_e32 v142, s0
	s_add_i32 s0, s0, 1
	v_add_u32_e32 v139, 8, v139
	s_cmp_lg_u32 s18, s0
	s_waitcnt lgkmcnt(0)
	v_cmp_lt_f64_e64 vcc, |v[130:131]|, |v[140:141]|
	v_cndmask_b32_e32 v131, v131, v141, vcc
	v_cndmask_b32_e32 v130, v130, v140, vcc
	;; [unrolled: 1-line block ×3, first 2 shown]
	s_cbranch_scc1 .LBB124_694
.LBB124_695:
	s_waitcnt lgkmcnt(0)
	v_cmp_eq_f64_e32 vcc, 0, v[130:131]
	s_and_saveexec_b64 s[0:1], vcc
	s_xor_b64 s[0:1], exec, s[0:1]
; %bb.696:
	v_cmp_ne_u32_e32 vcc, 0, v138
	v_cndmask_b32_e32 v138, 42, v138, vcc
; %bb.697:
	s_andn2_saveexec_b64 s[0:1], s[0:1]
; %bb.698:
	v_div_scale_f64 v[140:141], s[2:3], v[130:131], v[130:131], 1.0
	v_rcp_f64_e32 v[142:143], v[140:141]
	v_div_scale_f64 v[144:145], vcc, 1.0, v[130:131], 1.0
	v_fma_f64 v[146:147], -v[140:141], v[142:143], 1.0
	v_fmac_f64_e32 v[142:143], v[142:143], v[146:147]
	v_fma_f64 v[146:147], -v[140:141], v[142:143], 1.0
	v_fmac_f64_e32 v[142:143], v[142:143], v[146:147]
	v_mul_f64 v[146:147], v[144:145], v[142:143]
	v_fma_f64 v[140:141], -v[140:141], v[146:147], v[144:145]
	v_div_fmas_f64 v[140:141], v[140:141], v[142:143], v[146:147]
	v_div_fixup_f64 v[130:131], v[140:141], v[130:131], 1.0
; %bb.699:
	s_or_b64 exec, exec, s[0:1]
	v_cmp_ne_u32_e32 vcc, v135, v132
	s_and_saveexec_b64 s[0:1], vcc
	s_xor_b64 s[0:1], exec, s[0:1]
	s_cbranch_execz .LBB124_705
; %bb.700:
	v_cmp_eq_u32_e32 vcc, 41, v135
	s_and_saveexec_b64 s[2:3], vcc
	s_cbranch_execz .LBB124_704
; %bb.701:
	v_cmp_ne_u32_e32 vcc, 41, v132
	s_xor_b64 s[14:15], s[6:7], -1
	s_and_b64 s[16:17], s[14:15], vcc
	s_and_saveexec_b64 s[14:15], s[16:17]
	s_cbranch_execz .LBB124_703
; %bb.702:
	v_ashrrev_i32_e32 v133, 31, v132
	v_lshlrev_b64 v[140:141], 2, v[132:133]
	v_add_co_u32_e32 v140, vcc, v4, v140
	v_addc_co_u32_e32 v141, vcc, v5, v141, vcc
	flat_load_dword v133, v[140:141]
	flat_load_dword v135, v[4:5] offset:164
	s_waitcnt vmcnt(0) lgkmcnt(0)
	flat_store_dword v[4:5], v133 offset:164
	flat_store_dword v[140:141], v135
.LBB124_703:
	s_or_b64 exec, exec, s[14:15]
	v_mov_b32_e32 v133, v132
	v_mov_b32_e32 v135, v132
.LBB124_704:
	s_or_b64 exec, exec, s[2:3]
.LBB124_705:
	s_andn2_saveexec_b64 s[0:1], s[0:1]
	s_cbranch_execz .LBB124_707
; %bb.706:
	v_mov_b32_e32 v140, v42
	v_mov_b32_e32 v141, v43
	v_mov_b32_e32 v142, v40
	v_mov_b32_e32 v143, v41
	ds_write2_b64 v134, v[140:141], v[142:143] offset0:42 offset1:43
	v_mov_b32_e32 v140, v38
	v_mov_b32_e32 v141, v39
	v_mov_b32_e32 v142, v36
	v_mov_b32_e32 v143, v37
	ds_write2_b64 v134, v[140:141], v[142:143] offset0:44 offset1:45
	;; [unrolled: 5-line block ×9, first 2 shown]
	v_mov_b32_e32 v140, v6
	v_mov_b32_e32 v141, v7
	;; [unrolled: 1-line block ×5, first 2 shown]
	ds_write2_b64 v134, v[140:141], v[142:143] offset0:60 offset1:61
	ds_write_b64 v134, v[128:129] offset:496
.LBB124_707:
	s_or_b64 exec, exec, s[0:1]
	v_cmp_lt_i32_e32 vcc, 41, v135
	s_waitcnt lgkmcnt(0)
	s_barrier
	s_and_saveexec_b64 s[0:1], vcc
	s_cbranch_execz .LBB124_709
; %bb.708:
	ds_read2_b64 v[140:143], v134 offset0:42 offset1:43
	ds_read2_b64 v[144:147], v134 offset0:44 offset1:45
	v_mul_f64 v[44:45], v[130:131], v[44:45]
	ds_read2_b64 v[148:151], v134 offset0:46 offset1:47
	ds_read_b64 v[130:131], v134 offset:496
	s_waitcnt lgkmcnt(0)
	v_fma_f64 v[42:43], -v[44:45], v[140:141], v[42:43]
	v_fma_f64 v[40:41], -v[44:45], v[142:143], v[40:41]
	ds_read2_b64 v[140:143], v134 offset0:48 offset1:49
	v_fma_f64 v[38:39], -v[44:45], v[144:145], v[38:39]
	v_fma_f64 v[36:37], -v[44:45], v[146:147], v[36:37]
	;; [unrolled: 1-line block ×3, first 2 shown]
	ds_read2_b64 v[144:147], v134 offset0:50 offset1:51
	v_fma_f64 v[32:33], -v[44:45], v[150:151], v[32:33]
	ds_read2_b64 v[148:151], v134 offset0:52 offset1:53
	s_waitcnt lgkmcnt(0)
	v_fma_f64 v[30:31], -v[44:45], v[140:141], v[30:31]
	v_fma_f64 v[28:29], -v[44:45], v[142:143], v[28:29]
	ds_read2_b64 v[140:143], v134 offset0:54 offset1:55
	v_fma_f64 v[26:27], -v[44:45], v[144:145], v[26:27]
	v_fma_f64 v[24:25], -v[44:45], v[146:147], v[24:25]
	ds_read2_b64 v[144:147], v134 offset0:56 offset1:57
	v_fma_f64 v[22:23], -v[44:45], v[148:149], v[22:23]
	v_fma_f64 v[20:21], -v[44:45], v[150:151], v[20:21]
	s_waitcnt lgkmcnt(0)
	v_fma_f64 v[18:19], -v[44:45], v[140:141], v[18:19]
	v_fma_f64 v[16:17], -v[44:45], v[142:143], v[16:17]
	ds_read2_b64 v[140:143], v134 offset0:58 offset1:59
	ds_read2_b64 v[148:151], v134 offset0:60 offset1:61
	v_fma_f64 v[14:15], -v[44:45], v[144:145], v[14:15]
	v_fma_f64 v[12:13], -v[44:45], v[146:147], v[12:13]
	;; [unrolled: 1-line block ×3, first 2 shown]
	s_waitcnt lgkmcnt(0)
	v_fma_f64 v[10:11], -v[44:45], v[140:141], v[10:11]
	v_fma_f64 v[8:9], -v[44:45], v[142:143], v[8:9]
	v_fma_f64 v[6:7], -v[44:45], v[148:149], v[6:7]
	v_fma_f64 v[0:1], -v[44:45], v[150:151], v[0:1]
.LBB124_709:
	s_or_b64 exec, exec, s[0:1]
	v_lshl_add_u32 v130, v135, 3, v134
	s_barrier
	ds_write_b64 v130, v[42:43]
	s_waitcnt lgkmcnt(0)
	s_barrier
	ds_read_b64 v[130:131], v134 offset:336
	s_cmp_lt_i32 s18, 44
	v_mov_b32_e32 v132, 42
	s_cbranch_scc1 .LBB124_712
; %bb.710:
	v_add_u32_e32 v139, 0x158, v134
	s_mov_b32 s0, 43
	v_mov_b32_e32 v132, 42
.LBB124_711:                            ; =>This Inner Loop Header: Depth=1
	ds_read_b64 v[140:141], v139
	v_mov_b32_e32 v142, s0
	s_add_i32 s0, s0, 1
	v_add_u32_e32 v139, 8, v139
	s_cmp_lg_u32 s18, s0
	s_waitcnt lgkmcnt(0)
	v_cmp_lt_f64_e64 vcc, |v[130:131]|, |v[140:141]|
	v_cndmask_b32_e32 v131, v131, v141, vcc
	v_cndmask_b32_e32 v130, v130, v140, vcc
	v_cndmask_b32_e32 v132, v132, v142, vcc
	s_cbranch_scc1 .LBB124_711
.LBB124_712:
	s_waitcnt lgkmcnt(0)
	v_cmp_eq_f64_e32 vcc, 0, v[130:131]
	s_and_saveexec_b64 s[0:1], vcc
	s_xor_b64 s[0:1], exec, s[0:1]
; %bb.713:
	v_cmp_ne_u32_e32 vcc, 0, v138
	v_cndmask_b32_e32 v138, 43, v138, vcc
; %bb.714:
	s_andn2_saveexec_b64 s[0:1], s[0:1]
; %bb.715:
	v_div_scale_f64 v[140:141], s[2:3], v[130:131], v[130:131], 1.0
	v_rcp_f64_e32 v[142:143], v[140:141]
	v_div_scale_f64 v[144:145], vcc, 1.0, v[130:131], 1.0
	v_fma_f64 v[146:147], -v[140:141], v[142:143], 1.0
	v_fmac_f64_e32 v[142:143], v[142:143], v[146:147]
	v_fma_f64 v[146:147], -v[140:141], v[142:143], 1.0
	v_fmac_f64_e32 v[142:143], v[142:143], v[146:147]
	v_mul_f64 v[146:147], v[144:145], v[142:143]
	v_fma_f64 v[140:141], -v[140:141], v[146:147], v[144:145]
	v_div_fmas_f64 v[140:141], v[140:141], v[142:143], v[146:147]
	v_div_fixup_f64 v[130:131], v[140:141], v[130:131], 1.0
; %bb.716:
	s_or_b64 exec, exec, s[0:1]
	v_cmp_ne_u32_e32 vcc, v135, v132
	s_and_saveexec_b64 s[0:1], vcc
	s_xor_b64 s[0:1], exec, s[0:1]
	s_cbranch_execz .LBB124_722
; %bb.717:
	v_cmp_eq_u32_e32 vcc, 42, v135
	s_and_saveexec_b64 s[2:3], vcc
	s_cbranch_execz .LBB124_721
; %bb.718:
	v_cmp_ne_u32_e32 vcc, 42, v132
	s_xor_b64 s[14:15], s[6:7], -1
	s_and_b64 s[16:17], s[14:15], vcc
	s_and_saveexec_b64 s[14:15], s[16:17]
	s_cbranch_execz .LBB124_720
; %bb.719:
	v_ashrrev_i32_e32 v133, 31, v132
	v_lshlrev_b64 v[140:141], 2, v[132:133]
	v_add_co_u32_e32 v140, vcc, v4, v140
	v_addc_co_u32_e32 v141, vcc, v5, v141, vcc
	flat_load_dword v133, v[140:141]
	flat_load_dword v135, v[4:5] offset:168
	s_waitcnt vmcnt(0) lgkmcnt(0)
	flat_store_dword v[4:5], v133 offset:168
	flat_store_dword v[140:141], v135
.LBB124_720:
	s_or_b64 exec, exec, s[14:15]
	v_mov_b32_e32 v133, v132
	v_mov_b32_e32 v135, v132
.LBB124_721:
	s_or_b64 exec, exec, s[2:3]
.LBB124_722:
	s_andn2_saveexec_b64 s[0:1], s[0:1]
	s_cbranch_execz .LBB124_724
; %bb.723:
	v_mov_b32_e32 v135, 42
	ds_write2_b64 v134, v[40:41], v[38:39] offset0:43 offset1:44
	ds_write2_b64 v134, v[36:37], v[34:35] offset0:45 offset1:46
	;; [unrolled: 1-line block ×10, first 2 shown]
.LBB124_724:
	s_or_b64 exec, exec, s[0:1]
	v_cmp_lt_i32_e32 vcc, 42, v135
	s_waitcnt lgkmcnt(0)
	s_barrier
	s_and_saveexec_b64 s[0:1], vcc
	s_cbranch_execz .LBB124_726
; %bb.725:
	ds_read2_b64 v[140:143], v134 offset0:43 offset1:44
	ds_read2_b64 v[144:147], v134 offset0:45 offset1:46
	v_mul_f64 v[42:43], v[130:131], v[42:43]
	ds_read2_b64 v[148:151], v134 offset0:47 offset1:48
	s_waitcnt lgkmcnt(0)
	v_fma_f64 v[40:41], -v[42:43], v[140:141], v[40:41]
	v_fma_f64 v[38:39], -v[42:43], v[142:143], v[38:39]
	ds_read2_b64 v[140:143], v134 offset0:49 offset1:50
	v_fma_f64 v[36:37], -v[42:43], v[144:145], v[36:37]
	v_fma_f64 v[34:35], -v[42:43], v[146:147], v[34:35]
	;; [unrolled: 1-line block ×3, first 2 shown]
	ds_read2_b64 v[144:147], v134 offset0:51 offset1:52
	v_fma_f64 v[30:31], -v[42:43], v[150:151], v[30:31]
	ds_read2_b64 v[148:151], v134 offset0:53 offset1:54
	s_waitcnt lgkmcnt(0)
	v_fma_f64 v[28:29], -v[42:43], v[140:141], v[28:29]
	v_fma_f64 v[26:27], -v[42:43], v[142:143], v[26:27]
	ds_read2_b64 v[140:143], v134 offset0:55 offset1:56
	v_fma_f64 v[24:25], -v[42:43], v[144:145], v[24:25]
	v_fma_f64 v[22:23], -v[42:43], v[146:147], v[22:23]
	ds_read2_b64 v[144:147], v134 offset0:57 offset1:58
	v_fma_f64 v[20:21], -v[42:43], v[148:149], v[20:21]
	v_fma_f64 v[18:19], -v[42:43], v[150:151], v[18:19]
	s_waitcnt lgkmcnt(0)
	v_fma_f64 v[16:17], -v[42:43], v[140:141], v[16:17]
	ds_read2_b64 v[148:151], v134 offset0:59 offset1:60
	v_fma_f64 v[14:15], -v[42:43], v[142:143], v[14:15]
	ds_read2_b64 v[140:143], v134 offset0:61 offset1:62
	v_fma_f64 v[12:13], -v[42:43], v[144:145], v[12:13]
	v_fma_f64 v[10:11], -v[42:43], v[146:147], v[10:11]
	s_waitcnt lgkmcnt(0)
	v_fma_f64 v[8:9], -v[42:43], v[148:149], v[8:9]
	v_fma_f64 v[6:7], -v[42:43], v[150:151], v[6:7]
	;; [unrolled: 1-line block ×4, first 2 shown]
.LBB124_726:
	s_or_b64 exec, exec, s[0:1]
	v_lshl_add_u32 v130, v135, 3, v134
	s_barrier
	ds_write_b64 v130, v[40:41]
	s_waitcnt lgkmcnt(0)
	s_barrier
	ds_read_b64 v[130:131], v134 offset:344
	s_cmp_lt_i32 s18, 45
	v_mov_b32_e32 v132, 43
	s_cbranch_scc1 .LBB124_729
; %bb.727:
	v_add_u32_e32 v139, 0x160, v134
	s_mov_b32 s0, 44
	v_mov_b32_e32 v132, 43
.LBB124_728:                            ; =>This Inner Loop Header: Depth=1
	ds_read_b64 v[140:141], v139
	v_mov_b32_e32 v142, s0
	s_add_i32 s0, s0, 1
	v_add_u32_e32 v139, 8, v139
	s_cmp_lg_u32 s18, s0
	s_waitcnt lgkmcnt(0)
	v_cmp_lt_f64_e64 vcc, |v[130:131]|, |v[140:141]|
	v_cndmask_b32_e32 v131, v131, v141, vcc
	v_cndmask_b32_e32 v130, v130, v140, vcc
	;; [unrolled: 1-line block ×3, first 2 shown]
	s_cbranch_scc1 .LBB124_728
.LBB124_729:
	s_waitcnt lgkmcnt(0)
	v_cmp_eq_f64_e32 vcc, 0, v[130:131]
	s_and_saveexec_b64 s[0:1], vcc
	s_xor_b64 s[0:1], exec, s[0:1]
; %bb.730:
	v_cmp_ne_u32_e32 vcc, 0, v138
	v_cndmask_b32_e32 v138, 44, v138, vcc
; %bb.731:
	s_andn2_saveexec_b64 s[0:1], s[0:1]
; %bb.732:
	v_div_scale_f64 v[140:141], s[2:3], v[130:131], v[130:131], 1.0
	v_rcp_f64_e32 v[142:143], v[140:141]
	v_div_scale_f64 v[144:145], vcc, 1.0, v[130:131], 1.0
	v_fma_f64 v[146:147], -v[140:141], v[142:143], 1.0
	v_fmac_f64_e32 v[142:143], v[142:143], v[146:147]
	v_fma_f64 v[146:147], -v[140:141], v[142:143], 1.0
	v_fmac_f64_e32 v[142:143], v[142:143], v[146:147]
	v_mul_f64 v[146:147], v[144:145], v[142:143]
	v_fma_f64 v[140:141], -v[140:141], v[146:147], v[144:145]
	v_div_fmas_f64 v[140:141], v[140:141], v[142:143], v[146:147]
	v_div_fixup_f64 v[130:131], v[140:141], v[130:131], 1.0
; %bb.733:
	s_or_b64 exec, exec, s[0:1]
	v_cmp_ne_u32_e32 vcc, v135, v132
	s_and_saveexec_b64 s[0:1], vcc
	s_xor_b64 s[0:1], exec, s[0:1]
	s_cbranch_execz .LBB124_739
; %bb.734:
	v_cmp_eq_u32_e32 vcc, 43, v135
	s_and_saveexec_b64 s[2:3], vcc
	s_cbranch_execz .LBB124_738
; %bb.735:
	v_cmp_ne_u32_e32 vcc, 43, v132
	s_xor_b64 s[14:15], s[6:7], -1
	s_and_b64 s[16:17], s[14:15], vcc
	s_and_saveexec_b64 s[14:15], s[16:17]
	s_cbranch_execz .LBB124_737
; %bb.736:
	v_ashrrev_i32_e32 v133, 31, v132
	v_lshlrev_b64 v[140:141], 2, v[132:133]
	v_add_co_u32_e32 v140, vcc, v4, v140
	v_addc_co_u32_e32 v141, vcc, v5, v141, vcc
	flat_load_dword v133, v[140:141]
	flat_load_dword v135, v[4:5] offset:172
	s_waitcnt vmcnt(0) lgkmcnt(0)
	flat_store_dword v[4:5], v133 offset:172
	flat_store_dword v[140:141], v135
.LBB124_737:
	s_or_b64 exec, exec, s[14:15]
	v_mov_b32_e32 v133, v132
	v_mov_b32_e32 v135, v132
.LBB124_738:
	s_or_b64 exec, exec, s[2:3]
.LBB124_739:
	s_andn2_saveexec_b64 s[0:1], s[0:1]
	s_cbranch_execz .LBB124_741
; %bb.740:
	v_mov_b32_e32 v140, v38
	v_mov_b32_e32 v141, v39
	v_mov_b32_e32 v142, v36
	v_mov_b32_e32 v143, v37
	ds_write2_b64 v134, v[140:141], v[142:143] offset0:44 offset1:45
	v_mov_b32_e32 v140, v34
	v_mov_b32_e32 v141, v35
	v_mov_b32_e32 v142, v32
	v_mov_b32_e32 v143, v33
	ds_write2_b64 v134, v[140:141], v[142:143] offset0:46 offset1:47
	;; [unrolled: 5-line block ×8, first 2 shown]
	v_mov_b32_e32 v140, v6
	v_mov_b32_e32 v141, v7
	;; [unrolled: 1-line block ×5, first 2 shown]
	ds_write2_b64 v134, v[140:141], v[142:143] offset0:60 offset1:61
	ds_write_b64 v134, v[128:129] offset:496
.LBB124_741:
	s_or_b64 exec, exec, s[0:1]
	v_cmp_lt_i32_e32 vcc, 43, v135
	s_waitcnt lgkmcnt(0)
	s_barrier
	s_and_saveexec_b64 s[0:1], vcc
	s_cbranch_execz .LBB124_743
; %bb.742:
	ds_read2_b64 v[140:143], v134 offset0:44 offset1:45
	ds_read2_b64 v[144:147], v134 offset0:46 offset1:47
	;; [unrolled: 1-line block ×3, first 2 shown]
	v_mul_f64 v[40:41], v[130:131], v[40:41]
	ds_read_b64 v[130:131], v134 offset:496
	s_waitcnt lgkmcnt(0)
	v_fma_f64 v[38:39], -v[40:41], v[140:141], v[38:39]
	v_fma_f64 v[36:37], -v[40:41], v[142:143], v[36:37]
	ds_read2_b64 v[140:143], v134 offset0:50 offset1:51
	v_fma_f64 v[34:35], -v[40:41], v[144:145], v[34:35]
	v_fma_f64 v[32:33], -v[40:41], v[146:147], v[32:33]
	;; [unrolled: 1-line block ×3, first 2 shown]
	ds_read2_b64 v[144:147], v134 offset0:52 offset1:53
	v_fma_f64 v[28:29], -v[40:41], v[150:151], v[28:29]
	ds_read2_b64 v[148:151], v134 offset0:54 offset1:55
	s_waitcnt lgkmcnt(0)
	v_fma_f64 v[26:27], -v[40:41], v[140:141], v[26:27]
	v_fma_f64 v[24:25], -v[40:41], v[142:143], v[24:25]
	v_fma_f64 v[22:23], -v[40:41], v[144:145], v[22:23]
	ds_read2_b64 v[140:143], v134 offset0:56 offset1:57
	v_fma_f64 v[20:21], -v[40:41], v[146:147], v[20:21]
	ds_read2_b64 v[144:147], v134 offset0:58 offset1:59
	v_fma_f64 v[18:19], -v[40:41], v[148:149], v[18:19]
	v_fma_f64 v[16:17], -v[40:41], v[150:151], v[16:17]
	ds_read2_b64 v[148:151], v134 offset0:60 offset1:61
	s_waitcnt lgkmcnt(0)
	v_fma_f64 v[14:15], -v[40:41], v[140:141], v[14:15]
	v_fma_f64 v[12:13], -v[40:41], v[142:143], v[12:13]
	;; [unrolled: 1-line block ×7, first 2 shown]
.LBB124_743:
	s_or_b64 exec, exec, s[0:1]
	v_lshl_add_u32 v130, v135, 3, v134
	s_barrier
	ds_write_b64 v130, v[38:39]
	s_waitcnt lgkmcnt(0)
	s_barrier
	ds_read_b64 v[130:131], v134 offset:352
	s_cmp_lt_i32 s18, 46
	v_mov_b32_e32 v132, 44
	s_cbranch_scc1 .LBB124_746
; %bb.744:
	v_add_u32_e32 v139, 0x168, v134
	s_mov_b32 s0, 45
	v_mov_b32_e32 v132, 44
.LBB124_745:                            ; =>This Inner Loop Header: Depth=1
	ds_read_b64 v[140:141], v139
	v_mov_b32_e32 v142, s0
	s_add_i32 s0, s0, 1
	v_add_u32_e32 v139, 8, v139
	s_cmp_lg_u32 s18, s0
	s_waitcnt lgkmcnt(0)
	v_cmp_lt_f64_e64 vcc, |v[130:131]|, |v[140:141]|
	v_cndmask_b32_e32 v131, v131, v141, vcc
	v_cndmask_b32_e32 v130, v130, v140, vcc
	;; [unrolled: 1-line block ×3, first 2 shown]
	s_cbranch_scc1 .LBB124_745
.LBB124_746:
	s_waitcnt lgkmcnt(0)
	v_cmp_eq_f64_e32 vcc, 0, v[130:131]
	s_and_saveexec_b64 s[0:1], vcc
	s_xor_b64 s[0:1], exec, s[0:1]
; %bb.747:
	v_cmp_ne_u32_e32 vcc, 0, v138
	v_cndmask_b32_e32 v138, 45, v138, vcc
; %bb.748:
	s_andn2_saveexec_b64 s[0:1], s[0:1]
; %bb.749:
	v_div_scale_f64 v[140:141], s[2:3], v[130:131], v[130:131], 1.0
	v_rcp_f64_e32 v[142:143], v[140:141]
	v_div_scale_f64 v[144:145], vcc, 1.0, v[130:131], 1.0
	v_fma_f64 v[146:147], -v[140:141], v[142:143], 1.0
	v_fmac_f64_e32 v[142:143], v[142:143], v[146:147]
	v_fma_f64 v[146:147], -v[140:141], v[142:143], 1.0
	v_fmac_f64_e32 v[142:143], v[142:143], v[146:147]
	v_mul_f64 v[146:147], v[144:145], v[142:143]
	v_fma_f64 v[140:141], -v[140:141], v[146:147], v[144:145]
	v_div_fmas_f64 v[140:141], v[140:141], v[142:143], v[146:147]
	v_div_fixup_f64 v[130:131], v[140:141], v[130:131], 1.0
; %bb.750:
	s_or_b64 exec, exec, s[0:1]
	v_cmp_ne_u32_e32 vcc, v135, v132
	s_and_saveexec_b64 s[0:1], vcc
	s_xor_b64 s[0:1], exec, s[0:1]
	s_cbranch_execz .LBB124_756
; %bb.751:
	v_cmp_eq_u32_e32 vcc, 44, v135
	s_and_saveexec_b64 s[2:3], vcc
	s_cbranch_execz .LBB124_755
; %bb.752:
	v_cmp_ne_u32_e32 vcc, 44, v132
	s_xor_b64 s[14:15], s[6:7], -1
	s_and_b64 s[16:17], s[14:15], vcc
	s_and_saveexec_b64 s[14:15], s[16:17]
	s_cbranch_execz .LBB124_754
; %bb.753:
	v_ashrrev_i32_e32 v133, 31, v132
	v_lshlrev_b64 v[140:141], 2, v[132:133]
	v_add_co_u32_e32 v140, vcc, v4, v140
	v_addc_co_u32_e32 v141, vcc, v5, v141, vcc
	flat_load_dword v133, v[140:141]
	flat_load_dword v135, v[4:5] offset:176
	s_waitcnt vmcnt(0) lgkmcnt(0)
	flat_store_dword v[4:5], v133 offset:176
	flat_store_dword v[140:141], v135
.LBB124_754:
	s_or_b64 exec, exec, s[14:15]
	v_mov_b32_e32 v133, v132
	v_mov_b32_e32 v135, v132
.LBB124_755:
	s_or_b64 exec, exec, s[2:3]
.LBB124_756:
	s_andn2_saveexec_b64 s[0:1], s[0:1]
	s_cbranch_execz .LBB124_758
; %bb.757:
	v_mov_b32_e32 v135, 44
	ds_write2_b64 v134, v[36:37], v[34:35] offset0:45 offset1:46
	ds_write2_b64 v134, v[32:33], v[30:31] offset0:47 offset1:48
	;; [unrolled: 1-line block ×9, first 2 shown]
.LBB124_758:
	s_or_b64 exec, exec, s[0:1]
	v_cmp_lt_i32_e32 vcc, 44, v135
	s_waitcnt lgkmcnt(0)
	s_barrier
	s_and_saveexec_b64 s[0:1], vcc
	s_cbranch_execz .LBB124_760
; %bb.759:
	ds_read2_b64 v[140:143], v134 offset0:45 offset1:46
	ds_read2_b64 v[144:147], v134 offset0:47 offset1:48
	;; [unrolled: 1-line block ×3, first 2 shown]
	v_mul_f64 v[38:39], v[130:131], v[38:39]
	s_waitcnt lgkmcnt(0)
	v_fma_f64 v[36:37], -v[38:39], v[140:141], v[36:37]
	v_fma_f64 v[34:35], -v[38:39], v[142:143], v[34:35]
	ds_read2_b64 v[140:143], v134 offset0:51 offset1:52
	v_fma_f64 v[32:33], -v[38:39], v[144:145], v[32:33]
	v_fma_f64 v[30:31], -v[38:39], v[146:147], v[30:31]
	;; [unrolled: 1-line block ×3, first 2 shown]
	ds_read2_b64 v[144:147], v134 offset0:53 offset1:54
	v_fma_f64 v[26:27], -v[38:39], v[150:151], v[26:27]
	ds_read2_b64 v[148:151], v134 offset0:55 offset1:56
	s_waitcnt lgkmcnt(0)
	v_fma_f64 v[24:25], -v[38:39], v[140:141], v[24:25]
	v_fma_f64 v[22:23], -v[38:39], v[142:143], v[22:23]
	;; [unrolled: 1-line block ×4, first 2 shown]
	ds_read2_b64 v[140:143], v134 offset0:57 offset1:58
	ds_read2_b64 v[144:147], v134 offset0:59 offset1:60
	v_fma_f64 v[16:17], -v[38:39], v[148:149], v[16:17]
	v_fma_f64 v[14:15], -v[38:39], v[150:151], v[14:15]
	ds_read2_b64 v[148:151], v134 offset0:61 offset1:62
	s_waitcnt lgkmcnt(0)
	v_fma_f64 v[12:13], -v[38:39], v[140:141], v[12:13]
	v_fma_f64 v[10:11], -v[38:39], v[142:143], v[10:11]
	;; [unrolled: 1-line block ×6, first 2 shown]
.LBB124_760:
	s_or_b64 exec, exec, s[0:1]
	v_lshl_add_u32 v130, v135, 3, v134
	s_barrier
	ds_write_b64 v130, v[36:37]
	s_waitcnt lgkmcnt(0)
	s_barrier
	ds_read_b64 v[130:131], v134 offset:360
	s_cmp_lt_i32 s18, 47
	v_mov_b32_e32 v132, 45
	s_cbranch_scc1 .LBB124_763
; %bb.761:
	v_add_u32_e32 v139, 0x170, v134
	s_mov_b32 s0, 46
	v_mov_b32_e32 v132, 45
.LBB124_762:                            ; =>This Inner Loop Header: Depth=1
	ds_read_b64 v[140:141], v139
	v_mov_b32_e32 v142, s0
	s_add_i32 s0, s0, 1
	v_add_u32_e32 v139, 8, v139
	s_cmp_lg_u32 s18, s0
	s_waitcnt lgkmcnt(0)
	v_cmp_lt_f64_e64 vcc, |v[130:131]|, |v[140:141]|
	v_cndmask_b32_e32 v131, v131, v141, vcc
	v_cndmask_b32_e32 v130, v130, v140, vcc
	;; [unrolled: 1-line block ×3, first 2 shown]
	s_cbranch_scc1 .LBB124_762
.LBB124_763:
	s_waitcnt lgkmcnt(0)
	v_cmp_eq_f64_e32 vcc, 0, v[130:131]
	s_and_saveexec_b64 s[0:1], vcc
	s_xor_b64 s[0:1], exec, s[0:1]
; %bb.764:
	v_cmp_ne_u32_e32 vcc, 0, v138
	v_cndmask_b32_e32 v138, 46, v138, vcc
; %bb.765:
	s_andn2_saveexec_b64 s[0:1], s[0:1]
; %bb.766:
	v_div_scale_f64 v[140:141], s[2:3], v[130:131], v[130:131], 1.0
	v_rcp_f64_e32 v[142:143], v[140:141]
	v_div_scale_f64 v[144:145], vcc, 1.0, v[130:131], 1.0
	v_fma_f64 v[146:147], -v[140:141], v[142:143], 1.0
	v_fmac_f64_e32 v[142:143], v[142:143], v[146:147]
	v_fma_f64 v[146:147], -v[140:141], v[142:143], 1.0
	v_fmac_f64_e32 v[142:143], v[142:143], v[146:147]
	v_mul_f64 v[146:147], v[144:145], v[142:143]
	v_fma_f64 v[140:141], -v[140:141], v[146:147], v[144:145]
	v_div_fmas_f64 v[140:141], v[140:141], v[142:143], v[146:147]
	v_div_fixup_f64 v[130:131], v[140:141], v[130:131], 1.0
; %bb.767:
	s_or_b64 exec, exec, s[0:1]
	v_cmp_ne_u32_e32 vcc, v135, v132
	s_and_saveexec_b64 s[0:1], vcc
	s_xor_b64 s[0:1], exec, s[0:1]
	s_cbranch_execz .LBB124_773
; %bb.768:
	v_cmp_eq_u32_e32 vcc, 45, v135
	s_and_saveexec_b64 s[2:3], vcc
	s_cbranch_execz .LBB124_772
; %bb.769:
	v_cmp_ne_u32_e32 vcc, 45, v132
	s_xor_b64 s[14:15], s[6:7], -1
	s_and_b64 s[16:17], s[14:15], vcc
	s_and_saveexec_b64 s[14:15], s[16:17]
	s_cbranch_execz .LBB124_771
; %bb.770:
	v_ashrrev_i32_e32 v133, 31, v132
	v_lshlrev_b64 v[140:141], 2, v[132:133]
	v_add_co_u32_e32 v140, vcc, v4, v140
	v_addc_co_u32_e32 v141, vcc, v5, v141, vcc
	flat_load_dword v133, v[140:141]
	flat_load_dword v135, v[4:5] offset:180
	s_waitcnt vmcnt(0) lgkmcnt(0)
	flat_store_dword v[4:5], v133 offset:180
	flat_store_dword v[140:141], v135
.LBB124_771:
	s_or_b64 exec, exec, s[14:15]
	v_mov_b32_e32 v133, v132
	v_mov_b32_e32 v135, v132
.LBB124_772:
	s_or_b64 exec, exec, s[2:3]
.LBB124_773:
	s_andn2_saveexec_b64 s[0:1], s[0:1]
	s_cbranch_execz .LBB124_775
; %bb.774:
	v_mov_b32_e32 v140, v34
	v_mov_b32_e32 v141, v35
	v_mov_b32_e32 v142, v32
	v_mov_b32_e32 v143, v33
	ds_write2_b64 v134, v[140:141], v[142:143] offset0:46 offset1:47
	v_mov_b32_e32 v140, v30
	v_mov_b32_e32 v141, v31
	v_mov_b32_e32 v142, v28
	v_mov_b32_e32 v143, v29
	ds_write2_b64 v134, v[140:141], v[142:143] offset0:48 offset1:49
	;; [unrolled: 5-line block ×7, first 2 shown]
	v_mov_b32_e32 v140, v6
	v_mov_b32_e32 v141, v7
	;; [unrolled: 1-line block ×5, first 2 shown]
	ds_write2_b64 v134, v[140:141], v[142:143] offset0:60 offset1:61
	ds_write_b64 v134, v[128:129] offset:496
.LBB124_775:
	s_or_b64 exec, exec, s[0:1]
	v_cmp_lt_i32_e32 vcc, 45, v135
	s_waitcnt lgkmcnt(0)
	s_barrier
	s_and_saveexec_b64 s[0:1], vcc
	s_cbranch_execz .LBB124_777
; %bb.776:
	ds_read2_b64 v[140:143], v134 offset0:46 offset1:47
	ds_read2_b64 v[144:147], v134 offset0:48 offset1:49
	v_mul_f64 v[36:37], v[130:131], v[36:37]
	ds_read2_b64 v[148:151], v134 offset0:50 offset1:51
	ds_read_b64 v[130:131], v134 offset:496
	s_waitcnt lgkmcnt(0)
	v_fma_f64 v[34:35], -v[36:37], v[140:141], v[34:35]
	v_fma_f64 v[32:33], -v[36:37], v[142:143], v[32:33]
	ds_read2_b64 v[140:143], v134 offset0:52 offset1:53
	v_fma_f64 v[30:31], -v[36:37], v[144:145], v[30:31]
	v_fma_f64 v[28:29], -v[36:37], v[146:147], v[28:29]
	ds_read2_b64 v[144:147], v134 offset0:54 offset1:55
	;; [unrolled: 3-line block ×3, first 2 shown]
	s_waitcnt lgkmcnt(0)
	v_fma_f64 v[22:23], -v[36:37], v[140:141], v[22:23]
	v_fma_f64 v[20:21], -v[36:37], v[142:143], v[20:21]
	;; [unrolled: 1-line block ×4, first 2 shown]
	ds_read2_b64 v[140:143], v134 offset0:58 offset1:59
	ds_read2_b64 v[144:147], v134 offset0:60 offset1:61
	v_fma_f64 v[14:15], -v[36:37], v[148:149], v[14:15]
	v_fma_f64 v[12:13], -v[36:37], v[150:151], v[12:13]
	;; [unrolled: 1-line block ×3, first 2 shown]
	s_waitcnt lgkmcnt(0)
	v_fma_f64 v[10:11], -v[36:37], v[140:141], v[10:11]
	v_fma_f64 v[8:9], -v[36:37], v[142:143], v[8:9]
	;; [unrolled: 1-line block ×4, first 2 shown]
.LBB124_777:
	s_or_b64 exec, exec, s[0:1]
	v_lshl_add_u32 v130, v135, 3, v134
	s_barrier
	ds_write_b64 v130, v[34:35]
	s_waitcnt lgkmcnt(0)
	s_barrier
	ds_read_b64 v[130:131], v134 offset:368
	s_cmp_lt_i32 s18, 48
	v_mov_b32_e32 v132, 46
	s_cbranch_scc1 .LBB124_780
; %bb.778:
	v_add_u32_e32 v139, 0x178, v134
	s_mov_b32 s0, 47
	v_mov_b32_e32 v132, 46
.LBB124_779:                            ; =>This Inner Loop Header: Depth=1
	ds_read_b64 v[140:141], v139
	v_mov_b32_e32 v142, s0
	s_add_i32 s0, s0, 1
	v_add_u32_e32 v139, 8, v139
	s_cmp_lg_u32 s18, s0
	s_waitcnt lgkmcnt(0)
	v_cmp_lt_f64_e64 vcc, |v[130:131]|, |v[140:141]|
	v_cndmask_b32_e32 v131, v131, v141, vcc
	v_cndmask_b32_e32 v130, v130, v140, vcc
	;; [unrolled: 1-line block ×3, first 2 shown]
	s_cbranch_scc1 .LBB124_779
.LBB124_780:
	s_waitcnt lgkmcnt(0)
	v_cmp_eq_f64_e32 vcc, 0, v[130:131]
	s_and_saveexec_b64 s[0:1], vcc
	s_xor_b64 s[0:1], exec, s[0:1]
; %bb.781:
	v_cmp_ne_u32_e32 vcc, 0, v138
	v_cndmask_b32_e32 v138, 47, v138, vcc
; %bb.782:
	s_andn2_saveexec_b64 s[0:1], s[0:1]
; %bb.783:
	v_div_scale_f64 v[140:141], s[2:3], v[130:131], v[130:131], 1.0
	v_rcp_f64_e32 v[142:143], v[140:141]
	v_div_scale_f64 v[144:145], vcc, 1.0, v[130:131], 1.0
	v_fma_f64 v[146:147], -v[140:141], v[142:143], 1.0
	v_fmac_f64_e32 v[142:143], v[142:143], v[146:147]
	v_fma_f64 v[146:147], -v[140:141], v[142:143], 1.0
	v_fmac_f64_e32 v[142:143], v[142:143], v[146:147]
	v_mul_f64 v[146:147], v[144:145], v[142:143]
	v_fma_f64 v[140:141], -v[140:141], v[146:147], v[144:145]
	v_div_fmas_f64 v[140:141], v[140:141], v[142:143], v[146:147]
	v_div_fixup_f64 v[130:131], v[140:141], v[130:131], 1.0
; %bb.784:
	s_or_b64 exec, exec, s[0:1]
	v_cmp_ne_u32_e32 vcc, v135, v132
	s_and_saveexec_b64 s[0:1], vcc
	s_xor_b64 s[0:1], exec, s[0:1]
	s_cbranch_execz .LBB124_790
; %bb.785:
	v_cmp_eq_u32_e32 vcc, 46, v135
	s_and_saveexec_b64 s[2:3], vcc
	s_cbranch_execz .LBB124_789
; %bb.786:
	v_cmp_ne_u32_e32 vcc, 46, v132
	s_xor_b64 s[14:15], s[6:7], -1
	s_and_b64 s[16:17], s[14:15], vcc
	s_and_saveexec_b64 s[14:15], s[16:17]
	s_cbranch_execz .LBB124_788
; %bb.787:
	v_ashrrev_i32_e32 v133, 31, v132
	v_lshlrev_b64 v[140:141], 2, v[132:133]
	v_add_co_u32_e32 v140, vcc, v4, v140
	v_addc_co_u32_e32 v141, vcc, v5, v141, vcc
	flat_load_dword v133, v[140:141]
	flat_load_dword v135, v[4:5] offset:184
	s_waitcnt vmcnt(0) lgkmcnt(0)
	flat_store_dword v[4:5], v133 offset:184
	flat_store_dword v[140:141], v135
.LBB124_788:
	s_or_b64 exec, exec, s[14:15]
	v_mov_b32_e32 v133, v132
	v_mov_b32_e32 v135, v132
.LBB124_789:
	s_or_b64 exec, exec, s[2:3]
.LBB124_790:
	s_andn2_saveexec_b64 s[0:1], s[0:1]
	s_cbranch_execz .LBB124_792
; %bb.791:
	v_mov_b32_e32 v135, 46
	ds_write2_b64 v134, v[32:33], v[30:31] offset0:47 offset1:48
	ds_write2_b64 v134, v[28:29], v[26:27] offset0:49 offset1:50
	;; [unrolled: 1-line block ×8, first 2 shown]
.LBB124_792:
	s_or_b64 exec, exec, s[0:1]
	v_cmp_lt_i32_e32 vcc, 46, v135
	s_waitcnt lgkmcnt(0)
	s_barrier
	s_and_saveexec_b64 s[0:1], vcc
	s_cbranch_execz .LBB124_794
; %bb.793:
	ds_read2_b64 v[140:143], v134 offset0:47 offset1:48
	ds_read2_b64 v[144:147], v134 offset0:49 offset1:50
	v_mul_f64 v[34:35], v[130:131], v[34:35]
	ds_read2_b64 v[148:151], v134 offset0:51 offset1:52
	s_waitcnt lgkmcnt(0)
	v_fma_f64 v[32:33], -v[34:35], v[140:141], v[32:33]
	v_fma_f64 v[30:31], -v[34:35], v[142:143], v[30:31]
	ds_read2_b64 v[140:143], v134 offset0:53 offset1:54
	v_fma_f64 v[28:29], -v[34:35], v[144:145], v[28:29]
	v_fma_f64 v[26:27], -v[34:35], v[146:147], v[26:27]
	ds_read2_b64 v[144:147], v134 offset0:55 offset1:56
	v_fma_f64 v[24:25], -v[34:35], v[148:149], v[24:25]
	v_fma_f64 v[22:23], -v[34:35], v[150:151], v[22:23]
	s_waitcnt lgkmcnt(0)
	v_fma_f64 v[20:21], -v[34:35], v[140:141], v[20:21]
	v_fma_f64 v[18:19], -v[34:35], v[142:143], v[18:19]
	ds_read2_b64 v[140:143], v134 offset0:57 offset1:58
	v_fma_f64 v[16:17], -v[34:35], v[144:145], v[16:17]
	ds_read2_b64 v[148:151], v134 offset0:59 offset1:60
	;; [unrolled: 2-line block ×3, first 2 shown]
	s_waitcnt lgkmcnt(0)
	v_fma_f64 v[12:13], -v[34:35], v[140:141], v[12:13]
	v_fma_f64 v[10:11], -v[34:35], v[142:143], v[10:11]
	;; [unrolled: 1-line block ×6, first 2 shown]
.LBB124_794:
	s_or_b64 exec, exec, s[0:1]
	v_lshl_add_u32 v130, v135, 3, v134
	s_barrier
	ds_write_b64 v130, v[32:33]
	s_waitcnt lgkmcnt(0)
	s_barrier
	ds_read_b64 v[130:131], v134 offset:376
	s_cmp_lt_i32 s18, 49
	v_mov_b32_e32 v132, 47
	s_cbranch_scc1 .LBB124_797
; %bb.795:
	v_add_u32_e32 v139, 0x180, v134
	s_mov_b32 s0, 48
	v_mov_b32_e32 v132, 47
.LBB124_796:                            ; =>This Inner Loop Header: Depth=1
	ds_read_b64 v[140:141], v139
	v_mov_b32_e32 v142, s0
	s_add_i32 s0, s0, 1
	v_add_u32_e32 v139, 8, v139
	s_cmp_lg_u32 s18, s0
	s_waitcnt lgkmcnt(0)
	v_cmp_lt_f64_e64 vcc, |v[130:131]|, |v[140:141]|
	v_cndmask_b32_e32 v131, v131, v141, vcc
	v_cndmask_b32_e32 v130, v130, v140, vcc
	;; [unrolled: 1-line block ×3, first 2 shown]
	s_cbranch_scc1 .LBB124_796
.LBB124_797:
	s_waitcnt lgkmcnt(0)
	v_cmp_eq_f64_e32 vcc, 0, v[130:131]
	s_and_saveexec_b64 s[0:1], vcc
	s_xor_b64 s[0:1], exec, s[0:1]
; %bb.798:
	v_cmp_ne_u32_e32 vcc, 0, v138
	v_cndmask_b32_e32 v138, 48, v138, vcc
; %bb.799:
	s_andn2_saveexec_b64 s[0:1], s[0:1]
; %bb.800:
	v_div_scale_f64 v[140:141], s[2:3], v[130:131], v[130:131], 1.0
	v_rcp_f64_e32 v[142:143], v[140:141]
	v_div_scale_f64 v[144:145], vcc, 1.0, v[130:131], 1.0
	v_fma_f64 v[146:147], -v[140:141], v[142:143], 1.0
	v_fmac_f64_e32 v[142:143], v[142:143], v[146:147]
	v_fma_f64 v[146:147], -v[140:141], v[142:143], 1.0
	v_fmac_f64_e32 v[142:143], v[142:143], v[146:147]
	v_mul_f64 v[146:147], v[144:145], v[142:143]
	v_fma_f64 v[140:141], -v[140:141], v[146:147], v[144:145]
	v_div_fmas_f64 v[140:141], v[140:141], v[142:143], v[146:147]
	v_div_fixup_f64 v[130:131], v[140:141], v[130:131], 1.0
; %bb.801:
	s_or_b64 exec, exec, s[0:1]
	v_cmp_ne_u32_e32 vcc, v135, v132
	s_and_saveexec_b64 s[0:1], vcc
	s_xor_b64 s[0:1], exec, s[0:1]
	s_cbranch_execz .LBB124_807
; %bb.802:
	v_cmp_eq_u32_e32 vcc, 47, v135
	s_and_saveexec_b64 s[2:3], vcc
	s_cbranch_execz .LBB124_806
; %bb.803:
	v_cmp_ne_u32_e32 vcc, 47, v132
	s_xor_b64 s[14:15], s[6:7], -1
	s_and_b64 s[16:17], s[14:15], vcc
	s_and_saveexec_b64 s[14:15], s[16:17]
	s_cbranch_execz .LBB124_805
; %bb.804:
	v_ashrrev_i32_e32 v133, 31, v132
	v_lshlrev_b64 v[140:141], 2, v[132:133]
	v_add_co_u32_e32 v140, vcc, v4, v140
	v_addc_co_u32_e32 v141, vcc, v5, v141, vcc
	flat_load_dword v133, v[140:141]
	flat_load_dword v135, v[4:5] offset:188
	s_waitcnt vmcnt(0) lgkmcnt(0)
	flat_store_dword v[4:5], v133 offset:188
	flat_store_dword v[140:141], v135
.LBB124_805:
	s_or_b64 exec, exec, s[14:15]
	v_mov_b32_e32 v133, v132
	v_mov_b32_e32 v135, v132
.LBB124_806:
	s_or_b64 exec, exec, s[2:3]
.LBB124_807:
	s_andn2_saveexec_b64 s[0:1], s[0:1]
	s_cbranch_execz .LBB124_809
; %bb.808:
	v_mov_b32_e32 v140, v30
	v_mov_b32_e32 v141, v31
	v_mov_b32_e32 v142, v28
	v_mov_b32_e32 v143, v29
	ds_write2_b64 v134, v[140:141], v[142:143] offset0:48 offset1:49
	v_mov_b32_e32 v140, v26
	v_mov_b32_e32 v141, v27
	v_mov_b32_e32 v142, v24
	v_mov_b32_e32 v143, v25
	ds_write2_b64 v134, v[140:141], v[142:143] offset0:50 offset1:51
	;; [unrolled: 5-line block ×6, first 2 shown]
	v_mov_b32_e32 v140, v6
	v_mov_b32_e32 v141, v7
	;; [unrolled: 1-line block ×5, first 2 shown]
	ds_write2_b64 v134, v[140:141], v[142:143] offset0:60 offset1:61
	ds_write_b64 v134, v[128:129] offset:496
.LBB124_809:
	s_or_b64 exec, exec, s[0:1]
	v_cmp_lt_i32_e32 vcc, 47, v135
	s_waitcnt lgkmcnt(0)
	s_barrier
	s_and_saveexec_b64 s[0:1], vcc
	s_cbranch_execz .LBB124_811
; %bb.810:
	ds_read2_b64 v[140:143], v134 offset0:48 offset1:49
	ds_read2_b64 v[144:147], v134 offset0:50 offset1:51
	v_mul_f64 v[32:33], v[130:131], v[32:33]
	ds_read2_b64 v[148:151], v134 offset0:52 offset1:53
	ds_read_b64 v[130:131], v134 offset:496
	s_waitcnt lgkmcnt(0)
	v_fma_f64 v[30:31], -v[32:33], v[140:141], v[30:31]
	v_fma_f64 v[28:29], -v[32:33], v[142:143], v[28:29]
	ds_read2_b64 v[140:143], v134 offset0:54 offset1:55
	v_fma_f64 v[26:27], -v[32:33], v[144:145], v[26:27]
	v_fma_f64 v[24:25], -v[32:33], v[146:147], v[24:25]
	;; [unrolled: 1-line block ×3, first 2 shown]
	ds_read2_b64 v[144:147], v134 offset0:56 offset1:57
	v_fma_f64 v[20:21], -v[32:33], v[150:151], v[20:21]
	s_waitcnt lgkmcnt(0)
	v_fma_f64 v[18:19], -v[32:33], v[140:141], v[18:19]
	v_fma_f64 v[16:17], -v[32:33], v[142:143], v[16:17]
	ds_read2_b64 v[140:143], v134 offset0:58 offset1:59
	ds_read2_b64 v[148:151], v134 offset0:60 offset1:61
	v_fma_f64 v[14:15], -v[32:33], v[144:145], v[14:15]
	v_fma_f64 v[12:13], -v[32:33], v[146:147], v[12:13]
	v_fma_f64 v[128:129], -v[32:33], v[130:131], v[128:129]
	s_waitcnt lgkmcnt(0)
	v_fma_f64 v[10:11], -v[32:33], v[140:141], v[10:11]
	v_fma_f64 v[8:9], -v[32:33], v[142:143], v[8:9]
	;; [unrolled: 1-line block ×4, first 2 shown]
.LBB124_811:
	s_or_b64 exec, exec, s[0:1]
	v_lshl_add_u32 v130, v135, 3, v134
	s_barrier
	ds_write_b64 v130, v[30:31]
	s_waitcnt lgkmcnt(0)
	s_barrier
	ds_read_b64 v[130:131], v134 offset:384
	s_cmp_lt_i32 s18, 50
	v_mov_b32_e32 v132, 48
	s_cbranch_scc1 .LBB124_814
; %bb.812:
	v_add_u32_e32 v139, 0x188, v134
	s_mov_b32 s0, 49
	v_mov_b32_e32 v132, 48
.LBB124_813:                            ; =>This Inner Loop Header: Depth=1
	ds_read_b64 v[140:141], v139
	v_mov_b32_e32 v142, s0
	s_add_i32 s0, s0, 1
	v_add_u32_e32 v139, 8, v139
	s_cmp_lg_u32 s18, s0
	s_waitcnt lgkmcnt(0)
	v_cmp_lt_f64_e64 vcc, |v[130:131]|, |v[140:141]|
	v_cndmask_b32_e32 v131, v131, v141, vcc
	v_cndmask_b32_e32 v130, v130, v140, vcc
	;; [unrolled: 1-line block ×3, first 2 shown]
	s_cbranch_scc1 .LBB124_813
.LBB124_814:
	s_waitcnt lgkmcnt(0)
	v_cmp_eq_f64_e32 vcc, 0, v[130:131]
	s_and_saveexec_b64 s[0:1], vcc
	s_xor_b64 s[0:1], exec, s[0:1]
; %bb.815:
	v_cmp_ne_u32_e32 vcc, 0, v138
	v_cndmask_b32_e32 v138, 49, v138, vcc
; %bb.816:
	s_andn2_saveexec_b64 s[0:1], s[0:1]
; %bb.817:
	v_div_scale_f64 v[140:141], s[2:3], v[130:131], v[130:131], 1.0
	v_rcp_f64_e32 v[142:143], v[140:141]
	v_div_scale_f64 v[144:145], vcc, 1.0, v[130:131], 1.0
	v_fma_f64 v[146:147], -v[140:141], v[142:143], 1.0
	v_fmac_f64_e32 v[142:143], v[142:143], v[146:147]
	v_fma_f64 v[146:147], -v[140:141], v[142:143], 1.0
	v_fmac_f64_e32 v[142:143], v[142:143], v[146:147]
	v_mul_f64 v[146:147], v[144:145], v[142:143]
	v_fma_f64 v[140:141], -v[140:141], v[146:147], v[144:145]
	v_div_fmas_f64 v[140:141], v[140:141], v[142:143], v[146:147]
	v_div_fixup_f64 v[130:131], v[140:141], v[130:131], 1.0
; %bb.818:
	s_or_b64 exec, exec, s[0:1]
	v_cmp_ne_u32_e32 vcc, v135, v132
	s_and_saveexec_b64 s[0:1], vcc
	s_xor_b64 s[0:1], exec, s[0:1]
	s_cbranch_execz .LBB124_824
; %bb.819:
	v_cmp_eq_u32_e32 vcc, 48, v135
	s_and_saveexec_b64 s[2:3], vcc
	s_cbranch_execz .LBB124_823
; %bb.820:
	v_cmp_ne_u32_e32 vcc, 48, v132
	s_xor_b64 s[14:15], s[6:7], -1
	s_and_b64 s[16:17], s[14:15], vcc
	s_and_saveexec_b64 s[14:15], s[16:17]
	s_cbranch_execz .LBB124_822
; %bb.821:
	v_ashrrev_i32_e32 v133, 31, v132
	v_lshlrev_b64 v[140:141], 2, v[132:133]
	v_add_co_u32_e32 v140, vcc, v4, v140
	v_addc_co_u32_e32 v141, vcc, v5, v141, vcc
	flat_load_dword v133, v[140:141]
	flat_load_dword v135, v[4:5] offset:192
	s_waitcnt vmcnt(0) lgkmcnt(0)
	flat_store_dword v[4:5], v133 offset:192
	flat_store_dword v[140:141], v135
.LBB124_822:
	s_or_b64 exec, exec, s[14:15]
	v_mov_b32_e32 v133, v132
	v_mov_b32_e32 v135, v132
.LBB124_823:
	s_or_b64 exec, exec, s[2:3]
.LBB124_824:
	s_andn2_saveexec_b64 s[0:1], s[0:1]
	s_cbranch_execz .LBB124_826
; %bb.825:
	v_mov_b32_e32 v135, 48
	ds_write2_b64 v134, v[28:29], v[26:27] offset0:49 offset1:50
	ds_write2_b64 v134, v[24:25], v[22:23] offset0:51 offset1:52
	;; [unrolled: 1-line block ×7, first 2 shown]
.LBB124_826:
	s_or_b64 exec, exec, s[0:1]
	v_cmp_lt_i32_e32 vcc, 48, v135
	s_waitcnt lgkmcnt(0)
	s_barrier
	s_and_saveexec_b64 s[0:1], vcc
	s_cbranch_execz .LBB124_828
; %bb.827:
	ds_read2_b64 v[140:143], v134 offset0:49 offset1:50
	ds_read2_b64 v[144:147], v134 offset0:51 offset1:52
	v_mul_f64 v[30:31], v[130:131], v[30:31]
	ds_read2_b64 v[148:151], v134 offset0:53 offset1:54
	s_waitcnt lgkmcnt(0)
	v_fma_f64 v[28:29], -v[30:31], v[140:141], v[28:29]
	v_fma_f64 v[26:27], -v[30:31], v[142:143], v[26:27]
	ds_read2_b64 v[140:143], v134 offset0:55 offset1:56
	v_fma_f64 v[24:25], -v[30:31], v[144:145], v[24:25]
	v_fma_f64 v[22:23], -v[30:31], v[146:147], v[22:23]
	;; [unrolled: 1-line block ×4, first 2 shown]
	ds_read2_b64 v[144:147], v134 offset0:57 offset1:58
	ds_read2_b64 v[148:151], v134 offset0:59 offset1:60
	s_waitcnt lgkmcnt(0)
	v_fma_f64 v[16:17], -v[30:31], v[140:141], v[16:17]
	v_fma_f64 v[14:15], -v[30:31], v[142:143], v[14:15]
	ds_read2_b64 v[140:143], v134 offset0:61 offset1:62
	v_fma_f64 v[12:13], -v[30:31], v[144:145], v[12:13]
	v_fma_f64 v[10:11], -v[30:31], v[146:147], v[10:11]
	v_fma_f64 v[8:9], -v[30:31], v[148:149], v[8:9]
	v_fma_f64 v[6:7], -v[30:31], v[150:151], v[6:7]
	s_waitcnt lgkmcnt(0)
	v_fma_f64 v[0:1], -v[30:31], v[140:141], v[0:1]
	v_fma_f64 v[128:129], -v[30:31], v[142:143], v[128:129]
.LBB124_828:
	s_or_b64 exec, exec, s[0:1]
	v_lshl_add_u32 v130, v135, 3, v134
	s_barrier
	ds_write_b64 v130, v[28:29]
	s_waitcnt lgkmcnt(0)
	s_barrier
	ds_read_b64 v[130:131], v134 offset:392
	s_cmp_lt_i32 s18, 51
	v_mov_b32_e32 v132, 49
	s_cbranch_scc1 .LBB124_831
; %bb.829:
	v_add_u32_e32 v139, 0x190, v134
	s_mov_b32 s0, 50
	v_mov_b32_e32 v132, 49
.LBB124_830:                            ; =>This Inner Loop Header: Depth=1
	ds_read_b64 v[140:141], v139
	v_mov_b32_e32 v142, s0
	s_add_i32 s0, s0, 1
	v_add_u32_e32 v139, 8, v139
	s_cmp_lg_u32 s18, s0
	s_waitcnt lgkmcnt(0)
	v_cmp_lt_f64_e64 vcc, |v[130:131]|, |v[140:141]|
	v_cndmask_b32_e32 v131, v131, v141, vcc
	v_cndmask_b32_e32 v130, v130, v140, vcc
	v_cndmask_b32_e32 v132, v132, v142, vcc
	s_cbranch_scc1 .LBB124_830
.LBB124_831:
	s_waitcnt lgkmcnt(0)
	v_cmp_eq_f64_e32 vcc, 0, v[130:131]
	s_and_saveexec_b64 s[0:1], vcc
	s_xor_b64 s[0:1], exec, s[0:1]
; %bb.832:
	v_cmp_ne_u32_e32 vcc, 0, v138
	v_cndmask_b32_e32 v138, 50, v138, vcc
; %bb.833:
	s_andn2_saveexec_b64 s[0:1], s[0:1]
; %bb.834:
	v_div_scale_f64 v[140:141], s[2:3], v[130:131], v[130:131], 1.0
	v_rcp_f64_e32 v[142:143], v[140:141]
	v_div_scale_f64 v[144:145], vcc, 1.0, v[130:131], 1.0
	v_fma_f64 v[146:147], -v[140:141], v[142:143], 1.0
	v_fmac_f64_e32 v[142:143], v[142:143], v[146:147]
	v_fma_f64 v[146:147], -v[140:141], v[142:143], 1.0
	v_fmac_f64_e32 v[142:143], v[142:143], v[146:147]
	v_mul_f64 v[146:147], v[144:145], v[142:143]
	v_fma_f64 v[140:141], -v[140:141], v[146:147], v[144:145]
	v_div_fmas_f64 v[140:141], v[140:141], v[142:143], v[146:147]
	v_div_fixup_f64 v[130:131], v[140:141], v[130:131], 1.0
; %bb.835:
	s_or_b64 exec, exec, s[0:1]
	v_cmp_ne_u32_e32 vcc, v135, v132
	s_and_saveexec_b64 s[0:1], vcc
	s_xor_b64 s[0:1], exec, s[0:1]
	s_cbranch_execz .LBB124_841
; %bb.836:
	v_cmp_eq_u32_e32 vcc, 49, v135
	s_and_saveexec_b64 s[2:3], vcc
	s_cbranch_execz .LBB124_840
; %bb.837:
	v_cmp_ne_u32_e32 vcc, 49, v132
	s_xor_b64 s[14:15], s[6:7], -1
	s_and_b64 s[16:17], s[14:15], vcc
	s_and_saveexec_b64 s[14:15], s[16:17]
	s_cbranch_execz .LBB124_839
; %bb.838:
	v_ashrrev_i32_e32 v133, 31, v132
	v_lshlrev_b64 v[140:141], 2, v[132:133]
	v_add_co_u32_e32 v140, vcc, v4, v140
	v_addc_co_u32_e32 v141, vcc, v5, v141, vcc
	flat_load_dword v133, v[140:141]
	flat_load_dword v135, v[4:5] offset:196
	s_waitcnt vmcnt(0) lgkmcnt(0)
	flat_store_dword v[4:5], v133 offset:196
	flat_store_dword v[140:141], v135
.LBB124_839:
	s_or_b64 exec, exec, s[14:15]
	v_mov_b32_e32 v133, v132
	v_mov_b32_e32 v135, v132
.LBB124_840:
	s_or_b64 exec, exec, s[2:3]
.LBB124_841:
	s_andn2_saveexec_b64 s[0:1], s[0:1]
	s_cbranch_execz .LBB124_843
; %bb.842:
	v_mov_b32_e32 v140, v26
	v_mov_b32_e32 v141, v27
	v_mov_b32_e32 v142, v24
	v_mov_b32_e32 v143, v25
	ds_write2_b64 v134, v[140:141], v[142:143] offset0:50 offset1:51
	v_mov_b32_e32 v140, v22
	v_mov_b32_e32 v141, v23
	v_mov_b32_e32 v142, v20
	v_mov_b32_e32 v143, v21
	ds_write2_b64 v134, v[140:141], v[142:143] offset0:52 offset1:53
	v_mov_b32_e32 v140, v18
	v_mov_b32_e32 v141, v19
	v_mov_b32_e32 v142, v16
	v_mov_b32_e32 v143, v17
	ds_write2_b64 v134, v[140:141], v[142:143] offset0:54 offset1:55
	v_mov_b32_e32 v140, v14
	v_mov_b32_e32 v141, v15
	v_mov_b32_e32 v142, v12
	v_mov_b32_e32 v143, v13
	ds_write2_b64 v134, v[140:141], v[142:143] offset0:56 offset1:57
	v_mov_b32_e32 v140, v10
	v_mov_b32_e32 v141, v11
	v_mov_b32_e32 v142, v8
	v_mov_b32_e32 v143, v9
	ds_write2_b64 v134, v[140:141], v[142:143] offset0:58 offset1:59
	v_mov_b32_e32 v140, v6
	v_mov_b32_e32 v141, v7
	;; [unrolled: 1-line block ×5, first 2 shown]
	ds_write2_b64 v134, v[140:141], v[142:143] offset0:60 offset1:61
	ds_write_b64 v134, v[128:129] offset:496
.LBB124_843:
	s_or_b64 exec, exec, s[0:1]
	v_cmp_lt_i32_e32 vcc, 49, v135
	s_waitcnt lgkmcnt(0)
	s_barrier
	s_and_saveexec_b64 s[0:1], vcc
	s_cbranch_execz .LBB124_845
; %bb.844:
	ds_read2_b64 v[140:143], v134 offset0:50 offset1:51
	ds_read2_b64 v[144:147], v134 offset0:52 offset1:53
	;; [unrolled: 1-line block ×3, first 2 shown]
	v_mul_f64 v[28:29], v[130:131], v[28:29]
	ds_read_b64 v[130:131], v134 offset:496
	s_waitcnt lgkmcnt(0)
	v_fma_f64 v[26:27], -v[28:29], v[140:141], v[26:27]
	v_fma_f64 v[24:25], -v[28:29], v[142:143], v[24:25]
	ds_read2_b64 v[140:143], v134 offset0:56 offset1:57
	v_fma_f64 v[22:23], -v[28:29], v[144:145], v[22:23]
	v_fma_f64 v[20:21], -v[28:29], v[146:147], v[20:21]
	;; [unrolled: 1-line block ×4, first 2 shown]
	ds_read2_b64 v[144:147], v134 offset0:58 offset1:59
	ds_read2_b64 v[148:151], v134 offset0:60 offset1:61
	s_waitcnt lgkmcnt(0)
	v_fma_f64 v[14:15], -v[28:29], v[140:141], v[14:15]
	v_fma_f64 v[12:13], -v[28:29], v[142:143], v[12:13]
	;; [unrolled: 1-line block ×7, first 2 shown]
.LBB124_845:
	s_or_b64 exec, exec, s[0:1]
	v_lshl_add_u32 v130, v135, 3, v134
	s_barrier
	ds_write_b64 v130, v[26:27]
	s_waitcnt lgkmcnt(0)
	s_barrier
	ds_read_b64 v[130:131], v134 offset:400
	s_cmp_lt_i32 s18, 52
	v_mov_b32_e32 v132, 50
	s_cbranch_scc1 .LBB124_848
; %bb.846:
	v_add_u32_e32 v139, 0x198, v134
	s_mov_b32 s0, 51
	v_mov_b32_e32 v132, 50
.LBB124_847:                            ; =>This Inner Loop Header: Depth=1
	ds_read_b64 v[140:141], v139
	v_mov_b32_e32 v142, s0
	s_add_i32 s0, s0, 1
	v_add_u32_e32 v139, 8, v139
	s_cmp_lg_u32 s18, s0
	s_waitcnt lgkmcnt(0)
	v_cmp_lt_f64_e64 vcc, |v[130:131]|, |v[140:141]|
	v_cndmask_b32_e32 v131, v131, v141, vcc
	v_cndmask_b32_e32 v130, v130, v140, vcc
	;; [unrolled: 1-line block ×3, first 2 shown]
	s_cbranch_scc1 .LBB124_847
.LBB124_848:
	s_waitcnt lgkmcnt(0)
	v_cmp_eq_f64_e32 vcc, 0, v[130:131]
	s_and_saveexec_b64 s[0:1], vcc
	s_xor_b64 s[0:1], exec, s[0:1]
; %bb.849:
	v_cmp_ne_u32_e32 vcc, 0, v138
	v_cndmask_b32_e32 v138, 51, v138, vcc
; %bb.850:
	s_andn2_saveexec_b64 s[0:1], s[0:1]
; %bb.851:
	v_div_scale_f64 v[140:141], s[2:3], v[130:131], v[130:131], 1.0
	v_rcp_f64_e32 v[142:143], v[140:141]
	v_div_scale_f64 v[144:145], vcc, 1.0, v[130:131], 1.0
	v_fma_f64 v[146:147], -v[140:141], v[142:143], 1.0
	v_fmac_f64_e32 v[142:143], v[142:143], v[146:147]
	v_fma_f64 v[146:147], -v[140:141], v[142:143], 1.0
	v_fmac_f64_e32 v[142:143], v[142:143], v[146:147]
	v_mul_f64 v[146:147], v[144:145], v[142:143]
	v_fma_f64 v[140:141], -v[140:141], v[146:147], v[144:145]
	v_div_fmas_f64 v[140:141], v[140:141], v[142:143], v[146:147]
	v_div_fixup_f64 v[130:131], v[140:141], v[130:131], 1.0
; %bb.852:
	s_or_b64 exec, exec, s[0:1]
	v_cmp_ne_u32_e32 vcc, v135, v132
	s_and_saveexec_b64 s[0:1], vcc
	s_xor_b64 s[0:1], exec, s[0:1]
	s_cbranch_execz .LBB124_858
; %bb.853:
	v_cmp_eq_u32_e32 vcc, 50, v135
	s_and_saveexec_b64 s[2:3], vcc
	s_cbranch_execz .LBB124_857
; %bb.854:
	v_cmp_ne_u32_e32 vcc, 50, v132
	s_xor_b64 s[14:15], s[6:7], -1
	s_and_b64 s[16:17], s[14:15], vcc
	s_and_saveexec_b64 s[14:15], s[16:17]
	s_cbranch_execz .LBB124_856
; %bb.855:
	v_ashrrev_i32_e32 v133, 31, v132
	v_lshlrev_b64 v[140:141], 2, v[132:133]
	v_add_co_u32_e32 v140, vcc, v4, v140
	v_addc_co_u32_e32 v141, vcc, v5, v141, vcc
	flat_load_dword v133, v[140:141]
	flat_load_dword v135, v[4:5] offset:200
	s_waitcnt vmcnt(0) lgkmcnt(0)
	flat_store_dword v[4:5], v133 offset:200
	flat_store_dword v[140:141], v135
.LBB124_856:
	s_or_b64 exec, exec, s[14:15]
	v_mov_b32_e32 v133, v132
	v_mov_b32_e32 v135, v132
.LBB124_857:
	s_or_b64 exec, exec, s[2:3]
.LBB124_858:
	s_andn2_saveexec_b64 s[0:1], s[0:1]
	s_cbranch_execz .LBB124_860
; %bb.859:
	v_mov_b32_e32 v135, 50
	ds_write2_b64 v134, v[24:25], v[22:23] offset0:51 offset1:52
	ds_write2_b64 v134, v[20:21], v[18:19] offset0:53 offset1:54
	;; [unrolled: 1-line block ×6, first 2 shown]
.LBB124_860:
	s_or_b64 exec, exec, s[0:1]
	v_cmp_lt_i32_e32 vcc, 50, v135
	s_waitcnt lgkmcnt(0)
	s_barrier
	s_and_saveexec_b64 s[0:1], vcc
	s_cbranch_execz .LBB124_862
; %bb.861:
	ds_read2_b64 v[140:143], v134 offset0:51 offset1:52
	ds_read2_b64 v[144:147], v134 offset0:53 offset1:54
	;; [unrolled: 1-line block ×3, first 2 shown]
	v_mul_f64 v[26:27], v[130:131], v[26:27]
	s_waitcnt lgkmcnt(0)
	v_fma_f64 v[24:25], -v[26:27], v[140:141], v[24:25]
	v_fma_f64 v[22:23], -v[26:27], v[142:143], v[22:23]
	ds_read2_b64 v[140:143], v134 offset0:57 offset1:58
	v_fma_f64 v[20:21], -v[26:27], v[144:145], v[20:21]
	v_fma_f64 v[18:19], -v[26:27], v[146:147], v[18:19]
	v_fma_f64 v[16:17], -v[26:27], v[148:149], v[16:17]
	ds_read2_b64 v[144:147], v134 offset0:59 offset1:60
	v_fma_f64 v[14:15], -v[26:27], v[150:151], v[14:15]
	ds_read2_b64 v[148:151], v134 offset0:61 offset1:62
	s_waitcnt lgkmcnt(0)
	v_fma_f64 v[12:13], -v[26:27], v[140:141], v[12:13]
	v_fma_f64 v[10:11], -v[26:27], v[142:143], v[10:11]
	;; [unrolled: 1-line block ×6, first 2 shown]
.LBB124_862:
	s_or_b64 exec, exec, s[0:1]
	v_lshl_add_u32 v130, v135, 3, v134
	s_barrier
	ds_write_b64 v130, v[24:25]
	s_waitcnt lgkmcnt(0)
	s_barrier
	ds_read_b64 v[130:131], v134 offset:408
	s_cmp_lt_i32 s18, 53
	v_mov_b32_e32 v132, 51
	s_cbranch_scc1 .LBB124_865
; %bb.863:
	v_add_u32_e32 v139, 0x1a0, v134
	s_mov_b32 s0, 52
	v_mov_b32_e32 v132, 51
.LBB124_864:                            ; =>This Inner Loop Header: Depth=1
	ds_read_b64 v[140:141], v139
	v_mov_b32_e32 v142, s0
	s_add_i32 s0, s0, 1
	v_add_u32_e32 v139, 8, v139
	s_cmp_lg_u32 s18, s0
	s_waitcnt lgkmcnt(0)
	v_cmp_lt_f64_e64 vcc, |v[130:131]|, |v[140:141]|
	v_cndmask_b32_e32 v131, v131, v141, vcc
	v_cndmask_b32_e32 v130, v130, v140, vcc
	;; [unrolled: 1-line block ×3, first 2 shown]
	s_cbranch_scc1 .LBB124_864
.LBB124_865:
	s_waitcnt lgkmcnt(0)
	v_cmp_eq_f64_e32 vcc, 0, v[130:131]
	s_and_saveexec_b64 s[0:1], vcc
	s_xor_b64 s[0:1], exec, s[0:1]
; %bb.866:
	v_cmp_ne_u32_e32 vcc, 0, v138
	v_cndmask_b32_e32 v138, 52, v138, vcc
; %bb.867:
	s_andn2_saveexec_b64 s[0:1], s[0:1]
; %bb.868:
	v_div_scale_f64 v[140:141], s[2:3], v[130:131], v[130:131], 1.0
	v_rcp_f64_e32 v[142:143], v[140:141]
	v_div_scale_f64 v[144:145], vcc, 1.0, v[130:131], 1.0
	v_fma_f64 v[146:147], -v[140:141], v[142:143], 1.0
	v_fmac_f64_e32 v[142:143], v[142:143], v[146:147]
	v_fma_f64 v[146:147], -v[140:141], v[142:143], 1.0
	v_fmac_f64_e32 v[142:143], v[142:143], v[146:147]
	v_mul_f64 v[146:147], v[144:145], v[142:143]
	v_fma_f64 v[140:141], -v[140:141], v[146:147], v[144:145]
	v_div_fmas_f64 v[140:141], v[140:141], v[142:143], v[146:147]
	v_div_fixup_f64 v[130:131], v[140:141], v[130:131], 1.0
; %bb.869:
	s_or_b64 exec, exec, s[0:1]
	v_cmp_ne_u32_e32 vcc, v135, v132
	s_and_saveexec_b64 s[0:1], vcc
	s_xor_b64 s[0:1], exec, s[0:1]
	s_cbranch_execz .LBB124_875
; %bb.870:
	v_cmp_eq_u32_e32 vcc, 51, v135
	s_and_saveexec_b64 s[2:3], vcc
	s_cbranch_execz .LBB124_874
; %bb.871:
	v_cmp_ne_u32_e32 vcc, 51, v132
	s_xor_b64 s[14:15], s[6:7], -1
	s_and_b64 s[16:17], s[14:15], vcc
	s_and_saveexec_b64 s[14:15], s[16:17]
	s_cbranch_execz .LBB124_873
; %bb.872:
	v_ashrrev_i32_e32 v133, 31, v132
	v_lshlrev_b64 v[140:141], 2, v[132:133]
	v_add_co_u32_e32 v140, vcc, v4, v140
	v_addc_co_u32_e32 v141, vcc, v5, v141, vcc
	flat_load_dword v133, v[140:141]
	flat_load_dword v135, v[4:5] offset:204
	s_waitcnt vmcnt(0) lgkmcnt(0)
	flat_store_dword v[4:5], v133 offset:204
	flat_store_dword v[140:141], v135
.LBB124_873:
	s_or_b64 exec, exec, s[14:15]
	v_mov_b32_e32 v133, v132
	v_mov_b32_e32 v135, v132
.LBB124_874:
	s_or_b64 exec, exec, s[2:3]
.LBB124_875:
	s_andn2_saveexec_b64 s[0:1], s[0:1]
	s_cbranch_execz .LBB124_877
; %bb.876:
	v_mov_b32_e32 v140, v22
	v_mov_b32_e32 v141, v23
	v_mov_b32_e32 v142, v20
	v_mov_b32_e32 v143, v21
	ds_write2_b64 v134, v[140:141], v[142:143] offset0:52 offset1:53
	v_mov_b32_e32 v140, v18
	v_mov_b32_e32 v141, v19
	v_mov_b32_e32 v142, v16
	v_mov_b32_e32 v143, v17
	ds_write2_b64 v134, v[140:141], v[142:143] offset0:54 offset1:55
	v_mov_b32_e32 v140, v14
	v_mov_b32_e32 v141, v15
	v_mov_b32_e32 v142, v12
	v_mov_b32_e32 v143, v13
	ds_write2_b64 v134, v[140:141], v[142:143] offset0:56 offset1:57
	v_mov_b32_e32 v140, v10
	v_mov_b32_e32 v141, v11
	v_mov_b32_e32 v142, v8
	v_mov_b32_e32 v143, v9
	ds_write2_b64 v134, v[140:141], v[142:143] offset0:58 offset1:59
	v_mov_b32_e32 v140, v6
	v_mov_b32_e32 v141, v7
	;; [unrolled: 1-line block ×5, first 2 shown]
	ds_write2_b64 v134, v[140:141], v[142:143] offset0:60 offset1:61
	ds_write_b64 v134, v[128:129] offset:496
.LBB124_877:
	s_or_b64 exec, exec, s[0:1]
	v_cmp_lt_i32_e32 vcc, 51, v135
	s_waitcnt lgkmcnt(0)
	s_barrier
	s_and_saveexec_b64 s[0:1], vcc
	s_cbranch_execz .LBB124_879
; %bb.878:
	ds_read2_b64 v[140:143], v134 offset0:52 offset1:53
	ds_read2_b64 v[144:147], v134 offset0:54 offset1:55
	v_mul_f64 v[24:25], v[130:131], v[24:25]
	ds_read2_b64 v[148:151], v134 offset0:56 offset1:57
	ds_read_b64 v[130:131], v134 offset:496
	s_waitcnt lgkmcnt(0)
	v_fma_f64 v[22:23], -v[24:25], v[140:141], v[22:23]
	v_fma_f64 v[20:21], -v[24:25], v[142:143], v[20:21]
	ds_read2_b64 v[140:143], v134 offset0:58 offset1:59
	v_fma_f64 v[18:19], -v[24:25], v[144:145], v[18:19]
	v_fma_f64 v[16:17], -v[24:25], v[146:147], v[16:17]
	ds_read2_b64 v[144:147], v134 offset0:60 offset1:61
	v_fma_f64 v[14:15], -v[24:25], v[148:149], v[14:15]
	v_fma_f64 v[12:13], -v[24:25], v[150:151], v[12:13]
	s_waitcnt lgkmcnt(0)
	v_fma_f64 v[10:11], -v[24:25], v[140:141], v[10:11]
	v_fma_f64 v[8:9], -v[24:25], v[142:143], v[8:9]
	;; [unrolled: 1-line block ×5, first 2 shown]
.LBB124_879:
	s_or_b64 exec, exec, s[0:1]
	v_lshl_add_u32 v130, v135, 3, v134
	s_barrier
	ds_write_b64 v130, v[22:23]
	s_waitcnt lgkmcnt(0)
	s_barrier
	ds_read_b64 v[130:131], v134 offset:416
	s_cmp_lt_i32 s18, 54
	v_mov_b32_e32 v132, 52
	s_cbranch_scc1 .LBB124_882
; %bb.880:
	v_add_u32_e32 v139, 0x1a8, v134
	s_mov_b32 s0, 53
	v_mov_b32_e32 v132, 52
.LBB124_881:                            ; =>This Inner Loop Header: Depth=1
	ds_read_b64 v[140:141], v139
	v_mov_b32_e32 v142, s0
	s_add_i32 s0, s0, 1
	v_add_u32_e32 v139, 8, v139
	s_cmp_lg_u32 s18, s0
	s_waitcnt lgkmcnt(0)
	v_cmp_lt_f64_e64 vcc, |v[130:131]|, |v[140:141]|
	v_cndmask_b32_e32 v131, v131, v141, vcc
	v_cndmask_b32_e32 v130, v130, v140, vcc
	;; [unrolled: 1-line block ×3, first 2 shown]
	s_cbranch_scc1 .LBB124_881
.LBB124_882:
	s_waitcnt lgkmcnt(0)
	v_cmp_eq_f64_e32 vcc, 0, v[130:131]
	s_and_saveexec_b64 s[0:1], vcc
	s_xor_b64 s[0:1], exec, s[0:1]
; %bb.883:
	v_cmp_ne_u32_e32 vcc, 0, v138
	v_cndmask_b32_e32 v138, 53, v138, vcc
; %bb.884:
	s_andn2_saveexec_b64 s[0:1], s[0:1]
; %bb.885:
	v_div_scale_f64 v[140:141], s[2:3], v[130:131], v[130:131], 1.0
	v_rcp_f64_e32 v[142:143], v[140:141]
	v_div_scale_f64 v[144:145], vcc, 1.0, v[130:131], 1.0
	v_fma_f64 v[146:147], -v[140:141], v[142:143], 1.0
	v_fmac_f64_e32 v[142:143], v[142:143], v[146:147]
	v_fma_f64 v[146:147], -v[140:141], v[142:143], 1.0
	v_fmac_f64_e32 v[142:143], v[142:143], v[146:147]
	v_mul_f64 v[146:147], v[144:145], v[142:143]
	v_fma_f64 v[140:141], -v[140:141], v[146:147], v[144:145]
	v_div_fmas_f64 v[140:141], v[140:141], v[142:143], v[146:147]
	v_div_fixup_f64 v[130:131], v[140:141], v[130:131], 1.0
; %bb.886:
	s_or_b64 exec, exec, s[0:1]
	v_cmp_ne_u32_e32 vcc, v135, v132
	s_and_saveexec_b64 s[0:1], vcc
	s_xor_b64 s[0:1], exec, s[0:1]
	s_cbranch_execz .LBB124_892
; %bb.887:
	v_cmp_eq_u32_e32 vcc, 52, v135
	s_and_saveexec_b64 s[2:3], vcc
	s_cbranch_execz .LBB124_891
; %bb.888:
	v_cmp_ne_u32_e32 vcc, 52, v132
	s_xor_b64 s[14:15], s[6:7], -1
	s_and_b64 s[16:17], s[14:15], vcc
	s_and_saveexec_b64 s[14:15], s[16:17]
	s_cbranch_execz .LBB124_890
; %bb.889:
	v_ashrrev_i32_e32 v133, 31, v132
	v_lshlrev_b64 v[140:141], 2, v[132:133]
	v_add_co_u32_e32 v140, vcc, v4, v140
	v_addc_co_u32_e32 v141, vcc, v5, v141, vcc
	flat_load_dword v133, v[140:141]
	flat_load_dword v135, v[4:5] offset:208
	s_waitcnt vmcnt(0) lgkmcnt(0)
	flat_store_dword v[4:5], v133 offset:208
	flat_store_dword v[140:141], v135
.LBB124_890:
	s_or_b64 exec, exec, s[14:15]
	v_mov_b32_e32 v133, v132
	v_mov_b32_e32 v135, v132
.LBB124_891:
	s_or_b64 exec, exec, s[2:3]
.LBB124_892:
	s_andn2_saveexec_b64 s[0:1], s[0:1]
	s_cbranch_execz .LBB124_894
; %bb.893:
	v_mov_b32_e32 v135, 52
	ds_write2_b64 v134, v[20:21], v[18:19] offset0:53 offset1:54
	ds_write2_b64 v134, v[16:17], v[14:15] offset0:55 offset1:56
	;; [unrolled: 1-line block ×5, first 2 shown]
.LBB124_894:
	s_or_b64 exec, exec, s[0:1]
	v_cmp_lt_i32_e32 vcc, 52, v135
	s_waitcnt lgkmcnt(0)
	s_barrier
	s_and_saveexec_b64 s[0:1], vcc
	s_cbranch_execz .LBB124_896
; %bb.895:
	ds_read2_b64 v[140:143], v134 offset0:53 offset1:54
	ds_read2_b64 v[144:147], v134 offset0:55 offset1:56
	v_mul_f64 v[22:23], v[130:131], v[22:23]
	ds_read2_b64 v[148:151], v134 offset0:59 offset1:60
	s_waitcnt lgkmcnt(0)
	v_fma_f64 v[20:21], -v[22:23], v[140:141], v[20:21]
	v_fma_f64 v[18:19], -v[22:23], v[142:143], v[18:19]
	ds_read2_b64 v[140:143], v134 offset0:57 offset1:58
	v_fma_f64 v[16:17], -v[22:23], v[144:145], v[16:17]
	v_fma_f64 v[14:15], -v[22:23], v[146:147], v[14:15]
	ds_read2_b64 v[144:147], v134 offset0:61 offset1:62
	v_fma_f64 v[8:9], -v[22:23], v[148:149], v[8:9]
	s_waitcnt lgkmcnt(0)
	v_fma_f64 v[12:13], -v[22:23], v[140:141], v[12:13]
	v_fma_f64 v[10:11], -v[22:23], v[142:143], v[10:11]
	;; [unrolled: 1-line block ×5, first 2 shown]
.LBB124_896:
	s_or_b64 exec, exec, s[0:1]
	v_lshl_add_u32 v130, v135, 3, v134
	s_barrier
	ds_write_b64 v130, v[20:21]
	s_waitcnt lgkmcnt(0)
	s_barrier
	ds_read_b64 v[130:131], v134 offset:424
	s_cmp_lt_i32 s18, 55
	v_mov_b32_e32 v132, 53
	s_cbranch_scc1 .LBB124_899
; %bb.897:
	v_add_u32_e32 v139, 0x1b0, v134
	s_mov_b32 s0, 54
	v_mov_b32_e32 v132, 53
.LBB124_898:                            ; =>This Inner Loop Header: Depth=1
	ds_read_b64 v[140:141], v139
	v_mov_b32_e32 v142, s0
	s_add_i32 s0, s0, 1
	v_add_u32_e32 v139, 8, v139
	s_cmp_lg_u32 s18, s0
	s_waitcnt lgkmcnt(0)
	v_cmp_lt_f64_e64 vcc, |v[130:131]|, |v[140:141]|
	v_cndmask_b32_e32 v131, v131, v141, vcc
	v_cndmask_b32_e32 v130, v130, v140, vcc
	v_cndmask_b32_e32 v132, v132, v142, vcc
	s_cbranch_scc1 .LBB124_898
.LBB124_899:
	s_waitcnt lgkmcnt(0)
	v_cmp_eq_f64_e32 vcc, 0, v[130:131]
	s_and_saveexec_b64 s[0:1], vcc
	s_xor_b64 s[0:1], exec, s[0:1]
; %bb.900:
	v_cmp_ne_u32_e32 vcc, 0, v138
	v_cndmask_b32_e32 v138, 54, v138, vcc
; %bb.901:
	s_andn2_saveexec_b64 s[0:1], s[0:1]
; %bb.902:
	v_div_scale_f64 v[140:141], s[2:3], v[130:131], v[130:131], 1.0
	v_rcp_f64_e32 v[142:143], v[140:141]
	v_div_scale_f64 v[144:145], vcc, 1.0, v[130:131], 1.0
	v_fma_f64 v[146:147], -v[140:141], v[142:143], 1.0
	v_fmac_f64_e32 v[142:143], v[142:143], v[146:147]
	v_fma_f64 v[146:147], -v[140:141], v[142:143], 1.0
	v_fmac_f64_e32 v[142:143], v[142:143], v[146:147]
	v_mul_f64 v[146:147], v[144:145], v[142:143]
	v_fma_f64 v[140:141], -v[140:141], v[146:147], v[144:145]
	v_div_fmas_f64 v[140:141], v[140:141], v[142:143], v[146:147]
	v_div_fixup_f64 v[130:131], v[140:141], v[130:131], 1.0
; %bb.903:
	s_or_b64 exec, exec, s[0:1]
	v_cmp_ne_u32_e32 vcc, v135, v132
	s_and_saveexec_b64 s[0:1], vcc
	s_xor_b64 s[0:1], exec, s[0:1]
	s_cbranch_execz .LBB124_909
; %bb.904:
	v_cmp_eq_u32_e32 vcc, 53, v135
	s_and_saveexec_b64 s[2:3], vcc
	s_cbranch_execz .LBB124_908
; %bb.905:
	v_cmp_ne_u32_e32 vcc, 53, v132
	s_xor_b64 s[14:15], s[6:7], -1
	s_and_b64 s[16:17], s[14:15], vcc
	s_and_saveexec_b64 s[14:15], s[16:17]
	s_cbranch_execz .LBB124_907
; %bb.906:
	v_ashrrev_i32_e32 v133, 31, v132
	v_lshlrev_b64 v[140:141], 2, v[132:133]
	v_add_co_u32_e32 v140, vcc, v4, v140
	v_addc_co_u32_e32 v141, vcc, v5, v141, vcc
	flat_load_dword v133, v[140:141]
	flat_load_dword v135, v[4:5] offset:212
	s_waitcnt vmcnt(0) lgkmcnt(0)
	flat_store_dword v[4:5], v133 offset:212
	flat_store_dword v[140:141], v135
.LBB124_907:
	s_or_b64 exec, exec, s[14:15]
	v_mov_b32_e32 v133, v132
	v_mov_b32_e32 v135, v132
.LBB124_908:
	s_or_b64 exec, exec, s[2:3]
.LBB124_909:
	s_andn2_saveexec_b64 s[0:1], s[0:1]
	s_cbranch_execz .LBB124_911
; %bb.910:
	v_mov_b32_e32 v140, v18
	v_mov_b32_e32 v141, v19
	v_mov_b32_e32 v142, v16
	v_mov_b32_e32 v143, v17
	ds_write2_b64 v134, v[140:141], v[142:143] offset0:54 offset1:55
	v_mov_b32_e32 v140, v14
	v_mov_b32_e32 v141, v15
	v_mov_b32_e32 v142, v12
	v_mov_b32_e32 v143, v13
	ds_write2_b64 v134, v[140:141], v[142:143] offset0:56 offset1:57
	;; [unrolled: 5-line block ×3, first 2 shown]
	v_mov_b32_e32 v140, v6
	v_mov_b32_e32 v141, v7
	;; [unrolled: 1-line block ×5, first 2 shown]
	ds_write2_b64 v134, v[140:141], v[142:143] offset0:60 offset1:61
	ds_write_b64 v134, v[128:129] offset:496
.LBB124_911:
	s_or_b64 exec, exec, s[0:1]
	v_cmp_lt_i32_e32 vcc, 53, v135
	s_waitcnt lgkmcnt(0)
	s_barrier
	s_and_saveexec_b64 s[0:1], vcc
	s_cbranch_execz .LBB124_913
; %bb.912:
	ds_read2_b64 v[140:143], v134 offset0:54 offset1:55
	ds_read2_b64 v[144:147], v134 offset0:56 offset1:57
	v_mul_f64 v[20:21], v[130:131], v[20:21]
	ds_read_b64 v[130:131], v134 offset:496
	ds_read2_b64 v[148:151], v134 offset0:60 offset1:61
	s_waitcnt lgkmcnt(0)
	v_fma_f64 v[18:19], -v[20:21], v[140:141], v[18:19]
	v_fma_f64 v[16:17], -v[20:21], v[142:143], v[16:17]
	ds_read2_b64 v[140:143], v134 offset0:58 offset1:59
	v_fma_f64 v[14:15], -v[20:21], v[144:145], v[14:15]
	v_fma_f64 v[12:13], -v[20:21], v[146:147], v[12:13]
	;; [unrolled: 1-line block ×4, first 2 shown]
	s_waitcnt lgkmcnt(0)
	v_fma_f64 v[10:11], -v[20:21], v[140:141], v[10:11]
	v_fma_f64 v[8:9], -v[20:21], v[142:143], v[8:9]
	;; [unrolled: 1-line block ×3, first 2 shown]
.LBB124_913:
	s_or_b64 exec, exec, s[0:1]
	v_lshl_add_u32 v130, v135, 3, v134
	s_barrier
	ds_write_b64 v130, v[18:19]
	s_waitcnt lgkmcnt(0)
	s_barrier
	ds_read_b64 v[130:131], v134 offset:432
	s_cmp_lt_i32 s18, 56
	v_mov_b32_e32 v132, 54
	s_cbranch_scc1 .LBB124_916
; %bb.914:
	v_add_u32_e32 v139, 0x1b8, v134
	s_mov_b32 s0, 55
	v_mov_b32_e32 v132, 54
.LBB124_915:                            ; =>This Inner Loop Header: Depth=1
	ds_read_b64 v[140:141], v139
	v_mov_b32_e32 v142, s0
	s_add_i32 s0, s0, 1
	v_add_u32_e32 v139, 8, v139
	s_cmp_lg_u32 s18, s0
	s_waitcnt lgkmcnt(0)
	v_cmp_lt_f64_e64 vcc, |v[130:131]|, |v[140:141]|
	v_cndmask_b32_e32 v131, v131, v141, vcc
	v_cndmask_b32_e32 v130, v130, v140, vcc
	;; [unrolled: 1-line block ×3, first 2 shown]
	s_cbranch_scc1 .LBB124_915
.LBB124_916:
	s_waitcnt lgkmcnt(0)
	v_cmp_eq_f64_e32 vcc, 0, v[130:131]
	s_and_saveexec_b64 s[0:1], vcc
	s_xor_b64 s[0:1], exec, s[0:1]
; %bb.917:
	v_cmp_ne_u32_e32 vcc, 0, v138
	v_cndmask_b32_e32 v138, 55, v138, vcc
; %bb.918:
	s_andn2_saveexec_b64 s[0:1], s[0:1]
; %bb.919:
	v_div_scale_f64 v[140:141], s[2:3], v[130:131], v[130:131], 1.0
	v_rcp_f64_e32 v[142:143], v[140:141]
	v_div_scale_f64 v[144:145], vcc, 1.0, v[130:131], 1.0
	v_fma_f64 v[146:147], -v[140:141], v[142:143], 1.0
	v_fmac_f64_e32 v[142:143], v[142:143], v[146:147]
	v_fma_f64 v[146:147], -v[140:141], v[142:143], 1.0
	v_fmac_f64_e32 v[142:143], v[142:143], v[146:147]
	v_mul_f64 v[146:147], v[144:145], v[142:143]
	v_fma_f64 v[140:141], -v[140:141], v[146:147], v[144:145]
	v_div_fmas_f64 v[140:141], v[140:141], v[142:143], v[146:147]
	v_div_fixup_f64 v[130:131], v[140:141], v[130:131], 1.0
; %bb.920:
	s_or_b64 exec, exec, s[0:1]
	v_cmp_ne_u32_e32 vcc, v135, v132
	s_and_saveexec_b64 s[0:1], vcc
	s_xor_b64 s[0:1], exec, s[0:1]
	s_cbranch_execz .LBB124_926
; %bb.921:
	v_cmp_eq_u32_e32 vcc, 54, v135
	s_and_saveexec_b64 s[2:3], vcc
	s_cbranch_execz .LBB124_925
; %bb.922:
	v_cmp_ne_u32_e32 vcc, 54, v132
	s_xor_b64 s[14:15], s[6:7], -1
	s_and_b64 s[16:17], s[14:15], vcc
	s_and_saveexec_b64 s[14:15], s[16:17]
	s_cbranch_execz .LBB124_924
; %bb.923:
	v_ashrrev_i32_e32 v133, 31, v132
	v_lshlrev_b64 v[140:141], 2, v[132:133]
	v_add_co_u32_e32 v140, vcc, v4, v140
	v_addc_co_u32_e32 v141, vcc, v5, v141, vcc
	flat_load_dword v133, v[140:141]
	flat_load_dword v135, v[4:5] offset:216
	s_waitcnt vmcnt(0) lgkmcnt(0)
	flat_store_dword v[4:5], v133 offset:216
	flat_store_dword v[140:141], v135
.LBB124_924:
	s_or_b64 exec, exec, s[14:15]
	v_mov_b32_e32 v133, v132
	v_mov_b32_e32 v135, v132
.LBB124_925:
	s_or_b64 exec, exec, s[2:3]
.LBB124_926:
	s_andn2_saveexec_b64 s[0:1], s[0:1]
	s_cbranch_execz .LBB124_928
; %bb.927:
	v_mov_b32_e32 v135, 54
	ds_write2_b64 v134, v[16:17], v[14:15] offset0:55 offset1:56
	ds_write2_b64 v134, v[12:13], v[10:11] offset0:57 offset1:58
	;; [unrolled: 1-line block ×4, first 2 shown]
.LBB124_928:
	s_or_b64 exec, exec, s[0:1]
	v_cmp_lt_i32_e32 vcc, 54, v135
	s_waitcnt lgkmcnt(0)
	s_barrier
	s_and_saveexec_b64 s[0:1], vcc
	s_cbranch_execz .LBB124_930
; %bb.929:
	ds_read2_b64 v[140:143], v134 offset0:55 offset1:56
	ds_read2_b64 v[144:147], v134 offset0:57 offset1:58
	v_mul_f64 v[18:19], v[130:131], v[18:19]
	ds_read2_b64 v[148:151], v134 offset0:59 offset1:60
	s_waitcnt lgkmcnt(0)
	v_fma_f64 v[16:17], -v[18:19], v[140:141], v[16:17]
	v_fma_f64 v[14:15], -v[18:19], v[142:143], v[14:15]
	ds_read2_b64 v[140:143], v134 offset0:61 offset1:62
	v_fma_f64 v[12:13], -v[18:19], v[144:145], v[12:13]
	v_fma_f64 v[10:11], -v[18:19], v[146:147], v[10:11]
	;; [unrolled: 1-line block ×4, first 2 shown]
	s_waitcnt lgkmcnt(0)
	v_fma_f64 v[0:1], -v[18:19], v[140:141], v[0:1]
	v_fma_f64 v[128:129], -v[18:19], v[142:143], v[128:129]
.LBB124_930:
	s_or_b64 exec, exec, s[0:1]
	v_lshl_add_u32 v130, v135, 3, v134
	s_barrier
	ds_write_b64 v130, v[16:17]
	s_waitcnt lgkmcnt(0)
	s_barrier
	ds_read_b64 v[130:131], v134 offset:440
	s_cmp_lt_i32 s18, 57
	v_mov_b32_e32 v132, 55
	s_cbranch_scc1 .LBB124_933
; %bb.931:
	v_add_u32_e32 v139, 0x1c0, v134
	s_mov_b32 s0, 56
	v_mov_b32_e32 v132, 55
.LBB124_932:                            ; =>This Inner Loop Header: Depth=1
	ds_read_b64 v[140:141], v139
	v_mov_b32_e32 v142, s0
	s_add_i32 s0, s0, 1
	v_add_u32_e32 v139, 8, v139
	s_cmp_lg_u32 s18, s0
	s_waitcnt lgkmcnt(0)
	v_cmp_lt_f64_e64 vcc, |v[130:131]|, |v[140:141]|
	v_cndmask_b32_e32 v131, v131, v141, vcc
	v_cndmask_b32_e32 v130, v130, v140, vcc
	;; [unrolled: 1-line block ×3, first 2 shown]
	s_cbranch_scc1 .LBB124_932
.LBB124_933:
	s_waitcnt lgkmcnt(0)
	v_cmp_eq_f64_e32 vcc, 0, v[130:131]
	s_and_saveexec_b64 s[0:1], vcc
	s_xor_b64 s[0:1], exec, s[0:1]
; %bb.934:
	v_cmp_ne_u32_e32 vcc, 0, v138
	v_cndmask_b32_e32 v138, 56, v138, vcc
; %bb.935:
	s_andn2_saveexec_b64 s[0:1], s[0:1]
; %bb.936:
	v_div_scale_f64 v[140:141], s[2:3], v[130:131], v[130:131], 1.0
	v_rcp_f64_e32 v[142:143], v[140:141]
	v_div_scale_f64 v[144:145], vcc, 1.0, v[130:131], 1.0
	v_fma_f64 v[146:147], -v[140:141], v[142:143], 1.0
	v_fmac_f64_e32 v[142:143], v[142:143], v[146:147]
	v_fma_f64 v[146:147], -v[140:141], v[142:143], 1.0
	v_fmac_f64_e32 v[142:143], v[142:143], v[146:147]
	v_mul_f64 v[146:147], v[144:145], v[142:143]
	v_fma_f64 v[140:141], -v[140:141], v[146:147], v[144:145]
	v_div_fmas_f64 v[140:141], v[140:141], v[142:143], v[146:147]
	v_div_fixup_f64 v[130:131], v[140:141], v[130:131], 1.0
; %bb.937:
	s_or_b64 exec, exec, s[0:1]
	v_cmp_ne_u32_e32 vcc, v135, v132
	s_and_saveexec_b64 s[0:1], vcc
	s_xor_b64 s[0:1], exec, s[0:1]
	s_cbranch_execz .LBB124_943
; %bb.938:
	v_cmp_eq_u32_e32 vcc, 55, v135
	s_and_saveexec_b64 s[2:3], vcc
	s_cbranch_execz .LBB124_942
; %bb.939:
	v_cmp_ne_u32_e32 vcc, 55, v132
	s_xor_b64 s[14:15], s[6:7], -1
	s_and_b64 s[16:17], s[14:15], vcc
	s_and_saveexec_b64 s[14:15], s[16:17]
	s_cbranch_execz .LBB124_941
; %bb.940:
	v_ashrrev_i32_e32 v133, 31, v132
	v_lshlrev_b64 v[140:141], 2, v[132:133]
	v_add_co_u32_e32 v140, vcc, v4, v140
	v_addc_co_u32_e32 v141, vcc, v5, v141, vcc
	flat_load_dword v133, v[140:141]
	flat_load_dword v135, v[4:5] offset:220
	s_waitcnt vmcnt(0) lgkmcnt(0)
	flat_store_dword v[4:5], v133 offset:220
	flat_store_dword v[140:141], v135
.LBB124_941:
	s_or_b64 exec, exec, s[14:15]
	v_mov_b32_e32 v133, v132
	v_mov_b32_e32 v135, v132
.LBB124_942:
	s_or_b64 exec, exec, s[2:3]
.LBB124_943:
	s_andn2_saveexec_b64 s[0:1], s[0:1]
	s_cbranch_execz .LBB124_945
; %bb.944:
	v_mov_b32_e32 v140, v14
	v_mov_b32_e32 v141, v15
	;; [unrolled: 1-line block ×4, first 2 shown]
	ds_write2_b64 v134, v[140:141], v[142:143] offset0:56 offset1:57
	v_mov_b32_e32 v140, v10
	v_mov_b32_e32 v141, v11
	v_mov_b32_e32 v142, v8
	v_mov_b32_e32 v143, v9
	ds_write2_b64 v134, v[140:141], v[142:143] offset0:58 offset1:59
	v_mov_b32_e32 v140, v6
	v_mov_b32_e32 v141, v7
	;; [unrolled: 1-line block ×5, first 2 shown]
	ds_write2_b64 v134, v[140:141], v[142:143] offset0:60 offset1:61
	ds_write_b64 v134, v[128:129] offset:496
.LBB124_945:
	s_or_b64 exec, exec, s[0:1]
	v_cmp_lt_i32_e32 vcc, 55, v135
	s_waitcnt lgkmcnt(0)
	s_barrier
	s_and_saveexec_b64 s[0:1], vcc
	s_cbranch_execz .LBB124_947
; %bb.946:
	ds_read2_b64 v[140:143], v134 offset0:56 offset1:57
	ds_read2_b64 v[144:147], v134 offset0:58 offset1:59
	v_mul_f64 v[16:17], v[130:131], v[16:17]
	ds_read2_b64 v[148:151], v134 offset0:60 offset1:61
	ds_read_b64 v[130:131], v134 offset:496
	s_waitcnt lgkmcnt(0)
	v_fma_f64 v[14:15], -v[16:17], v[140:141], v[14:15]
	v_fma_f64 v[12:13], -v[16:17], v[142:143], v[12:13]
	;; [unrolled: 1-line block ×7, first 2 shown]
.LBB124_947:
	s_or_b64 exec, exec, s[0:1]
	v_lshl_add_u32 v130, v135, 3, v134
	s_barrier
	ds_write_b64 v130, v[14:15]
	s_waitcnt lgkmcnt(0)
	s_barrier
	ds_read_b64 v[130:131], v134 offset:448
	s_cmp_lt_i32 s18, 58
	v_mov_b32_e32 v132, 56
	s_cbranch_scc1 .LBB124_950
; %bb.948:
	v_add_u32_e32 v139, 0x1c8, v134
	s_mov_b32 s0, 57
	v_mov_b32_e32 v132, 56
.LBB124_949:                            ; =>This Inner Loop Header: Depth=1
	ds_read_b64 v[140:141], v139
	v_mov_b32_e32 v142, s0
	s_add_i32 s0, s0, 1
	v_add_u32_e32 v139, 8, v139
	s_cmp_lg_u32 s18, s0
	s_waitcnt lgkmcnt(0)
	v_cmp_lt_f64_e64 vcc, |v[130:131]|, |v[140:141]|
	v_cndmask_b32_e32 v131, v131, v141, vcc
	v_cndmask_b32_e32 v130, v130, v140, vcc
	;; [unrolled: 1-line block ×3, first 2 shown]
	s_cbranch_scc1 .LBB124_949
.LBB124_950:
	s_waitcnt lgkmcnt(0)
	v_cmp_eq_f64_e32 vcc, 0, v[130:131]
	s_and_saveexec_b64 s[0:1], vcc
	s_xor_b64 s[0:1], exec, s[0:1]
; %bb.951:
	v_cmp_ne_u32_e32 vcc, 0, v138
	v_cndmask_b32_e32 v138, 57, v138, vcc
; %bb.952:
	s_andn2_saveexec_b64 s[0:1], s[0:1]
; %bb.953:
	v_div_scale_f64 v[140:141], s[2:3], v[130:131], v[130:131], 1.0
	v_rcp_f64_e32 v[142:143], v[140:141]
	v_div_scale_f64 v[144:145], vcc, 1.0, v[130:131], 1.0
	v_fma_f64 v[146:147], -v[140:141], v[142:143], 1.0
	v_fmac_f64_e32 v[142:143], v[142:143], v[146:147]
	v_fma_f64 v[146:147], -v[140:141], v[142:143], 1.0
	v_fmac_f64_e32 v[142:143], v[142:143], v[146:147]
	v_mul_f64 v[146:147], v[144:145], v[142:143]
	v_fma_f64 v[140:141], -v[140:141], v[146:147], v[144:145]
	v_div_fmas_f64 v[140:141], v[140:141], v[142:143], v[146:147]
	v_div_fixup_f64 v[130:131], v[140:141], v[130:131], 1.0
; %bb.954:
	s_or_b64 exec, exec, s[0:1]
	v_cmp_ne_u32_e32 vcc, v135, v132
	s_and_saveexec_b64 s[0:1], vcc
	s_xor_b64 s[0:1], exec, s[0:1]
	s_cbranch_execz .LBB124_960
; %bb.955:
	v_cmp_eq_u32_e32 vcc, 56, v135
	s_and_saveexec_b64 s[2:3], vcc
	s_cbranch_execz .LBB124_959
; %bb.956:
	v_cmp_ne_u32_e32 vcc, 56, v132
	s_xor_b64 s[14:15], s[6:7], -1
	s_and_b64 s[16:17], s[14:15], vcc
	s_and_saveexec_b64 s[14:15], s[16:17]
	s_cbranch_execz .LBB124_958
; %bb.957:
	v_ashrrev_i32_e32 v133, 31, v132
	v_lshlrev_b64 v[140:141], 2, v[132:133]
	v_add_co_u32_e32 v140, vcc, v4, v140
	v_addc_co_u32_e32 v141, vcc, v5, v141, vcc
	flat_load_dword v133, v[140:141]
	flat_load_dword v135, v[4:5] offset:224
	s_waitcnt vmcnt(0) lgkmcnt(0)
	flat_store_dword v[4:5], v133 offset:224
	flat_store_dword v[140:141], v135
.LBB124_958:
	s_or_b64 exec, exec, s[14:15]
	v_mov_b32_e32 v133, v132
	v_mov_b32_e32 v135, v132
.LBB124_959:
	s_or_b64 exec, exec, s[2:3]
.LBB124_960:
	s_andn2_saveexec_b64 s[0:1], s[0:1]
	s_cbranch_execz .LBB124_962
; %bb.961:
	v_mov_b32_e32 v135, 56
	ds_write2_b64 v134, v[12:13], v[10:11] offset0:57 offset1:58
	ds_write2_b64 v134, v[8:9], v[6:7] offset0:59 offset1:60
	;; [unrolled: 1-line block ×3, first 2 shown]
.LBB124_962:
	s_or_b64 exec, exec, s[0:1]
	v_cmp_lt_i32_e32 vcc, 56, v135
	s_waitcnt lgkmcnt(0)
	s_barrier
	s_and_saveexec_b64 s[0:1], vcc
	s_cbranch_execz .LBB124_964
; %bb.963:
	ds_read2_b64 v[140:143], v134 offset0:57 offset1:58
	ds_read2_b64 v[144:147], v134 offset0:59 offset1:60
	ds_read2_b64 v[148:151], v134 offset0:61 offset1:62
	v_mul_f64 v[14:15], v[130:131], v[14:15]
	s_waitcnt lgkmcnt(0)
	v_fma_f64 v[12:13], -v[14:15], v[140:141], v[12:13]
	v_fma_f64 v[10:11], -v[14:15], v[142:143], v[10:11]
	;; [unrolled: 1-line block ×6, first 2 shown]
.LBB124_964:
	s_or_b64 exec, exec, s[0:1]
	v_lshl_add_u32 v130, v135, 3, v134
	s_barrier
	ds_write_b64 v130, v[12:13]
	s_waitcnt lgkmcnt(0)
	s_barrier
	ds_read_b64 v[130:131], v134 offset:456
	s_cmp_lt_i32 s18, 59
	v_mov_b32_e32 v132, 57
	s_cbranch_scc1 .LBB124_967
; %bb.965:
	v_add_u32_e32 v139, 0x1d0, v134
	s_mov_b32 s0, 58
	v_mov_b32_e32 v132, 57
.LBB124_966:                            ; =>This Inner Loop Header: Depth=1
	ds_read_b64 v[140:141], v139
	v_mov_b32_e32 v142, s0
	s_add_i32 s0, s0, 1
	v_add_u32_e32 v139, 8, v139
	s_cmp_lg_u32 s18, s0
	s_waitcnt lgkmcnt(0)
	v_cmp_lt_f64_e64 vcc, |v[130:131]|, |v[140:141]|
	v_cndmask_b32_e32 v131, v131, v141, vcc
	v_cndmask_b32_e32 v130, v130, v140, vcc
	;; [unrolled: 1-line block ×3, first 2 shown]
	s_cbranch_scc1 .LBB124_966
.LBB124_967:
	s_waitcnt lgkmcnt(0)
	v_cmp_eq_f64_e32 vcc, 0, v[130:131]
	s_and_saveexec_b64 s[0:1], vcc
	s_xor_b64 s[0:1], exec, s[0:1]
; %bb.968:
	v_cmp_ne_u32_e32 vcc, 0, v138
	v_cndmask_b32_e32 v138, 58, v138, vcc
; %bb.969:
	s_andn2_saveexec_b64 s[0:1], s[0:1]
; %bb.970:
	v_div_scale_f64 v[140:141], s[2:3], v[130:131], v[130:131], 1.0
	v_rcp_f64_e32 v[142:143], v[140:141]
	v_div_scale_f64 v[144:145], vcc, 1.0, v[130:131], 1.0
	v_fma_f64 v[146:147], -v[140:141], v[142:143], 1.0
	v_fmac_f64_e32 v[142:143], v[142:143], v[146:147]
	v_fma_f64 v[146:147], -v[140:141], v[142:143], 1.0
	v_fmac_f64_e32 v[142:143], v[142:143], v[146:147]
	v_mul_f64 v[146:147], v[144:145], v[142:143]
	v_fma_f64 v[140:141], -v[140:141], v[146:147], v[144:145]
	v_div_fmas_f64 v[140:141], v[140:141], v[142:143], v[146:147]
	v_div_fixup_f64 v[130:131], v[140:141], v[130:131], 1.0
; %bb.971:
	s_or_b64 exec, exec, s[0:1]
	v_cmp_ne_u32_e32 vcc, v135, v132
	s_and_saveexec_b64 s[0:1], vcc
	s_xor_b64 s[0:1], exec, s[0:1]
	s_cbranch_execz .LBB124_977
; %bb.972:
	v_cmp_eq_u32_e32 vcc, 57, v135
	s_and_saveexec_b64 s[2:3], vcc
	s_cbranch_execz .LBB124_976
; %bb.973:
	v_cmp_ne_u32_e32 vcc, 57, v132
	s_xor_b64 s[14:15], s[6:7], -1
	s_and_b64 s[16:17], s[14:15], vcc
	s_and_saveexec_b64 s[14:15], s[16:17]
	s_cbranch_execz .LBB124_975
; %bb.974:
	v_ashrrev_i32_e32 v133, 31, v132
	v_lshlrev_b64 v[140:141], 2, v[132:133]
	v_add_co_u32_e32 v140, vcc, v4, v140
	v_addc_co_u32_e32 v141, vcc, v5, v141, vcc
	flat_load_dword v133, v[140:141]
	flat_load_dword v135, v[4:5] offset:228
	s_waitcnt vmcnt(0) lgkmcnt(0)
	flat_store_dword v[4:5], v133 offset:228
	flat_store_dword v[140:141], v135
.LBB124_975:
	s_or_b64 exec, exec, s[14:15]
	v_mov_b32_e32 v133, v132
	v_mov_b32_e32 v135, v132
.LBB124_976:
	s_or_b64 exec, exec, s[2:3]
.LBB124_977:
	s_andn2_saveexec_b64 s[0:1], s[0:1]
	s_cbranch_execz .LBB124_979
; %bb.978:
	v_mov_b32_e32 v140, v10
	v_mov_b32_e32 v141, v11
	;; [unrolled: 1-line block ×4, first 2 shown]
	ds_write2_b64 v134, v[140:141], v[142:143] offset0:58 offset1:59
	v_mov_b32_e32 v140, v6
	v_mov_b32_e32 v141, v7
	;; [unrolled: 1-line block ×5, first 2 shown]
	ds_write2_b64 v134, v[140:141], v[142:143] offset0:60 offset1:61
	ds_write_b64 v134, v[128:129] offset:496
.LBB124_979:
	s_or_b64 exec, exec, s[0:1]
	v_cmp_lt_i32_e32 vcc, 57, v135
	s_waitcnt lgkmcnt(0)
	s_barrier
	s_and_saveexec_b64 s[0:1], vcc
	s_cbranch_execz .LBB124_981
; %bb.980:
	ds_read2_b64 v[140:143], v134 offset0:58 offset1:59
	ds_read2_b64 v[144:147], v134 offset0:60 offset1:61
	v_mul_f64 v[12:13], v[130:131], v[12:13]
	ds_read_b64 v[130:131], v134 offset:496
	s_waitcnt lgkmcnt(0)
	v_fma_f64 v[10:11], -v[12:13], v[140:141], v[10:11]
	v_fma_f64 v[8:9], -v[12:13], v[142:143], v[8:9]
	;; [unrolled: 1-line block ×5, first 2 shown]
.LBB124_981:
	s_or_b64 exec, exec, s[0:1]
	v_lshl_add_u32 v130, v135, 3, v134
	s_barrier
	ds_write_b64 v130, v[10:11]
	s_waitcnt lgkmcnt(0)
	s_barrier
	ds_read_b64 v[130:131], v134 offset:464
	s_cmp_lt_i32 s18, 60
	v_mov_b32_e32 v132, 58
	s_cbranch_scc1 .LBB124_984
; %bb.982:
	v_add_u32_e32 v139, 0x1d8, v134
	s_mov_b32 s0, 59
	v_mov_b32_e32 v132, 58
.LBB124_983:                            ; =>This Inner Loop Header: Depth=1
	ds_read_b64 v[140:141], v139
	v_mov_b32_e32 v142, s0
	s_add_i32 s0, s0, 1
	v_add_u32_e32 v139, 8, v139
	s_cmp_lg_u32 s18, s0
	s_waitcnt lgkmcnt(0)
	v_cmp_lt_f64_e64 vcc, |v[130:131]|, |v[140:141]|
	v_cndmask_b32_e32 v131, v131, v141, vcc
	v_cndmask_b32_e32 v130, v130, v140, vcc
	;; [unrolled: 1-line block ×3, first 2 shown]
	s_cbranch_scc1 .LBB124_983
.LBB124_984:
	s_waitcnt lgkmcnt(0)
	v_cmp_eq_f64_e32 vcc, 0, v[130:131]
	s_and_saveexec_b64 s[0:1], vcc
	s_xor_b64 s[0:1], exec, s[0:1]
; %bb.985:
	v_cmp_ne_u32_e32 vcc, 0, v138
	v_cndmask_b32_e32 v138, 59, v138, vcc
; %bb.986:
	s_andn2_saveexec_b64 s[0:1], s[0:1]
; %bb.987:
	v_div_scale_f64 v[140:141], s[2:3], v[130:131], v[130:131], 1.0
	v_rcp_f64_e32 v[142:143], v[140:141]
	v_div_scale_f64 v[144:145], vcc, 1.0, v[130:131], 1.0
	v_fma_f64 v[146:147], -v[140:141], v[142:143], 1.0
	v_fmac_f64_e32 v[142:143], v[142:143], v[146:147]
	v_fma_f64 v[146:147], -v[140:141], v[142:143], 1.0
	v_fmac_f64_e32 v[142:143], v[142:143], v[146:147]
	v_mul_f64 v[146:147], v[144:145], v[142:143]
	v_fma_f64 v[140:141], -v[140:141], v[146:147], v[144:145]
	v_div_fmas_f64 v[140:141], v[140:141], v[142:143], v[146:147]
	v_div_fixup_f64 v[130:131], v[140:141], v[130:131], 1.0
; %bb.988:
	s_or_b64 exec, exec, s[0:1]
	v_cmp_ne_u32_e32 vcc, v135, v132
	s_and_saveexec_b64 s[0:1], vcc
	s_xor_b64 s[0:1], exec, s[0:1]
	s_cbranch_execz .LBB124_994
; %bb.989:
	v_cmp_eq_u32_e32 vcc, 58, v135
	s_and_saveexec_b64 s[2:3], vcc
	s_cbranch_execz .LBB124_993
; %bb.990:
	v_cmp_ne_u32_e32 vcc, 58, v132
	s_xor_b64 s[14:15], s[6:7], -1
	s_and_b64 s[16:17], s[14:15], vcc
	s_and_saveexec_b64 s[14:15], s[16:17]
	s_cbranch_execz .LBB124_992
; %bb.991:
	v_ashrrev_i32_e32 v133, 31, v132
	v_lshlrev_b64 v[140:141], 2, v[132:133]
	v_add_co_u32_e32 v140, vcc, v4, v140
	v_addc_co_u32_e32 v141, vcc, v5, v141, vcc
	flat_load_dword v133, v[140:141]
	flat_load_dword v135, v[4:5] offset:232
	s_waitcnt vmcnt(0) lgkmcnt(0)
	flat_store_dword v[4:5], v133 offset:232
	flat_store_dword v[140:141], v135
.LBB124_992:
	s_or_b64 exec, exec, s[14:15]
	v_mov_b32_e32 v133, v132
	v_mov_b32_e32 v135, v132
.LBB124_993:
	s_or_b64 exec, exec, s[2:3]
.LBB124_994:
	s_andn2_saveexec_b64 s[0:1], s[0:1]
	s_cbranch_execz .LBB124_996
; %bb.995:
	v_mov_b32_e32 v135, 58
	ds_write2_b64 v134, v[8:9], v[6:7] offset0:59 offset1:60
	ds_write2_b64 v134, v[0:1], v[128:129] offset0:61 offset1:62
.LBB124_996:
	s_or_b64 exec, exec, s[0:1]
	v_cmp_lt_i32_e32 vcc, 58, v135
	s_waitcnt lgkmcnt(0)
	s_barrier
	s_and_saveexec_b64 s[0:1], vcc
	s_cbranch_execz .LBB124_998
; %bb.997:
	ds_read2_b64 v[140:143], v134 offset0:59 offset1:60
	ds_read2_b64 v[144:147], v134 offset0:61 offset1:62
	v_mul_f64 v[10:11], v[130:131], v[10:11]
	s_waitcnt lgkmcnt(0)
	v_fma_f64 v[8:9], -v[10:11], v[140:141], v[8:9]
	v_fma_f64 v[6:7], -v[10:11], v[142:143], v[6:7]
	;; [unrolled: 1-line block ×4, first 2 shown]
.LBB124_998:
	s_or_b64 exec, exec, s[0:1]
	v_lshl_add_u32 v130, v135, 3, v134
	s_barrier
	ds_write_b64 v130, v[8:9]
	s_waitcnt lgkmcnt(0)
	s_barrier
	ds_read_b64 v[130:131], v134 offset:472
	s_cmp_lt_i32 s18, 61
	v_mov_b32_e32 v132, 59
	s_cbranch_scc1 .LBB124_1001
; %bb.999:
	v_add_u32_e32 v139, 0x1e0, v134
	s_mov_b32 s0, 60
	v_mov_b32_e32 v132, 59
.LBB124_1000:                           ; =>This Inner Loop Header: Depth=1
	ds_read_b64 v[140:141], v139
	v_mov_b32_e32 v142, s0
	s_add_i32 s0, s0, 1
	v_add_u32_e32 v139, 8, v139
	s_cmp_lg_u32 s18, s0
	s_waitcnt lgkmcnt(0)
	v_cmp_lt_f64_e64 vcc, |v[130:131]|, |v[140:141]|
	v_cndmask_b32_e32 v131, v131, v141, vcc
	v_cndmask_b32_e32 v130, v130, v140, vcc
	;; [unrolled: 1-line block ×3, first 2 shown]
	s_cbranch_scc1 .LBB124_1000
.LBB124_1001:
	s_waitcnt lgkmcnt(0)
	v_cmp_eq_f64_e32 vcc, 0, v[130:131]
	s_and_saveexec_b64 s[0:1], vcc
	s_xor_b64 s[0:1], exec, s[0:1]
; %bb.1002:
	v_cmp_ne_u32_e32 vcc, 0, v138
	v_cndmask_b32_e32 v138, 60, v138, vcc
; %bb.1003:
	s_andn2_saveexec_b64 s[0:1], s[0:1]
; %bb.1004:
	v_div_scale_f64 v[140:141], s[2:3], v[130:131], v[130:131], 1.0
	v_rcp_f64_e32 v[142:143], v[140:141]
	v_div_scale_f64 v[144:145], vcc, 1.0, v[130:131], 1.0
	v_fma_f64 v[146:147], -v[140:141], v[142:143], 1.0
	v_fmac_f64_e32 v[142:143], v[142:143], v[146:147]
	v_fma_f64 v[146:147], -v[140:141], v[142:143], 1.0
	v_fmac_f64_e32 v[142:143], v[142:143], v[146:147]
	v_mul_f64 v[146:147], v[144:145], v[142:143]
	v_fma_f64 v[140:141], -v[140:141], v[146:147], v[144:145]
	v_div_fmas_f64 v[140:141], v[140:141], v[142:143], v[146:147]
	v_div_fixup_f64 v[130:131], v[140:141], v[130:131], 1.0
; %bb.1005:
	s_or_b64 exec, exec, s[0:1]
	v_cmp_ne_u32_e32 vcc, v135, v132
	s_and_saveexec_b64 s[0:1], vcc
	s_xor_b64 s[0:1], exec, s[0:1]
	s_cbranch_execz .LBB124_1011
; %bb.1006:
	v_cmp_eq_u32_e32 vcc, 59, v135
	s_and_saveexec_b64 s[2:3], vcc
	s_cbranch_execz .LBB124_1010
; %bb.1007:
	v_cmp_ne_u32_e32 vcc, 59, v132
	s_xor_b64 s[14:15], s[6:7], -1
	s_and_b64 s[16:17], s[14:15], vcc
	s_and_saveexec_b64 s[14:15], s[16:17]
	s_cbranch_execz .LBB124_1009
; %bb.1008:
	v_ashrrev_i32_e32 v133, 31, v132
	v_lshlrev_b64 v[140:141], 2, v[132:133]
	v_add_co_u32_e32 v140, vcc, v4, v140
	v_addc_co_u32_e32 v141, vcc, v5, v141, vcc
	flat_load_dword v133, v[140:141]
	flat_load_dword v135, v[4:5] offset:236
	s_waitcnt vmcnt(0) lgkmcnt(0)
	flat_store_dword v[4:5], v133 offset:236
	flat_store_dword v[140:141], v135
.LBB124_1009:
	s_or_b64 exec, exec, s[14:15]
	v_mov_b32_e32 v133, v132
	v_mov_b32_e32 v135, v132
.LBB124_1010:
	s_or_b64 exec, exec, s[2:3]
.LBB124_1011:
	s_andn2_saveexec_b64 s[0:1], s[0:1]
	s_cbranch_execz .LBB124_1013
; %bb.1012:
	v_mov_b32_e32 v140, v6
	v_mov_b32_e32 v141, v7
	;; [unrolled: 1-line block ×5, first 2 shown]
	ds_write2_b64 v134, v[140:141], v[142:143] offset0:60 offset1:61
	ds_write_b64 v134, v[128:129] offset:496
.LBB124_1013:
	s_or_b64 exec, exec, s[0:1]
	v_cmp_lt_i32_e32 vcc, 59, v135
	s_waitcnt lgkmcnt(0)
	s_barrier
	s_and_saveexec_b64 s[0:1], vcc
	s_cbranch_execz .LBB124_1015
; %bb.1014:
	ds_read2_b64 v[140:143], v134 offset0:60 offset1:61
	ds_read_b64 v[144:145], v134 offset:496
	v_mul_f64 v[8:9], v[130:131], v[8:9]
	s_waitcnt lgkmcnt(0)
	v_fma_f64 v[6:7], -v[8:9], v[140:141], v[6:7]
	v_fma_f64 v[0:1], -v[8:9], v[142:143], v[0:1]
	;; [unrolled: 1-line block ×3, first 2 shown]
.LBB124_1015:
	s_or_b64 exec, exec, s[0:1]
	v_lshl_add_u32 v130, v135, 3, v134
	s_barrier
	ds_write_b64 v130, v[6:7]
	s_waitcnt lgkmcnt(0)
	s_barrier
	ds_read_b64 v[130:131], v134 offset:480
	s_cmp_lt_i32 s18, 62
	v_mov_b32_e32 v132, 60
	s_cbranch_scc1 .LBB124_1018
; %bb.1016:
	v_add_u32_e32 v139, 0x1e8, v134
	s_mov_b32 s0, 61
	v_mov_b32_e32 v132, 60
.LBB124_1017:                           ; =>This Inner Loop Header: Depth=1
	ds_read_b64 v[140:141], v139
	v_mov_b32_e32 v142, s0
	s_add_i32 s0, s0, 1
	v_add_u32_e32 v139, 8, v139
	s_cmp_lg_u32 s18, s0
	s_waitcnt lgkmcnt(0)
	v_cmp_lt_f64_e64 vcc, |v[130:131]|, |v[140:141]|
	v_cndmask_b32_e32 v131, v131, v141, vcc
	v_cndmask_b32_e32 v130, v130, v140, vcc
	;; [unrolled: 1-line block ×3, first 2 shown]
	s_cbranch_scc1 .LBB124_1017
.LBB124_1018:
	s_waitcnt lgkmcnt(0)
	v_cmp_eq_f64_e32 vcc, 0, v[130:131]
	s_and_saveexec_b64 s[0:1], vcc
	s_xor_b64 s[0:1], exec, s[0:1]
; %bb.1019:
	v_cmp_ne_u32_e32 vcc, 0, v138
	v_cndmask_b32_e32 v138, 61, v138, vcc
; %bb.1020:
	s_andn2_saveexec_b64 s[0:1], s[0:1]
; %bb.1021:
	v_div_scale_f64 v[140:141], s[2:3], v[130:131], v[130:131], 1.0
	v_rcp_f64_e32 v[142:143], v[140:141]
	v_div_scale_f64 v[144:145], vcc, 1.0, v[130:131], 1.0
	v_fma_f64 v[146:147], -v[140:141], v[142:143], 1.0
	v_fmac_f64_e32 v[142:143], v[142:143], v[146:147]
	v_fma_f64 v[146:147], -v[140:141], v[142:143], 1.0
	v_fmac_f64_e32 v[142:143], v[142:143], v[146:147]
	v_mul_f64 v[146:147], v[144:145], v[142:143]
	v_fma_f64 v[140:141], -v[140:141], v[146:147], v[144:145]
	v_div_fmas_f64 v[140:141], v[140:141], v[142:143], v[146:147]
	v_div_fixup_f64 v[130:131], v[140:141], v[130:131], 1.0
; %bb.1022:
	s_or_b64 exec, exec, s[0:1]
	v_cmp_ne_u32_e32 vcc, v135, v132
	s_and_saveexec_b64 s[0:1], vcc
	s_xor_b64 s[0:1], exec, s[0:1]
	s_cbranch_execz .LBB124_1028
; %bb.1023:
	v_cmp_eq_u32_e32 vcc, 60, v135
	s_and_saveexec_b64 s[2:3], vcc
	s_cbranch_execz .LBB124_1027
; %bb.1024:
	v_cmp_ne_u32_e32 vcc, 60, v132
	s_xor_b64 s[14:15], s[6:7], -1
	s_and_b64 s[16:17], s[14:15], vcc
	s_and_saveexec_b64 s[14:15], s[16:17]
	s_cbranch_execz .LBB124_1026
; %bb.1025:
	v_ashrrev_i32_e32 v133, 31, v132
	v_lshlrev_b64 v[140:141], 2, v[132:133]
	v_add_co_u32_e32 v140, vcc, v4, v140
	v_addc_co_u32_e32 v141, vcc, v5, v141, vcc
	flat_load_dword v133, v[140:141]
	flat_load_dword v135, v[4:5] offset:240
	s_waitcnt vmcnt(0) lgkmcnt(0)
	flat_store_dword v[4:5], v133 offset:240
	flat_store_dword v[140:141], v135
.LBB124_1026:
	s_or_b64 exec, exec, s[14:15]
	v_mov_b32_e32 v133, v132
	v_mov_b32_e32 v135, v132
.LBB124_1027:
	s_or_b64 exec, exec, s[2:3]
.LBB124_1028:
	s_andn2_saveexec_b64 s[0:1], s[0:1]
	s_cbranch_execz .LBB124_1030
; %bb.1029:
	v_mov_b32_e32 v135, 60
	ds_write2_b64 v134, v[0:1], v[128:129] offset0:61 offset1:62
.LBB124_1030:
	s_or_b64 exec, exec, s[0:1]
	v_cmp_lt_i32_e32 vcc, 60, v135
	s_waitcnt lgkmcnt(0)
	s_barrier
	s_and_saveexec_b64 s[0:1], vcc
	s_cbranch_execz .LBB124_1032
; %bb.1031:
	ds_read2_b64 v[140:143], v134 offset0:61 offset1:62
	v_mul_f64 v[6:7], v[130:131], v[6:7]
	s_waitcnt lgkmcnt(0)
	v_fma_f64 v[0:1], -v[6:7], v[140:141], v[0:1]
	v_fma_f64 v[128:129], -v[6:7], v[142:143], v[128:129]
.LBB124_1032:
	s_or_b64 exec, exec, s[0:1]
	v_lshl_add_u32 v130, v135, 3, v134
	s_barrier
	ds_write_b64 v130, v[0:1]
	s_waitcnt lgkmcnt(0)
	s_barrier
	ds_read_b64 v[130:131], v134 offset:488
	s_cmp_lt_i32 s18, 63
	v_mov_b32_e32 v132, 61
	s_cbranch_scc1 .LBB124_1035
; %bb.1033:
	v_add_u32_e32 v139, 0x1f0, v134
	s_mov_b32 s0, 62
	v_mov_b32_e32 v132, 61
.LBB124_1034:                           ; =>This Inner Loop Header: Depth=1
	ds_read_b64 v[140:141], v139
	v_mov_b32_e32 v142, s0
	s_add_i32 s0, s0, 1
	v_add_u32_e32 v139, 8, v139
	s_cmp_lg_u32 s18, s0
	s_waitcnt lgkmcnt(0)
	v_cmp_lt_f64_e64 vcc, |v[130:131]|, |v[140:141]|
	v_cndmask_b32_e32 v131, v131, v141, vcc
	v_cndmask_b32_e32 v130, v130, v140, vcc
	;; [unrolled: 1-line block ×3, first 2 shown]
	s_cbranch_scc1 .LBB124_1034
.LBB124_1035:
	s_waitcnt lgkmcnt(0)
	v_cmp_eq_f64_e32 vcc, 0, v[130:131]
	s_and_saveexec_b64 s[0:1], vcc
	s_xor_b64 s[0:1], exec, s[0:1]
; %bb.1036:
	v_cmp_ne_u32_e32 vcc, 0, v138
	v_cndmask_b32_e32 v138, 62, v138, vcc
; %bb.1037:
	s_andn2_saveexec_b64 s[0:1], s[0:1]
; %bb.1038:
	v_div_scale_f64 v[140:141], s[2:3], v[130:131], v[130:131], 1.0
	v_rcp_f64_e32 v[142:143], v[140:141]
	v_div_scale_f64 v[144:145], vcc, 1.0, v[130:131], 1.0
	v_fma_f64 v[146:147], -v[140:141], v[142:143], 1.0
	v_fmac_f64_e32 v[142:143], v[142:143], v[146:147]
	v_fma_f64 v[146:147], -v[140:141], v[142:143], 1.0
	v_fmac_f64_e32 v[142:143], v[142:143], v[146:147]
	v_mul_f64 v[146:147], v[144:145], v[142:143]
	v_fma_f64 v[140:141], -v[140:141], v[146:147], v[144:145]
	v_div_fmas_f64 v[140:141], v[140:141], v[142:143], v[146:147]
	v_div_fixup_f64 v[130:131], v[140:141], v[130:131], 1.0
; %bb.1039:
	s_or_b64 exec, exec, s[0:1]
	v_cmp_ne_u32_e32 vcc, v135, v132
	s_and_saveexec_b64 s[0:1], vcc
	s_xor_b64 s[0:1], exec, s[0:1]
	s_cbranch_execz .LBB124_1045
; %bb.1040:
	v_cmp_eq_u32_e32 vcc, 61, v135
	s_and_saveexec_b64 s[2:3], vcc
	s_cbranch_execz .LBB124_1044
; %bb.1041:
	v_cmp_ne_u32_e32 vcc, 61, v132
	s_xor_b64 s[14:15], s[6:7], -1
	s_and_b64 s[16:17], s[14:15], vcc
	s_and_saveexec_b64 s[14:15], s[16:17]
	s_cbranch_execz .LBB124_1043
; %bb.1042:
	v_ashrrev_i32_e32 v133, 31, v132
	v_lshlrev_b64 v[140:141], 2, v[132:133]
	v_add_co_u32_e32 v140, vcc, v4, v140
	v_addc_co_u32_e32 v141, vcc, v5, v141, vcc
	flat_load_dword v133, v[140:141]
	flat_load_dword v135, v[4:5] offset:244
	s_waitcnt vmcnt(0) lgkmcnt(0)
	flat_store_dword v[4:5], v133 offset:244
	flat_store_dword v[140:141], v135
.LBB124_1043:
	s_or_b64 exec, exec, s[14:15]
	v_mov_b32_e32 v133, v132
	v_mov_b32_e32 v135, v132
.LBB124_1044:
	s_or_b64 exec, exec, s[2:3]
.LBB124_1045:
	s_andn2_saveexec_b64 s[0:1], s[0:1]
	s_cbranch_execz .LBB124_1047
; %bb.1046:
	v_mov_b32_e32 v135, 61
	ds_write_b64 v134, v[128:129] offset:496
.LBB124_1047:
	s_or_b64 exec, exec, s[0:1]
	v_cmp_lt_i32_e32 vcc, 61, v135
	s_waitcnt lgkmcnt(0)
	s_barrier
	s_and_saveexec_b64 s[0:1], vcc
	s_cbranch_execz .LBB124_1049
; %bb.1048:
	ds_read_b64 v[140:141], v134 offset:496
	v_mul_f64 v[0:1], v[130:131], v[0:1]
	s_waitcnt lgkmcnt(0)
	v_fma_f64 v[128:129], -v[0:1], v[140:141], v[128:129]
.LBB124_1049:
	s_or_b64 exec, exec, s[0:1]
	v_lshl_add_u32 v130, v135, 3, v134
	s_barrier
	ds_write_b64 v130, v[128:129]
	s_waitcnt lgkmcnt(0)
	s_barrier
	ds_read_b64 v[130:131], v134 offset:496
	s_cmp_lt_i32 s18, 64
	v_mov_b32_e32 v132, 62
	s_cbranch_scc1 .LBB124_1052
; %bb.1050:
	v_add_u32_e32 v134, 0x1f8, v134
	s_mov_b32 s0, 63
	v_mov_b32_e32 v132, 62
.LBB124_1051:                           ; =>This Inner Loop Header: Depth=1
	ds_read_b64 v[140:141], v134
	v_mov_b32_e32 v139, s0
	s_add_i32 s0, s0, 1
	v_add_u32_e32 v134, 8, v134
	s_cmp_lg_u32 s18, s0
	s_waitcnt lgkmcnt(0)
	v_cmp_lt_f64_e64 vcc, |v[130:131]|, |v[140:141]|
	v_cndmask_b32_e32 v131, v131, v141, vcc
	v_cndmask_b32_e32 v130, v130, v140, vcc
	;; [unrolled: 1-line block ×3, first 2 shown]
	s_cbranch_scc1 .LBB124_1051
.LBB124_1052:
	s_waitcnt lgkmcnt(0)
	v_cmp_eq_f64_e32 vcc, 0, v[130:131]
	s_and_saveexec_b64 s[0:1], vcc
	s_xor_b64 s[0:1], exec, s[0:1]
; %bb.1053:
	v_cmp_ne_u32_e32 vcc, 0, v138
	v_cndmask_b32_e32 v138, 63, v138, vcc
; %bb.1054:
	s_andn2_saveexec_b64 s[0:1], s[0:1]
; %bb.1055:
	v_div_scale_f64 v[140:141], s[2:3], v[130:131], v[130:131], 1.0
	v_rcp_f64_e32 v[142:143], v[140:141]
	v_div_scale_f64 v[144:145], vcc, 1.0, v[130:131], 1.0
	v_fma_f64 v[146:147], -v[140:141], v[142:143], 1.0
	v_fmac_f64_e32 v[142:143], v[142:143], v[146:147]
	v_fma_f64 v[146:147], -v[140:141], v[142:143], 1.0
	v_fmac_f64_e32 v[142:143], v[142:143], v[146:147]
	v_mul_f64 v[146:147], v[144:145], v[142:143]
	v_fma_f64 v[140:141], -v[140:141], v[146:147], v[144:145]
	v_div_fmas_f64 v[140:141], v[140:141], v[142:143], v[146:147]
	v_div_fixup_f64 v[130:131], v[140:141], v[130:131], 1.0
; %bb.1056:
	s_or_b64 exec, exec, s[0:1]
	v_cmp_ne_u32_e32 vcc, v135, v132
	v_mov_b32_e32 v134, 62
	s_and_saveexec_b64 s[0:1], vcc
	s_cbranch_execz .LBB124_1062
; %bb.1057:
	v_cmp_eq_u32_e32 vcc, 62, v135
	s_and_saveexec_b64 s[2:3], vcc
	s_cbranch_execz .LBB124_1061
; %bb.1058:
	v_cmp_ne_u32_e32 vcc, 62, v132
	s_xor_b64 s[6:7], s[6:7], -1
	s_and_b64 s[14:15], s[6:7], vcc
	s_and_saveexec_b64 s[6:7], s[14:15]
	s_cbranch_execz .LBB124_1060
; %bb.1059:
	v_ashrrev_i32_e32 v133, 31, v132
	v_lshlrev_b64 v[134:135], 2, v[132:133]
	v_add_co_u32_e32 v134, vcc, v4, v134
	v_addc_co_u32_e32 v135, vcc, v5, v135, vcc
	flat_load_dword v133, v[134:135]
	flat_load_dword v139, v[4:5] offset:248
	s_waitcnt vmcnt(0) lgkmcnt(0)
	flat_store_dword v[4:5], v133 offset:248
	flat_store_dword v[134:135], v139
.LBB124_1060:
	s_or_b64 exec, exec, s[6:7]
	v_mov_b32_e32 v133, v132
	v_mov_b32_e32 v135, v132
.LBB124_1061:
	s_or_b64 exec, exec, s[2:3]
	v_mov_b32_e32 v134, v135
.LBB124_1062:
	s_or_b64 exec, exec, s[0:1]
	s_load_dwordx8 s[0:7], s[4:5], 0x28
	v_cmp_gt_i32_e32 vcc, 63, v134
	v_ashrrev_i32_e32 v135, 31, v134
	s_waitcnt lgkmcnt(0)
	s_barrier
	s_barrier
	s_and_saveexec_b64 s[14:15], vcc
	s_cbranch_execz .LBB124_1064
; %bb.1063:
	v_mul_lo_u32 v132, v3, s4
	v_mul_lo_u32 v139, v2, s5
	v_mad_u64_u32 v[4:5], s[4:5], v2, s4, 0
	s_lshl_b64 s[2:3], s[2:3], 2
	v_add3_u32 v5, v5, v139, v132
	s_add_u32 s0, s2, s0
	v_lshlrev_b64 v[4:5], 2, v[4:5]
	s_addc_u32 s1, s3, s1
	v_mov_b32_e32 v132, s1
	v_add_co_u32_e32 v139, vcc, s0, v4
	v_addc_co_u32_e32 v132, vcc, v132, v5, vcc
	v_lshlrev_b64 v[4:5], 2, v[134:135]
	v_add_co_u32_e32 v4, vcc, v139, v4
	v_addc_co_u32_e32 v5, vcc, v132, v5, vcc
	v_add3_u32 v132, v133, s13, 1
	global_store_dword v[4:5], v132, off
.LBB124_1064:
	s_or_b64 exec, exec, s[14:15]
	v_cmp_eq_u32_e32 vcc, 0, v134
	s_and_saveexec_b64 s[2:3], vcc
	s_cbranch_execz .LBB124_1067
; %bb.1065:
	v_lshlrev_b64 v[2:3], 2, v[2:3]
	v_mov_b32_e32 v4, s7
	v_add_co_u32_e32 v2, vcc, s6, v2
	v_addc_co_u32_e32 v3, vcc, v4, v3, vcc
	global_load_dword v4, v[2:3], off
	v_cmp_lt_i32_e64 s[0:1], 0, v138
	s_waitcnt vmcnt(0)
	v_cmp_eq_u32_e32 vcc, 0, v4
	s_and_b64 s[0:1], vcc, s[0:1]
	s_and_b64 exec, exec, s[0:1]
	s_cbranch_execz .LBB124_1067
; %bb.1066:
	v_add_u32_e32 v4, s13, v138
	global_store_dword v[2:3], v4, off
.LBB124_1067:
	s_or_b64 exec, exec, s[2:3]
	v_mul_f64 v[2:3], v[130:131], v[128:129]
	v_cmp_lt_i32_e32 vcc, 62, v134
	v_lshlrev_b64 v[4:5], 3, v[134:135]
	v_cndmask_b32_e32 v3, v129, v3, vcc
	v_cndmask_b32_e32 v2, v128, v2, vcc
	v_add_co_u32_e32 v4, vcc, v136, v4
	v_addc_co_u32_e32 v5, vcc, v137, v5, vcc
	global_store_dwordx2 v[4:5], v[124:125], off
	v_mov_b32_e32 v124, s11
	v_add_co_u32_e32 v4, vcc, s10, v4
	v_addc_co_u32_e32 v5, vcc, v5, v124, vcc
	global_store_dwordx2 v[4:5], v[126:127], off
	v_add_u32_e32 v4, s12, v134
	v_ashrrev_i32_e32 v5, 31, v4
	v_lshlrev_b64 v[124:125], 3, v[4:5]
	v_add_co_u32_e32 v124, vcc, v136, v124
	v_add_u32_e32 v4, s8, v4
	v_addc_co_u32_e32 v125, vcc, v137, v125, vcc
	v_ashrrev_i32_e32 v5, 31, v4
	global_store_dwordx2 v[124:125], v[122:123], off
	v_lshlrev_b64 v[122:123], 3, v[4:5]
	v_add_co_u32_e32 v122, vcc, v136, v122
	v_add_u32_e32 v4, s8, v4
	v_addc_co_u32_e32 v123, vcc, v137, v123, vcc
	v_ashrrev_i32_e32 v5, 31, v4
	global_store_dwordx2 v[122:123], v[120:121], off
	;; [unrolled: 6-line block ×59, first 2 shown]
	v_lshlrev_b64 v[6:7], 3, v[4:5]
	v_add_co_u32_e32 v6, vcc, v136, v6
	v_addc_co_u32_e32 v7, vcc, v137, v7, vcc
	global_store_dwordx2 v[6:7], v[0:1], off
	v_add_u32_e32 v0, s8, v4
	v_ashrrev_i32_e32 v1, 31, v0
	v_lshlrev_b64 v[0:1], 3, v[0:1]
	v_add_co_u32_e32 v0, vcc, v136, v0
	v_addc_co_u32_e32 v1, vcc, v137, v1, vcc
	global_store_dwordx2 v[0:1], v[2:3], off
.LBB124_1068:
	s_endpgm
	.section	.rodata,"a",@progbits
	.p2align	6, 0x0
	.amdhsa_kernel _ZN9rocsolver6v33100L18getf2_small_kernelILi63EdiiPKPdEEvT1_T3_lS5_lPS5_llPT2_S5_S5_S7_l
		.amdhsa_group_segment_fixed_size 0
		.amdhsa_private_segment_fixed_size 0
		.amdhsa_kernarg_size 352
		.amdhsa_user_sgpr_count 6
		.amdhsa_user_sgpr_private_segment_buffer 1
		.amdhsa_user_sgpr_dispatch_ptr 0
		.amdhsa_user_sgpr_queue_ptr 0
		.amdhsa_user_sgpr_kernarg_segment_ptr 1
		.amdhsa_user_sgpr_dispatch_id 0
		.amdhsa_user_sgpr_flat_scratch_init 0
		.amdhsa_user_sgpr_kernarg_preload_length 0
		.amdhsa_user_sgpr_kernarg_preload_offset 0
		.amdhsa_user_sgpr_private_segment_size 0
		.amdhsa_uses_dynamic_stack 0
		.amdhsa_system_sgpr_private_segment_wavefront_offset 0
		.amdhsa_system_sgpr_workgroup_id_x 1
		.amdhsa_system_sgpr_workgroup_id_y 1
		.amdhsa_system_sgpr_workgroup_id_z 0
		.amdhsa_system_sgpr_workgroup_info 0
		.amdhsa_system_vgpr_workitem_id 1
		.amdhsa_next_free_vgpr 196
		.amdhsa_next_free_sgpr 22
		.amdhsa_accum_offset 196
		.amdhsa_reserve_vcc 1
		.amdhsa_reserve_flat_scratch 0
		.amdhsa_float_round_mode_32 0
		.amdhsa_float_round_mode_16_64 0
		.amdhsa_float_denorm_mode_32 3
		.amdhsa_float_denorm_mode_16_64 3
		.amdhsa_dx10_clamp 1
		.amdhsa_ieee_mode 1
		.amdhsa_fp16_overflow 0
		.amdhsa_tg_split 0
		.amdhsa_exception_fp_ieee_invalid_op 0
		.amdhsa_exception_fp_denorm_src 0
		.amdhsa_exception_fp_ieee_div_zero 0
		.amdhsa_exception_fp_ieee_overflow 0
		.amdhsa_exception_fp_ieee_underflow 0
		.amdhsa_exception_fp_ieee_inexact 0
		.amdhsa_exception_int_div_zero 0
	.end_amdhsa_kernel
	.section	.text._ZN9rocsolver6v33100L18getf2_small_kernelILi63EdiiPKPdEEvT1_T3_lS5_lPS5_llPT2_S5_S5_S7_l,"axG",@progbits,_ZN9rocsolver6v33100L18getf2_small_kernelILi63EdiiPKPdEEvT1_T3_lS5_lPS5_llPT2_S5_S5_S7_l,comdat
.Lfunc_end124:
	.size	_ZN9rocsolver6v33100L18getf2_small_kernelILi63EdiiPKPdEEvT1_T3_lS5_lPS5_llPT2_S5_S5_S7_l, .Lfunc_end124-_ZN9rocsolver6v33100L18getf2_small_kernelILi63EdiiPKPdEEvT1_T3_lS5_lPS5_llPT2_S5_S5_S7_l
                                        ; -- End function
	.section	.AMDGPU.csdata,"",@progbits
; Kernel info:
; codeLenInByte = 69560
; NumSgprs: 26
; NumVgprs: 196
; NumAgprs: 0
; TotalNumVgprs: 196
; ScratchSize: 0
; MemoryBound: 0
; FloatMode: 240
; IeeeMode: 1
; LDSByteSize: 0 bytes/workgroup (compile time only)
; SGPRBlocks: 3
; VGPRBlocks: 24
; NumSGPRsForWavesPerEU: 26
; NumVGPRsForWavesPerEU: 196
; AccumOffset: 196
; Occupancy: 2
; WaveLimiterHint : 1
; COMPUTE_PGM_RSRC2:SCRATCH_EN: 0
; COMPUTE_PGM_RSRC2:USER_SGPR: 6
; COMPUTE_PGM_RSRC2:TRAP_HANDLER: 0
; COMPUTE_PGM_RSRC2:TGID_X_EN: 1
; COMPUTE_PGM_RSRC2:TGID_Y_EN: 1
; COMPUTE_PGM_RSRC2:TGID_Z_EN: 0
; COMPUTE_PGM_RSRC2:TIDIG_COMP_CNT: 1
; COMPUTE_PGM_RSRC3_GFX90A:ACCUM_OFFSET: 48
; COMPUTE_PGM_RSRC3_GFX90A:TG_SPLIT: 0
	.section	.text._ZN9rocsolver6v33100L23getf2_npvt_small_kernelILi63EdiiPKPdEEvT1_T3_lS5_lPT2_S5_S5_,"axG",@progbits,_ZN9rocsolver6v33100L23getf2_npvt_small_kernelILi63EdiiPKPdEEvT1_T3_lS5_lPT2_S5_S5_,comdat
	.globl	_ZN9rocsolver6v33100L23getf2_npvt_small_kernelILi63EdiiPKPdEEvT1_T3_lS5_lPT2_S5_S5_ ; -- Begin function _ZN9rocsolver6v33100L23getf2_npvt_small_kernelILi63EdiiPKPdEEvT1_T3_lS5_lPT2_S5_S5_
	.p2align	8
	.type	_ZN9rocsolver6v33100L23getf2_npvt_small_kernelILi63EdiiPKPdEEvT1_T3_lS5_lPT2_S5_S5_,@function
_ZN9rocsolver6v33100L23getf2_npvt_small_kernelILi63EdiiPKPdEEvT1_T3_lS5_lPT2_S5_S5_: ; @_ZN9rocsolver6v33100L23getf2_npvt_small_kernelILi63EdiiPKPdEEvT1_T3_lS5_lPT2_S5_S5_
; %bb.0:
	s_mov_b64 s[18:19], s[2:3]
	s_mov_b64 s[16:17], s[0:1]
	s_add_u32 s16, s16, s8
	s_load_dword s0, s[4:5], 0x44
	s_load_dwordx2 s[8:9], s[4:5], 0x30
	s_addc_u32 s17, s17, 0
	v_bfe_u32 v1, v0, 10, 10
	s_waitcnt lgkmcnt(0)
	s_lshr_b32 s6, s0, 16
	s_mul_i32 s7, s7, s6
	v_add_u32_e32 v84, s7, v1
	v_cmp_gt_i32_e32 vcc, s8, v84
	s_and_saveexec_b64 s[0:1], vcc
	s_cbranch_execz .LBB125_318
; %bb.1:
	s_load_dwordx4 s[12:15], s[4:5], 0x8
	s_load_dword s0, s[4:5], 0x18
	v_ashrrev_i32_e32 v85, 31, v84
	v_lshlrev_b64 v[2:3], 3, v[84:85]
	v_and_b32_e32 v76, 0x3ff, v0
	s_waitcnt lgkmcnt(0)
	v_mov_b32_e32 v4, s13
	v_add_co_u32_e32 v2, vcc, s12, v2
	v_addc_co_u32_e32 v3, vcc, v4, v3, vcc
	global_load_dwordx2 v[2:3], v[2:3], off
	s_add_i32 s1, s0, s0
	s_lshl_b64 s[2:3], s[14:15], 3
	v_add_u32_e32 v4, s1, v76
	v_mov_b32_e32 v25, s3
	v_ashrrev_i32_e32 v5, 31, v4
	v_add_u32_e32 v6, s0, v4
	v_lshlrev_b64 v[4:5], 3, v[4:5]
	v_ashrrev_i32_e32 v7, 31, v6
	v_add_u32_e32 v8, s0, v6
	v_lshlrev_b64 v[6:7], 3, v[6:7]
	;; [unrolled: 3-line block ×10, first 2 shown]
	s_ashr_i32 s1, s0, 31
	s_mulk_i32 s6, 0x1f8
	s_waitcnt vmcnt(0)
	v_add_co_u32_e32 v0, vcc, s2, v2
	v_addc_co_u32_e32 v2, vcc, v3, v25, vcc
	v_add_co_u32_e32 v86, vcc, v0, v4
	v_addc_co_u32_e32 v87, vcc, v2, v5, vcc
	;; [unrolled: 2-line block ×10, first 2 shown]
	v_add_co_u32_e32 v104, vcc, v0, v22
	v_ashrrev_i32_e32 v25, 31, v24
	v_addc_co_u32_e32 v105, vcc, v2, v23, vcc
	v_lshlrev_b64 v[4:5], 3, v[24:25]
	v_add_co_u32_e32 v106, vcc, v0, v4
	v_add_u32_e32 v4, s0, v24
	v_addc_co_u32_e32 v107, vcc, v2, v5, vcc
	v_ashrrev_i32_e32 v5, 31, v4
	v_lshlrev_b64 v[6:7], 3, v[4:5]
	v_add_u32_e32 v4, s0, v4
	v_add_co_u32_e32 v108, vcc, v0, v6
	v_ashrrev_i32_e32 v5, 31, v4
	v_addc_co_u32_e32 v109, vcc, v2, v7, vcc
	v_lshlrev_b64 v[6:7], 3, v[4:5]
	v_add_u32_e32 v4, s0, v4
	v_add_co_u32_e32 v110, vcc, v0, v6
	v_ashrrev_i32_e32 v5, 31, v4
	v_addc_co_u32_e32 v111, vcc, v2, v7, vcc
	;; [unrolled: 5-line block ×49, first 2 shown]
	v_lshlrev_b64 v[4:5], 3, v[4:5]
	v_add_co_u32_e32 v4, vcc, v0, v4
	v_addc_co_u32_e32 v5, vcc, v2, v5, vcc
	v_lshlrev_b32_e32 v3, 3, v76
	v_add_co_u32_e32 v124, vcc, v0, v3
	v_addc_co_u32_e32 v125, vcc, 0, v2, vcc
	s_lshl_b64 s[0:1], s[0:1], 3
	v_mov_b32_e32 v0, s1
	v_add_co_u32_e32 v2, vcc, s0, v124
	v_addc_co_u32_e32 v3, vcc, v125, v0, vcc
	global_load_dwordx2 v[128:129], v[124:125], off
	s_nop 0
	buffer_store_dword v2, off, s[16:19], 0 offset:312 ; 4-byte Folded Spill
	s_nop 0
	buffer_store_dword v3, off, s[16:19], 0 offset:316 ; 4-byte Folded Spill
	global_load_dwordx2 v[190:191], v[2:3], off
	global_load_dwordx2 v[250:251], v[86:87], off
	;; [unrolled: 1-line block ×23, first 2 shown]
	s_nop 0
	buffer_store_dword v8, off, s[16:19], 0 ; 4-byte Folded Spill
	s_nop 0
	buffer_store_dword v9, off, s[16:19], 0 offset:4 ; 4-byte Folded Spill
	s_movk_i32 s0, 0x1f8
	s_add_i32 s1, s6, 0
	v_mad_u32_u24 v75, v1, s0, 0
	v_lshl_add_u32 v74, v1, 3, s1
	v_cmp_ne_u32_e64 s[2:3], 0, v76
	v_cmp_eq_u32_e64 s[0:1], 0, v76
	global_load_dwordx2 v[228:229], v[8:9], off
	s_nop 0
	buffer_store_dword v10, off, s[16:19], 0 offset:8 ; 4-byte Folded Spill
	s_nop 0
	buffer_store_dword v11, off, s[16:19], 0 offset:12 ; 4-byte Folded Spill
	global_load_dwordx2 v[166:167], v[10:11], off
	s_nop 0
	buffer_store_dword v12, off, s[16:19], 0 offset:16 ; 4-byte Folded Spill
	s_nop 0
	buffer_store_dword v13, off, s[16:19], 0 offset:20 ; 4-byte Folded Spill
	;; [unrolled: 5-line block ×38, first 2 shown]
	global_load_dwordx2 v[252:253], v[4:5], off
	s_and_saveexec_b64 s[6:7], s[0:1]
	s_cbranch_execz .LBB125_4
; %bb.2:
	s_waitcnt vmcnt(62)
	ds_write_b64 v74, v[128:129]
	ds_write2_b64 v75, v[190:191], v[250:251] offset0:1 offset1:2
	ds_write2_b64 v75, v[188:189], v[248:249] offset0:3 offset1:4
	;; [unrolled: 1-line block ×20, first 2 shown]
	s_waitcnt vmcnt(60)
	ds_write2_b64 v75, v[150:151], v[210:211] offset0:41 offset1:42
	s_waitcnt vmcnt(54)
	ds_write2_b64 v75, v[148:149], v[208:209] offset0:43 offset1:44
	;; [unrolled: 2-line block ×11, first 2 shown]
	ds_read_b64 v[0:1], v74
	s_waitcnt lgkmcnt(0)
	v_cmp_neq_f64_e32 vcc, 0, v[0:1]
	s_and_b64 exec, exec, vcc
	s_cbranch_execz .LBB125_4
; %bb.3:
	v_div_scale_f64 v[2:3], s[10:11], v[0:1], v[0:1], 1.0
	v_rcp_f64_e32 v[4:5], v[2:3]
	v_div_scale_f64 v[6:7], vcc, 1.0, v[0:1], 1.0
	v_fma_f64 v[8:9], -v[2:3], v[4:5], 1.0
	v_fmac_f64_e32 v[4:5], v[4:5], v[8:9]
	v_fma_f64 v[8:9], -v[2:3], v[4:5], 1.0
	v_fmac_f64_e32 v[4:5], v[4:5], v[8:9]
	v_mul_f64 v[8:9], v[6:7], v[4:5]
	v_fma_f64 v[2:3], -v[2:3], v[8:9], v[6:7]
	v_div_fmas_f64 v[2:3], v[2:3], v[4:5], v[8:9]
	v_div_fixup_f64 v[0:1], v[2:3], v[0:1], 1.0
	ds_write_b64 v74, v[0:1]
.LBB125_4:
	s_or_b64 exec, exec, s[6:7]
	s_waitcnt lgkmcnt(0)
	s_barrier
	ds_read_b64 v[0:1], v74
	s_waitcnt lgkmcnt(0)
	buffer_store_dword v0, off, s[16:19], 0 offset:320 ; 4-byte Folded Spill
	s_nop 0
	buffer_store_dword v1, off, s[16:19], 0 offset:324 ; 4-byte Folded Spill
	s_and_saveexec_b64 s[6:7], s[2:3]
	s_cbranch_execz .LBB125_6
; %bb.5:
	buffer_load_dword v0, off, s[16:19], 0 offset:320 ; 4-byte Folded Reload
	buffer_load_dword v1, off, s[16:19], 0 offset:324 ; 4-byte Folded Reload
	s_waitcnt vmcnt(0)
	v_mul_f64 v[128:129], v[0:1], v[128:129]
	ds_read2_b64 v[0:3], v75 offset0:1 offset1:2
	s_waitcnt lgkmcnt(0)
	v_fma_f64 v[190:191], -v[128:129], v[0:1], v[190:191]
	v_fma_f64 v[250:251], -v[128:129], v[2:3], v[250:251]
	ds_read2_b64 v[0:3], v75 offset0:3 offset1:4
	s_waitcnt lgkmcnt(0)
	v_fma_f64 v[188:189], -v[128:129], v[0:1], v[188:189]
	v_fma_f64 v[248:249], -v[128:129], v[2:3], v[248:249]
	;; [unrolled: 4-line block ×31, first 2 shown]
.LBB125_6:
	s_or_b64 exec, exec, s[6:7]
	v_cmp_eq_u32_e32 vcc, 1, v76
	s_waitcnt vmcnt(63) expcnt(7) lgkmcnt(15)
	s_barrier
	s_and_saveexec_b64 s[2:3], vcc
	s_cbranch_execz .LBB125_9
; %bb.7:
	v_mov_b32_e32 v0, v250
	v_mov_b32_e32 v1, v251
	;; [unrolled: 1-line block ×4, first 2 shown]
	ds_write_b64 v74, v[190:191]
	ds_write2_b64 v75, v[0:1], v[2:3] offset0:2 offset1:3
	v_mov_b32_e32 v0, v248
	v_mov_b32_e32 v1, v249
	v_mov_b32_e32 v2, v186
	v_mov_b32_e32 v3, v187
	ds_write2_b64 v75, v[0:1], v[2:3] offset0:4 offset1:5
	v_mov_b32_e32 v0, v246
	v_mov_b32_e32 v1, v247
	v_mov_b32_e32 v2, v184
	v_mov_b32_e32 v3, v185
	ds_write2_b64 v75, v[0:1], v[2:3] offset0:6 offset1:7
	v_mov_b32_e32 v0, v244
	v_mov_b32_e32 v1, v245
	v_mov_b32_e32 v2, v182
	v_mov_b32_e32 v3, v183
	ds_write2_b64 v75, v[0:1], v[2:3] offset0:8 offset1:9
	v_mov_b32_e32 v0, v242
	v_mov_b32_e32 v1, v243
	v_mov_b32_e32 v2, v180
	v_mov_b32_e32 v3, v181
	ds_write2_b64 v75, v[0:1], v[2:3] offset0:10 offset1:11
	v_mov_b32_e32 v0, v240
	v_mov_b32_e32 v1, v241
	v_mov_b32_e32 v2, v178
	v_mov_b32_e32 v3, v179
	ds_write2_b64 v75, v[0:1], v[2:3] offset0:12 offset1:13
	v_mov_b32_e32 v0, v238
	v_mov_b32_e32 v1, v239
	v_mov_b32_e32 v2, v176
	v_mov_b32_e32 v3, v177
	ds_write2_b64 v75, v[0:1], v[2:3] offset0:14 offset1:15
	v_mov_b32_e32 v0, v236
	v_mov_b32_e32 v1, v237
	v_mov_b32_e32 v2, v174
	v_mov_b32_e32 v3, v175
	ds_write2_b64 v75, v[0:1], v[2:3] offset0:16 offset1:17
	v_mov_b32_e32 v0, v234
	v_mov_b32_e32 v1, v235
	v_mov_b32_e32 v2, v172
	v_mov_b32_e32 v3, v173
	ds_write2_b64 v75, v[0:1], v[2:3] offset0:18 offset1:19
	v_mov_b32_e32 v0, v232
	v_mov_b32_e32 v1, v233
	v_mov_b32_e32 v2, v170
	v_mov_b32_e32 v3, v171
	ds_write2_b64 v75, v[0:1], v[2:3] offset0:20 offset1:21
	v_mov_b32_e32 v0, v230
	v_mov_b32_e32 v1, v231
	v_mov_b32_e32 v2, v168
	v_mov_b32_e32 v3, v169
	ds_write2_b64 v75, v[0:1], v[2:3] offset0:22 offset1:23
	v_mov_b32_e32 v0, v228
	v_mov_b32_e32 v1, v229
	v_mov_b32_e32 v2, v166
	v_mov_b32_e32 v3, v167
	ds_write2_b64 v75, v[0:1], v[2:3] offset0:24 offset1:25
	v_mov_b32_e32 v0, v226
	v_mov_b32_e32 v1, v227
	v_mov_b32_e32 v2, v164
	v_mov_b32_e32 v3, v165
	ds_write2_b64 v75, v[0:1], v[2:3] offset0:26 offset1:27
	v_mov_b32_e32 v0, v224
	v_mov_b32_e32 v1, v225
	v_mov_b32_e32 v2, v162
	v_mov_b32_e32 v3, v163
	ds_write2_b64 v75, v[0:1], v[2:3] offset0:28 offset1:29
	v_mov_b32_e32 v0, v222
	v_mov_b32_e32 v1, v223
	v_mov_b32_e32 v2, v160
	v_mov_b32_e32 v3, v161
	ds_write2_b64 v75, v[0:1], v[2:3] offset0:30 offset1:31
	v_mov_b32_e32 v0, v220
	v_mov_b32_e32 v1, v221
	v_mov_b32_e32 v2, v158
	v_mov_b32_e32 v3, v159
	ds_write2_b64 v75, v[0:1], v[2:3] offset0:32 offset1:33
	v_mov_b32_e32 v0, v218
	v_mov_b32_e32 v1, v219
	v_mov_b32_e32 v2, v156
	v_mov_b32_e32 v3, v157
	ds_write2_b64 v75, v[0:1], v[2:3] offset0:34 offset1:35
	v_mov_b32_e32 v0, v216
	v_mov_b32_e32 v1, v217
	v_mov_b32_e32 v2, v154
	v_mov_b32_e32 v3, v155
	ds_write2_b64 v75, v[0:1], v[2:3] offset0:36 offset1:37
	v_mov_b32_e32 v0, v214
	v_mov_b32_e32 v1, v215
	v_mov_b32_e32 v2, v152
	v_mov_b32_e32 v3, v153
	ds_write2_b64 v75, v[0:1], v[2:3] offset0:38 offset1:39
	v_mov_b32_e32 v0, v212
	v_mov_b32_e32 v1, v213
	v_mov_b32_e32 v2, v150
	v_mov_b32_e32 v3, v151
	ds_write2_b64 v75, v[0:1], v[2:3] offset0:40 offset1:41
	s_waitcnt vmcnt(62)
	v_mov_b32_e32 v0, v210
	v_mov_b32_e32 v1, v211
	s_waitcnt vmcnt(59)
	v_mov_b32_e32 v2, v148
	v_mov_b32_e32 v3, v149
	ds_write2_b64 v75, v[0:1], v[2:3] offset0:42 offset1:43
	s_waitcnt vmcnt(56)
	v_mov_b32_e32 v0, v208
	v_mov_b32_e32 v1, v209
	s_waitcnt vmcnt(53)
	v_mov_b32_e32 v2, v146
	v_mov_b32_e32 v3, v147
	;; [unrolled: 7-line block ×10, first 2 shown]
	ds_write2_b64 v75, v[0:1], v[2:3] offset0:60 offset1:61
	s_waitcnt vmcnt(2)
	ds_write_b64 v75, v[252:253] offset:496
	ds_read_b64 v[0:1], v74
	s_waitcnt lgkmcnt(0)
	v_cmp_neq_f64_e32 vcc, 0, v[0:1]
	s_and_b64 exec, exec, vcc
	s_cbranch_execz .LBB125_9
; %bb.8:
	v_div_scale_f64 v[2:3], s[6:7], v[0:1], v[0:1], 1.0
	v_rcp_f64_e32 v[4:5], v[2:3]
	v_div_scale_f64 v[6:7], vcc, 1.0, v[0:1], 1.0
	v_fma_f64 v[8:9], -v[2:3], v[4:5], 1.0
	v_fmac_f64_e32 v[4:5], v[4:5], v[8:9]
	v_fma_f64 v[8:9], -v[2:3], v[4:5], 1.0
	v_fmac_f64_e32 v[4:5], v[4:5], v[8:9]
	v_mul_f64 v[8:9], v[6:7], v[4:5]
	v_fma_f64 v[2:3], -v[2:3], v[8:9], v[6:7]
	v_div_fmas_f64 v[2:3], v[2:3], v[4:5], v[8:9]
	v_div_fixup_f64 v[0:1], v[2:3], v[0:1], 1.0
	ds_write_b64 v74, v[0:1]
.LBB125_9:
	s_or_b64 exec, exec, s[2:3]
	s_waitcnt lgkmcnt(0)
	s_barrier
	ds_read_b64 v[0:1], v74
	v_cmp_lt_u32_e32 vcc, 1, v76
	s_waitcnt lgkmcnt(0)
	buffer_store_dword v0, off, s[16:19], 0 offset:328 ; 4-byte Folded Spill
	s_nop 0
	buffer_store_dword v1, off, s[16:19], 0 offset:332 ; 4-byte Folded Spill
	s_and_saveexec_b64 s[2:3], vcc
	s_cbranch_execz .LBB125_11
; %bb.10:
	buffer_load_dword v0, off, s[16:19], 0 offset:328 ; 4-byte Folded Reload
	buffer_load_dword v1, off, s[16:19], 0 offset:332 ; 4-byte Folded Reload
	s_waitcnt vmcnt(0)
	v_mul_f64 v[190:191], v[0:1], v[190:191]
	ds_read2_b64 v[0:3], v75 offset0:2 offset1:3
	s_waitcnt lgkmcnt(0)
	v_fma_f64 v[250:251], -v[190:191], v[0:1], v[250:251]
	v_fma_f64 v[188:189], -v[190:191], v[2:3], v[188:189]
	ds_read2_b64 v[0:3], v75 offset0:4 offset1:5
	s_waitcnt lgkmcnt(0)
	v_fma_f64 v[248:249], -v[190:191], v[0:1], v[248:249]
	v_fma_f64 v[186:187], -v[190:191], v[2:3], v[186:187]
	;; [unrolled: 4-line block ×29, first 2 shown]
	ds_read2_b64 v[0:3], v75 offset0:60 offset1:61
	s_waitcnt lgkmcnt(0)
	v_fma_f64 v[192:193], -v[190:191], v[0:1], v[192:193]
	ds_read_b64 v[0:1], v75 offset:496
	v_fma_f64 v[130:131], -v[190:191], v[2:3], v[130:131]
	s_waitcnt lgkmcnt(0)
	v_fma_f64 v[252:253], -v[190:191], v[0:1], v[252:253]
.LBB125_11:
	s_or_b64 exec, exec, s[2:3]
	v_cmp_eq_u32_e32 vcc, 2, v76
	s_waitcnt vmcnt(63) expcnt(7) lgkmcnt(15)
	s_barrier
	s_and_saveexec_b64 s[2:3], vcc
	s_cbranch_execz .LBB125_14
; %bb.12:
	ds_write_b64 v74, v[250:251]
	ds_write2_b64 v75, v[188:189], v[248:249] offset0:3 offset1:4
	ds_write2_b64 v75, v[186:187], v[246:247] offset0:5 offset1:6
	;; [unrolled: 1-line block ×20, first 2 shown]
	s_waitcnt vmcnt(58)
	ds_write2_b64 v75, v[148:149], v[208:209] offset0:43 offset1:44
	s_waitcnt vmcnt(52)
	ds_write2_b64 v75, v[146:147], v[206:207] offset0:45 offset1:46
	;; [unrolled: 2-line block ×10, first 2 shown]
	ds_read_b64 v[0:1], v74
	s_waitcnt lgkmcnt(0)
	v_cmp_neq_f64_e32 vcc, 0, v[0:1]
	s_and_b64 exec, exec, vcc
	s_cbranch_execz .LBB125_14
; %bb.13:
	v_div_scale_f64 v[2:3], s[6:7], v[0:1], v[0:1], 1.0
	v_rcp_f64_e32 v[4:5], v[2:3]
	v_div_scale_f64 v[6:7], vcc, 1.0, v[0:1], 1.0
	v_fma_f64 v[8:9], -v[2:3], v[4:5], 1.0
	v_fmac_f64_e32 v[4:5], v[4:5], v[8:9]
	v_fma_f64 v[8:9], -v[2:3], v[4:5], 1.0
	v_fmac_f64_e32 v[4:5], v[4:5], v[8:9]
	v_mul_f64 v[8:9], v[6:7], v[4:5]
	v_fma_f64 v[2:3], -v[2:3], v[8:9], v[6:7]
	v_div_fmas_f64 v[2:3], v[2:3], v[4:5], v[8:9]
	v_div_fixup_f64 v[0:1], v[2:3], v[0:1], 1.0
	ds_write_b64 v74, v[0:1]
.LBB125_14:
	s_or_b64 exec, exec, s[2:3]
	s_waitcnt lgkmcnt(0)
	s_barrier
	ds_read_b64 v[0:1], v74
	v_cmp_lt_u32_e32 vcc, 2, v76
	s_waitcnt lgkmcnt(0)
	buffer_store_dword v0, off, s[16:19], 0 offset:336 ; 4-byte Folded Spill
	s_nop 0
	buffer_store_dword v1, off, s[16:19], 0 offset:340 ; 4-byte Folded Spill
	s_and_saveexec_b64 s[2:3], vcc
	s_cbranch_execz .LBB125_16
; %bb.15:
	buffer_load_dword v0, off, s[16:19], 0 offset:336 ; 4-byte Folded Reload
	buffer_load_dword v1, off, s[16:19], 0 offset:340 ; 4-byte Folded Reload
	s_waitcnt vmcnt(0)
	v_mul_f64 v[250:251], v[0:1], v[250:251]
	ds_read2_b64 v[0:3], v75 offset0:3 offset1:4
	s_waitcnt lgkmcnt(0)
	v_fma_f64 v[188:189], -v[250:251], v[0:1], v[188:189]
	v_fma_f64 v[248:249], -v[250:251], v[2:3], v[248:249]
	ds_read2_b64 v[0:3], v75 offset0:5 offset1:6
	s_waitcnt lgkmcnt(0)
	v_fma_f64 v[186:187], -v[250:251], v[0:1], v[186:187]
	v_fma_f64 v[246:247], -v[250:251], v[2:3], v[246:247]
	ds_read2_b64 v[0:3], v75 offset0:7 offset1:8
	s_waitcnt lgkmcnt(0)
	v_fma_f64 v[184:185], -v[250:251], v[0:1], v[184:185]
	v_fma_f64 v[244:245], -v[250:251], v[2:3], v[244:245]
	ds_read2_b64 v[0:3], v75 offset0:9 offset1:10
	s_waitcnt lgkmcnt(0)
	v_fma_f64 v[182:183], -v[250:251], v[0:1], v[182:183]
	v_fma_f64 v[242:243], -v[250:251], v[2:3], v[242:243]
	ds_read2_b64 v[0:3], v75 offset0:11 offset1:12
	s_waitcnt lgkmcnt(0)
	v_fma_f64 v[180:181], -v[250:251], v[0:1], v[180:181]
	v_fma_f64 v[240:241], -v[250:251], v[2:3], v[240:241]
	ds_read2_b64 v[0:3], v75 offset0:13 offset1:14
	s_waitcnt lgkmcnt(0)
	v_fma_f64 v[178:179], -v[250:251], v[0:1], v[178:179]
	v_fma_f64 v[238:239], -v[250:251], v[2:3], v[238:239]
	ds_read2_b64 v[0:3], v75 offset0:15 offset1:16
	s_waitcnt lgkmcnt(0)
	v_fma_f64 v[176:177], -v[250:251], v[0:1], v[176:177]
	v_fma_f64 v[236:237], -v[250:251], v[2:3], v[236:237]
	ds_read2_b64 v[0:3], v75 offset0:17 offset1:18
	s_waitcnt lgkmcnt(0)
	v_fma_f64 v[174:175], -v[250:251], v[0:1], v[174:175]
	v_fma_f64 v[234:235], -v[250:251], v[2:3], v[234:235]
	ds_read2_b64 v[0:3], v75 offset0:19 offset1:20
	s_waitcnt lgkmcnt(0)
	v_fma_f64 v[172:173], -v[250:251], v[0:1], v[172:173]
	v_fma_f64 v[232:233], -v[250:251], v[2:3], v[232:233]
	ds_read2_b64 v[0:3], v75 offset0:21 offset1:22
	s_waitcnt lgkmcnt(0)
	v_fma_f64 v[170:171], -v[250:251], v[0:1], v[170:171]
	v_fma_f64 v[230:231], -v[250:251], v[2:3], v[230:231]
	ds_read2_b64 v[0:3], v75 offset0:23 offset1:24
	s_waitcnt lgkmcnt(0)
	v_fma_f64 v[168:169], -v[250:251], v[0:1], v[168:169]
	v_fma_f64 v[228:229], -v[250:251], v[2:3], v[228:229]
	ds_read2_b64 v[0:3], v75 offset0:25 offset1:26
	s_waitcnt lgkmcnt(0)
	v_fma_f64 v[166:167], -v[250:251], v[0:1], v[166:167]
	v_fma_f64 v[226:227], -v[250:251], v[2:3], v[226:227]
	ds_read2_b64 v[0:3], v75 offset0:27 offset1:28
	s_waitcnt lgkmcnt(0)
	v_fma_f64 v[164:165], -v[250:251], v[0:1], v[164:165]
	v_fma_f64 v[224:225], -v[250:251], v[2:3], v[224:225]
	ds_read2_b64 v[0:3], v75 offset0:29 offset1:30
	s_waitcnt lgkmcnt(0)
	v_fma_f64 v[162:163], -v[250:251], v[0:1], v[162:163]
	v_fma_f64 v[222:223], -v[250:251], v[2:3], v[222:223]
	ds_read2_b64 v[0:3], v75 offset0:31 offset1:32
	s_waitcnt lgkmcnt(0)
	v_fma_f64 v[160:161], -v[250:251], v[0:1], v[160:161]
	v_fma_f64 v[220:221], -v[250:251], v[2:3], v[220:221]
	ds_read2_b64 v[0:3], v75 offset0:33 offset1:34
	s_waitcnt lgkmcnt(0)
	v_fma_f64 v[158:159], -v[250:251], v[0:1], v[158:159]
	v_fma_f64 v[218:219], -v[250:251], v[2:3], v[218:219]
	ds_read2_b64 v[0:3], v75 offset0:35 offset1:36
	s_waitcnt lgkmcnt(0)
	v_fma_f64 v[156:157], -v[250:251], v[0:1], v[156:157]
	v_fma_f64 v[216:217], -v[250:251], v[2:3], v[216:217]
	ds_read2_b64 v[0:3], v75 offset0:37 offset1:38
	s_waitcnt lgkmcnt(0)
	v_fma_f64 v[154:155], -v[250:251], v[0:1], v[154:155]
	v_fma_f64 v[214:215], -v[250:251], v[2:3], v[214:215]
	ds_read2_b64 v[0:3], v75 offset0:39 offset1:40
	s_waitcnt lgkmcnt(0)
	v_fma_f64 v[152:153], -v[250:251], v[0:1], v[152:153]
	v_fma_f64 v[212:213], -v[250:251], v[2:3], v[212:213]
	ds_read2_b64 v[0:3], v75 offset0:41 offset1:42
	s_waitcnt lgkmcnt(0)
	v_fma_f64 v[150:151], -v[250:251], v[0:1], v[150:151]
	v_fma_f64 v[210:211], -v[250:251], v[2:3], v[210:211]
	ds_read2_b64 v[0:3], v75 offset0:43 offset1:44
	s_waitcnt lgkmcnt(0)
	v_fma_f64 v[148:149], -v[250:251], v[0:1], v[148:149]
	v_fma_f64 v[208:209], -v[250:251], v[2:3], v[208:209]
	ds_read2_b64 v[0:3], v75 offset0:45 offset1:46
	s_waitcnt lgkmcnt(0)
	v_fma_f64 v[146:147], -v[250:251], v[0:1], v[146:147]
	v_fma_f64 v[206:207], -v[250:251], v[2:3], v[206:207]
	ds_read2_b64 v[0:3], v75 offset0:47 offset1:48
	s_waitcnt lgkmcnt(0)
	v_fma_f64 v[144:145], -v[250:251], v[0:1], v[144:145]
	v_fma_f64 v[204:205], -v[250:251], v[2:3], v[204:205]
	ds_read2_b64 v[0:3], v75 offset0:49 offset1:50
	s_waitcnt lgkmcnt(0)
	v_fma_f64 v[142:143], -v[250:251], v[0:1], v[142:143]
	v_fma_f64 v[202:203], -v[250:251], v[2:3], v[202:203]
	ds_read2_b64 v[0:3], v75 offset0:51 offset1:52
	s_waitcnt lgkmcnt(0)
	v_fma_f64 v[140:141], -v[250:251], v[0:1], v[140:141]
	v_fma_f64 v[200:201], -v[250:251], v[2:3], v[200:201]
	ds_read2_b64 v[0:3], v75 offset0:53 offset1:54
	s_waitcnt lgkmcnt(0)
	v_fma_f64 v[138:139], -v[250:251], v[0:1], v[138:139]
	v_fma_f64 v[198:199], -v[250:251], v[2:3], v[198:199]
	ds_read2_b64 v[0:3], v75 offset0:55 offset1:56
	s_waitcnt lgkmcnt(0)
	v_fma_f64 v[136:137], -v[250:251], v[0:1], v[136:137]
	v_fma_f64 v[196:197], -v[250:251], v[2:3], v[196:197]
	ds_read2_b64 v[0:3], v75 offset0:57 offset1:58
	s_waitcnt lgkmcnt(0)
	v_fma_f64 v[134:135], -v[250:251], v[0:1], v[134:135]
	v_fma_f64 v[194:195], -v[250:251], v[2:3], v[194:195]
	ds_read2_b64 v[0:3], v75 offset0:59 offset1:60
	s_waitcnt lgkmcnt(0)
	v_fma_f64 v[132:133], -v[250:251], v[0:1], v[132:133]
	v_fma_f64 v[192:193], -v[250:251], v[2:3], v[192:193]
	ds_read2_b64 v[0:3], v75 offset0:61 offset1:62
	s_waitcnt lgkmcnt(0)
	v_fma_f64 v[130:131], -v[250:251], v[0:1], v[130:131]
	v_fma_f64 v[252:253], -v[250:251], v[2:3], v[252:253]
.LBB125_16:
	s_or_b64 exec, exec, s[2:3]
	v_cmp_eq_u32_e32 vcc, 3, v76
	s_waitcnt vmcnt(63) expcnt(7) lgkmcnt(15)
	s_barrier
	s_and_saveexec_b64 s[2:3], vcc
	s_cbranch_execz .LBB125_19
; %bb.17:
	v_mov_b32_e32 v0, v248
	v_mov_b32_e32 v1, v249
	;; [unrolled: 1-line block ×4, first 2 shown]
	ds_write_b64 v74, v[188:189]
	ds_write2_b64 v75, v[0:1], v[2:3] offset0:4 offset1:5
	v_mov_b32_e32 v0, v246
	v_mov_b32_e32 v1, v247
	v_mov_b32_e32 v2, v184
	v_mov_b32_e32 v3, v185
	ds_write2_b64 v75, v[0:1], v[2:3] offset0:6 offset1:7
	v_mov_b32_e32 v0, v244
	v_mov_b32_e32 v1, v245
	v_mov_b32_e32 v2, v182
	v_mov_b32_e32 v3, v183
	;; [unrolled: 5-line block ×19, first 2 shown]
	ds_write2_b64 v75, v[0:1], v[2:3] offset0:42 offset1:43
	s_waitcnt vmcnt(60)
	v_mov_b32_e32 v0, v208
	v_mov_b32_e32 v1, v209
	s_waitcnt vmcnt(57)
	v_mov_b32_e32 v2, v146
	v_mov_b32_e32 v3, v147
	ds_write2_b64 v75, v[0:1], v[2:3] offset0:44 offset1:45
	s_waitcnt vmcnt(54)
	v_mov_b32_e32 v0, v206
	v_mov_b32_e32 v1, v207
	s_waitcnt vmcnt(51)
	v_mov_b32_e32 v2, v144
	v_mov_b32_e32 v3, v145
	;; [unrolled: 7-line block ×9, first 2 shown]
	ds_write2_b64 v75, v[0:1], v[2:3] offset0:60 offset1:61
	s_waitcnt vmcnt(6)
	ds_write_b64 v75, v[252:253] offset:496
	ds_read_b64 v[0:1], v74
	s_waitcnt lgkmcnt(0)
	v_cmp_neq_f64_e32 vcc, 0, v[0:1]
	s_and_b64 exec, exec, vcc
	s_cbranch_execz .LBB125_19
; %bb.18:
	v_div_scale_f64 v[2:3], s[6:7], v[0:1], v[0:1], 1.0
	v_rcp_f64_e32 v[4:5], v[2:3]
	v_div_scale_f64 v[6:7], vcc, 1.0, v[0:1], 1.0
	v_fma_f64 v[8:9], -v[2:3], v[4:5], 1.0
	v_fmac_f64_e32 v[4:5], v[4:5], v[8:9]
	v_fma_f64 v[8:9], -v[2:3], v[4:5], 1.0
	v_fmac_f64_e32 v[4:5], v[4:5], v[8:9]
	v_mul_f64 v[8:9], v[6:7], v[4:5]
	v_fma_f64 v[2:3], -v[2:3], v[8:9], v[6:7]
	v_div_fmas_f64 v[2:3], v[2:3], v[4:5], v[8:9]
	v_div_fixup_f64 v[0:1], v[2:3], v[0:1], 1.0
	ds_write_b64 v74, v[0:1]
.LBB125_19:
	s_or_b64 exec, exec, s[2:3]
	s_waitcnt lgkmcnt(0)
	s_barrier
	ds_read_b64 v[0:1], v74
	v_cmp_lt_u32_e32 vcc, 3, v76
	s_waitcnt lgkmcnt(0)
	buffer_store_dword v0, off, s[16:19], 0 offset:344 ; 4-byte Folded Spill
	s_nop 0
	buffer_store_dword v1, off, s[16:19], 0 offset:348 ; 4-byte Folded Spill
	s_and_saveexec_b64 s[2:3], vcc
	s_cbranch_execz .LBB125_21
; %bb.20:
	buffer_load_dword v0, off, s[16:19], 0 offset:344 ; 4-byte Folded Reload
	buffer_load_dword v1, off, s[16:19], 0 offset:348 ; 4-byte Folded Reload
	s_waitcnt vmcnt(0)
	v_mul_f64 v[188:189], v[0:1], v[188:189]
	ds_read2_b64 v[0:3], v75 offset0:4 offset1:5
	s_waitcnt lgkmcnt(0)
	v_fma_f64 v[248:249], -v[188:189], v[0:1], v[248:249]
	v_fma_f64 v[186:187], -v[188:189], v[2:3], v[186:187]
	ds_read2_b64 v[0:3], v75 offset0:6 offset1:7
	s_waitcnt lgkmcnt(0)
	v_fma_f64 v[246:247], -v[188:189], v[0:1], v[246:247]
	v_fma_f64 v[184:185], -v[188:189], v[2:3], v[184:185]
	ds_read2_b64 v[0:3], v75 offset0:8 offset1:9
	s_waitcnt lgkmcnt(0)
	v_fma_f64 v[244:245], -v[188:189], v[0:1], v[244:245]
	v_fma_f64 v[182:183], -v[188:189], v[2:3], v[182:183]
	ds_read2_b64 v[0:3], v75 offset0:10 offset1:11
	s_waitcnt lgkmcnt(0)
	v_fma_f64 v[242:243], -v[188:189], v[0:1], v[242:243]
	v_fma_f64 v[180:181], -v[188:189], v[2:3], v[180:181]
	ds_read2_b64 v[0:3], v75 offset0:12 offset1:13
	s_waitcnt lgkmcnt(0)
	v_fma_f64 v[240:241], -v[188:189], v[0:1], v[240:241]
	v_fma_f64 v[178:179], -v[188:189], v[2:3], v[178:179]
	ds_read2_b64 v[0:3], v75 offset0:14 offset1:15
	s_waitcnt lgkmcnt(0)
	v_fma_f64 v[238:239], -v[188:189], v[0:1], v[238:239]
	v_fma_f64 v[176:177], -v[188:189], v[2:3], v[176:177]
	ds_read2_b64 v[0:3], v75 offset0:16 offset1:17
	s_waitcnt lgkmcnt(0)
	v_fma_f64 v[236:237], -v[188:189], v[0:1], v[236:237]
	v_fma_f64 v[174:175], -v[188:189], v[2:3], v[174:175]
	ds_read2_b64 v[0:3], v75 offset0:18 offset1:19
	s_waitcnt lgkmcnt(0)
	v_fma_f64 v[234:235], -v[188:189], v[0:1], v[234:235]
	v_fma_f64 v[172:173], -v[188:189], v[2:3], v[172:173]
	ds_read2_b64 v[0:3], v75 offset0:20 offset1:21
	s_waitcnt lgkmcnt(0)
	v_fma_f64 v[232:233], -v[188:189], v[0:1], v[232:233]
	v_fma_f64 v[170:171], -v[188:189], v[2:3], v[170:171]
	ds_read2_b64 v[0:3], v75 offset0:22 offset1:23
	s_waitcnt lgkmcnt(0)
	v_fma_f64 v[230:231], -v[188:189], v[0:1], v[230:231]
	v_fma_f64 v[168:169], -v[188:189], v[2:3], v[168:169]
	ds_read2_b64 v[0:3], v75 offset0:24 offset1:25
	s_waitcnt lgkmcnt(0)
	v_fma_f64 v[228:229], -v[188:189], v[0:1], v[228:229]
	v_fma_f64 v[166:167], -v[188:189], v[2:3], v[166:167]
	ds_read2_b64 v[0:3], v75 offset0:26 offset1:27
	s_waitcnt lgkmcnt(0)
	v_fma_f64 v[226:227], -v[188:189], v[0:1], v[226:227]
	v_fma_f64 v[164:165], -v[188:189], v[2:3], v[164:165]
	ds_read2_b64 v[0:3], v75 offset0:28 offset1:29
	s_waitcnt lgkmcnt(0)
	v_fma_f64 v[224:225], -v[188:189], v[0:1], v[224:225]
	v_fma_f64 v[162:163], -v[188:189], v[2:3], v[162:163]
	ds_read2_b64 v[0:3], v75 offset0:30 offset1:31
	s_waitcnt lgkmcnt(0)
	v_fma_f64 v[222:223], -v[188:189], v[0:1], v[222:223]
	v_fma_f64 v[160:161], -v[188:189], v[2:3], v[160:161]
	ds_read2_b64 v[0:3], v75 offset0:32 offset1:33
	s_waitcnt lgkmcnt(0)
	v_fma_f64 v[220:221], -v[188:189], v[0:1], v[220:221]
	v_fma_f64 v[158:159], -v[188:189], v[2:3], v[158:159]
	ds_read2_b64 v[0:3], v75 offset0:34 offset1:35
	s_waitcnt lgkmcnt(0)
	v_fma_f64 v[218:219], -v[188:189], v[0:1], v[218:219]
	v_fma_f64 v[156:157], -v[188:189], v[2:3], v[156:157]
	ds_read2_b64 v[0:3], v75 offset0:36 offset1:37
	s_waitcnt lgkmcnt(0)
	v_fma_f64 v[216:217], -v[188:189], v[0:1], v[216:217]
	v_fma_f64 v[154:155], -v[188:189], v[2:3], v[154:155]
	ds_read2_b64 v[0:3], v75 offset0:38 offset1:39
	s_waitcnt lgkmcnt(0)
	v_fma_f64 v[214:215], -v[188:189], v[0:1], v[214:215]
	v_fma_f64 v[152:153], -v[188:189], v[2:3], v[152:153]
	ds_read2_b64 v[0:3], v75 offset0:40 offset1:41
	s_waitcnt lgkmcnt(0)
	v_fma_f64 v[212:213], -v[188:189], v[0:1], v[212:213]
	v_fma_f64 v[150:151], -v[188:189], v[2:3], v[150:151]
	ds_read2_b64 v[0:3], v75 offset0:42 offset1:43
	s_waitcnt lgkmcnt(0)
	v_fma_f64 v[210:211], -v[188:189], v[0:1], v[210:211]
	v_fma_f64 v[148:149], -v[188:189], v[2:3], v[148:149]
	ds_read2_b64 v[0:3], v75 offset0:44 offset1:45
	s_waitcnt lgkmcnt(0)
	v_fma_f64 v[208:209], -v[188:189], v[0:1], v[208:209]
	v_fma_f64 v[146:147], -v[188:189], v[2:3], v[146:147]
	ds_read2_b64 v[0:3], v75 offset0:46 offset1:47
	s_waitcnt lgkmcnt(0)
	v_fma_f64 v[206:207], -v[188:189], v[0:1], v[206:207]
	v_fma_f64 v[144:145], -v[188:189], v[2:3], v[144:145]
	ds_read2_b64 v[0:3], v75 offset0:48 offset1:49
	s_waitcnt lgkmcnt(0)
	v_fma_f64 v[204:205], -v[188:189], v[0:1], v[204:205]
	v_fma_f64 v[142:143], -v[188:189], v[2:3], v[142:143]
	ds_read2_b64 v[0:3], v75 offset0:50 offset1:51
	s_waitcnt lgkmcnt(0)
	v_fma_f64 v[202:203], -v[188:189], v[0:1], v[202:203]
	v_fma_f64 v[140:141], -v[188:189], v[2:3], v[140:141]
	ds_read2_b64 v[0:3], v75 offset0:52 offset1:53
	s_waitcnt lgkmcnt(0)
	v_fma_f64 v[200:201], -v[188:189], v[0:1], v[200:201]
	v_fma_f64 v[138:139], -v[188:189], v[2:3], v[138:139]
	ds_read2_b64 v[0:3], v75 offset0:54 offset1:55
	s_waitcnt lgkmcnt(0)
	v_fma_f64 v[198:199], -v[188:189], v[0:1], v[198:199]
	v_fma_f64 v[136:137], -v[188:189], v[2:3], v[136:137]
	ds_read2_b64 v[0:3], v75 offset0:56 offset1:57
	s_waitcnt lgkmcnt(0)
	v_fma_f64 v[196:197], -v[188:189], v[0:1], v[196:197]
	v_fma_f64 v[134:135], -v[188:189], v[2:3], v[134:135]
	ds_read2_b64 v[0:3], v75 offset0:58 offset1:59
	s_waitcnt lgkmcnt(0)
	v_fma_f64 v[194:195], -v[188:189], v[0:1], v[194:195]
	v_fma_f64 v[132:133], -v[188:189], v[2:3], v[132:133]
	ds_read2_b64 v[0:3], v75 offset0:60 offset1:61
	s_waitcnt lgkmcnt(0)
	v_fma_f64 v[192:193], -v[188:189], v[0:1], v[192:193]
	ds_read_b64 v[0:1], v75 offset:496
	v_fma_f64 v[130:131], -v[188:189], v[2:3], v[130:131]
	s_waitcnt lgkmcnt(0)
	v_fma_f64 v[252:253], -v[188:189], v[0:1], v[252:253]
.LBB125_21:
	s_or_b64 exec, exec, s[2:3]
	v_cmp_eq_u32_e32 vcc, 4, v76
	s_waitcnt vmcnt(63) expcnt(7) lgkmcnt(15)
	s_barrier
	s_and_saveexec_b64 s[2:3], vcc
	s_cbranch_execz .LBB125_24
; %bb.22:
	ds_write_b64 v74, v[248:249]
	ds_write2_b64 v75, v[186:187], v[246:247] offset0:5 offset1:6
	ds_write2_b64 v75, v[184:185], v[244:245] offset0:7 offset1:8
	ds_write2_b64 v75, v[182:183], v[242:243] offset0:9 offset1:10
	ds_write2_b64 v75, v[180:181], v[240:241] offset0:11 offset1:12
	ds_write2_b64 v75, v[178:179], v[238:239] offset0:13 offset1:14
	ds_write2_b64 v75, v[176:177], v[236:237] offset0:15 offset1:16
	ds_write2_b64 v75, v[174:175], v[234:235] offset0:17 offset1:18
	ds_write2_b64 v75, v[172:173], v[232:233] offset0:19 offset1:20
	ds_write2_b64 v75, v[170:171], v[230:231] offset0:21 offset1:22
	ds_write2_b64 v75, v[168:169], v[228:229] offset0:23 offset1:24
	ds_write2_b64 v75, v[166:167], v[226:227] offset0:25 offset1:26
	ds_write2_b64 v75, v[164:165], v[224:225] offset0:27 offset1:28
	ds_write2_b64 v75, v[162:163], v[222:223] offset0:29 offset1:30
	ds_write2_b64 v75, v[160:161], v[220:221] offset0:31 offset1:32
	ds_write2_b64 v75, v[158:159], v[218:219] offset0:33 offset1:34
	ds_write2_b64 v75, v[156:157], v[216:217] offset0:35 offset1:36
	ds_write2_b64 v75, v[154:155], v[214:215] offset0:37 offset1:38
	ds_write2_b64 v75, v[152:153], v[212:213] offset0:39 offset1:40
	ds_write2_b64 v75, v[150:151], v[210:211] offset0:41 offset1:42
	s_waitcnt vmcnt(62)
	ds_write2_b64 v75, v[148:149], v[208:209] offset0:43 offset1:44
	s_waitcnt vmcnt(56)
	ds_write2_b64 v75, v[146:147], v[206:207] offset0:45 offset1:46
	;; [unrolled: 2-line block ×10, first 2 shown]
	ds_read_b64 v[0:1], v74
	s_waitcnt lgkmcnt(0)
	v_cmp_neq_f64_e32 vcc, 0, v[0:1]
	s_and_b64 exec, exec, vcc
	s_cbranch_execz .LBB125_24
; %bb.23:
	v_div_scale_f64 v[2:3], s[6:7], v[0:1], v[0:1], 1.0
	v_rcp_f64_e32 v[4:5], v[2:3]
	v_div_scale_f64 v[6:7], vcc, 1.0, v[0:1], 1.0
	v_fma_f64 v[8:9], -v[2:3], v[4:5], 1.0
	v_fmac_f64_e32 v[4:5], v[4:5], v[8:9]
	v_fma_f64 v[8:9], -v[2:3], v[4:5], 1.0
	v_fmac_f64_e32 v[4:5], v[4:5], v[8:9]
	v_mul_f64 v[8:9], v[6:7], v[4:5]
	v_fma_f64 v[2:3], -v[2:3], v[8:9], v[6:7]
	v_div_fmas_f64 v[2:3], v[2:3], v[4:5], v[8:9]
	v_div_fixup_f64 v[0:1], v[2:3], v[0:1], 1.0
	ds_write_b64 v74, v[0:1]
.LBB125_24:
	s_or_b64 exec, exec, s[2:3]
	s_waitcnt lgkmcnt(0)
	s_barrier
	ds_read_b64 v[0:1], v74
	v_cmp_lt_u32_e32 vcc, 4, v76
	s_waitcnt lgkmcnt(0)
	buffer_store_dword v0, off, s[16:19], 0 offset:352 ; 4-byte Folded Spill
	s_nop 0
	buffer_store_dword v1, off, s[16:19], 0 offset:356 ; 4-byte Folded Spill
	s_and_saveexec_b64 s[2:3], vcc
	s_cbranch_execz .LBB125_26
; %bb.25:
	buffer_load_dword v0, off, s[16:19], 0 offset:352 ; 4-byte Folded Reload
	buffer_load_dword v1, off, s[16:19], 0 offset:356 ; 4-byte Folded Reload
	s_waitcnt vmcnt(0)
	v_mul_f64 v[248:249], v[0:1], v[248:249]
	ds_read2_b64 v[0:3], v75 offset0:5 offset1:6
	s_waitcnt lgkmcnt(0)
	v_fma_f64 v[186:187], -v[248:249], v[0:1], v[186:187]
	v_fma_f64 v[246:247], -v[248:249], v[2:3], v[246:247]
	ds_read2_b64 v[0:3], v75 offset0:7 offset1:8
	s_waitcnt lgkmcnt(0)
	v_fma_f64 v[184:185], -v[248:249], v[0:1], v[184:185]
	v_fma_f64 v[244:245], -v[248:249], v[2:3], v[244:245]
	;; [unrolled: 4-line block ×29, first 2 shown]
.LBB125_26:
	s_or_b64 exec, exec, s[2:3]
	v_cmp_eq_u32_e32 vcc, 5, v76
	s_waitcnt vmcnt(63) expcnt(7) lgkmcnt(15)
	s_barrier
	s_and_saveexec_b64 s[2:3], vcc
	s_cbranch_execz .LBB125_29
; %bb.27:
	v_mov_b32_e32 v0, v246
	v_mov_b32_e32 v1, v247
	;; [unrolled: 1-line block ×4, first 2 shown]
	ds_write_b64 v74, v[186:187]
	ds_write2_b64 v75, v[0:1], v[2:3] offset0:6 offset1:7
	v_mov_b32_e32 v0, v244
	v_mov_b32_e32 v1, v245
	v_mov_b32_e32 v2, v182
	v_mov_b32_e32 v3, v183
	ds_write2_b64 v75, v[0:1], v[2:3] offset0:8 offset1:9
	v_mov_b32_e32 v0, v242
	v_mov_b32_e32 v1, v243
	v_mov_b32_e32 v2, v180
	v_mov_b32_e32 v3, v181
	;; [unrolled: 5-line block ×18, first 2 shown]
	ds_write2_b64 v75, v[0:1], v[2:3] offset0:42 offset1:43
	v_mov_b32_e32 v0, v208
	v_mov_b32_e32 v1, v209
	s_waitcnt vmcnt(61)
	v_mov_b32_e32 v2, v146
	v_mov_b32_e32 v3, v147
	ds_write2_b64 v75, v[0:1], v[2:3] offset0:44 offset1:45
	s_waitcnt vmcnt(58)
	v_mov_b32_e32 v0, v206
	v_mov_b32_e32 v1, v207
	s_waitcnt vmcnt(55)
	v_mov_b32_e32 v2, v144
	v_mov_b32_e32 v3, v145
	ds_write2_b64 v75, v[0:1], v[2:3] offset0:46 offset1:47
	s_waitcnt vmcnt(52)
	;; [unrolled: 7-line block ×9, first 2 shown]
	ds_write_b64 v75, v[252:253] offset:496
	ds_read_b64 v[0:1], v74
	s_waitcnt lgkmcnt(0)
	v_cmp_neq_f64_e32 vcc, 0, v[0:1]
	s_and_b64 exec, exec, vcc
	s_cbranch_execz .LBB125_29
; %bb.28:
	v_div_scale_f64 v[2:3], s[6:7], v[0:1], v[0:1], 1.0
	v_rcp_f64_e32 v[4:5], v[2:3]
	v_div_scale_f64 v[6:7], vcc, 1.0, v[0:1], 1.0
	v_fma_f64 v[8:9], -v[2:3], v[4:5], 1.0
	v_fmac_f64_e32 v[4:5], v[4:5], v[8:9]
	v_fma_f64 v[8:9], -v[2:3], v[4:5], 1.0
	v_fmac_f64_e32 v[4:5], v[4:5], v[8:9]
	v_mul_f64 v[8:9], v[6:7], v[4:5]
	v_fma_f64 v[2:3], -v[2:3], v[8:9], v[6:7]
	v_div_fmas_f64 v[2:3], v[2:3], v[4:5], v[8:9]
	v_div_fixup_f64 v[0:1], v[2:3], v[0:1], 1.0
	ds_write_b64 v74, v[0:1]
.LBB125_29:
	s_or_b64 exec, exec, s[2:3]
	s_waitcnt lgkmcnt(0)
	s_barrier
	ds_read_b64 v[0:1], v74
	v_cmp_lt_u32_e32 vcc, 5, v76
	s_waitcnt lgkmcnt(0)
	buffer_store_dword v0, off, s[16:19], 0 offset:360 ; 4-byte Folded Spill
	s_nop 0
	buffer_store_dword v1, off, s[16:19], 0 offset:364 ; 4-byte Folded Spill
	s_and_saveexec_b64 s[2:3], vcc
	s_cbranch_execz .LBB125_31
; %bb.30:
	buffer_load_dword v0, off, s[16:19], 0 offset:360 ; 4-byte Folded Reload
	buffer_load_dword v1, off, s[16:19], 0 offset:364 ; 4-byte Folded Reload
	s_waitcnt vmcnt(0)
	v_mul_f64 v[186:187], v[0:1], v[186:187]
	ds_read2_b64 v[0:3], v75 offset0:6 offset1:7
	s_waitcnt lgkmcnt(0)
	v_fma_f64 v[246:247], -v[186:187], v[0:1], v[246:247]
	v_fma_f64 v[184:185], -v[186:187], v[2:3], v[184:185]
	ds_read2_b64 v[0:3], v75 offset0:8 offset1:9
	s_waitcnt lgkmcnt(0)
	v_fma_f64 v[244:245], -v[186:187], v[0:1], v[244:245]
	v_fma_f64 v[182:183], -v[186:187], v[2:3], v[182:183]
	;; [unrolled: 4-line block ×27, first 2 shown]
	ds_read2_b64 v[0:3], v75 offset0:60 offset1:61
	s_waitcnt lgkmcnt(0)
	v_fma_f64 v[192:193], -v[186:187], v[0:1], v[192:193]
	ds_read_b64 v[0:1], v75 offset:496
	v_fma_f64 v[130:131], -v[186:187], v[2:3], v[130:131]
	s_waitcnt lgkmcnt(0)
	v_fma_f64 v[252:253], -v[186:187], v[0:1], v[252:253]
.LBB125_31:
	s_or_b64 exec, exec, s[2:3]
	v_cmp_eq_u32_e32 vcc, 6, v76
	s_waitcnt vmcnt(63) expcnt(7) lgkmcnt(15)
	s_barrier
	s_and_saveexec_b64 s[2:3], vcc
	s_cbranch_execz .LBB125_34
; %bb.32:
	ds_write_b64 v74, v[246:247]
	ds_write2_b64 v75, v[184:185], v[244:245] offset0:7 offset1:8
	ds_write2_b64 v75, v[182:183], v[242:243] offset0:9 offset1:10
	ds_write2_b64 v75, v[180:181], v[240:241] offset0:11 offset1:12
	ds_write2_b64 v75, v[178:179], v[238:239] offset0:13 offset1:14
	ds_write2_b64 v75, v[176:177], v[236:237] offset0:15 offset1:16
	ds_write2_b64 v75, v[174:175], v[234:235] offset0:17 offset1:18
	ds_write2_b64 v75, v[172:173], v[232:233] offset0:19 offset1:20
	ds_write2_b64 v75, v[170:171], v[230:231] offset0:21 offset1:22
	ds_write2_b64 v75, v[168:169], v[228:229] offset0:23 offset1:24
	ds_write2_b64 v75, v[166:167], v[226:227] offset0:25 offset1:26
	ds_write2_b64 v75, v[164:165], v[224:225] offset0:27 offset1:28
	ds_write2_b64 v75, v[162:163], v[222:223] offset0:29 offset1:30
	ds_write2_b64 v75, v[160:161], v[220:221] offset0:31 offset1:32
	ds_write2_b64 v75, v[158:159], v[218:219] offset0:33 offset1:34
	ds_write2_b64 v75, v[156:157], v[216:217] offset0:35 offset1:36
	ds_write2_b64 v75, v[154:155], v[214:215] offset0:37 offset1:38
	ds_write2_b64 v75, v[152:153], v[212:213] offset0:39 offset1:40
	ds_write2_b64 v75, v[150:151], v[210:211] offset0:41 offset1:42
	ds_write2_b64 v75, v[148:149], v[208:209] offset0:43 offset1:44
	s_waitcnt vmcnt(60)
	ds_write2_b64 v75, v[146:147], v[206:207] offset0:45 offset1:46
	s_waitcnt vmcnt(54)
	ds_write2_b64 v75, v[144:145], v[204:205] offset0:47 offset1:48
	s_waitcnt vmcnt(48)
	ds_write2_b64 v75, v[142:143], v[202:203] offset0:49 offset1:50
	s_waitcnt vmcnt(42)
	ds_write2_b64 v75, v[140:141], v[200:201] offset0:51 offset1:52
	s_waitcnt vmcnt(36)
	ds_write2_b64 v75, v[138:139], v[198:199] offset0:53 offset1:54
	s_waitcnt vmcnt(30)
	ds_write2_b64 v75, v[136:137], v[196:197] offset0:55 offset1:56
	s_waitcnt vmcnt(24)
	ds_write2_b64 v75, v[134:135], v[194:195] offset0:57 offset1:58
	s_waitcnt vmcnt(18)
	ds_write2_b64 v75, v[132:133], v[192:193] offset0:59 offset1:60
	s_waitcnt vmcnt(12)
	ds_write2_b64 v75, v[130:131], v[252:253] offset0:61 offset1:62
	ds_read_b64 v[0:1], v74
	s_waitcnt lgkmcnt(0)
	v_cmp_neq_f64_e32 vcc, 0, v[0:1]
	s_and_b64 exec, exec, vcc
	s_cbranch_execz .LBB125_34
; %bb.33:
	v_div_scale_f64 v[2:3], s[6:7], v[0:1], v[0:1], 1.0
	v_rcp_f64_e32 v[4:5], v[2:3]
	v_div_scale_f64 v[6:7], vcc, 1.0, v[0:1], 1.0
	v_fma_f64 v[8:9], -v[2:3], v[4:5], 1.0
	v_fmac_f64_e32 v[4:5], v[4:5], v[8:9]
	v_fma_f64 v[8:9], -v[2:3], v[4:5], 1.0
	v_fmac_f64_e32 v[4:5], v[4:5], v[8:9]
	v_mul_f64 v[8:9], v[6:7], v[4:5]
	v_fma_f64 v[2:3], -v[2:3], v[8:9], v[6:7]
	v_div_fmas_f64 v[2:3], v[2:3], v[4:5], v[8:9]
	v_div_fixup_f64 v[0:1], v[2:3], v[0:1], 1.0
	ds_write_b64 v74, v[0:1]
.LBB125_34:
	s_or_b64 exec, exec, s[2:3]
	s_waitcnt lgkmcnt(0)
	s_barrier
	ds_read_b64 v[0:1], v74
	v_cmp_lt_u32_e32 vcc, 6, v76
	s_waitcnt lgkmcnt(0)
	buffer_store_dword v0, off, s[16:19], 0 offset:368 ; 4-byte Folded Spill
	s_nop 0
	buffer_store_dword v1, off, s[16:19], 0 offset:372 ; 4-byte Folded Spill
	s_and_saveexec_b64 s[2:3], vcc
	s_cbranch_execz .LBB125_36
; %bb.35:
	buffer_load_dword v0, off, s[16:19], 0 offset:368 ; 4-byte Folded Reload
	buffer_load_dword v1, off, s[16:19], 0 offset:372 ; 4-byte Folded Reload
	s_waitcnt vmcnt(0)
	v_mul_f64 v[246:247], v[0:1], v[246:247]
	ds_read2_b64 v[0:3], v75 offset0:7 offset1:8
	s_waitcnt lgkmcnt(0)
	v_fma_f64 v[184:185], -v[246:247], v[0:1], v[184:185]
	v_fma_f64 v[244:245], -v[246:247], v[2:3], v[244:245]
	ds_read2_b64 v[0:3], v75 offset0:9 offset1:10
	s_waitcnt lgkmcnt(0)
	v_fma_f64 v[182:183], -v[246:247], v[0:1], v[182:183]
	v_fma_f64 v[242:243], -v[246:247], v[2:3], v[242:243]
	;; [unrolled: 4-line block ×28, first 2 shown]
.LBB125_36:
	s_or_b64 exec, exec, s[2:3]
	v_cmp_eq_u32_e32 vcc, 7, v76
	s_waitcnt vmcnt(63) expcnt(7) lgkmcnt(15)
	s_barrier
	s_and_saveexec_b64 s[2:3], vcc
	s_cbranch_execz .LBB125_39
; %bb.37:
	v_mov_b32_e32 v0, v244
	v_mov_b32_e32 v1, v245
	;; [unrolled: 1-line block ×4, first 2 shown]
	ds_write_b64 v74, v[184:185]
	ds_write2_b64 v75, v[0:1], v[2:3] offset0:8 offset1:9
	v_mov_b32_e32 v0, v242
	v_mov_b32_e32 v1, v243
	v_mov_b32_e32 v2, v180
	v_mov_b32_e32 v3, v181
	ds_write2_b64 v75, v[0:1], v[2:3] offset0:10 offset1:11
	v_mov_b32_e32 v0, v240
	v_mov_b32_e32 v1, v241
	v_mov_b32_e32 v2, v178
	v_mov_b32_e32 v3, v179
	;; [unrolled: 5-line block ×18, first 2 shown]
	ds_write2_b64 v75, v[0:1], v[2:3] offset0:44 offset1:45
	s_waitcnt vmcnt(62)
	v_mov_b32_e32 v0, v206
	v_mov_b32_e32 v1, v207
	s_waitcnt vmcnt(59)
	v_mov_b32_e32 v2, v144
	v_mov_b32_e32 v3, v145
	ds_write2_b64 v75, v[0:1], v[2:3] offset0:46 offset1:47
	s_waitcnt vmcnt(56)
	v_mov_b32_e32 v0, v204
	v_mov_b32_e32 v1, v205
	s_waitcnt vmcnt(53)
	v_mov_b32_e32 v2, v142
	v_mov_b32_e32 v3, v143
	;; [unrolled: 7-line block ×8, first 2 shown]
	ds_write2_b64 v75, v[0:1], v[2:3] offset0:60 offset1:61
	s_waitcnt vmcnt(14)
	ds_write_b64 v75, v[252:253] offset:496
	ds_read_b64 v[0:1], v74
	s_waitcnt lgkmcnt(0)
	v_cmp_neq_f64_e32 vcc, 0, v[0:1]
	s_and_b64 exec, exec, vcc
	s_cbranch_execz .LBB125_39
; %bb.38:
	v_div_scale_f64 v[2:3], s[6:7], v[0:1], v[0:1], 1.0
	v_rcp_f64_e32 v[4:5], v[2:3]
	v_div_scale_f64 v[6:7], vcc, 1.0, v[0:1], 1.0
	v_fma_f64 v[8:9], -v[2:3], v[4:5], 1.0
	v_fmac_f64_e32 v[4:5], v[4:5], v[8:9]
	v_fma_f64 v[8:9], -v[2:3], v[4:5], 1.0
	v_fmac_f64_e32 v[4:5], v[4:5], v[8:9]
	v_mul_f64 v[8:9], v[6:7], v[4:5]
	v_fma_f64 v[2:3], -v[2:3], v[8:9], v[6:7]
	v_div_fmas_f64 v[2:3], v[2:3], v[4:5], v[8:9]
	v_div_fixup_f64 v[0:1], v[2:3], v[0:1], 1.0
	ds_write_b64 v74, v[0:1]
.LBB125_39:
	s_or_b64 exec, exec, s[2:3]
	s_waitcnt lgkmcnt(0)
	s_barrier
	ds_read_b64 v[0:1], v74
	v_cmp_lt_u32_e32 vcc, 7, v76
	s_waitcnt lgkmcnt(0)
	buffer_store_dword v0, off, s[16:19], 0 offset:376 ; 4-byte Folded Spill
	s_nop 0
	buffer_store_dword v1, off, s[16:19], 0 offset:380 ; 4-byte Folded Spill
	s_and_saveexec_b64 s[2:3], vcc
	s_cbranch_execz .LBB125_41
; %bb.40:
	buffer_load_dword v0, off, s[16:19], 0 offset:376 ; 4-byte Folded Reload
	buffer_load_dword v1, off, s[16:19], 0 offset:380 ; 4-byte Folded Reload
	s_waitcnt vmcnt(0)
	v_mul_f64 v[184:185], v[0:1], v[184:185]
	ds_read2_b64 v[0:3], v75 offset0:8 offset1:9
	s_waitcnt lgkmcnt(0)
	v_fma_f64 v[244:245], -v[184:185], v[0:1], v[244:245]
	v_fma_f64 v[182:183], -v[184:185], v[2:3], v[182:183]
	ds_read2_b64 v[0:3], v75 offset0:10 offset1:11
	s_waitcnt lgkmcnt(0)
	v_fma_f64 v[242:243], -v[184:185], v[0:1], v[242:243]
	v_fma_f64 v[180:181], -v[184:185], v[2:3], v[180:181]
	;; [unrolled: 4-line block ×26, first 2 shown]
	ds_read2_b64 v[0:3], v75 offset0:60 offset1:61
	s_waitcnt lgkmcnt(0)
	v_fma_f64 v[192:193], -v[184:185], v[0:1], v[192:193]
	ds_read_b64 v[0:1], v75 offset:496
	v_fma_f64 v[130:131], -v[184:185], v[2:3], v[130:131]
	s_waitcnt lgkmcnt(0)
	v_fma_f64 v[252:253], -v[184:185], v[0:1], v[252:253]
.LBB125_41:
	s_or_b64 exec, exec, s[2:3]
	v_cmp_eq_u32_e32 vcc, 8, v76
	s_waitcnt vmcnt(63) expcnt(7) lgkmcnt(15)
	s_barrier
	s_and_saveexec_b64 s[2:3], vcc
	s_cbranch_execz .LBB125_44
; %bb.42:
	ds_write_b64 v74, v[244:245]
	ds_write2_b64 v75, v[182:183], v[242:243] offset0:9 offset1:10
	ds_write2_b64 v75, v[180:181], v[240:241] offset0:11 offset1:12
	;; [unrolled: 1-line block ×19, first 2 shown]
	s_waitcnt vmcnt(58)
	ds_write2_b64 v75, v[144:145], v[204:205] offset0:47 offset1:48
	s_waitcnt vmcnt(52)
	ds_write2_b64 v75, v[142:143], v[202:203] offset0:49 offset1:50
	;; [unrolled: 2-line block ×8, first 2 shown]
	ds_read_b64 v[0:1], v74
	s_waitcnt lgkmcnt(0)
	v_cmp_neq_f64_e32 vcc, 0, v[0:1]
	s_and_b64 exec, exec, vcc
	s_cbranch_execz .LBB125_44
; %bb.43:
	v_div_scale_f64 v[2:3], s[6:7], v[0:1], v[0:1], 1.0
	v_rcp_f64_e32 v[4:5], v[2:3]
	v_div_scale_f64 v[6:7], vcc, 1.0, v[0:1], 1.0
	v_fma_f64 v[8:9], -v[2:3], v[4:5], 1.0
	v_fmac_f64_e32 v[4:5], v[4:5], v[8:9]
	v_fma_f64 v[8:9], -v[2:3], v[4:5], 1.0
	v_fmac_f64_e32 v[4:5], v[4:5], v[8:9]
	v_mul_f64 v[8:9], v[6:7], v[4:5]
	v_fma_f64 v[2:3], -v[2:3], v[8:9], v[6:7]
	v_div_fmas_f64 v[2:3], v[2:3], v[4:5], v[8:9]
	v_div_fixup_f64 v[0:1], v[2:3], v[0:1], 1.0
	ds_write_b64 v74, v[0:1]
.LBB125_44:
	s_or_b64 exec, exec, s[2:3]
	s_waitcnt lgkmcnt(0)
	s_barrier
	ds_read_b64 v[0:1], v74
	v_cmp_lt_u32_e32 vcc, 8, v76
	s_waitcnt lgkmcnt(0)
	buffer_store_dword v0, off, s[16:19], 0 offset:384 ; 4-byte Folded Spill
	s_nop 0
	buffer_store_dword v1, off, s[16:19], 0 offset:388 ; 4-byte Folded Spill
	s_and_saveexec_b64 s[2:3], vcc
	s_cbranch_execz .LBB125_46
; %bb.45:
	buffer_load_dword v0, off, s[16:19], 0 offset:384 ; 4-byte Folded Reload
	buffer_load_dword v1, off, s[16:19], 0 offset:388 ; 4-byte Folded Reload
	s_waitcnt vmcnt(0)
	v_mul_f64 v[244:245], v[0:1], v[244:245]
	ds_read2_b64 v[0:3], v75 offset0:9 offset1:10
	s_waitcnt lgkmcnt(0)
	v_fma_f64 v[182:183], -v[244:245], v[0:1], v[182:183]
	v_fma_f64 v[242:243], -v[244:245], v[2:3], v[242:243]
	ds_read2_b64 v[0:3], v75 offset0:11 offset1:12
	s_waitcnt lgkmcnt(0)
	v_fma_f64 v[180:181], -v[244:245], v[0:1], v[180:181]
	v_fma_f64 v[240:241], -v[244:245], v[2:3], v[240:241]
	;; [unrolled: 4-line block ×27, first 2 shown]
.LBB125_46:
	s_or_b64 exec, exec, s[2:3]
	v_cmp_eq_u32_e32 vcc, 9, v76
	s_waitcnt vmcnt(63) expcnt(7) lgkmcnt(15)
	s_barrier
	s_and_saveexec_b64 s[2:3], vcc
	s_cbranch_execz .LBB125_49
; %bb.47:
	v_mov_b32_e32 v0, v242
	v_mov_b32_e32 v1, v243
	;; [unrolled: 1-line block ×4, first 2 shown]
	ds_write_b64 v74, v[182:183]
	ds_write2_b64 v75, v[0:1], v[2:3] offset0:10 offset1:11
	v_mov_b32_e32 v0, v240
	v_mov_b32_e32 v1, v241
	v_mov_b32_e32 v2, v178
	v_mov_b32_e32 v3, v179
	ds_write2_b64 v75, v[0:1], v[2:3] offset0:12 offset1:13
	v_mov_b32_e32 v0, v238
	v_mov_b32_e32 v1, v239
	v_mov_b32_e32 v2, v176
	v_mov_b32_e32 v3, v177
	;; [unrolled: 5-line block ×18, first 2 shown]
	ds_write2_b64 v75, v[0:1], v[2:3] offset0:46 offset1:47
	s_waitcnt vmcnt(60)
	v_mov_b32_e32 v0, v204
	v_mov_b32_e32 v1, v205
	s_waitcnt vmcnt(57)
	v_mov_b32_e32 v2, v142
	v_mov_b32_e32 v3, v143
	ds_write2_b64 v75, v[0:1], v[2:3] offset0:48 offset1:49
	s_waitcnt vmcnt(54)
	v_mov_b32_e32 v0, v202
	v_mov_b32_e32 v1, v203
	s_waitcnt vmcnt(51)
	v_mov_b32_e32 v2, v140
	v_mov_b32_e32 v3, v141
	;; [unrolled: 7-line block ×7, first 2 shown]
	ds_write2_b64 v75, v[0:1], v[2:3] offset0:60 offset1:61
	s_waitcnt vmcnt(18)
	ds_write_b64 v75, v[252:253] offset:496
	ds_read_b64 v[0:1], v74
	s_waitcnt lgkmcnt(0)
	v_cmp_neq_f64_e32 vcc, 0, v[0:1]
	s_and_b64 exec, exec, vcc
	s_cbranch_execz .LBB125_49
; %bb.48:
	v_div_scale_f64 v[2:3], s[6:7], v[0:1], v[0:1], 1.0
	v_rcp_f64_e32 v[4:5], v[2:3]
	v_div_scale_f64 v[6:7], vcc, 1.0, v[0:1], 1.0
	v_fma_f64 v[8:9], -v[2:3], v[4:5], 1.0
	v_fmac_f64_e32 v[4:5], v[4:5], v[8:9]
	v_fma_f64 v[8:9], -v[2:3], v[4:5], 1.0
	v_fmac_f64_e32 v[4:5], v[4:5], v[8:9]
	v_mul_f64 v[8:9], v[6:7], v[4:5]
	v_fma_f64 v[2:3], -v[2:3], v[8:9], v[6:7]
	v_div_fmas_f64 v[2:3], v[2:3], v[4:5], v[8:9]
	v_div_fixup_f64 v[0:1], v[2:3], v[0:1], 1.0
	ds_write_b64 v74, v[0:1]
.LBB125_49:
	s_or_b64 exec, exec, s[2:3]
	s_waitcnt lgkmcnt(0)
	s_barrier
	ds_read_b64 v[0:1], v74
	v_cmp_lt_u32_e32 vcc, 9, v76
	s_waitcnt lgkmcnt(0)
	buffer_store_dword v0, off, s[16:19], 0 offset:392 ; 4-byte Folded Spill
	s_nop 0
	buffer_store_dword v1, off, s[16:19], 0 offset:396 ; 4-byte Folded Spill
	s_and_saveexec_b64 s[2:3], vcc
	s_cbranch_execz .LBB125_51
; %bb.50:
	buffer_load_dword v0, off, s[16:19], 0 offset:392 ; 4-byte Folded Reload
	buffer_load_dword v1, off, s[16:19], 0 offset:396 ; 4-byte Folded Reload
	s_waitcnt vmcnt(0)
	v_mul_f64 v[182:183], v[0:1], v[182:183]
	ds_read2_b64 v[0:3], v75 offset0:10 offset1:11
	s_waitcnt lgkmcnt(0)
	v_fma_f64 v[242:243], -v[182:183], v[0:1], v[242:243]
	v_fma_f64 v[180:181], -v[182:183], v[2:3], v[180:181]
	ds_read2_b64 v[0:3], v75 offset0:12 offset1:13
	s_waitcnt lgkmcnt(0)
	v_fma_f64 v[240:241], -v[182:183], v[0:1], v[240:241]
	v_fma_f64 v[178:179], -v[182:183], v[2:3], v[178:179]
	;; [unrolled: 4-line block ×25, first 2 shown]
	ds_read2_b64 v[0:3], v75 offset0:60 offset1:61
	s_waitcnt lgkmcnt(0)
	v_fma_f64 v[192:193], -v[182:183], v[0:1], v[192:193]
	ds_read_b64 v[0:1], v75 offset:496
	v_fma_f64 v[130:131], -v[182:183], v[2:3], v[130:131]
	s_waitcnt lgkmcnt(0)
	v_fma_f64 v[252:253], -v[182:183], v[0:1], v[252:253]
.LBB125_51:
	s_or_b64 exec, exec, s[2:3]
	v_cmp_eq_u32_e32 vcc, 10, v76
	s_waitcnt vmcnt(63) expcnt(7) lgkmcnt(15)
	s_barrier
	s_and_saveexec_b64 s[2:3], vcc
	s_cbranch_execz .LBB125_54
; %bb.52:
	ds_write_b64 v74, v[242:243]
	ds_write2_b64 v75, v[180:181], v[240:241] offset0:11 offset1:12
	ds_write2_b64 v75, v[178:179], v[238:239] offset0:13 offset1:14
	;; [unrolled: 1-line block ×18, first 2 shown]
	s_waitcnt vmcnt(62)
	ds_write2_b64 v75, v[144:145], v[204:205] offset0:47 offset1:48
	s_waitcnt vmcnt(56)
	ds_write2_b64 v75, v[142:143], v[202:203] offset0:49 offset1:50
	;; [unrolled: 2-line block ×8, first 2 shown]
	ds_read_b64 v[0:1], v74
	s_waitcnt lgkmcnt(0)
	v_cmp_neq_f64_e32 vcc, 0, v[0:1]
	s_and_b64 exec, exec, vcc
	s_cbranch_execz .LBB125_54
; %bb.53:
	v_div_scale_f64 v[2:3], s[6:7], v[0:1], v[0:1], 1.0
	v_rcp_f64_e32 v[4:5], v[2:3]
	v_div_scale_f64 v[6:7], vcc, 1.0, v[0:1], 1.0
	v_fma_f64 v[8:9], -v[2:3], v[4:5], 1.0
	v_fmac_f64_e32 v[4:5], v[4:5], v[8:9]
	v_fma_f64 v[8:9], -v[2:3], v[4:5], 1.0
	v_fmac_f64_e32 v[4:5], v[4:5], v[8:9]
	v_mul_f64 v[8:9], v[6:7], v[4:5]
	v_fma_f64 v[2:3], -v[2:3], v[8:9], v[6:7]
	v_div_fmas_f64 v[2:3], v[2:3], v[4:5], v[8:9]
	v_div_fixup_f64 v[0:1], v[2:3], v[0:1], 1.0
	ds_write_b64 v74, v[0:1]
.LBB125_54:
	s_or_b64 exec, exec, s[2:3]
	s_waitcnt lgkmcnt(0)
	s_barrier
	ds_read_b64 v[0:1], v74
	v_cmp_lt_u32_e32 vcc, 10, v76
	s_waitcnt lgkmcnt(0)
	buffer_store_dword v0, off, s[16:19], 0 offset:400 ; 4-byte Folded Spill
	s_nop 0
	buffer_store_dword v1, off, s[16:19], 0 offset:404 ; 4-byte Folded Spill
	s_and_saveexec_b64 s[2:3], vcc
	s_cbranch_execz .LBB125_56
; %bb.55:
	buffer_load_dword v0, off, s[16:19], 0 offset:400 ; 4-byte Folded Reload
	buffer_load_dword v1, off, s[16:19], 0 offset:404 ; 4-byte Folded Reload
	s_waitcnt vmcnt(0)
	v_mul_f64 v[242:243], v[0:1], v[242:243]
	ds_read2_b64 v[0:3], v75 offset0:11 offset1:12
	s_waitcnt lgkmcnt(0)
	v_fma_f64 v[180:181], -v[242:243], v[0:1], v[180:181]
	v_fma_f64 v[240:241], -v[242:243], v[2:3], v[240:241]
	ds_read2_b64 v[0:3], v75 offset0:13 offset1:14
	s_waitcnt lgkmcnt(0)
	v_fma_f64 v[178:179], -v[242:243], v[0:1], v[178:179]
	v_fma_f64 v[238:239], -v[242:243], v[2:3], v[238:239]
	;; [unrolled: 4-line block ×26, first 2 shown]
.LBB125_56:
	s_or_b64 exec, exec, s[2:3]
	v_cmp_eq_u32_e32 vcc, 11, v76
	s_waitcnt vmcnt(63) expcnt(7) lgkmcnt(15)
	s_barrier
	s_and_saveexec_b64 s[2:3], vcc
	s_cbranch_execz .LBB125_59
; %bb.57:
	v_mov_b32_e32 v0, v240
	v_mov_b32_e32 v1, v241
	v_mov_b32_e32 v2, v178
	v_mov_b32_e32 v3, v179
	ds_write_b64 v74, v[180:181]
	ds_write2_b64 v75, v[0:1], v[2:3] offset0:12 offset1:13
	v_mov_b32_e32 v0, v238
	v_mov_b32_e32 v1, v239
	v_mov_b32_e32 v2, v176
	v_mov_b32_e32 v3, v177
	ds_write2_b64 v75, v[0:1], v[2:3] offset0:14 offset1:15
	v_mov_b32_e32 v0, v236
	v_mov_b32_e32 v1, v237
	v_mov_b32_e32 v2, v174
	v_mov_b32_e32 v3, v175
	;; [unrolled: 5-line block ×17, first 2 shown]
	ds_write2_b64 v75, v[0:1], v[2:3] offset0:46 offset1:47
	v_mov_b32_e32 v0, v204
	v_mov_b32_e32 v1, v205
	s_waitcnt vmcnt(61)
	v_mov_b32_e32 v2, v142
	v_mov_b32_e32 v3, v143
	ds_write2_b64 v75, v[0:1], v[2:3] offset0:48 offset1:49
	s_waitcnt vmcnt(58)
	v_mov_b32_e32 v0, v202
	v_mov_b32_e32 v1, v203
	s_waitcnt vmcnt(55)
	v_mov_b32_e32 v2, v140
	v_mov_b32_e32 v3, v141
	ds_write2_b64 v75, v[0:1], v[2:3] offset0:50 offset1:51
	s_waitcnt vmcnt(52)
	;; [unrolled: 7-line block ×7, first 2 shown]
	ds_write_b64 v75, v[252:253] offset:496
	ds_read_b64 v[0:1], v74
	s_waitcnt lgkmcnt(0)
	v_cmp_neq_f64_e32 vcc, 0, v[0:1]
	s_and_b64 exec, exec, vcc
	s_cbranch_execz .LBB125_59
; %bb.58:
	v_div_scale_f64 v[2:3], s[6:7], v[0:1], v[0:1], 1.0
	v_rcp_f64_e32 v[4:5], v[2:3]
	v_div_scale_f64 v[6:7], vcc, 1.0, v[0:1], 1.0
	v_fma_f64 v[8:9], -v[2:3], v[4:5], 1.0
	v_fmac_f64_e32 v[4:5], v[4:5], v[8:9]
	v_fma_f64 v[8:9], -v[2:3], v[4:5], 1.0
	v_fmac_f64_e32 v[4:5], v[4:5], v[8:9]
	v_mul_f64 v[8:9], v[6:7], v[4:5]
	v_fma_f64 v[2:3], -v[2:3], v[8:9], v[6:7]
	v_div_fmas_f64 v[2:3], v[2:3], v[4:5], v[8:9]
	v_div_fixup_f64 v[0:1], v[2:3], v[0:1], 1.0
	ds_write_b64 v74, v[0:1]
.LBB125_59:
	s_or_b64 exec, exec, s[2:3]
	s_waitcnt lgkmcnt(0)
	s_barrier
	ds_read_b64 v[0:1], v74
	v_cmp_lt_u32_e32 vcc, 11, v76
	s_waitcnt lgkmcnt(0)
	buffer_store_dword v0, off, s[16:19], 0 offset:408 ; 4-byte Folded Spill
	s_nop 0
	buffer_store_dword v1, off, s[16:19], 0 offset:412 ; 4-byte Folded Spill
	s_and_saveexec_b64 s[2:3], vcc
	s_cbranch_execz .LBB125_61
; %bb.60:
	buffer_load_dword v0, off, s[16:19], 0 offset:408 ; 4-byte Folded Reload
	buffer_load_dword v1, off, s[16:19], 0 offset:412 ; 4-byte Folded Reload
	s_waitcnt vmcnt(0)
	v_mul_f64 v[180:181], v[0:1], v[180:181]
	ds_read2_b64 v[0:3], v75 offset0:12 offset1:13
	s_waitcnt lgkmcnt(0)
	v_fma_f64 v[240:241], -v[180:181], v[0:1], v[240:241]
	v_fma_f64 v[178:179], -v[180:181], v[2:3], v[178:179]
	ds_read2_b64 v[0:3], v75 offset0:14 offset1:15
	s_waitcnt lgkmcnt(0)
	v_fma_f64 v[238:239], -v[180:181], v[0:1], v[238:239]
	v_fma_f64 v[176:177], -v[180:181], v[2:3], v[176:177]
	;; [unrolled: 4-line block ×24, first 2 shown]
	ds_read2_b64 v[0:3], v75 offset0:60 offset1:61
	s_waitcnt lgkmcnt(0)
	v_fma_f64 v[192:193], -v[180:181], v[0:1], v[192:193]
	ds_read_b64 v[0:1], v75 offset:496
	v_fma_f64 v[130:131], -v[180:181], v[2:3], v[130:131]
	s_waitcnt lgkmcnt(0)
	v_fma_f64 v[252:253], -v[180:181], v[0:1], v[252:253]
.LBB125_61:
	s_or_b64 exec, exec, s[2:3]
	v_cmp_eq_u32_e32 vcc, 12, v76
	s_waitcnt vmcnt(63) expcnt(7) lgkmcnt(15)
	s_barrier
	s_and_saveexec_b64 s[2:3], vcc
	s_cbranch_execz .LBB125_64
; %bb.62:
	ds_write_b64 v74, v[240:241]
	ds_write2_b64 v75, v[178:179], v[238:239] offset0:13 offset1:14
	ds_write2_b64 v75, v[176:177], v[236:237] offset0:15 offset1:16
	;; [unrolled: 1-line block ×18, first 2 shown]
	s_waitcnt vmcnt(60)
	ds_write2_b64 v75, v[142:143], v[202:203] offset0:49 offset1:50
	s_waitcnt vmcnt(54)
	ds_write2_b64 v75, v[140:141], v[200:201] offset0:51 offset1:52
	;; [unrolled: 2-line block ×7, first 2 shown]
	ds_read_b64 v[0:1], v74
	s_waitcnt lgkmcnt(0)
	v_cmp_neq_f64_e32 vcc, 0, v[0:1]
	s_and_b64 exec, exec, vcc
	s_cbranch_execz .LBB125_64
; %bb.63:
	v_div_scale_f64 v[2:3], s[6:7], v[0:1], v[0:1], 1.0
	v_rcp_f64_e32 v[4:5], v[2:3]
	v_div_scale_f64 v[6:7], vcc, 1.0, v[0:1], 1.0
	v_fma_f64 v[8:9], -v[2:3], v[4:5], 1.0
	v_fmac_f64_e32 v[4:5], v[4:5], v[8:9]
	v_fma_f64 v[8:9], -v[2:3], v[4:5], 1.0
	v_fmac_f64_e32 v[4:5], v[4:5], v[8:9]
	v_mul_f64 v[8:9], v[6:7], v[4:5]
	v_fma_f64 v[2:3], -v[2:3], v[8:9], v[6:7]
	v_div_fmas_f64 v[2:3], v[2:3], v[4:5], v[8:9]
	v_div_fixup_f64 v[0:1], v[2:3], v[0:1], 1.0
	ds_write_b64 v74, v[0:1]
.LBB125_64:
	s_or_b64 exec, exec, s[2:3]
	s_waitcnt lgkmcnt(0)
	s_barrier
	ds_read_b64 v[0:1], v74
	v_cmp_lt_u32_e32 vcc, 12, v76
	s_waitcnt lgkmcnt(0)
	buffer_store_dword v0, off, s[16:19], 0 offset:416 ; 4-byte Folded Spill
	s_nop 0
	buffer_store_dword v1, off, s[16:19], 0 offset:420 ; 4-byte Folded Spill
	s_and_saveexec_b64 s[2:3], vcc
	s_cbranch_execz .LBB125_66
; %bb.65:
	buffer_load_dword v0, off, s[16:19], 0 offset:416 ; 4-byte Folded Reload
	buffer_load_dword v1, off, s[16:19], 0 offset:420 ; 4-byte Folded Reload
	s_waitcnt vmcnt(0)
	v_mul_f64 v[240:241], v[0:1], v[240:241]
	ds_read2_b64 v[0:3], v75 offset0:13 offset1:14
	s_waitcnt lgkmcnt(0)
	v_fma_f64 v[178:179], -v[240:241], v[0:1], v[178:179]
	v_fma_f64 v[238:239], -v[240:241], v[2:3], v[238:239]
	ds_read2_b64 v[0:3], v75 offset0:15 offset1:16
	s_waitcnt lgkmcnt(0)
	v_fma_f64 v[176:177], -v[240:241], v[0:1], v[176:177]
	v_fma_f64 v[236:237], -v[240:241], v[2:3], v[236:237]
	ds_read2_b64 v[0:3], v75 offset0:17 offset1:18
	s_waitcnt lgkmcnt(0)
	v_fma_f64 v[174:175], -v[240:241], v[0:1], v[174:175]
	v_fma_f64 v[234:235], -v[240:241], v[2:3], v[234:235]
	ds_read2_b64 v[0:3], v75 offset0:19 offset1:20
	s_waitcnt lgkmcnt(0)
	v_fma_f64 v[172:173], -v[240:241], v[0:1], v[172:173]
	v_fma_f64 v[232:233], -v[240:241], v[2:3], v[232:233]
	ds_read2_b64 v[0:3], v75 offset0:21 offset1:22
	s_waitcnt lgkmcnt(0)
	v_fma_f64 v[170:171], -v[240:241], v[0:1], v[170:171]
	v_fma_f64 v[230:231], -v[240:241], v[2:3], v[230:231]
	ds_read2_b64 v[0:3], v75 offset0:23 offset1:24
	s_waitcnt lgkmcnt(0)
	v_fma_f64 v[168:169], -v[240:241], v[0:1], v[168:169]
	v_fma_f64 v[228:229], -v[240:241], v[2:3], v[228:229]
	ds_read2_b64 v[0:3], v75 offset0:25 offset1:26
	s_waitcnt lgkmcnt(0)
	v_fma_f64 v[166:167], -v[240:241], v[0:1], v[166:167]
	v_fma_f64 v[226:227], -v[240:241], v[2:3], v[226:227]
	ds_read2_b64 v[0:3], v75 offset0:27 offset1:28
	s_waitcnt lgkmcnt(0)
	v_fma_f64 v[164:165], -v[240:241], v[0:1], v[164:165]
	v_fma_f64 v[224:225], -v[240:241], v[2:3], v[224:225]
	ds_read2_b64 v[0:3], v75 offset0:29 offset1:30
	s_waitcnt lgkmcnt(0)
	v_fma_f64 v[162:163], -v[240:241], v[0:1], v[162:163]
	v_fma_f64 v[222:223], -v[240:241], v[2:3], v[222:223]
	ds_read2_b64 v[0:3], v75 offset0:31 offset1:32
	s_waitcnt lgkmcnt(0)
	v_fma_f64 v[160:161], -v[240:241], v[0:1], v[160:161]
	v_fma_f64 v[220:221], -v[240:241], v[2:3], v[220:221]
	ds_read2_b64 v[0:3], v75 offset0:33 offset1:34
	s_waitcnt lgkmcnt(0)
	v_fma_f64 v[158:159], -v[240:241], v[0:1], v[158:159]
	v_fma_f64 v[218:219], -v[240:241], v[2:3], v[218:219]
	ds_read2_b64 v[0:3], v75 offset0:35 offset1:36
	s_waitcnt lgkmcnt(0)
	v_fma_f64 v[156:157], -v[240:241], v[0:1], v[156:157]
	v_fma_f64 v[216:217], -v[240:241], v[2:3], v[216:217]
	ds_read2_b64 v[0:3], v75 offset0:37 offset1:38
	s_waitcnt lgkmcnt(0)
	v_fma_f64 v[154:155], -v[240:241], v[0:1], v[154:155]
	v_fma_f64 v[214:215], -v[240:241], v[2:3], v[214:215]
	ds_read2_b64 v[0:3], v75 offset0:39 offset1:40
	s_waitcnt lgkmcnt(0)
	v_fma_f64 v[152:153], -v[240:241], v[0:1], v[152:153]
	v_fma_f64 v[212:213], -v[240:241], v[2:3], v[212:213]
	ds_read2_b64 v[0:3], v75 offset0:41 offset1:42
	s_waitcnt lgkmcnt(0)
	v_fma_f64 v[150:151], -v[240:241], v[0:1], v[150:151]
	v_fma_f64 v[210:211], -v[240:241], v[2:3], v[210:211]
	ds_read2_b64 v[0:3], v75 offset0:43 offset1:44
	s_waitcnt lgkmcnt(0)
	v_fma_f64 v[148:149], -v[240:241], v[0:1], v[148:149]
	v_fma_f64 v[208:209], -v[240:241], v[2:3], v[208:209]
	ds_read2_b64 v[0:3], v75 offset0:45 offset1:46
	s_waitcnt lgkmcnt(0)
	v_fma_f64 v[146:147], -v[240:241], v[0:1], v[146:147]
	v_fma_f64 v[206:207], -v[240:241], v[2:3], v[206:207]
	ds_read2_b64 v[0:3], v75 offset0:47 offset1:48
	s_waitcnt lgkmcnt(0)
	v_fma_f64 v[144:145], -v[240:241], v[0:1], v[144:145]
	v_fma_f64 v[204:205], -v[240:241], v[2:3], v[204:205]
	ds_read2_b64 v[0:3], v75 offset0:49 offset1:50
	s_waitcnt lgkmcnt(0)
	v_fma_f64 v[142:143], -v[240:241], v[0:1], v[142:143]
	v_fma_f64 v[202:203], -v[240:241], v[2:3], v[202:203]
	ds_read2_b64 v[0:3], v75 offset0:51 offset1:52
	s_waitcnt lgkmcnt(0)
	v_fma_f64 v[140:141], -v[240:241], v[0:1], v[140:141]
	v_fma_f64 v[200:201], -v[240:241], v[2:3], v[200:201]
	ds_read2_b64 v[0:3], v75 offset0:53 offset1:54
	s_waitcnt lgkmcnt(0)
	v_fma_f64 v[138:139], -v[240:241], v[0:1], v[138:139]
	v_fma_f64 v[198:199], -v[240:241], v[2:3], v[198:199]
	ds_read2_b64 v[0:3], v75 offset0:55 offset1:56
	s_waitcnt lgkmcnt(0)
	v_fma_f64 v[136:137], -v[240:241], v[0:1], v[136:137]
	v_fma_f64 v[196:197], -v[240:241], v[2:3], v[196:197]
	ds_read2_b64 v[0:3], v75 offset0:57 offset1:58
	s_waitcnt lgkmcnt(0)
	v_fma_f64 v[134:135], -v[240:241], v[0:1], v[134:135]
	v_fma_f64 v[194:195], -v[240:241], v[2:3], v[194:195]
	ds_read2_b64 v[0:3], v75 offset0:59 offset1:60
	s_waitcnt lgkmcnt(0)
	v_fma_f64 v[132:133], -v[240:241], v[0:1], v[132:133]
	v_fma_f64 v[192:193], -v[240:241], v[2:3], v[192:193]
	ds_read2_b64 v[0:3], v75 offset0:61 offset1:62
	s_waitcnt lgkmcnt(0)
	v_fma_f64 v[130:131], -v[240:241], v[0:1], v[130:131]
	v_fma_f64 v[252:253], -v[240:241], v[2:3], v[252:253]
.LBB125_66:
	s_or_b64 exec, exec, s[2:3]
	v_cmp_eq_u32_e32 vcc, 13, v76
	s_waitcnt vmcnt(63) expcnt(7) lgkmcnt(15)
	s_barrier
	s_and_saveexec_b64 s[2:3], vcc
	s_cbranch_execz .LBB125_69
; %bb.67:
	v_mov_b32_e32 v0, v238
	v_mov_b32_e32 v1, v239
	;; [unrolled: 1-line block ×4, first 2 shown]
	ds_write_b64 v74, v[178:179]
	ds_write2_b64 v75, v[0:1], v[2:3] offset0:14 offset1:15
	v_mov_b32_e32 v0, v236
	v_mov_b32_e32 v1, v237
	v_mov_b32_e32 v2, v174
	v_mov_b32_e32 v3, v175
	ds_write2_b64 v75, v[0:1], v[2:3] offset0:16 offset1:17
	v_mov_b32_e32 v0, v234
	v_mov_b32_e32 v1, v235
	v_mov_b32_e32 v2, v172
	v_mov_b32_e32 v3, v173
	;; [unrolled: 5-line block ×17, first 2 shown]
	ds_write2_b64 v75, v[0:1], v[2:3] offset0:48 offset1:49
	s_waitcnt vmcnt(62)
	v_mov_b32_e32 v0, v202
	v_mov_b32_e32 v1, v203
	s_waitcnt vmcnt(59)
	v_mov_b32_e32 v2, v140
	v_mov_b32_e32 v3, v141
	ds_write2_b64 v75, v[0:1], v[2:3] offset0:50 offset1:51
	s_waitcnt vmcnt(56)
	v_mov_b32_e32 v0, v200
	v_mov_b32_e32 v1, v201
	s_waitcnt vmcnt(53)
	v_mov_b32_e32 v2, v138
	v_mov_b32_e32 v3, v139
	;; [unrolled: 7-line block ×6, first 2 shown]
	ds_write2_b64 v75, v[0:1], v[2:3] offset0:60 offset1:61
	s_waitcnt vmcnt(26)
	ds_write_b64 v75, v[252:253] offset:496
	ds_read_b64 v[0:1], v74
	s_waitcnt lgkmcnt(0)
	v_cmp_neq_f64_e32 vcc, 0, v[0:1]
	s_and_b64 exec, exec, vcc
	s_cbranch_execz .LBB125_69
; %bb.68:
	v_div_scale_f64 v[2:3], s[6:7], v[0:1], v[0:1], 1.0
	v_rcp_f64_e32 v[4:5], v[2:3]
	v_div_scale_f64 v[6:7], vcc, 1.0, v[0:1], 1.0
	v_fma_f64 v[8:9], -v[2:3], v[4:5], 1.0
	v_fmac_f64_e32 v[4:5], v[4:5], v[8:9]
	v_fma_f64 v[8:9], -v[2:3], v[4:5], 1.0
	v_fmac_f64_e32 v[4:5], v[4:5], v[8:9]
	v_mul_f64 v[8:9], v[6:7], v[4:5]
	v_fma_f64 v[2:3], -v[2:3], v[8:9], v[6:7]
	v_div_fmas_f64 v[2:3], v[2:3], v[4:5], v[8:9]
	v_div_fixup_f64 v[0:1], v[2:3], v[0:1], 1.0
	ds_write_b64 v74, v[0:1]
.LBB125_69:
	s_or_b64 exec, exec, s[2:3]
	s_waitcnt lgkmcnt(0)
	s_barrier
	ds_read_b64 v[0:1], v74
	v_cmp_lt_u32_e32 vcc, 13, v76
	s_waitcnt lgkmcnt(0)
	buffer_store_dword v0, off, s[16:19], 0 offset:424 ; 4-byte Folded Spill
	s_nop 0
	buffer_store_dword v1, off, s[16:19], 0 offset:428 ; 4-byte Folded Spill
	s_and_saveexec_b64 s[2:3], vcc
	s_cbranch_execz .LBB125_71
; %bb.70:
	buffer_load_dword v0, off, s[16:19], 0 offset:424 ; 4-byte Folded Reload
	buffer_load_dword v1, off, s[16:19], 0 offset:428 ; 4-byte Folded Reload
	s_waitcnt vmcnt(0)
	v_mul_f64 v[178:179], v[0:1], v[178:179]
	ds_read2_b64 v[0:3], v75 offset0:14 offset1:15
	s_waitcnt lgkmcnt(0)
	v_fma_f64 v[238:239], -v[178:179], v[0:1], v[238:239]
	v_fma_f64 v[176:177], -v[178:179], v[2:3], v[176:177]
	ds_read2_b64 v[0:3], v75 offset0:16 offset1:17
	s_waitcnt lgkmcnt(0)
	v_fma_f64 v[236:237], -v[178:179], v[0:1], v[236:237]
	v_fma_f64 v[174:175], -v[178:179], v[2:3], v[174:175]
	;; [unrolled: 4-line block ×23, first 2 shown]
	ds_read2_b64 v[0:3], v75 offset0:60 offset1:61
	s_waitcnt lgkmcnt(0)
	v_fma_f64 v[192:193], -v[178:179], v[0:1], v[192:193]
	ds_read_b64 v[0:1], v75 offset:496
	v_fma_f64 v[130:131], -v[178:179], v[2:3], v[130:131]
	s_waitcnt lgkmcnt(0)
	v_fma_f64 v[252:253], -v[178:179], v[0:1], v[252:253]
.LBB125_71:
	s_or_b64 exec, exec, s[2:3]
	v_cmp_eq_u32_e32 vcc, 14, v76
	s_waitcnt vmcnt(63) expcnt(7) lgkmcnt(15)
	s_barrier
	s_and_saveexec_b64 s[2:3], vcc
	s_cbranch_execz .LBB125_74
; %bb.72:
	ds_write_b64 v74, v[238:239]
	ds_write2_b64 v75, v[176:177], v[236:237] offset0:15 offset1:16
	ds_write2_b64 v75, v[174:175], v[234:235] offset0:17 offset1:18
	;; [unrolled: 1-line block ×18, first 2 shown]
	s_waitcnt vmcnt(58)
	ds_write2_b64 v75, v[140:141], v[200:201] offset0:51 offset1:52
	s_waitcnt vmcnt(52)
	ds_write2_b64 v75, v[138:139], v[198:199] offset0:53 offset1:54
	;; [unrolled: 2-line block ×6, first 2 shown]
	ds_read_b64 v[0:1], v74
	s_waitcnt lgkmcnt(0)
	v_cmp_neq_f64_e32 vcc, 0, v[0:1]
	s_and_b64 exec, exec, vcc
	s_cbranch_execz .LBB125_74
; %bb.73:
	v_div_scale_f64 v[2:3], s[6:7], v[0:1], v[0:1], 1.0
	v_rcp_f64_e32 v[4:5], v[2:3]
	v_div_scale_f64 v[6:7], vcc, 1.0, v[0:1], 1.0
	v_fma_f64 v[8:9], -v[2:3], v[4:5], 1.0
	v_fmac_f64_e32 v[4:5], v[4:5], v[8:9]
	v_fma_f64 v[8:9], -v[2:3], v[4:5], 1.0
	v_fmac_f64_e32 v[4:5], v[4:5], v[8:9]
	v_mul_f64 v[8:9], v[6:7], v[4:5]
	v_fma_f64 v[2:3], -v[2:3], v[8:9], v[6:7]
	v_div_fmas_f64 v[2:3], v[2:3], v[4:5], v[8:9]
	v_div_fixup_f64 v[0:1], v[2:3], v[0:1], 1.0
	ds_write_b64 v74, v[0:1]
.LBB125_74:
	s_or_b64 exec, exec, s[2:3]
	s_waitcnt lgkmcnt(0)
	s_barrier
	ds_read_b64 v[0:1], v74
	v_cmp_lt_u32_e32 vcc, 14, v76
	s_waitcnt lgkmcnt(0)
	buffer_store_dword v0, off, s[16:19], 0 offset:432 ; 4-byte Folded Spill
	s_nop 0
	buffer_store_dword v1, off, s[16:19], 0 offset:436 ; 4-byte Folded Spill
	s_and_saveexec_b64 s[2:3], vcc
	s_cbranch_execz .LBB125_76
; %bb.75:
	buffer_load_dword v0, off, s[16:19], 0 offset:432 ; 4-byte Folded Reload
	buffer_load_dword v1, off, s[16:19], 0 offset:436 ; 4-byte Folded Reload
	s_waitcnt vmcnt(0)
	v_mul_f64 v[238:239], v[0:1], v[238:239]
	ds_read2_b64 v[0:3], v75 offset0:15 offset1:16
	s_waitcnt lgkmcnt(0)
	v_fma_f64 v[176:177], -v[238:239], v[0:1], v[176:177]
	v_fma_f64 v[236:237], -v[238:239], v[2:3], v[236:237]
	ds_read2_b64 v[0:3], v75 offset0:17 offset1:18
	s_waitcnt lgkmcnt(0)
	v_fma_f64 v[174:175], -v[238:239], v[0:1], v[174:175]
	v_fma_f64 v[234:235], -v[238:239], v[2:3], v[234:235]
	;; [unrolled: 4-line block ×24, first 2 shown]
.LBB125_76:
	s_or_b64 exec, exec, s[2:3]
	v_cmp_eq_u32_e32 vcc, 15, v76
	s_waitcnt vmcnt(63) expcnt(7) lgkmcnt(15)
	s_barrier
	s_and_saveexec_b64 s[2:3], vcc
	s_cbranch_execz .LBB125_79
; %bb.77:
	v_mov_b32_e32 v0, v236
	v_mov_b32_e32 v1, v237
	;; [unrolled: 1-line block ×4, first 2 shown]
	ds_write_b64 v74, v[176:177]
	ds_write2_b64 v75, v[0:1], v[2:3] offset0:16 offset1:17
	v_mov_b32_e32 v0, v234
	v_mov_b32_e32 v1, v235
	v_mov_b32_e32 v2, v172
	v_mov_b32_e32 v3, v173
	ds_write2_b64 v75, v[0:1], v[2:3] offset0:18 offset1:19
	v_mov_b32_e32 v0, v232
	v_mov_b32_e32 v1, v233
	v_mov_b32_e32 v2, v170
	v_mov_b32_e32 v3, v171
	;; [unrolled: 5-line block ×17, first 2 shown]
	ds_write2_b64 v75, v[0:1], v[2:3] offset0:50 offset1:51
	s_waitcnt vmcnt(60)
	v_mov_b32_e32 v0, v200
	v_mov_b32_e32 v1, v201
	s_waitcnt vmcnt(57)
	v_mov_b32_e32 v2, v138
	v_mov_b32_e32 v3, v139
	ds_write2_b64 v75, v[0:1], v[2:3] offset0:52 offset1:53
	s_waitcnt vmcnt(54)
	v_mov_b32_e32 v0, v198
	v_mov_b32_e32 v1, v199
	s_waitcnt vmcnt(51)
	v_mov_b32_e32 v2, v136
	v_mov_b32_e32 v3, v137
	;; [unrolled: 7-line block ×5, first 2 shown]
	ds_write2_b64 v75, v[0:1], v[2:3] offset0:60 offset1:61
	s_waitcnt vmcnt(30)
	ds_write_b64 v75, v[252:253] offset:496
	ds_read_b64 v[0:1], v74
	s_waitcnt lgkmcnt(0)
	v_cmp_neq_f64_e32 vcc, 0, v[0:1]
	s_and_b64 exec, exec, vcc
	s_cbranch_execz .LBB125_79
; %bb.78:
	v_div_scale_f64 v[2:3], s[6:7], v[0:1], v[0:1], 1.0
	v_rcp_f64_e32 v[4:5], v[2:3]
	v_div_scale_f64 v[6:7], vcc, 1.0, v[0:1], 1.0
	v_fma_f64 v[8:9], -v[2:3], v[4:5], 1.0
	v_fmac_f64_e32 v[4:5], v[4:5], v[8:9]
	v_fma_f64 v[8:9], -v[2:3], v[4:5], 1.0
	v_fmac_f64_e32 v[4:5], v[4:5], v[8:9]
	v_mul_f64 v[8:9], v[6:7], v[4:5]
	v_fma_f64 v[2:3], -v[2:3], v[8:9], v[6:7]
	v_div_fmas_f64 v[2:3], v[2:3], v[4:5], v[8:9]
	v_div_fixup_f64 v[0:1], v[2:3], v[0:1], 1.0
	ds_write_b64 v74, v[0:1]
.LBB125_79:
	s_or_b64 exec, exec, s[2:3]
	s_waitcnt lgkmcnt(0)
	s_barrier
	ds_read_b64 v[0:1], v74
	v_cmp_lt_u32_e32 vcc, 15, v76
	s_waitcnt lgkmcnt(0)
	buffer_store_dword v0, off, s[16:19], 0 offset:440 ; 4-byte Folded Spill
	s_nop 0
	buffer_store_dword v1, off, s[16:19], 0 offset:444 ; 4-byte Folded Spill
	s_and_saveexec_b64 s[2:3], vcc
	s_cbranch_execz .LBB125_81
; %bb.80:
	buffer_load_dword v0, off, s[16:19], 0 offset:440 ; 4-byte Folded Reload
	buffer_load_dword v1, off, s[16:19], 0 offset:444 ; 4-byte Folded Reload
	s_waitcnt vmcnt(0)
	v_mul_f64 v[176:177], v[0:1], v[176:177]
	ds_read2_b64 v[0:3], v75 offset0:16 offset1:17
	s_waitcnt lgkmcnt(0)
	v_fma_f64 v[236:237], -v[176:177], v[0:1], v[236:237]
	v_fma_f64 v[174:175], -v[176:177], v[2:3], v[174:175]
	ds_read2_b64 v[0:3], v75 offset0:18 offset1:19
	s_waitcnt lgkmcnt(0)
	v_fma_f64 v[234:235], -v[176:177], v[0:1], v[234:235]
	v_fma_f64 v[172:173], -v[176:177], v[2:3], v[172:173]
	;; [unrolled: 4-line block ×22, first 2 shown]
	ds_read2_b64 v[0:3], v75 offset0:60 offset1:61
	s_waitcnt lgkmcnt(0)
	v_fma_f64 v[192:193], -v[176:177], v[0:1], v[192:193]
	ds_read_b64 v[0:1], v75 offset:496
	v_fma_f64 v[130:131], -v[176:177], v[2:3], v[130:131]
	s_waitcnt lgkmcnt(0)
	v_fma_f64 v[252:253], -v[176:177], v[0:1], v[252:253]
.LBB125_81:
	s_or_b64 exec, exec, s[2:3]
	v_cmp_eq_u32_e32 vcc, 16, v76
	s_waitcnt vmcnt(63) expcnt(7) lgkmcnt(15)
	s_barrier
	s_and_saveexec_b64 s[2:3], vcc
	s_cbranch_execz .LBB125_84
; %bb.82:
	ds_write_b64 v74, v[236:237]
	ds_write2_b64 v75, v[174:175], v[234:235] offset0:17 offset1:18
	ds_write2_b64 v75, v[172:173], v[232:233] offset0:19 offset1:20
	ds_write2_b64 v75, v[170:171], v[230:231] offset0:21 offset1:22
	ds_write2_b64 v75, v[168:169], v[228:229] offset0:23 offset1:24
	ds_write2_b64 v75, v[166:167], v[226:227] offset0:25 offset1:26
	ds_write2_b64 v75, v[164:165], v[224:225] offset0:27 offset1:28
	ds_write2_b64 v75, v[162:163], v[222:223] offset0:29 offset1:30
	ds_write2_b64 v75, v[160:161], v[220:221] offset0:31 offset1:32
	ds_write2_b64 v75, v[158:159], v[218:219] offset0:33 offset1:34
	ds_write2_b64 v75, v[156:157], v[216:217] offset0:35 offset1:36
	ds_write2_b64 v75, v[154:155], v[214:215] offset0:37 offset1:38
	ds_write2_b64 v75, v[152:153], v[212:213] offset0:39 offset1:40
	ds_write2_b64 v75, v[150:151], v[210:211] offset0:41 offset1:42
	ds_write2_b64 v75, v[148:149], v[208:209] offset0:43 offset1:44
	ds_write2_b64 v75, v[146:147], v[206:207] offset0:45 offset1:46
	ds_write2_b64 v75, v[144:145], v[204:205] offset0:47 offset1:48
	ds_write2_b64 v75, v[142:143], v[202:203] offset0:49 offset1:50
	s_waitcnt vmcnt(62)
	ds_write2_b64 v75, v[140:141], v[200:201] offset0:51 offset1:52
	s_waitcnt vmcnt(56)
	ds_write2_b64 v75, v[138:139], v[198:199] offset0:53 offset1:54
	s_waitcnt vmcnt(50)
	ds_write2_b64 v75, v[136:137], v[196:197] offset0:55 offset1:56
	s_waitcnt vmcnt(44)
	ds_write2_b64 v75, v[134:135], v[194:195] offset0:57 offset1:58
	s_waitcnt vmcnt(38)
	ds_write2_b64 v75, v[132:133], v[192:193] offset0:59 offset1:60
	s_waitcnt vmcnt(32)
	ds_write2_b64 v75, v[130:131], v[252:253] offset0:61 offset1:62
	ds_read_b64 v[0:1], v74
	s_waitcnt lgkmcnt(0)
	v_cmp_neq_f64_e32 vcc, 0, v[0:1]
	s_and_b64 exec, exec, vcc
	s_cbranch_execz .LBB125_84
; %bb.83:
	v_div_scale_f64 v[2:3], s[6:7], v[0:1], v[0:1], 1.0
	v_rcp_f64_e32 v[4:5], v[2:3]
	v_div_scale_f64 v[6:7], vcc, 1.0, v[0:1], 1.0
	v_fma_f64 v[8:9], -v[2:3], v[4:5], 1.0
	v_fmac_f64_e32 v[4:5], v[4:5], v[8:9]
	v_fma_f64 v[8:9], -v[2:3], v[4:5], 1.0
	v_fmac_f64_e32 v[4:5], v[4:5], v[8:9]
	v_mul_f64 v[8:9], v[6:7], v[4:5]
	v_fma_f64 v[2:3], -v[2:3], v[8:9], v[6:7]
	v_div_fmas_f64 v[2:3], v[2:3], v[4:5], v[8:9]
	v_div_fixup_f64 v[0:1], v[2:3], v[0:1], 1.0
	ds_write_b64 v74, v[0:1]
.LBB125_84:
	s_or_b64 exec, exec, s[2:3]
	s_waitcnt lgkmcnt(0)
	s_barrier
	ds_read_b64 v[0:1], v74
	v_cmp_lt_u32_e32 vcc, 16, v76
	s_waitcnt lgkmcnt(0)
	buffer_store_dword v0, off, s[16:19], 0 offset:448 ; 4-byte Folded Spill
	s_nop 0
	buffer_store_dword v1, off, s[16:19], 0 offset:452 ; 4-byte Folded Spill
	s_and_saveexec_b64 s[2:3], vcc
	s_cbranch_execz .LBB125_86
; %bb.85:
	buffer_load_dword v0, off, s[16:19], 0 offset:448 ; 4-byte Folded Reload
	buffer_load_dword v1, off, s[16:19], 0 offset:452 ; 4-byte Folded Reload
	s_waitcnt vmcnt(0)
	v_mul_f64 v[236:237], v[0:1], v[236:237]
	ds_read2_b64 v[0:3], v75 offset0:17 offset1:18
	s_waitcnt lgkmcnt(0)
	v_fma_f64 v[174:175], -v[236:237], v[0:1], v[174:175]
	v_fma_f64 v[234:235], -v[236:237], v[2:3], v[234:235]
	ds_read2_b64 v[0:3], v75 offset0:19 offset1:20
	s_waitcnt lgkmcnt(0)
	v_fma_f64 v[172:173], -v[236:237], v[0:1], v[172:173]
	v_fma_f64 v[232:233], -v[236:237], v[2:3], v[232:233]
	;; [unrolled: 4-line block ×23, first 2 shown]
.LBB125_86:
	s_or_b64 exec, exec, s[2:3]
	v_cmp_eq_u32_e32 vcc, 17, v76
	s_waitcnt vmcnt(63) expcnt(7) lgkmcnt(15)
	s_barrier
	s_and_saveexec_b64 s[2:3], vcc
	s_cbranch_execz .LBB125_89
; %bb.87:
	v_mov_b32_e32 v0, v234
	v_mov_b32_e32 v1, v235
	;; [unrolled: 1-line block ×4, first 2 shown]
	ds_write_b64 v74, v[174:175]
	ds_write2_b64 v75, v[0:1], v[2:3] offset0:18 offset1:19
	v_mov_b32_e32 v0, v232
	v_mov_b32_e32 v1, v233
	v_mov_b32_e32 v2, v170
	v_mov_b32_e32 v3, v171
	ds_write2_b64 v75, v[0:1], v[2:3] offset0:20 offset1:21
	v_mov_b32_e32 v0, v230
	v_mov_b32_e32 v1, v231
	v_mov_b32_e32 v2, v168
	v_mov_b32_e32 v3, v169
	;; [unrolled: 5-line block ×16, first 2 shown]
	ds_write2_b64 v75, v[0:1], v[2:3] offset0:50 offset1:51
	v_mov_b32_e32 v0, v200
	v_mov_b32_e32 v1, v201
	s_waitcnt vmcnt(61)
	v_mov_b32_e32 v2, v138
	v_mov_b32_e32 v3, v139
	ds_write2_b64 v75, v[0:1], v[2:3] offset0:52 offset1:53
	s_waitcnt vmcnt(58)
	v_mov_b32_e32 v0, v198
	v_mov_b32_e32 v1, v199
	s_waitcnt vmcnt(55)
	v_mov_b32_e32 v2, v136
	v_mov_b32_e32 v3, v137
	ds_write2_b64 v75, v[0:1], v[2:3] offset0:54 offset1:55
	s_waitcnt vmcnt(52)
	;; [unrolled: 7-line block ×5, first 2 shown]
	ds_write_b64 v75, v[252:253] offset:496
	ds_read_b64 v[0:1], v74
	s_waitcnt lgkmcnt(0)
	v_cmp_neq_f64_e32 vcc, 0, v[0:1]
	s_and_b64 exec, exec, vcc
	s_cbranch_execz .LBB125_89
; %bb.88:
	v_div_scale_f64 v[2:3], s[6:7], v[0:1], v[0:1], 1.0
	v_rcp_f64_e32 v[4:5], v[2:3]
	v_div_scale_f64 v[6:7], vcc, 1.0, v[0:1], 1.0
	v_fma_f64 v[8:9], -v[2:3], v[4:5], 1.0
	v_fmac_f64_e32 v[4:5], v[4:5], v[8:9]
	v_fma_f64 v[8:9], -v[2:3], v[4:5], 1.0
	v_fmac_f64_e32 v[4:5], v[4:5], v[8:9]
	v_mul_f64 v[8:9], v[6:7], v[4:5]
	v_fma_f64 v[2:3], -v[2:3], v[8:9], v[6:7]
	v_div_fmas_f64 v[2:3], v[2:3], v[4:5], v[8:9]
	v_div_fixup_f64 v[0:1], v[2:3], v[0:1], 1.0
	ds_write_b64 v74, v[0:1]
.LBB125_89:
	s_or_b64 exec, exec, s[2:3]
	s_waitcnt lgkmcnt(0)
	s_barrier
	ds_read_b64 v[0:1], v74
	v_cmp_lt_u32_e32 vcc, 17, v76
	s_waitcnt lgkmcnt(0)
	buffer_store_dword v0, off, s[16:19], 0 offset:456 ; 4-byte Folded Spill
	s_nop 0
	buffer_store_dword v1, off, s[16:19], 0 offset:460 ; 4-byte Folded Spill
	s_and_saveexec_b64 s[2:3], vcc
	s_cbranch_execz .LBB125_91
; %bb.90:
	buffer_load_dword v0, off, s[16:19], 0 offset:456 ; 4-byte Folded Reload
	buffer_load_dword v1, off, s[16:19], 0 offset:460 ; 4-byte Folded Reload
	s_waitcnt vmcnt(0)
	v_mul_f64 v[174:175], v[0:1], v[174:175]
	ds_read2_b64 v[0:3], v75 offset0:18 offset1:19
	s_waitcnt lgkmcnt(0)
	v_fma_f64 v[234:235], -v[174:175], v[0:1], v[234:235]
	v_fma_f64 v[172:173], -v[174:175], v[2:3], v[172:173]
	ds_read2_b64 v[0:3], v75 offset0:20 offset1:21
	s_waitcnt lgkmcnt(0)
	v_fma_f64 v[232:233], -v[174:175], v[0:1], v[232:233]
	v_fma_f64 v[170:171], -v[174:175], v[2:3], v[170:171]
	;; [unrolled: 4-line block ×21, first 2 shown]
	ds_read2_b64 v[0:3], v75 offset0:60 offset1:61
	s_waitcnt lgkmcnt(0)
	v_fma_f64 v[192:193], -v[174:175], v[0:1], v[192:193]
	ds_read_b64 v[0:1], v75 offset:496
	v_fma_f64 v[130:131], -v[174:175], v[2:3], v[130:131]
	s_waitcnt lgkmcnt(0)
	v_fma_f64 v[252:253], -v[174:175], v[0:1], v[252:253]
.LBB125_91:
	s_or_b64 exec, exec, s[2:3]
	v_cmp_eq_u32_e32 vcc, 18, v76
	s_waitcnt vmcnt(63) expcnt(7) lgkmcnt(15)
	s_barrier
	s_and_saveexec_b64 s[2:3], vcc
	s_cbranch_execz .LBB125_94
; %bb.92:
	ds_write_b64 v74, v[234:235]
	ds_write2_b64 v75, v[172:173], v[232:233] offset0:19 offset1:20
	ds_write2_b64 v75, v[170:171], v[230:231] offset0:21 offset1:22
	;; [unrolled: 1-line block ×17, first 2 shown]
	s_waitcnt vmcnt(60)
	ds_write2_b64 v75, v[138:139], v[198:199] offset0:53 offset1:54
	s_waitcnt vmcnt(54)
	ds_write2_b64 v75, v[136:137], v[196:197] offset0:55 offset1:56
	;; [unrolled: 2-line block ×5, first 2 shown]
	ds_read_b64 v[0:1], v74
	s_waitcnt lgkmcnt(0)
	v_cmp_neq_f64_e32 vcc, 0, v[0:1]
	s_and_b64 exec, exec, vcc
	s_cbranch_execz .LBB125_94
; %bb.93:
	v_div_scale_f64 v[2:3], s[6:7], v[0:1], v[0:1], 1.0
	v_rcp_f64_e32 v[4:5], v[2:3]
	v_div_scale_f64 v[6:7], vcc, 1.0, v[0:1], 1.0
	v_fma_f64 v[8:9], -v[2:3], v[4:5], 1.0
	v_fmac_f64_e32 v[4:5], v[4:5], v[8:9]
	v_fma_f64 v[8:9], -v[2:3], v[4:5], 1.0
	v_fmac_f64_e32 v[4:5], v[4:5], v[8:9]
	v_mul_f64 v[8:9], v[6:7], v[4:5]
	v_fma_f64 v[2:3], -v[2:3], v[8:9], v[6:7]
	v_div_fmas_f64 v[2:3], v[2:3], v[4:5], v[8:9]
	v_div_fixup_f64 v[0:1], v[2:3], v[0:1], 1.0
	ds_write_b64 v74, v[0:1]
.LBB125_94:
	s_or_b64 exec, exec, s[2:3]
	s_waitcnt lgkmcnt(0)
	s_barrier
	ds_read_b64 v[0:1], v74
	v_cmp_lt_u32_e32 vcc, 18, v76
	s_waitcnt lgkmcnt(0)
	buffer_store_dword v0, off, s[16:19], 0 offset:464 ; 4-byte Folded Spill
	s_nop 0
	buffer_store_dword v1, off, s[16:19], 0 offset:468 ; 4-byte Folded Spill
	s_and_saveexec_b64 s[2:3], vcc
	s_cbranch_execz .LBB125_96
; %bb.95:
	buffer_load_dword v0, off, s[16:19], 0 offset:464 ; 4-byte Folded Reload
	buffer_load_dword v1, off, s[16:19], 0 offset:468 ; 4-byte Folded Reload
	s_waitcnt vmcnt(0)
	v_mul_f64 v[234:235], v[0:1], v[234:235]
	ds_read2_b64 v[0:3], v75 offset0:19 offset1:20
	s_waitcnt lgkmcnt(0)
	v_fma_f64 v[172:173], -v[234:235], v[0:1], v[172:173]
	v_fma_f64 v[232:233], -v[234:235], v[2:3], v[232:233]
	ds_read2_b64 v[0:3], v75 offset0:21 offset1:22
	s_waitcnt lgkmcnt(0)
	v_fma_f64 v[170:171], -v[234:235], v[0:1], v[170:171]
	v_fma_f64 v[230:231], -v[234:235], v[2:3], v[230:231]
	;; [unrolled: 4-line block ×22, first 2 shown]
.LBB125_96:
	s_or_b64 exec, exec, s[2:3]
	v_cmp_eq_u32_e32 vcc, 19, v76
	s_waitcnt vmcnt(63) expcnt(7) lgkmcnt(15)
	s_barrier
	s_and_saveexec_b64 s[2:3], vcc
	s_cbranch_execz .LBB125_99
; %bb.97:
	v_mov_b32_e32 v0, v232
	v_mov_b32_e32 v1, v233
	;; [unrolled: 1-line block ×4, first 2 shown]
	ds_write_b64 v74, v[172:173]
	ds_write2_b64 v75, v[0:1], v[2:3] offset0:20 offset1:21
	v_mov_b32_e32 v0, v230
	v_mov_b32_e32 v1, v231
	v_mov_b32_e32 v2, v168
	v_mov_b32_e32 v3, v169
	ds_write2_b64 v75, v[0:1], v[2:3] offset0:22 offset1:23
	v_mov_b32_e32 v0, v228
	v_mov_b32_e32 v1, v229
	v_mov_b32_e32 v2, v166
	v_mov_b32_e32 v3, v167
	;; [unrolled: 5-line block ×16, first 2 shown]
	ds_write2_b64 v75, v[0:1], v[2:3] offset0:52 offset1:53
	s_waitcnt vmcnt(62)
	v_mov_b32_e32 v0, v198
	v_mov_b32_e32 v1, v199
	s_waitcnt vmcnt(59)
	v_mov_b32_e32 v2, v136
	v_mov_b32_e32 v3, v137
	ds_write2_b64 v75, v[0:1], v[2:3] offset0:54 offset1:55
	s_waitcnt vmcnt(56)
	v_mov_b32_e32 v0, v196
	v_mov_b32_e32 v1, v197
	s_waitcnt vmcnt(53)
	v_mov_b32_e32 v2, v134
	v_mov_b32_e32 v3, v135
	;; [unrolled: 7-line block ×4, first 2 shown]
	ds_write2_b64 v75, v[0:1], v[2:3] offset0:60 offset1:61
	s_waitcnt vmcnt(38)
	ds_write_b64 v75, v[252:253] offset:496
	ds_read_b64 v[0:1], v74
	s_waitcnt lgkmcnt(0)
	v_cmp_neq_f64_e32 vcc, 0, v[0:1]
	s_and_b64 exec, exec, vcc
	s_cbranch_execz .LBB125_99
; %bb.98:
	v_div_scale_f64 v[2:3], s[6:7], v[0:1], v[0:1], 1.0
	v_rcp_f64_e32 v[4:5], v[2:3]
	v_div_scale_f64 v[6:7], vcc, 1.0, v[0:1], 1.0
	v_fma_f64 v[8:9], -v[2:3], v[4:5], 1.0
	v_fmac_f64_e32 v[4:5], v[4:5], v[8:9]
	v_fma_f64 v[8:9], -v[2:3], v[4:5], 1.0
	v_fmac_f64_e32 v[4:5], v[4:5], v[8:9]
	v_mul_f64 v[8:9], v[6:7], v[4:5]
	v_fma_f64 v[2:3], -v[2:3], v[8:9], v[6:7]
	v_div_fmas_f64 v[2:3], v[2:3], v[4:5], v[8:9]
	v_div_fixup_f64 v[0:1], v[2:3], v[0:1], 1.0
	ds_write_b64 v74, v[0:1]
.LBB125_99:
	s_or_b64 exec, exec, s[2:3]
	s_waitcnt lgkmcnt(0)
	s_barrier
	ds_read_b64 v[0:1], v74
	v_cmp_lt_u32_e32 vcc, 19, v76
	s_waitcnt lgkmcnt(0)
	buffer_store_dword v0, off, s[16:19], 0 offset:472 ; 4-byte Folded Spill
	s_nop 0
	buffer_store_dword v1, off, s[16:19], 0 offset:476 ; 4-byte Folded Spill
	s_and_saveexec_b64 s[2:3], vcc
	s_cbranch_execz .LBB125_101
; %bb.100:
	buffer_load_dword v0, off, s[16:19], 0 offset:472 ; 4-byte Folded Reload
	buffer_load_dword v1, off, s[16:19], 0 offset:476 ; 4-byte Folded Reload
	s_waitcnt vmcnt(0)
	v_mul_f64 v[172:173], v[0:1], v[172:173]
	ds_read2_b64 v[0:3], v75 offset0:20 offset1:21
	s_waitcnt lgkmcnt(0)
	v_fma_f64 v[232:233], -v[172:173], v[0:1], v[232:233]
	v_fma_f64 v[170:171], -v[172:173], v[2:3], v[170:171]
	ds_read2_b64 v[0:3], v75 offset0:22 offset1:23
	s_waitcnt lgkmcnt(0)
	v_fma_f64 v[230:231], -v[172:173], v[0:1], v[230:231]
	v_fma_f64 v[168:169], -v[172:173], v[2:3], v[168:169]
	;; [unrolled: 4-line block ×20, first 2 shown]
	ds_read2_b64 v[0:3], v75 offset0:60 offset1:61
	s_waitcnt lgkmcnt(0)
	v_fma_f64 v[192:193], -v[172:173], v[0:1], v[192:193]
	ds_read_b64 v[0:1], v75 offset:496
	v_fma_f64 v[130:131], -v[172:173], v[2:3], v[130:131]
	s_waitcnt lgkmcnt(0)
	v_fma_f64 v[252:253], -v[172:173], v[0:1], v[252:253]
.LBB125_101:
	s_or_b64 exec, exec, s[2:3]
	v_cmp_eq_u32_e32 vcc, 20, v76
	s_waitcnt vmcnt(63) expcnt(7) lgkmcnt(15)
	s_barrier
	s_and_saveexec_b64 s[2:3], vcc
	s_cbranch_execz .LBB125_104
; %bb.102:
	ds_write_b64 v74, v[232:233]
	ds_write2_b64 v75, v[170:171], v[230:231] offset0:21 offset1:22
	ds_write2_b64 v75, v[168:169], v[228:229] offset0:23 offset1:24
	;; [unrolled: 1-line block ×17, first 2 shown]
	s_waitcnt vmcnt(58)
	ds_write2_b64 v75, v[136:137], v[196:197] offset0:55 offset1:56
	s_waitcnt vmcnt(52)
	ds_write2_b64 v75, v[134:135], v[194:195] offset0:57 offset1:58
	;; [unrolled: 2-line block ×4, first 2 shown]
	ds_read_b64 v[0:1], v74
	s_waitcnt lgkmcnt(0)
	v_cmp_neq_f64_e32 vcc, 0, v[0:1]
	s_and_b64 exec, exec, vcc
	s_cbranch_execz .LBB125_104
; %bb.103:
	v_div_scale_f64 v[2:3], s[6:7], v[0:1], v[0:1], 1.0
	v_rcp_f64_e32 v[4:5], v[2:3]
	v_div_scale_f64 v[6:7], vcc, 1.0, v[0:1], 1.0
	v_fma_f64 v[8:9], -v[2:3], v[4:5], 1.0
	v_fmac_f64_e32 v[4:5], v[4:5], v[8:9]
	v_fma_f64 v[8:9], -v[2:3], v[4:5], 1.0
	v_fmac_f64_e32 v[4:5], v[4:5], v[8:9]
	v_mul_f64 v[8:9], v[6:7], v[4:5]
	v_fma_f64 v[2:3], -v[2:3], v[8:9], v[6:7]
	v_div_fmas_f64 v[2:3], v[2:3], v[4:5], v[8:9]
	v_div_fixup_f64 v[0:1], v[2:3], v[0:1], 1.0
	ds_write_b64 v74, v[0:1]
.LBB125_104:
	s_or_b64 exec, exec, s[2:3]
	s_waitcnt lgkmcnt(0)
	s_barrier
	ds_read_b64 v[0:1], v74
	v_cmp_lt_u32_e32 vcc, 20, v76
	s_waitcnt lgkmcnt(0)
	buffer_store_dword v0, off, s[16:19], 0 offset:480 ; 4-byte Folded Spill
	s_nop 0
	buffer_store_dword v1, off, s[16:19], 0 offset:484 ; 4-byte Folded Spill
	s_and_saveexec_b64 s[2:3], vcc
	s_cbranch_execz .LBB125_106
; %bb.105:
	buffer_load_dword v0, off, s[16:19], 0 offset:480 ; 4-byte Folded Reload
	buffer_load_dword v1, off, s[16:19], 0 offset:484 ; 4-byte Folded Reload
	s_waitcnt vmcnt(0)
	v_mul_f64 v[232:233], v[0:1], v[232:233]
	ds_read2_b64 v[0:3], v75 offset0:21 offset1:22
	s_waitcnt lgkmcnt(0)
	v_fma_f64 v[170:171], -v[232:233], v[0:1], v[170:171]
	v_fma_f64 v[230:231], -v[232:233], v[2:3], v[230:231]
	ds_read2_b64 v[0:3], v75 offset0:23 offset1:24
	s_waitcnt lgkmcnt(0)
	v_fma_f64 v[168:169], -v[232:233], v[0:1], v[168:169]
	v_fma_f64 v[228:229], -v[232:233], v[2:3], v[228:229]
	;; [unrolled: 4-line block ×21, first 2 shown]
.LBB125_106:
	s_or_b64 exec, exec, s[2:3]
	v_cmp_eq_u32_e32 vcc, 21, v76
	s_waitcnt vmcnt(63) expcnt(7) lgkmcnt(15)
	s_barrier
	s_and_saveexec_b64 s[2:3], vcc
	s_cbranch_execz .LBB125_109
; %bb.107:
	v_mov_b32_e32 v0, v230
	v_mov_b32_e32 v1, v231
	;; [unrolled: 1-line block ×4, first 2 shown]
	ds_write_b64 v74, v[170:171]
	ds_write2_b64 v75, v[0:1], v[2:3] offset0:22 offset1:23
	v_mov_b32_e32 v0, v228
	v_mov_b32_e32 v1, v229
	v_mov_b32_e32 v2, v166
	v_mov_b32_e32 v3, v167
	ds_write2_b64 v75, v[0:1], v[2:3] offset0:24 offset1:25
	v_mov_b32_e32 v0, v226
	v_mov_b32_e32 v1, v227
	v_mov_b32_e32 v2, v164
	v_mov_b32_e32 v3, v165
	;; [unrolled: 5-line block ×16, first 2 shown]
	ds_write2_b64 v75, v[0:1], v[2:3] offset0:54 offset1:55
	s_waitcnt vmcnt(60)
	v_mov_b32_e32 v0, v196
	v_mov_b32_e32 v1, v197
	s_waitcnt vmcnt(57)
	v_mov_b32_e32 v2, v134
	v_mov_b32_e32 v3, v135
	ds_write2_b64 v75, v[0:1], v[2:3] offset0:56 offset1:57
	s_waitcnt vmcnt(54)
	v_mov_b32_e32 v0, v194
	v_mov_b32_e32 v1, v195
	s_waitcnt vmcnt(51)
	v_mov_b32_e32 v2, v132
	v_mov_b32_e32 v3, v133
	;; [unrolled: 7-line block ×3, first 2 shown]
	ds_write2_b64 v75, v[0:1], v[2:3] offset0:60 offset1:61
	s_waitcnt vmcnt(42)
	ds_write_b64 v75, v[252:253] offset:496
	ds_read_b64 v[0:1], v74
	s_waitcnt lgkmcnt(0)
	v_cmp_neq_f64_e32 vcc, 0, v[0:1]
	s_and_b64 exec, exec, vcc
	s_cbranch_execz .LBB125_109
; %bb.108:
	v_div_scale_f64 v[2:3], s[6:7], v[0:1], v[0:1], 1.0
	v_rcp_f64_e32 v[4:5], v[2:3]
	v_div_scale_f64 v[6:7], vcc, 1.0, v[0:1], 1.0
	v_fma_f64 v[8:9], -v[2:3], v[4:5], 1.0
	v_fmac_f64_e32 v[4:5], v[4:5], v[8:9]
	v_fma_f64 v[8:9], -v[2:3], v[4:5], 1.0
	v_fmac_f64_e32 v[4:5], v[4:5], v[8:9]
	v_mul_f64 v[8:9], v[6:7], v[4:5]
	v_fma_f64 v[2:3], -v[2:3], v[8:9], v[6:7]
	v_div_fmas_f64 v[2:3], v[2:3], v[4:5], v[8:9]
	v_div_fixup_f64 v[0:1], v[2:3], v[0:1], 1.0
	ds_write_b64 v74, v[0:1]
.LBB125_109:
	s_or_b64 exec, exec, s[2:3]
	s_waitcnt lgkmcnt(0)
	s_barrier
	ds_read_b64 v[0:1], v74
	v_cmp_lt_u32_e32 vcc, 21, v76
	s_waitcnt lgkmcnt(0)
	buffer_store_dword v0, off, s[16:19], 0 offset:488 ; 4-byte Folded Spill
	s_nop 0
	buffer_store_dword v1, off, s[16:19], 0 offset:492 ; 4-byte Folded Spill
	s_and_saveexec_b64 s[2:3], vcc
	s_cbranch_execz .LBB125_111
; %bb.110:
	buffer_load_dword v0, off, s[16:19], 0 offset:488 ; 4-byte Folded Reload
	buffer_load_dword v1, off, s[16:19], 0 offset:492 ; 4-byte Folded Reload
	s_waitcnt vmcnt(0)
	v_mul_f64 v[170:171], v[0:1], v[170:171]
	ds_read2_b64 v[0:3], v75 offset0:22 offset1:23
	s_waitcnt lgkmcnt(0)
	v_fma_f64 v[230:231], -v[170:171], v[0:1], v[230:231]
	v_fma_f64 v[168:169], -v[170:171], v[2:3], v[168:169]
	ds_read2_b64 v[0:3], v75 offset0:24 offset1:25
	s_waitcnt lgkmcnt(0)
	v_fma_f64 v[228:229], -v[170:171], v[0:1], v[228:229]
	v_fma_f64 v[166:167], -v[170:171], v[2:3], v[166:167]
	ds_read2_b64 v[0:3], v75 offset0:26 offset1:27
	s_waitcnt lgkmcnt(0)
	v_fma_f64 v[226:227], -v[170:171], v[0:1], v[226:227]
	v_fma_f64 v[164:165], -v[170:171], v[2:3], v[164:165]
	ds_read2_b64 v[0:3], v75 offset0:28 offset1:29
	s_waitcnt lgkmcnt(0)
	v_fma_f64 v[224:225], -v[170:171], v[0:1], v[224:225]
	v_fma_f64 v[162:163], -v[170:171], v[2:3], v[162:163]
	ds_read2_b64 v[0:3], v75 offset0:30 offset1:31
	s_waitcnt lgkmcnt(0)
	v_fma_f64 v[222:223], -v[170:171], v[0:1], v[222:223]
	v_fma_f64 v[160:161], -v[170:171], v[2:3], v[160:161]
	ds_read2_b64 v[0:3], v75 offset0:32 offset1:33
	s_waitcnt lgkmcnt(0)
	v_fma_f64 v[220:221], -v[170:171], v[0:1], v[220:221]
	v_fma_f64 v[158:159], -v[170:171], v[2:3], v[158:159]
	ds_read2_b64 v[0:3], v75 offset0:34 offset1:35
	s_waitcnt lgkmcnt(0)
	v_fma_f64 v[218:219], -v[170:171], v[0:1], v[218:219]
	v_fma_f64 v[156:157], -v[170:171], v[2:3], v[156:157]
	ds_read2_b64 v[0:3], v75 offset0:36 offset1:37
	s_waitcnt lgkmcnt(0)
	v_fma_f64 v[216:217], -v[170:171], v[0:1], v[216:217]
	v_fma_f64 v[154:155], -v[170:171], v[2:3], v[154:155]
	ds_read2_b64 v[0:3], v75 offset0:38 offset1:39
	s_waitcnt lgkmcnt(0)
	v_fma_f64 v[214:215], -v[170:171], v[0:1], v[214:215]
	v_fma_f64 v[152:153], -v[170:171], v[2:3], v[152:153]
	ds_read2_b64 v[0:3], v75 offset0:40 offset1:41
	s_waitcnt lgkmcnt(0)
	v_fma_f64 v[212:213], -v[170:171], v[0:1], v[212:213]
	v_fma_f64 v[150:151], -v[170:171], v[2:3], v[150:151]
	ds_read2_b64 v[0:3], v75 offset0:42 offset1:43
	s_waitcnt lgkmcnt(0)
	v_fma_f64 v[210:211], -v[170:171], v[0:1], v[210:211]
	v_fma_f64 v[148:149], -v[170:171], v[2:3], v[148:149]
	ds_read2_b64 v[0:3], v75 offset0:44 offset1:45
	s_waitcnt lgkmcnt(0)
	v_fma_f64 v[208:209], -v[170:171], v[0:1], v[208:209]
	v_fma_f64 v[146:147], -v[170:171], v[2:3], v[146:147]
	ds_read2_b64 v[0:3], v75 offset0:46 offset1:47
	s_waitcnt lgkmcnt(0)
	v_fma_f64 v[206:207], -v[170:171], v[0:1], v[206:207]
	v_fma_f64 v[144:145], -v[170:171], v[2:3], v[144:145]
	ds_read2_b64 v[0:3], v75 offset0:48 offset1:49
	s_waitcnt lgkmcnt(0)
	v_fma_f64 v[204:205], -v[170:171], v[0:1], v[204:205]
	v_fma_f64 v[142:143], -v[170:171], v[2:3], v[142:143]
	ds_read2_b64 v[0:3], v75 offset0:50 offset1:51
	s_waitcnt lgkmcnt(0)
	v_fma_f64 v[202:203], -v[170:171], v[0:1], v[202:203]
	v_fma_f64 v[140:141], -v[170:171], v[2:3], v[140:141]
	ds_read2_b64 v[0:3], v75 offset0:52 offset1:53
	s_waitcnt lgkmcnt(0)
	v_fma_f64 v[200:201], -v[170:171], v[0:1], v[200:201]
	v_fma_f64 v[138:139], -v[170:171], v[2:3], v[138:139]
	ds_read2_b64 v[0:3], v75 offset0:54 offset1:55
	s_waitcnt lgkmcnt(0)
	v_fma_f64 v[198:199], -v[170:171], v[0:1], v[198:199]
	v_fma_f64 v[136:137], -v[170:171], v[2:3], v[136:137]
	ds_read2_b64 v[0:3], v75 offset0:56 offset1:57
	s_waitcnt lgkmcnt(0)
	v_fma_f64 v[196:197], -v[170:171], v[0:1], v[196:197]
	v_fma_f64 v[134:135], -v[170:171], v[2:3], v[134:135]
	ds_read2_b64 v[0:3], v75 offset0:58 offset1:59
	s_waitcnt lgkmcnt(0)
	v_fma_f64 v[194:195], -v[170:171], v[0:1], v[194:195]
	v_fma_f64 v[132:133], -v[170:171], v[2:3], v[132:133]
	ds_read2_b64 v[0:3], v75 offset0:60 offset1:61
	s_waitcnt lgkmcnt(0)
	v_fma_f64 v[192:193], -v[170:171], v[0:1], v[192:193]
	ds_read_b64 v[0:1], v75 offset:496
	v_fma_f64 v[130:131], -v[170:171], v[2:3], v[130:131]
	s_waitcnt lgkmcnt(0)
	v_fma_f64 v[252:253], -v[170:171], v[0:1], v[252:253]
.LBB125_111:
	s_or_b64 exec, exec, s[2:3]
	v_cmp_eq_u32_e32 vcc, 22, v76
	s_waitcnt vmcnt(63) expcnt(7) lgkmcnt(15)
	s_barrier
	s_and_saveexec_b64 s[2:3], vcc
	s_cbranch_execz .LBB125_114
; %bb.112:
	ds_write_b64 v74, v[230:231]
	ds_write2_b64 v75, v[168:169], v[228:229] offset0:23 offset1:24
	ds_write2_b64 v75, v[166:167], v[226:227] offset0:25 offset1:26
	;; [unrolled: 1-line block ×16, first 2 shown]
	s_waitcnt vmcnt(62)
	ds_write2_b64 v75, v[136:137], v[196:197] offset0:55 offset1:56
	s_waitcnt vmcnt(56)
	ds_write2_b64 v75, v[134:135], v[194:195] offset0:57 offset1:58
	;; [unrolled: 2-line block ×4, first 2 shown]
	ds_read_b64 v[0:1], v74
	s_waitcnt lgkmcnt(0)
	v_cmp_neq_f64_e32 vcc, 0, v[0:1]
	s_and_b64 exec, exec, vcc
	s_cbranch_execz .LBB125_114
; %bb.113:
	v_div_scale_f64 v[2:3], s[6:7], v[0:1], v[0:1], 1.0
	v_rcp_f64_e32 v[4:5], v[2:3]
	v_div_scale_f64 v[6:7], vcc, 1.0, v[0:1], 1.0
	v_fma_f64 v[8:9], -v[2:3], v[4:5], 1.0
	v_fmac_f64_e32 v[4:5], v[4:5], v[8:9]
	v_fma_f64 v[8:9], -v[2:3], v[4:5], 1.0
	v_fmac_f64_e32 v[4:5], v[4:5], v[8:9]
	v_mul_f64 v[8:9], v[6:7], v[4:5]
	v_fma_f64 v[2:3], -v[2:3], v[8:9], v[6:7]
	v_div_fmas_f64 v[2:3], v[2:3], v[4:5], v[8:9]
	v_div_fixup_f64 v[0:1], v[2:3], v[0:1], 1.0
	ds_write_b64 v74, v[0:1]
.LBB125_114:
	s_or_b64 exec, exec, s[2:3]
	s_waitcnt lgkmcnt(0)
	s_barrier
	ds_read_b64 v[0:1], v74
	v_cmp_lt_u32_e32 vcc, 22, v76
	s_waitcnt lgkmcnt(0)
	buffer_store_dword v0, off, s[16:19], 0 offset:496 ; 4-byte Folded Spill
	s_nop 0
	buffer_store_dword v1, off, s[16:19], 0 offset:500 ; 4-byte Folded Spill
	s_and_saveexec_b64 s[2:3], vcc
	s_cbranch_execz .LBB125_116
; %bb.115:
	buffer_load_dword v0, off, s[16:19], 0 offset:496 ; 4-byte Folded Reload
	buffer_load_dword v1, off, s[16:19], 0 offset:500 ; 4-byte Folded Reload
	s_waitcnt vmcnt(0)
	v_mul_f64 v[230:231], v[0:1], v[230:231]
	ds_read2_b64 v[0:3], v75 offset0:23 offset1:24
	s_waitcnt lgkmcnt(0)
	v_fma_f64 v[168:169], -v[230:231], v[0:1], v[168:169]
	v_fma_f64 v[228:229], -v[230:231], v[2:3], v[228:229]
	ds_read2_b64 v[0:3], v75 offset0:25 offset1:26
	s_waitcnt lgkmcnt(0)
	v_fma_f64 v[166:167], -v[230:231], v[0:1], v[166:167]
	v_fma_f64 v[226:227], -v[230:231], v[2:3], v[226:227]
	;; [unrolled: 4-line block ×20, first 2 shown]
.LBB125_116:
	s_or_b64 exec, exec, s[2:3]
	v_cmp_eq_u32_e32 vcc, 23, v76
	s_waitcnt vmcnt(63) expcnt(7) lgkmcnt(15)
	s_barrier
	s_and_saveexec_b64 s[2:3], vcc
	s_cbranch_execz .LBB125_119
; %bb.117:
	v_mov_b32_e32 v0, v228
	v_mov_b32_e32 v1, v229
	v_mov_b32_e32 v2, v166
	v_mov_b32_e32 v3, v167
	ds_write_b64 v74, v[168:169]
	ds_write2_b64 v75, v[0:1], v[2:3] offset0:24 offset1:25
	v_mov_b32_e32 v0, v226
	v_mov_b32_e32 v1, v227
	v_mov_b32_e32 v2, v164
	v_mov_b32_e32 v3, v165
	ds_write2_b64 v75, v[0:1], v[2:3] offset0:26 offset1:27
	v_mov_b32_e32 v0, v224
	v_mov_b32_e32 v1, v225
	v_mov_b32_e32 v2, v162
	v_mov_b32_e32 v3, v163
	;; [unrolled: 5-line block ×15, first 2 shown]
	ds_write2_b64 v75, v[0:1], v[2:3] offset0:54 offset1:55
	v_mov_b32_e32 v0, v196
	v_mov_b32_e32 v1, v197
	s_waitcnt vmcnt(61)
	v_mov_b32_e32 v2, v134
	v_mov_b32_e32 v3, v135
	ds_write2_b64 v75, v[0:1], v[2:3] offset0:56 offset1:57
	s_waitcnt vmcnt(58)
	v_mov_b32_e32 v0, v194
	v_mov_b32_e32 v1, v195
	s_waitcnt vmcnt(55)
	v_mov_b32_e32 v2, v132
	v_mov_b32_e32 v3, v133
	ds_write2_b64 v75, v[0:1], v[2:3] offset0:58 offset1:59
	s_waitcnt vmcnt(52)
	;; [unrolled: 7-line block ×3, first 2 shown]
	ds_write_b64 v75, v[252:253] offset:496
	ds_read_b64 v[0:1], v74
	s_waitcnt lgkmcnt(0)
	v_cmp_neq_f64_e32 vcc, 0, v[0:1]
	s_and_b64 exec, exec, vcc
	s_cbranch_execz .LBB125_119
; %bb.118:
	v_div_scale_f64 v[2:3], s[6:7], v[0:1], v[0:1], 1.0
	v_rcp_f64_e32 v[4:5], v[2:3]
	v_div_scale_f64 v[6:7], vcc, 1.0, v[0:1], 1.0
	v_fma_f64 v[8:9], -v[2:3], v[4:5], 1.0
	v_fmac_f64_e32 v[4:5], v[4:5], v[8:9]
	v_fma_f64 v[8:9], -v[2:3], v[4:5], 1.0
	v_fmac_f64_e32 v[4:5], v[4:5], v[8:9]
	v_mul_f64 v[8:9], v[6:7], v[4:5]
	v_fma_f64 v[2:3], -v[2:3], v[8:9], v[6:7]
	v_div_fmas_f64 v[2:3], v[2:3], v[4:5], v[8:9]
	v_div_fixup_f64 v[0:1], v[2:3], v[0:1], 1.0
	ds_write_b64 v74, v[0:1]
.LBB125_119:
	s_or_b64 exec, exec, s[2:3]
	s_waitcnt lgkmcnt(0)
	s_barrier
	ds_read_b64 v[0:1], v74
	v_cmp_lt_u32_e32 vcc, 23, v76
	s_waitcnt lgkmcnt(0)
	buffer_store_dword v0, off, s[16:19], 0 offset:504 ; 4-byte Folded Spill
	s_nop 0
	buffer_store_dword v1, off, s[16:19], 0 offset:508 ; 4-byte Folded Spill
	s_and_saveexec_b64 s[2:3], vcc
	s_cbranch_execz .LBB125_121
; %bb.120:
	buffer_load_dword v0, off, s[16:19], 0 offset:504 ; 4-byte Folded Reload
	buffer_load_dword v1, off, s[16:19], 0 offset:508 ; 4-byte Folded Reload
	s_waitcnt vmcnt(0)
	v_mul_f64 v[168:169], v[0:1], v[168:169]
	ds_read2_b64 v[0:3], v75 offset0:24 offset1:25
	s_waitcnt lgkmcnt(0)
	v_fma_f64 v[228:229], -v[168:169], v[0:1], v[228:229]
	v_fma_f64 v[166:167], -v[168:169], v[2:3], v[166:167]
	ds_read2_b64 v[0:3], v75 offset0:26 offset1:27
	s_waitcnt lgkmcnt(0)
	v_fma_f64 v[226:227], -v[168:169], v[0:1], v[226:227]
	v_fma_f64 v[164:165], -v[168:169], v[2:3], v[164:165]
	;; [unrolled: 4-line block ×18, first 2 shown]
	ds_read2_b64 v[0:3], v75 offset0:60 offset1:61
	s_waitcnt lgkmcnt(0)
	v_fma_f64 v[192:193], -v[168:169], v[0:1], v[192:193]
	ds_read_b64 v[0:1], v75 offset:496
	v_fma_f64 v[130:131], -v[168:169], v[2:3], v[130:131]
	s_waitcnt lgkmcnt(0)
	v_fma_f64 v[252:253], -v[168:169], v[0:1], v[252:253]
.LBB125_121:
	s_or_b64 exec, exec, s[2:3]
	v_cmp_eq_u32_e32 vcc, 24, v76
	s_waitcnt vmcnt(63) expcnt(7) lgkmcnt(15)
	s_barrier
	s_and_saveexec_b64 s[2:3], vcc
	s_cbranch_execz .LBB125_124
; %bb.122:
	ds_write_b64 v74, v[228:229]
	ds_write2_b64 v75, v[166:167], v[226:227] offset0:25 offset1:26
	ds_write2_b64 v75, v[164:165], v[224:225] offset0:27 offset1:28
	;; [unrolled: 1-line block ×16, first 2 shown]
	s_waitcnt vmcnt(60)
	ds_write2_b64 v75, v[134:135], v[194:195] offset0:57 offset1:58
	s_waitcnt vmcnt(54)
	ds_write2_b64 v75, v[132:133], v[192:193] offset0:59 offset1:60
	;; [unrolled: 2-line block ×3, first 2 shown]
	ds_read_b64 v[0:1], v74
	s_waitcnt lgkmcnt(0)
	v_cmp_neq_f64_e32 vcc, 0, v[0:1]
	s_and_b64 exec, exec, vcc
	s_cbranch_execz .LBB125_124
; %bb.123:
	v_div_scale_f64 v[2:3], s[6:7], v[0:1], v[0:1], 1.0
	v_rcp_f64_e32 v[4:5], v[2:3]
	v_div_scale_f64 v[6:7], vcc, 1.0, v[0:1], 1.0
	v_fma_f64 v[8:9], -v[2:3], v[4:5], 1.0
	v_fmac_f64_e32 v[4:5], v[4:5], v[8:9]
	v_fma_f64 v[8:9], -v[2:3], v[4:5], 1.0
	v_fmac_f64_e32 v[4:5], v[4:5], v[8:9]
	v_mul_f64 v[8:9], v[6:7], v[4:5]
	v_fma_f64 v[2:3], -v[2:3], v[8:9], v[6:7]
	v_div_fmas_f64 v[2:3], v[2:3], v[4:5], v[8:9]
	v_div_fixup_f64 v[0:1], v[2:3], v[0:1], 1.0
	ds_write_b64 v74, v[0:1]
.LBB125_124:
	s_or_b64 exec, exec, s[2:3]
	s_waitcnt lgkmcnt(0)
	s_barrier
	ds_read_b64 v[0:1], v74
	v_cmp_lt_u32_e32 vcc, 24, v76
	s_and_saveexec_b64 s[2:3], vcc
	s_cbranch_execz .LBB125_126
; %bb.125:
	ds_read2_b64 v[4:7], v75 offset0:25 offset1:26
	s_waitcnt lgkmcnt(1)
	v_mul_f64 v[228:229], v[0:1], v[228:229]
	s_waitcnt lgkmcnt(0)
	v_fma_f64 v[166:167], -v[228:229], v[4:5], v[166:167]
	v_fma_f64 v[226:227], -v[228:229], v[6:7], v[226:227]
	ds_read2_b64 v[4:7], v75 offset0:27 offset1:28
	s_waitcnt lgkmcnt(0)
	v_fma_f64 v[164:165], -v[228:229], v[4:5], v[164:165]
	v_fma_f64 v[224:225], -v[228:229], v[6:7], v[224:225]
	ds_read2_b64 v[4:7], v75 offset0:29 offset1:30
	;; [unrolled: 4-line block ×16, first 2 shown]
	s_waitcnt lgkmcnt(0)
	v_fma_f64 v[134:135], -v[228:229], v[4:5], v[134:135]
	s_waitcnt vmcnt(60)
	v_fma_f64 v[194:195], -v[228:229], v[6:7], v[194:195]
	ds_read2_b64 v[4:7], v75 offset0:59 offset1:60
	s_waitcnt vmcnt(57) lgkmcnt(0)
	v_fma_f64 v[132:133], -v[228:229], v[4:5], v[132:133]
	s_waitcnt vmcnt(54)
	v_fma_f64 v[192:193], -v[228:229], v[6:7], v[192:193]
	ds_read2_b64 v[4:7], v75 offset0:61 offset1:62
	s_waitcnt vmcnt(51) lgkmcnt(0)
	v_fma_f64 v[130:131], -v[228:229], v[4:5], v[130:131]
	s_waitcnt vmcnt(48)
	v_fma_f64 v[252:253], -v[228:229], v[6:7], v[252:253]
.LBB125_126:
	s_or_b64 exec, exec, s[2:3]
	v_cmp_eq_u32_e32 vcc, 25, v76
	s_waitcnt lgkmcnt(0)
	buffer_store_dword v0, off, s[16:19], 0 offset:528 ; 4-byte Folded Spill
	s_nop 0
	buffer_store_dword v1, off, s[16:19], 0 offset:532 ; 4-byte Folded Spill
	s_waitcnt vmcnt(63) expcnt(7) lgkmcnt(15)
	s_barrier
	s_and_saveexec_b64 s[2:3], vcc
	s_cbranch_execz .LBB125_129
; %bb.127:
	v_mov_b32_e32 v0, v226
	v_mov_b32_e32 v1, v227
	;; [unrolled: 1-line block ×4, first 2 shown]
	ds_write_b64 v74, v[166:167]
	ds_write2_b64 v75, v[0:1], v[4:5] offset0:26 offset1:27
	v_mov_b32_e32 v0, v224
	v_mov_b32_e32 v1, v225
	v_mov_b32_e32 v4, v162
	v_mov_b32_e32 v5, v163
	ds_write2_b64 v75, v[0:1], v[4:5] offset0:28 offset1:29
	v_mov_b32_e32 v0, v222
	v_mov_b32_e32 v1, v223
	v_mov_b32_e32 v4, v160
	v_mov_b32_e32 v5, v161
	;; [unrolled: 5-line block ×15, first 2 shown]
	ds_write2_b64 v75, v[0:1], v[4:5] offset0:56 offset1:57
	s_waitcnt vmcnt(62)
	v_mov_b32_e32 v0, v194
	v_mov_b32_e32 v1, v195
	s_waitcnt vmcnt(59)
	v_mov_b32_e32 v4, v132
	v_mov_b32_e32 v5, v133
	ds_write2_b64 v75, v[0:1], v[4:5] offset0:58 offset1:59
	s_waitcnt vmcnt(56)
	v_mov_b32_e32 v0, v192
	v_mov_b32_e32 v1, v193
	s_waitcnt vmcnt(53)
	v_mov_b32_e32 v4, v130
	v_mov_b32_e32 v5, v131
	ds_write2_b64 v75, v[0:1], v[4:5] offset0:60 offset1:61
	s_waitcnt vmcnt(50)
	ds_write_b64 v75, v[252:253] offset:496
	ds_read_b64 v[0:1], v74
	s_waitcnt lgkmcnt(0)
	v_cmp_neq_f64_e32 vcc, 0, v[0:1]
	s_and_b64 exec, exec, vcc
	s_cbranch_execz .LBB125_129
; %bb.128:
	v_div_scale_f64 v[4:5], s[6:7], v[0:1], v[0:1], 1.0
	v_rcp_f64_e32 v[6:7], v[4:5]
	v_div_scale_f64 v[8:9], vcc, 1.0, v[0:1], 1.0
	v_fma_f64 v[10:11], -v[4:5], v[6:7], 1.0
	v_fmac_f64_e32 v[6:7], v[6:7], v[10:11]
	v_fma_f64 v[10:11], -v[4:5], v[6:7], 1.0
	v_fmac_f64_e32 v[6:7], v[6:7], v[10:11]
	v_mul_f64 v[10:11], v[8:9], v[6:7]
	v_fma_f64 v[4:5], -v[4:5], v[10:11], v[8:9]
	v_div_fmas_f64 v[4:5], v[4:5], v[6:7], v[10:11]
	v_div_fixup_f64 v[0:1], v[4:5], v[0:1], 1.0
	ds_write_b64 v74, v[0:1]
.LBB125_129:
	s_or_b64 exec, exec, s[2:3]
	s_waitcnt lgkmcnt(0)
	s_barrier
	ds_read_b64 v[0:1], v74
	v_cmp_lt_u32_e32 vcc, 25, v76
	s_waitcnt lgkmcnt(0)
	buffer_store_dword v0, off, s[16:19], 0 offset:512 ; 4-byte Folded Spill
	s_nop 0
	buffer_store_dword v1, off, s[16:19], 0 offset:516 ; 4-byte Folded Spill
	s_and_saveexec_b64 s[2:3], vcc
	s_cbranch_execz .LBB125_131
; %bb.130:
	buffer_load_dword v0, off, s[16:19], 0 offset:512 ; 4-byte Folded Reload
	buffer_load_dword v1, off, s[16:19], 0 offset:516 ; 4-byte Folded Reload
	ds_read2_b64 v[4:7], v75 offset0:26 offset1:27
	s_waitcnt vmcnt(0)
	v_mul_f64 v[166:167], v[0:1], v[166:167]
	ds_read_b64 v[0:1], v75 offset:496
	s_waitcnt lgkmcnt(1)
	v_fma_f64 v[226:227], -v[166:167], v[4:5], v[226:227]
	v_fma_f64 v[164:165], -v[166:167], v[6:7], v[164:165]
	ds_read2_b64 v[4:7], v75 offset0:28 offset1:29
	s_waitcnt lgkmcnt(1)
	v_fma_f64 v[252:253], -v[166:167], v[0:1], v[252:253]
	s_waitcnt lgkmcnt(0)
	v_fma_f64 v[224:225], -v[166:167], v[4:5], v[224:225]
	v_fma_f64 v[162:163], -v[166:167], v[6:7], v[162:163]
	ds_read2_b64 v[4:7], v75 offset0:30 offset1:31
	s_waitcnt lgkmcnt(0)
	v_fma_f64 v[222:223], -v[166:167], v[4:5], v[222:223]
	v_fma_f64 v[160:161], -v[166:167], v[6:7], v[160:161]
	ds_read2_b64 v[4:7], v75 offset0:32 offset1:33
	;; [unrolled: 4-line block ×16, first 2 shown]
	s_waitcnt lgkmcnt(0)
	v_fma_f64 v[192:193], -v[166:167], v[4:5], v[192:193]
	v_fma_f64 v[130:131], -v[166:167], v[6:7], v[130:131]
.LBB125_131:
	s_or_b64 exec, exec, s[2:3]
	v_cmp_eq_u32_e32 vcc, 26, v76
	s_waitcnt vmcnt(63) expcnt(7) lgkmcnt(15)
	s_barrier
	s_and_saveexec_b64 s[2:3], vcc
	s_cbranch_execz .LBB125_134
; %bb.132:
	ds_write_b64 v74, v[226:227]
	ds_write2_b64 v75, v[164:165], v[224:225] offset0:27 offset1:28
	ds_write2_b64 v75, v[162:163], v[222:223] offset0:29 offset1:30
	;; [unrolled: 1-line block ×16, first 2 shown]
	s_waitcnt vmcnt(58)
	ds_write2_b64 v75, v[132:133], v[192:193] offset0:59 offset1:60
	s_waitcnt vmcnt(52)
	ds_write2_b64 v75, v[130:131], v[252:253] offset0:61 offset1:62
	ds_read_b64 v[0:1], v74
	s_waitcnt lgkmcnt(0)
	v_cmp_neq_f64_e32 vcc, 0, v[0:1]
	s_and_b64 exec, exec, vcc
	s_cbranch_execz .LBB125_134
; %bb.133:
	v_div_scale_f64 v[4:5], s[6:7], v[0:1], v[0:1], 1.0
	v_rcp_f64_e32 v[6:7], v[4:5]
	v_div_scale_f64 v[8:9], vcc, 1.0, v[0:1], 1.0
	v_fma_f64 v[10:11], -v[4:5], v[6:7], 1.0
	v_fmac_f64_e32 v[6:7], v[6:7], v[10:11]
	v_fma_f64 v[10:11], -v[4:5], v[6:7], 1.0
	v_fmac_f64_e32 v[6:7], v[6:7], v[10:11]
	v_mul_f64 v[10:11], v[8:9], v[6:7]
	v_fma_f64 v[4:5], -v[4:5], v[10:11], v[8:9]
	v_div_fmas_f64 v[4:5], v[4:5], v[6:7], v[10:11]
	v_div_fixup_f64 v[0:1], v[4:5], v[0:1], 1.0
	ds_write_b64 v74, v[0:1]
.LBB125_134:
	s_or_b64 exec, exec, s[2:3]
	s_waitcnt lgkmcnt(0)
	s_barrier
	ds_read_b64 v[0:1], v74
	v_cmp_lt_u32_e32 vcc, 26, v76
	s_waitcnt lgkmcnt(0)
	buffer_store_dword v0, off, s[16:19], 0 offset:520 ; 4-byte Folded Spill
	s_nop 0
	buffer_store_dword v1, off, s[16:19], 0 offset:524 ; 4-byte Folded Spill
	s_and_saveexec_b64 s[2:3], vcc
	s_cbranch_execz .LBB125_136
; %bb.135:
	buffer_load_dword v0, off, s[16:19], 0 offset:520 ; 4-byte Folded Reload
	buffer_load_dword v1, off, s[16:19], 0 offset:524 ; 4-byte Folded Reload
	ds_read2_b64 v[4:7], v75 offset0:27 offset1:28
	s_waitcnt vmcnt(0)
	v_mul_f64 v[226:227], v[0:1], v[226:227]
	s_waitcnt lgkmcnt(0)
	v_fma_f64 v[164:165], -v[226:227], v[4:5], v[164:165]
	v_fma_f64 v[224:225], -v[226:227], v[6:7], v[224:225]
	ds_read2_b64 v[4:7], v75 offset0:29 offset1:30
	s_waitcnt lgkmcnt(0)
	v_fma_f64 v[162:163], -v[226:227], v[4:5], v[162:163]
	v_fma_f64 v[222:223], -v[226:227], v[6:7], v[222:223]
	ds_read2_b64 v[4:7], v75 offset0:31 offset1:32
	s_waitcnt lgkmcnt(0)
	v_fma_f64 v[160:161], -v[226:227], v[4:5], v[160:161]
	v_fma_f64 v[220:221], -v[226:227], v[6:7], v[220:221]
	ds_read2_b64 v[4:7], v75 offset0:33 offset1:34
	s_waitcnt lgkmcnt(0)
	v_fma_f64 v[158:159], -v[226:227], v[4:5], v[158:159]
	v_fma_f64 v[218:219], -v[226:227], v[6:7], v[218:219]
	ds_read2_b64 v[4:7], v75 offset0:35 offset1:36
	s_waitcnt lgkmcnt(0)
	v_fma_f64 v[156:157], -v[226:227], v[4:5], v[156:157]
	v_fma_f64 v[216:217], -v[226:227], v[6:7], v[216:217]
	ds_read2_b64 v[4:7], v75 offset0:37 offset1:38
	s_waitcnt lgkmcnt(0)
	v_fma_f64 v[154:155], -v[226:227], v[4:5], v[154:155]
	v_fma_f64 v[214:215], -v[226:227], v[6:7], v[214:215]
	ds_read2_b64 v[4:7], v75 offset0:39 offset1:40
	s_waitcnt lgkmcnt(0)
	v_fma_f64 v[152:153], -v[226:227], v[4:5], v[152:153]
	v_fma_f64 v[212:213], -v[226:227], v[6:7], v[212:213]
	ds_read2_b64 v[4:7], v75 offset0:41 offset1:42
	s_waitcnt lgkmcnt(0)
	v_fma_f64 v[150:151], -v[226:227], v[4:5], v[150:151]
	v_fma_f64 v[210:211], -v[226:227], v[6:7], v[210:211]
	ds_read2_b64 v[4:7], v75 offset0:43 offset1:44
	s_waitcnt lgkmcnt(0)
	v_fma_f64 v[148:149], -v[226:227], v[4:5], v[148:149]
	v_fma_f64 v[208:209], -v[226:227], v[6:7], v[208:209]
	ds_read2_b64 v[4:7], v75 offset0:45 offset1:46
	s_waitcnt lgkmcnt(0)
	v_fma_f64 v[146:147], -v[226:227], v[4:5], v[146:147]
	v_fma_f64 v[206:207], -v[226:227], v[6:7], v[206:207]
	ds_read2_b64 v[4:7], v75 offset0:47 offset1:48
	s_waitcnt lgkmcnt(0)
	v_fma_f64 v[144:145], -v[226:227], v[4:5], v[144:145]
	v_fma_f64 v[204:205], -v[226:227], v[6:7], v[204:205]
	ds_read2_b64 v[4:7], v75 offset0:49 offset1:50
	s_waitcnt lgkmcnt(0)
	v_fma_f64 v[142:143], -v[226:227], v[4:5], v[142:143]
	v_fma_f64 v[202:203], -v[226:227], v[6:7], v[202:203]
	ds_read2_b64 v[4:7], v75 offset0:51 offset1:52
	s_waitcnt lgkmcnt(0)
	v_fma_f64 v[140:141], -v[226:227], v[4:5], v[140:141]
	v_fma_f64 v[200:201], -v[226:227], v[6:7], v[200:201]
	ds_read2_b64 v[4:7], v75 offset0:53 offset1:54
	s_waitcnt lgkmcnt(0)
	v_fma_f64 v[138:139], -v[226:227], v[4:5], v[138:139]
	v_fma_f64 v[198:199], -v[226:227], v[6:7], v[198:199]
	ds_read2_b64 v[4:7], v75 offset0:55 offset1:56
	s_waitcnt lgkmcnt(0)
	v_fma_f64 v[136:137], -v[226:227], v[4:5], v[136:137]
	v_fma_f64 v[196:197], -v[226:227], v[6:7], v[196:197]
	ds_read2_b64 v[4:7], v75 offset0:57 offset1:58
	s_waitcnt lgkmcnt(0)
	v_fma_f64 v[134:135], -v[226:227], v[4:5], v[134:135]
	v_fma_f64 v[194:195], -v[226:227], v[6:7], v[194:195]
	ds_read2_b64 v[4:7], v75 offset0:59 offset1:60
	s_waitcnt lgkmcnt(0)
	v_fma_f64 v[132:133], -v[226:227], v[4:5], v[132:133]
	v_fma_f64 v[192:193], -v[226:227], v[6:7], v[192:193]
	ds_read2_b64 v[4:7], v75 offset0:61 offset1:62
	s_waitcnt lgkmcnt(0)
	v_fma_f64 v[130:131], -v[226:227], v[4:5], v[130:131]
	v_fma_f64 v[252:253], -v[226:227], v[6:7], v[252:253]
.LBB125_136:
	s_or_b64 exec, exec, s[2:3]
	v_cmp_eq_u32_e32 vcc, 27, v76
	s_waitcnt vmcnt(63) expcnt(7) lgkmcnt(15)
	s_barrier
	s_and_saveexec_b64 s[2:3], vcc
	s_cbranch_execz .LBB125_139
; %bb.137:
	v_mov_b32_e32 v4, v224
	v_mov_b32_e32 v5, v225
	;; [unrolled: 1-line block ×4, first 2 shown]
	ds_write_b64 v74, v[164:165]
	ds_write2_b64 v75, v[4:5], v[6:7] offset0:28 offset1:29
	v_mov_b32_e32 v4, v222
	v_mov_b32_e32 v5, v223
	v_mov_b32_e32 v6, v160
	v_mov_b32_e32 v7, v161
	ds_write2_b64 v75, v[4:5], v[6:7] offset0:30 offset1:31
	v_mov_b32_e32 v4, v220
	v_mov_b32_e32 v5, v221
	v_mov_b32_e32 v6, v158
	v_mov_b32_e32 v7, v159
	;; [unrolled: 5-line block ×15, first 2 shown]
	ds_write2_b64 v75, v[4:5], v[6:7] offset0:58 offset1:59
	s_waitcnt vmcnt(60)
	v_mov_b32_e32 v4, v192
	v_mov_b32_e32 v5, v193
	s_waitcnt vmcnt(57)
	v_mov_b32_e32 v6, v130
	v_mov_b32_e32 v7, v131
	ds_write2_b64 v75, v[4:5], v[6:7] offset0:60 offset1:61
	s_waitcnt vmcnt(54)
	ds_write_b64 v75, v[252:253] offset:496
	ds_read_b64 v[4:5], v74
	s_waitcnt lgkmcnt(0)
	v_cmp_neq_f64_e32 vcc, 0, v[4:5]
	s_and_b64 exec, exec, vcc
	s_cbranch_execz .LBB125_139
; %bb.138:
	v_div_scale_f64 v[6:7], s[6:7], v[4:5], v[4:5], 1.0
	v_rcp_f64_e32 v[8:9], v[6:7]
	v_div_scale_f64 v[10:11], vcc, 1.0, v[4:5], 1.0
	v_fma_f64 v[12:13], -v[6:7], v[8:9], 1.0
	v_fmac_f64_e32 v[8:9], v[8:9], v[12:13]
	v_fma_f64 v[12:13], -v[6:7], v[8:9], 1.0
	v_fmac_f64_e32 v[8:9], v[8:9], v[12:13]
	v_mul_f64 v[12:13], v[10:11], v[8:9]
	v_fma_f64 v[6:7], -v[6:7], v[12:13], v[10:11]
	v_div_fmas_f64 v[6:7], v[6:7], v[8:9], v[12:13]
	v_div_fixup_f64 v[4:5], v[6:7], v[4:5], 1.0
	ds_write_b64 v74, v[4:5]
.LBB125_139:
	s_or_b64 exec, exec, s[2:3]
	s_waitcnt lgkmcnt(0)
	s_barrier
	ds_read_b64 v[4:5], v74
	v_cmp_lt_u32_e32 vcc, 27, v76
	s_and_saveexec_b64 s[2:3], vcc
	s_cbranch_execz .LBB125_141
; %bb.140:
	ds_read2_b64 v[6:9], v75 offset0:28 offset1:29
	s_waitcnt lgkmcnt(1)
	v_mul_f64 v[164:165], v[4:5], v[164:165]
	s_waitcnt lgkmcnt(0)
	v_fma_f64 v[224:225], -v[164:165], v[6:7], v[224:225]
	v_fma_f64 v[162:163], -v[164:165], v[8:9], v[162:163]
	ds_read2_b64 v[6:9], v75 offset0:30 offset1:31
	s_waitcnt lgkmcnt(0)
	v_fma_f64 v[222:223], -v[164:165], v[6:7], v[222:223]
	v_fma_f64 v[160:161], -v[164:165], v[8:9], v[160:161]
	ds_read2_b64 v[6:9], v75 offset0:32 offset1:33
	;; [unrolled: 4-line block ×16, first 2 shown]
	s_waitcnt vmcnt(60) lgkmcnt(0)
	v_fma_f64 v[192:193], -v[164:165], v[6:7], v[192:193]
	ds_read_b64 v[6:7], v75 offset:496
	s_waitcnt vmcnt(57)
	v_fma_f64 v[130:131], -v[164:165], v[8:9], v[130:131]
	s_waitcnt vmcnt(54) lgkmcnt(0)
	v_fma_f64 v[252:253], -v[164:165], v[6:7], v[252:253]
.LBB125_141:
	s_or_b64 exec, exec, s[2:3]
	v_cmp_eq_u32_e32 vcc, 28, v76
	s_waitcnt lgkmcnt(0)
	s_barrier
	s_and_saveexec_b64 s[2:3], vcc
	s_cbranch_execz .LBB125_144
; %bb.142:
	ds_write_b64 v74, v[224:225]
	ds_write2_b64 v75, v[162:163], v[222:223] offset0:29 offset1:30
	ds_write2_b64 v75, v[160:161], v[220:221] offset0:31 offset1:32
	;; [unrolled: 1-line block ×15, first 2 shown]
	s_waitcnt vmcnt(60)
	ds_write2_b64 v75, v[132:133], v[192:193] offset0:59 offset1:60
	s_waitcnt vmcnt(54)
	ds_write2_b64 v75, v[130:131], v[252:253] offset0:61 offset1:62
	ds_read_b64 v[6:7], v74
	s_waitcnt lgkmcnt(0)
	v_cmp_neq_f64_e32 vcc, 0, v[6:7]
	s_and_b64 exec, exec, vcc
	s_cbranch_execz .LBB125_144
; %bb.143:
	v_div_scale_f64 v[8:9], s[6:7], v[6:7], v[6:7], 1.0
	v_rcp_f64_e32 v[10:11], v[8:9]
	v_div_scale_f64 v[12:13], vcc, 1.0, v[6:7], 1.0
	v_fma_f64 v[14:15], -v[8:9], v[10:11], 1.0
	v_fmac_f64_e32 v[10:11], v[10:11], v[14:15]
	v_fma_f64 v[14:15], -v[8:9], v[10:11], 1.0
	v_fmac_f64_e32 v[10:11], v[10:11], v[14:15]
	v_mul_f64 v[14:15], v[12:13], v[10:11]
	v_fma_f64 v[8:9], -v[8:9], v[14:15], v[12:13]
	v_div_fmas_f64 v[8:9], v[8:9], v[10:11], v[14:15]
	v_div_fixup_f64 v[6:7], v[8:9], v[6:7], 1.0
	ds_write_b64 v74, v[6:7]
.LBB125_144:
	s_or_b64 exec, exec, s[2:3]
	s_waitcnt lgkmcnt(0)
	s_barrier
	ds_read_b64 v[6:7], v74
	v_cmp_lt_u32_e32 vcc, 28, v76
	s_and_saveexec_b64 s[2:3], vcc
	s_cbranch_execz .LBB125_146
; %bb.145:
	ds_read2_b64 v[8:11], v75 offset0:29 offset1:30
	s_waitcnt lgkmcnt(1)
	v_mul_f64 v[224:225], v[6:7], v[224:225]
	s_waitcnt lgkmcnt(0)
	v_fma_f64 v[162:163], -v[224:225], v[8:9], v[162:163]
	v_fma_f64 v[222:223], -v[224:225], v[10:11], v[222:223]
	ds_read2_b64 v[8:11], v75 offset0:31 offset1:32
	s_waitcnt lgkmcnt(0)
	v_fma_f64 v[160:161], -v[224:225], v[8:9], v[160:161]
	v_fma_f64 v[220:221], -v[224:225], v[10:11], v[220:221]
	ds_read2_b64 v[8:11], v75 offset0:33 offset1:34
	;; [unrolled: 4-line block ×15, first 2 shown]
	s_waitcnt lgkmcnt(0)
	v_fma_f64 v[132:133], -v[224:225], v[8:9], v[132:133]
	s_waitcnt vmcnt(60)
	v_fma_f64 v[192:193], -v[224:225], v[10:11], v[192:193]
	ds_read2_b64 v[8:11], v75 offset0:61 offset1:62
	s_waitcnt vmcnt(57) lgkmcnt(0)
	v_fma_f64 v[130:131], -v[224:225], v[8:9], v[130:131]
	s_waitcnt vmcnt(54)
	v_fma_f64 v[252:253], -v[224:225], v[10:11], v[252:253]
.LBB125_146:
	s_or_b64 exec, exec, s[2:3]
	v_cmp_eq_u32_e32 vcc, 29, v76
	s_waitcnt lgkmcnt(0)
	s_barrier
	s_and_saveexec_b64 s[2:3], vcc
	s_cbranch_execz .LBB125_149
; %bb.147:
	v_mov_b32_e32 v8, v222
	v_mov_b32_e32 v9, v223
	;; [unrolled: 1-line block ×4, first 2 shown]
	ds_write_b64 v74, v[162:163]
	ds_write2_b64 v75, v[8:9], v[10:11] offset0:30 offset1:31
	v_mov_b32_e32 v8, v220
	v_mov_b32_e32 v9, v221
	v_mov_b32_e32 v10, v158
	v_mov_b32_e32 v11, v159
	ds_write2_b64 v75, v[8:9], v[10:11] offset0:32 offset1:33
	v_mov_b32_e32 v8, v218
	v_mov_b32_e32 v9, v219
	v_mov_b32_e32 v10, v156
	v_mov_b32_e32 v11, v157
	ds_write2_b64 v75, v[8:9], v[10:11] offset0:34 offset1:35
	v_mov_b32_e32 v8, v216
	v_mov_b32_e32 v9, v217
	v_mov_b32_e32 v10, v154
	v_mov_b32_e32 v11, v155
	ds_write2_b64 v75, v[8:9], v[10:11] offset0:36 offset1:37
	v_mov_b32_e32 v8, v214
	v_mov_b32_e32 v9, v215
	v_mov_b32_e32 v10, v152
	v_mov_b32_e32 v11, v153
	ds_write2_b64 v75, v[8:9], v[10:11] offset0:38 offset1:39
	v_mov_b32_e32 v8, v212
	v_mov_b32_e32 v9, v213
	v_mov_b32_e32 v10, v150
	v_mov_b32_e32 v11, v151
	ds_write2_b64 v75, v[8:9], v[10:11] offset0:40 offset1:41
	v_mov_b32_e32 v8, v210
	v_mov_b32_e32 v9, v211
	v_mov_b32_e32 v10, v148
	v_mov_b32_e32 v11, v149
	ds_write2_b64 v75, v[8:9], v[10:11] offset0:42 offset1:43
	v_mov_b32_e32 v8, v208
	v_mov_b32_e32 v9, v209
	v_mov_b32_e32 v10, v146
	v_mov_b32_e32 v11, v147
	ds_write2_b64 v75, v[8:9], v[10:11] offset0:44 offset1:45
	v_mov_b32_e32 v8, v206
	v_mov_b32_e32 v9, v207
	v_mov_b32_e32 v10, v144
	v_mov_b32_e32 v11, v145
	ds_write2_b64 v75, v[8:9], v[10:11] offset0:46 offset1:47
	v_mov_b32_e32 v8, v204
	v_mov_b32_e32 v9, v205
	v_mov_b32_e32 v10, v142
	v_mov_b32_e32 v11, v143
	ds_write2_b64 v75, v[8:9], v[10:11] offset0:48 offset1:49
	v_mov_b32_e32 v8, v202
	v_mov_b32_e32 v9, v203
	v_mov_b32_e32 v10, v140
	v_mov_b32_e32 v11, v141
	ds_write2_b64 v75, v[8:9], v[10:11] offset0:50 offset1:51
	v_mov_b32_e32 v8, v200
	v_mov_b32_e32 v9, v201
	v_mov_b32_e32 v10, v138
	v_mov_b32_e32 v11, v139
	ds_write2_b64 v75, v[8:9], v[10:11] offset0:52 offset1:53
	v_mov_b32_e32 v8, v198
	v_mov_b32_e32 v9, v199
	v_mov_b32_e32 v10, v136
	v_mov_b32_e32 v11, v137
	ds_write2_b64 v75, v[8:9], v[10:11] offset0:54 offset1:55
	v_mov_b32_e32 v8, v196
	v_mov_b32_e32 v9, v197
	v_mov_b32_e32 v10, v134
	v_mov_b32_e32 v11, v135
	ds_write2_b64 v75, v[8:9], v[10:11] offset0:56 offset1:57
	v_mov_b32_e32 v8, v194
	v_mov_b32_e32 v9, v195
	v_mov_b32_e32 v10, v132
	v_mov_b32_e32 v11, v133
	ds_write2_b64 v75, v[8:9], v[10:11] offset0:58 offset1:59
	s_waitcnt vmcnt(60)
	v_mov_b32_e32 v8, v192
	v_mov_b32_e32 v9, v193
	s_waitcnt vmcnt(57)
	v_mov_b32_e32 v10, v130
	v_mov_b32_e32 v11, v131
	ds_write2_b64 v75, v[8:9], v[10:11] offset0:60 offset1:61
	s_waitcnt vmcnt(54)
	ds_write_b64 v75, v[252:253] offset:496
	ds_read_b64 v[8:9], v74
	s_waitcnt lgkmcnt(0)
	v_cmp_neq_f64_e32 vcc, 0, v[8:9]
	s_and_b64 exec, exec, vcc
	s_cbranch_execz .LBB125_149
; %bb.148:
	v_div_scale_f64 v[10:11], s[6:7], v[8:9], v[8:9], 1.0
	v_rcp_f64_e32 v[12:13], v[10:11]
	v_div_scale_f64 v[14:15], vcc, 1.0, v[8:9], 1.0
	v_fma_f64 v[16:17], -v[10:11], v[12:13], 1.0
	v_fmac_f64_e32 v[12:13], v[12:13], v[16:17]
	v_fma_f64 v[16:17], -v[10:11], v[12:13], 1.0
	v_fmac_f64_e32 v[12:13], v[12:13], v[16:17]
	v_mul_f64 v[16:17], v[14:15], v[12:13]
	v_fma_f64 v[10:11], -v[10:11], v[16:17], v[14:15]
	v_div_fmas_f64 v[10:11], v[10:11], v[12:13], v[16:17]
	v_div_fixup_f64 v[8:9], v[10:11], v[8:9], 1.0
	ds_write_b64 v74, v[8:9]
.LBB125_149:
	s_or_b64 exec, exec, s[2:3]
	s_waitcnt lgkmcnt(0)
	s_barrier
	ds_read_b64 v[8:9], v74
	v_cmp_lt_u32_e32 vcc, 29, v76
	s_and_saveexec_b64 s[2:3], vcc
	s_cbranch_execz .LBB125_151
; %bb.150:
	ds_read2_b64 v[10:13], v75 offset0:30 offset1:31
	s_waitcnt lgkmcnt(1)
	v_mul_f64 v[162:163], v[8:9], v[162:163]
	s_waitcnt lgkmcnt(0)
	v_fma_f64 v[222:223], -v[162:163], v[10:11], v[222:223]
	v_fma_f64 v[160:161], -v[162:163], v[12:13], v[160:161]
	ds_read2_b64 v[10:13], v75 offset0:32 offset1:33
	s_waitcnt lgkmcnt(0)
	v_fma_f64 v[220:221], -v[162:163], v[10:11], v[220:221]
	v_fma_f64 v[158:159], -v[162:163], v[12:13], v[158:159]
	ds_read2_b64 v[10:13], v75 offset0:34 offset1:35
	;; [unrolled: 4-line block ×15, first 2 shown]
	s_waitcnt vmcnt(60) lgkmcnt(0)
	v_fma_f64 v[192:193], -v[162:163], v[10:11], v[192:193]
	ds_read_b64 v[10:11], v75 offset:496
	s_waitcnt vmcnt(57)
	v_fma_f64 v[130:131], -v[162:163], v[12:13], v[130:131]
	s_waitcnt vmcnt(54) lgkmcnt(0)
	v_fma_f64 v[252:253], -v[162:163], v[10:11], v[252:253]
.LBB125_151:
	s_or_b64 exec, exec, s[2:3]
	v_cmp_eq_u32_e32 vcc, 30, v76
	s_waitcnt lgkmcnt(0)
	s_barrier
	s_and_saveexec_b64 s[2:3], vcc
	s_cbranch_execz .LBB125_154
; %bb.152:
	ds_write_b64 v74, v[222:223]
	ds_write2_b64 v75, v[160:161], v[220:221] offset0:31 offset1:32
	ds_write2_b64 v75, v[158:159], v[218:219] offset0:33 offset1:34
	;; [unrolled: 1-line block ×14, first 2 shown]
	s_waitcnt vmcnt(60)
	ds_write2_b64 v75, v[132:133], v[192:193] offset0:59 offset1:60
	s_waitcnt vmcnt(54)
	ds_write2_b64 v75, v[130:131], v[252:253] offset0:61 offset1:62
	ds_read_b64 v[10:11], v74
	s_waitcnt lgkmcnt(0)
	v_cmp_neq_f64_e32 vcc, 0, v[10:11]
	s_and_b64 exec, exec, vcc
	s_cbranch_execz .LBB125_154
; %bb.153:
	v_div_scale_f64 v[12:13], s[6:7], v[10:11], v[10:11], 1.0
	v_rcp_f64_e32 v[14:15], v[12:13]
	v_div_scale_f64 v[16:17], vcc, 1.0, v[10:11], 1.0
	v_fma_f64 v[18:19], -v[12:13], v[14:15], 1.0
	v_fmac_f64_e32 v[14:15], v[14:15], v[18:19]
	v_fma_f64 v[18:19], -v[12:13], v[14:15], 1.0
	v_fmac_f64_e32 v[14:15], v[14:15], v[18:19]
	v_mul_f64 v[18:19], v[16:17], v[14:15]
	v_fma_f64 v[12:13], -v[12:13], v[18:19], v[16:17]
	v_div_fmas_f64 v[12:13], v[12:13], v[14:15], v[18:19]
	v_div_fixup_f64 v[10:11], v[12:13], v[10:11], 1.0
	ds_write_b64 v74, v[10:11]
.LBB125_154:
	s_or_b64 exec, exec, s[2:3]
	s_waitcnt lgkmcnt(0)
	s_barrier
	ds_read_b64 v[10:11], v74
	v_cmp_lt_u32_e32 vcc, 30, v76
	s_and_saveexec_b64 s[2:3], vcc
	s_cbranch_execz .LBB125_156
; %bb.155:
	ds_read2_b64 v[12:15], v75 offset0:31 offset1:32
	s_waitcnt lgkmcnt(1)
	v_mul_f64 v[222:223], v[10:11], v[222:223]
	s_waitcnt lgkmcnt(0)
	v_fma_f64 v[160:161], -v[222:223], v[12:13], v[160:161]
	v_fma_f64 v[220:221], -v[222:223], v[14:15], v[220:221]
	ds_read2_b64 v[12:15], v75 offset0:33 offset1:34
	s_waitcnt lgkmcnt(0)
	v_fma_f64 v[158:159], -v[222:223], v[12:13], v[158:159]
	v_fma_f64 v[218:219], -v[222:223], v[14:15], v[218:219]
	ds_read2_b64 v[12:15], v75 offset0:35 offset1:36
	;; [unrolled: 4-line block ×14, first 2 shown]
	s_waitcnt lgkmcnt(0)
	v_fma_f64 v[132:133], -v[222:223], v[12:13], v[132:133]
	s_waitcnt vmcnt(60)
	v_fma_f64 v[192:193], -v[222:223], v[14:15], v[192:193]
	ds_read2_b64 v[12:15], v75 offset0:61 offset1:62
	s_waitcnt vmcnt(57) lgkmcnt(0)
	v_fma_f64 v[130:131], -v[222:223], v[12:13], v[130:131]
	s_waitcnt vmcnt(54)
	v_fma_f64 v[252:253], -v[222:223], v[14:15], v[252:253]
.LBB125_156:
	s_or_b64 exec, exec, s[2:3]
	v_cmp_eq_u32_e32 vcc, 31, v76
	s_waitcnt lgkmcnt(0)
	s_barrier
	s_and_saveexec_b64 s[2:3], vcc
	s_cbranch_execz .LBB125_159
; %bb.157:
	v_mov_b32_e32 v12, v220
	v_mov_b32_e32 v13, v221
	;; [unrolled: 1-line block ×4, first 2 shown]
	ds_write_b64 v74, v[160:161]
	ds_write2_b64 v75, v[12:13], v[14:15] offset0:32 offset1:33
	v_mov_b32_e32 v12, v218
	v_mov_b32_e32 v13, v219
	v_mov_b32_e32 v14, v156
	v_mov_b32_e32 v15, v157
	ds_write2_b64 v75, v[12:13], v[14:15] offset0:34 offset1:35
	v_mov_b32_e32 v12, v216
	v_mov_b32_e32 v13, v217
	v_mov_b32_e32 v14, v154
	v_mov_b32_e32 v15, v155
	;; [unrolled: 5-line block ×13, first 2 shown]
	ds_write2_b64 v75, v[12:13], v[14:15] offset0:58 offset1:59
	s_waitcnt vmcnt(60)
	v_mov_b32_e32 v12, v192
	v_mov_b32_e32 v13, v193
	s_waitcnt vmcnt(57)
	v_mov_b32_e32 v14, v130
	v_mov_b32_e32 v15, v131
	ds_write2_b64 v75, v[12:13], v[14:15] offset0:60 offset1:61
	s_waitcnt vmcnt(54)
	ds_write_b64 v75, v[252:253] offset:496
	ds_read_b64 v[12:13], v74
	s_waitcnt lgkmcnt(0)
	v_cmp_neq_f64_e32 vcc, 0, v[12:13]
	s_and_b64 exec, exec, vcc
	s_cbranch_execz .LBB125_159
; %bb.158:
	v_div_scale_f64 v[14:15], s[6:7], v[12:13], v[12:13], 1.0
	v_rcp_f64_e32 v[16:17], v[14:15]
	v_div_scale_f64 v[18:19], vcc, 1.0, v[12:13], 1.0
	v_fma_f64 v[20:21], -v[14:15], v[16:17], 1.0
	v_fmac_f64_e32 v[16:17], v[16:17], v[20:21]
	v_fma_f64 v[20:21], -v[14:15], v[16:17], 1.0
	v_fmac_f64_e32 v[16:17], v[16:17], v[20:21]
	v_mul_f64 v[20:21], v[18:19], v[16:17]
	v_fma_f64 v[14:15], -v[14:15], v[20:21], v[18:19]
	v_div_fmas_f64 v[14:15], v[14:15], v[16:17], v[20:21]
	v_div_fixup_f64 v[12:13], v[14:15], v[12:13], 1.0
	ds_write_b64 v74, v[12:13]
.LBB125_159:
	s_or_b64 exec, exec, s[2:3]
	s_waitcnt lgkmcnt(0)
	s_barrier
	ds_read_b64 v[12:13], v74
	v_cmp_lt_u32_e32 vcc, 31, v76
	s_and_saveexec_b64 s[2:3], vcc
	s_cbranch_execz .LBB125_161
; %bb.160:
	ds_read2_b64 v[14:17], v75 offset0:32 offset1:33
	s_waitcnt lgkmcnt(1)
	v_mul_f64 v[160:161], v[12:13], v[160:161]
	s_waitcnt lgkmcnt(0)
	v_fma_f64 v[220:221], -v[160:161], v[14:15], v[220:221]
	v_fma_f64 v[158:159], -v[160:161], v[16:17], v[158:159]
	ds_read2_b64 v[14:17], v75 offset0:34 offset1:35
	s_waitcnt lgkmcnt(0)
	v_fma_f64 v[218:219], -v[160:161], v[14:15], v[218:219]
	v_fma_f64 v[156:157], -v[160:161], v[16:17], v[156:157]
	ds_read2_b64 v[14:17], v75 offset0:36 offset1:37
	;; [unrolled: 4-line block ×14, first 2 shown]
	s_waitcnt vmcnt(60) lgkmcnt(0)
	v_fma_f64 v[192:193], -v[160:161], v[14:15], v[192:193]
	ds_read_b64 v[14:15], v75 offset:496
	s_waitcnt vmcnt(57)
	v_fma_f64 v[130:131], -v[160:161], v[16:17], v[130:131]
	s_waitcnt vmcnt(54) lgkmcnt(0)
	v_fma_f64 v[252:253], -v[160:161], v[14:15], v[252:253]
.LBB125_161:
	s_or_b64 exec, exec, s[2:3]
	v_cmp_eq_u32_e32 vcc, 32, v76
	s_waitcnt lgkmcnt(0)
	s_barrier
	s_and_saveexec_b64 s[2:3], vcc
	s_cbranch_execz .LBB125_164
; %bb.162:
	ds_write_b64 v74, v[220:221]
	ds_write2_b64 v75, v[158:159], v[218:219] offset0:33 offset1:34
	ds_write2_b64 v75, v[156:157], v[216:217] offset0:35 offset1:36
	;; [unrolled: 1-line block ×13, first 2 shown]
	s_waitcnt vmcnt(60)
	ds_write2_b64 v75, v[132:133], v[192:193] offset0:59 offset1:60
	s_waitcnt vmcnt(54)
	ds_write2_b64 v75, v[130:131], v[252:253] offset0:61 offset1:62
	ds_read_b64 v[14:15], v74
	s_waitcnt lgkmcnt(0)
	v_cmp_neq_f64_e32 vcc, 0, v[14:15]
	s_and_b64 exec, exec, vcc
	s_cbranch_execz .LBB125_164
; %bb.163:
	v_div_scale_f64 v[16:17], s[6:7], v[14:15], v[14:15], 1.0
	v_rcp_f64_e32 v[18:19], v[16:17]
	v_div_scale_f64 v[20:21], vcc, 1.0, v[14:15], 1.0
	v_fma_f64 v[22:23], -v[16:17], v[18:19], 1.0
	v_fmac_f64_e32 v[18:19], v[18:19], v[22:23]
	v_fma_f64 v[22:23], -v[16:17], v[18:19], 1.0
	v_fmac_f64_e32 v[18:19], v[18:19], v[22:23]
	v_mul_f64 v[22:23], v[20:21], v[18:19]
	v_fma_f64 v[16:17], -v[16:17], v[22:23], v[20:21]
	v_div_fmas_f64 v[16:17], v[16:17], v[18:19], v[22:23]
	v_div_fixup_f64 v[14:15], v[16:17], v[14:15], 1.0
	ds_write_b64 v74, v[14:15]
.LBB125_164:
	s_or_b64 exec, exec, s[2:3]
	s_waitcnt lgkmcnt(0)
	s_barrier
	ds_read_b64 v[14:15], v74
	v_cmp_lt_u32_e32 vcc, 32, v76
	s_and_saveexec_b64 s[2:3], vcc
	s_cbranch_execz .LBB125_166
; %bb.165:
	ds_read2_b64 v[16:19], v75 offset0:33 offset1:34
	s_waitcnt lgkmcnt(1)
	v_mul_f64 v[220:221], v[14:15], v[220:221]
	s_waitcnt lgkmcnt(0)
	v_fma_f64 v[158:159], -v[220:221], v[16:17], v[158:159]
	v_fma_f64 v[218:219], -v[220:221], v[18:19], v[218:219]
	ds_read2_b64 v[16:19], v75 offset0:35 offset1:36
	s_waitcnt lgkmcnt(0)
	v_fma_f64 v[156:157], -v[220:221], v[16:17], v[156:157]
	v_fma_f64 v[216:217], -v[220:221], v[18:19], v[216:217]
	ds_read2_b64 v[16:19], v75 offset0:37 offset1:38
	;; [unrolled: 4-line block ×13, first 2 shown]
	s_waitcnt lgkmcnt(0)
	v_fma_f64 v[132:133], -v[220:221], v[16:17], v[132:133]
	s_waitcnt vmcnt(60)
	v_fma_f64 v[192:193], -v[220:221], v[18:19], v[192:193]
	ds_read2_b64 v[16:19], v75 offset0:61 offset1:62
	s_waitcnt vmcnt(57) lgkmcnt(0)
	v_fma_f64 v[130:131], -v[220:221], v[16:17], v[130:131]
	s_waitcnt vmcnt(54)
	v_fma_f64 v[252:253], -v[220:221], v[18:19], v[252:253]
.LBB125_166:
	s_or_b64 exec, exec, s[2:3]
	v_cmp_eq_u32_e32 vcc, 33, v76
	s_waitcnt lgkmcnt(0)
	s_barrier
	s_and_saveexec_b64 s[2:3], vcc
	s_cbranch_execz .LBB125_169
; %bb.167:
	v_mov_b32_e32 v16, v218
	v_mov_b32_e32 v17, v219
	;; [unrolled: 1-line block ×4, first 2 shown]
	ds_write_b64 v74, v[158:159]
	ds_write2_b64 v75, v[16:17], v[18:19] offset0:34 offset1:35
	v_mov_b32_e32 v16, v216
	v_mov_b32_e32 v17, v217
	v_mov_b32_e32 v18, v154
	v_mov_b32_e32 v19, v155
	ds_write2_b64 v75, v[16:17], v[18:19] offset0:36 offset1:37
	v_mov_b32_e32 v16, v214
	v_mov_b32_e32 v17, v215
	v_mov_b32_e32 v18, v152
	v_mov_b32_e32 v19, v153
	;; [unrolled: 5-line block ×12, first 2 shown]
	ds_write2_b64 v75, v[16:17], v[18:19] offset0:58 offset1:59
	s_waitcnt vmcnt(60)
	v_mov_b32_e32 v16, v192
	v_mov_b32_e32 v17, v193
	s_waitcnt vmcnt(57)
	v_mov_b32_e32 v18, v130
	v_mov_b32_e32 v19, v131
	ds_write2_b64 v75, v[16:17], v[18:19] offset0:60 offset1:61
	s_waitcnt vmcnt(54)
	ds_write_b64 v75, v[252:253] offset:496
	ds_read_b64 v[16:17], v74
	s_waitcnt lgkmcnt(0)
	v_cmp_neq_f64_e32 vcc, 0, v[16:17]
	s_and_b64 exec, exec, vcc
	s_cbranch_execz .LBB125_169
; %bb.168:
	v_div_scale_f64 v[18:19], s[6:7], v[16:17], v[16:17], 1.0
	v_rcp_f64_e32 v[20:21], v[18:19]
	v_div_scale_f64 v[22:23], vcc, 1.0, v[16:17], 1.0
	v_fma_f64 v[24:25], -v[18:19], v[20:21], 1.0
	v_fmac_f64_e32 v[20:21], v[20:21], v[24:25]
	v_fma_f64 v[24:25], -v[18:19], v[20:21], 1.0
	v_fmac_f64_e32 v[20:21], v[20:21], v[24:25]
	v_mul_f64 v[24:25], v[22:23], v[20:21]
	v_fma_f64 v[18:19], -v[18:19], v[24:25], v[22:23]
	v_div_fmas_f64 v[18:19], v[18:19], v[20:21], v[24:25]
	v_div_fixup_f64 v[16:17], v[18:19], v[16:17], 1.0
	ds_write_b64 v74, v[16:17]
.LBB125_169:
	s_or_b64 exec, exec, s[2:3]
	s_waitcnt lgkmcnt(0)
	s_barrier
	ds_read_b64 v[16:17], v74
	v_cmp_lt_u32_e32 vcc, 33, v76
	s_and_saveexec_b64 s[2:3], vcc
	s_cbranch_execz .LBB125_171
; %bb.170:
	ds_read2_b64 v[18:21], v75 offset0:34 offset1:35
	s_waitcnt lgkmcnt(1)
	v_mul_f64 v[158:159], v[16:17], v[158:159]
	s_waitcnt lgkmcnt(0)
	v_fma_f64 v[218:219], -v[158:159], v[18:19], v[218:219]
	v_fma_f64 v[156:157], -v[158:159], v[20:21], v[156:157]
	ds_read2_b64 v[18:21], v75 offset0:36 offset1:37
	s_waitcnt lgkmcnt(0)
	v_fma_f64 v[216:217], -v[158:159], v[18:19], v[216:217]
	v_fma_f64 v[154:155], -v[158:159], v[20:21], v[154:155]
	ds_read2_b64 v[18:21], v75 offset0:38 offset1:39
	;; [unrolled: 4-line block ×13, first 2 shown]
	s_waitcnt vmcnt(60) lgkmcnt(0)
	v_fma_f64 v[192:193], -v[158:159], v[18:19], v[192:193]
	ds_read_b64 v[18:19], v75 offset:496
	s_waitcnt vmcnt(57)
	v_fma_f64 v[130:131], -v[158:159], v[20:21], v[130:131]
	s_waitcnt vmcnt(54) lgkmcnt(0)
	v_fma_f64 v[252:253], -v[158:159], v[18:19], v[252:253]
.LBB125_171:
	s_or_b64 exec, exec, s[2:3]
	v_cmp_eq_u32_e32 vcc, 34, v76
	s_waitcnt lgkmcnt(0)
	s_barrier
	s_and_saveexec_b64 s[2:3], vcc
	s_cbranch_execz .LBB125_174
; %bb.172:
	ds_write_b64 v74, v[218:219]
	ds_write2_b64 v75, v[156:157], v[216:217] offset0:35 offset1:36
	ds_write2_b64 v75, v[154:155], v[214:215] offset0:37 offset1:38
	;; [unrolled: 1-line block ×12, first 2 shown]
	s_waitcnt vmcnt(60)
	ds_write2_b64 v75, v[132:133], v[192:193] offset0:59 offset1:60
	s_waitcnt vmcnt(54)
	ds_write2_b64 v75, v[130:131], v[252:253] offset0:61 offset1:62
	ds_read_b64 v[18:19], v74
	s_waitcnt lgkmcnt(0)
	v_cmp_neq_f64_e32 vcc, 0, v[18:19]
	s_and_b64 exec, exec, vcc
	s_cbranch_execz .LBB125_174
; %bb.173:
	v_div_scale_f64 v[20:21], s[6:7], v[18:19], v[18:19], 1.0
	v_rcp_f64_e32 v[22:23], v[20:21]
	v_div_scale_f64 v[24:25], vcc, 1.0, v[18:19], 1.0
	v_fma_f64 v[26:27], -v[20:21], v[22:23], 1.0
	v_fmac_f64_e32 v[22:23], v[22:23], v[26:27]
	v_fma_f64 v[26:27], -v[20:21], v[22:23], 1.0
	v_fmac_f64_e32 v[22:23], v[22:23], v[26:27]
	v_mul_f64 v[26:27], v[24:25], v[22:23]
	v_fma_f64 v[20:21], -v[20:21], v[26:27], v[24:25]
	v_div_fmas_f64 v[20:21], v[20:21], v[22:23], v[26:27]
	v_div_fixup_f64 v[18:19], v[20:21], v[18:19], 1.0
	ds_write_b64 v74, v[18:19]
.LBB125_174:
	s_or_b64 exec, exec, s[2:3]
	s_waitcnt lgkmcnt(0)
	s_barrier
	ds_read_b64 v[18:19], v74
	v_cmp_lt_u32_e32 vcc, 34, v76
	s_and_saveexec_b64 s[2:3], vcc
	s_cbranch_execz .LBB125_176
; %bb.175:
	ds_read2_b64 v[20:23], v75 offset0:35 offset1:36
	s_waitcnt lgkmcnt(1)
	v_mul_f64 v[218:219], v[18:19], v[218:219]
	s_waitcnt lgkmcnt(0)
	v_fma_f64 v[156:157], -v[218:219], v[20:21], v[156:157]
	v_fma_f64 v[216:217], -v[218:219], v[22:23], v[216:217]
	ds_read2_b64 v[20:23], v75 offset0:37 offset1:38
	s_waitcnt lgkmcnt(0)
	v_fma_f64 v[154:155], -v[218:219], v[20:21], v[154:155]
	v_fma_f64 v[214:215], -v[218:219], v[22:23], v[214:215]
	ds_read2_b64 v[20:23], v75 offset0:39 offset1:40
	;; [unrolled: 4-line block ×12, first 2 shown]
	s_waitcnt lgkmcnt(0)
	v_fma_f64 v[132:133], -v[218:219], v[20:21], v[132:133]
	s_waitcnt vmcnt(60)
	v_fma_f64 v[192:193], -v[218:219], v[22:23], v[192:193]
	ds_read2_b64 v[20:23], v75 offset0:61 offset1:62
	s_waitcnt vmcnt(57) lgkmcnt(0)
	v_fma_f64 v[130:131], -v[218:219], v[20:21], v[130:131]
	s_waitcnt vmcnt(54)
	v_fma_f64 v[252:253], -v[218:219], v[22:23], v[252:253]
.LBB125_176:
	s_or_b64 exec, exec, s[2:3]
	v_cmp_eq_u32_e32 vcc, 35, v76
	s_waitcnt lgkmcnt(0)
	s_barrier
	s_and_saveexec_b64 s[2:3], vcc
	s_cbranch_execz .LBB125_179
; %bb.177:
	v_mov_b32_e32 v20, v216
	v_mov_b32_e32 v21, v217
	;; [unrolled: 1-line block ×4, first 2 shown]
	ds_write_b64 v74, v[156:157]
	ds_write2_b64 v75, v[20:21], v[22:23] offset0:36 offset1:37
	v_mov_b32_e32 v20, v214
	v_mov_b32_e32 v21, v215
	v_mov_b32_e32 v22, v152
	v_mov_b32_e32 v23, v153
	ds_write2_b64 v75, v[20:21], v[22:23] offset0:38 offset1:39
	v_mov_b32_e32 v20, v212
	v_mov_b32_e32 v21, v213
	v_mov_b32_e32 v22, v150
	v_mov_b32_e32 v23, v151
	;; [unrolled: 5-line block ×11, first 2 shown]
	ds_write2_b64 v75, v[20:21], v[22:23] offset0:58 offset1:59
	s_waitcnt vmcnt(60)
	v_mov_b32_e32 v20, v192
	v_mov_b32_e32 v21, v193
	s_waitcnt vmcnt(57)
	v_mov_b32_e32 v22, v130
	v_mov_b32_e32 v23, v131
	ds_write2_b64 v75, v[20:21], v[22:23] offset0:60 offset1:61
	s_waitcnt vmcnt(54)
	ds_write_b64 v75, v[252:253] offset:496
	ds_read_b64 v[20:21], v74
	s_waitcnt lgkmcnt(0)
	v_cmp_neq_f64_e32 vcc, 0, v[20:21]
	s_and_b64 exec, exec, vcc
	s_cbranch_execz .LBB125_179
; %bb.178:
	v_div_scale_f64 v[22:23], s[6:7], v[20:21], v[20:21], 1.0
	v_rcp_f64_e32 v[24:25], v[22:23]
	v_div_scale_f64 v[26:27], vcc, 1.0, v[20:21], 1.0
	v_fma_f64 v[28:29], -v[22:23], v[24:25], 1.0
	v_fmac_f64_e32 v[24:25], v[24:25], v[28:29]
	v_fma_f64 v[28:29], -v[22:23], v[24:25], 1.0
	v_fmac_f64_e32 v[24:25], v[24:25], v[28:29]
	v_mul_f64 v[28:29], v[26:27], v[24:25]
	v_fma_f64 v[22:23], -v[22:23], v[28:29], v[26:27]
	v_div_fmas_f64 v[22:23], v[22:23], v[24:25], v[28:29]
	v_div_fixup_f64 v[20:21], v[22:23], v[20:21], 1.0
	ds_write_b64 v74, v[20:21]
.LBB125_179:
	s_or_b64 exec, exec, s[2:3]
	s_waitcnt lgkmcnt(0)
	s_barrier
	ds_read_b64 v[20:21], v74
	v_cmp_lt_u32_e32 vcc, 35, v76
	s_and_saveexec_b64 s[2:3], vcc
	s_cbranch_execz .LBB125_181
; %bb.180:
	ds_read2_b64 v[22:25], v75 offset0:36 offset1:37
	s_waitcnt lgkmcnt(1)
	v_mul_f64 v[156:157], v[20:21], v[156:157]
	s_waitcnt lgkmcnt(0)
	v_fma_f64 v[216:217], -v[156:157], v[22:23], v[216:217]
	v_fma_f64 v[154:155], -v[156:157], v[24:25], v[154:155]
	ds_read2_b64 v[22:25], v75 offset0:38 offset1:39
	s_waitcnt lgkmcnt(0)
	v_fma_f64 v[214:215], -v[156:157], v[22:23], v[214:215]
	v_fma_f64 v[152:153], -v[156:157], v[24:25], v[152:153]
	ds_read2_b64 v[22:25], v75 offset0:40 offset1:41
	;; [unrolled: 4-line block ×12, first 2 shown]
	s_waitcnt vmcnt(60) lgkmcnt(0)
	v_fma_f64 v[192:193], -v[156:157], v[22:23], v[192:193]
	ds_read_b64 v[22:23], v75 offset:496
	s_waitcnt vmcnt(57)
	v_fma_f64 v[130:131], -v[156:157], v[24:25], v[130:131]
	s_waitcnt vmcnt(54) lgkmcnt(0)
	v_fma_f64 v[252:253], -v[156:157], v[22:23], v[252:253]
.LBB125_181:
	s_or_b64 exec, exec, s[2:3]
	v_cmp_eq_u32_e32 vcc, 36, v76
	s_waitcnt lgkmcnt(0)
	s_barrier
	s_and_saveexec_b64 s[2:3], vcc
	s_cbranch_execz .LBB125_184
; %bb.182:
	ds_write_b64 v74, v[216:217]
	ds_write2_b64 v75, v[154:155], v[214:215] offset0:37 offset1:38
	ds_write2_b64 v75, v[152:153], v[212:213] offset0:39 offset1:40
	;; [unrolled: 1-line block ×11, first 2 shown]
	s_waitcnt vmcnt(60)
	ds_write2_b64 v75, v[132:133], v[192:193] offset0:59 offset1:60
	s_waitcnt vmcnt(54)
	ds_write2_b64 v75, v[130:131], v[252:253] offset0:61 offset1:62
	ds_read_b64 v[22:23], v74
	s_waitcnt lgkmcnt(0)
	v_cmp_neq_f64_e32 vcc, 0, v[22:23]
	s_and_b64 exec, exec, vcc
	s_cbranch_execz .LBB125_184
; %bb.183:
	v_div_scale_f64 v[24:25], s[6:7], v[22:23], v[22:23], 1.0
	v_rcp_f64_e32 v[26:27], v[24:25]
	v_div_scale_f64 v[28:29], vcc, 1.0, v[22:23], 1.0
	v_fma_f64 v[30:31], -v[24:25], v[26:27], 1.0
	v_fmac_f64_e32 v[26:27], v[26:27], v[30:31]
	v_fma_f64 v[30:31], -v[24:25], v[26:27], 1.0
	v_fmac_f64_e32 v[26:27], v[26:27], v[30:31]
	v_mul_f64 v[30:31], v[28:29], v[26:27]
	v_fma_f64 v[24:25], -v[24:25], v[30:31], v[28:29]
	v_div_fmas_f64 v[24:25], v[24:25], v[26:27], v[30:31]
	v_div_fixup_f64 v[22:23], v[24:25], v[22:23], 1.0
	ds_write_b64 v74, v[22:23]
.LBB125_184:
	s_or_b64 exec, exec, s[2:3]
	s_waitcnt lgkmcnt(0)
	s_barrier
	ds_read_b64 v[22:23], v74
	v_cmp_lt_u32_e32 vcc, 36, v76
	s_and_saveexec_b64 s[2:3], vcc
	s_cbranch_execz .LBB125_186
; %bb.185:
	ds_read2_b64 v[24:27], v75 offset0:37 offset1:38
	s_waitcnt lgkmcnt(1)
	v_mul_f64 v[216:217], v[22:23], v[216:217]
	s_waitcnt lgkmcnt(0)
	v_fma_f64 v[154:155], -v[216:217], v[24:25], v[154:155]
	v_fma_f64 v[214:215], -v[216:217], v[26:27], v[214:215]
	ds_read2_b64 v[24:27], v75 offset0:39 offset1:40
	s_waitcnt lgkmcnt(0)
	v_fma_f64 v[152:153], -v[216:217], v[24:25], v[152:153]
	v_fma_f64 v[212:213], -v[216:217], v[26:27], v[212:213]
	ds_read2_b64 v[24:27], v75 offset0:41 offset1:42
	;; [unrolled: 4-line block ×11, first 2 shown]
	s_waitcnt lgkmcnt(0)
	v_fma_f64 v[132:133], -v[216:217], v[24:25], v[132:133]
	s_waitcnt vmcnt(60)
	v_fma_f64 v[192:193], -v[216:217], v[26:27], v[192:193]
	ds_read2_b64 v[24:27], v75 offset0:61 offset1:62
	s_waitcnt vmcnt(57) lgkmcnt(0)
	v_fma_f64 v[130:131], -v[216:217], v[24:25], v[130:131]
	s_waitcnt vmcnt(54)
	v_fma_f64 v[252:253], -v[216:217], v[26:27], v[252:253]
.LBB125_186:
	s_or_b64 exec, exec, s[2:3]
	v_cmp_eq_u32_e32 vcc, 37, v76
	s_waitcnt lgkmcnt(0)
	s_barrier
	s_and_saveexec_b64 s[2:3], vcc
	s_cbranch_execz .LBB125_189
; %bb.187:
	v_mov_b32_e32 v24, v214
	v_mov_b32_e32 v25, v215
	;; [unrolled: 1-line block ×4, first 2 shown]
	ds_write_b64 v74, v[154:155]
	ds_write2_b64 v75, v[24:25], v[26:27] offset0:38 offset1:39
	v_mov_b32_e32 v24, v212
	v_mov_b32_e32 v25, v213
	v_mov_b32_e32 v26, v150
	v_mov_b32_e32 v27, v151
	ds_write2_b64 v75, v[24:25], v[26:27] offset0:40 offset1:41
	v_mov_b32_e32 v24, v210
	v_mov_b32_e32 v25, v211
	v_mov_b32_e32 v26, v148
	v_mov_b32_e32 v27, v149
	;; [unrolled: 5-line block ×10, first 2 shown]
	ds_write2_b64 v75, v[24:25], v[26:27] offset0:58 offset1:59
	s_waitcnt vmcnt(60)
	v_mov_b32_e32 v24, v192
	v_mov_b32_e32 v25, v193
	s_waitcnt vmcnt(57)
	v_mov_b32_e32 v26, v130
	v_mov_b32_e32 v27, v131
	ds_write2_b64 v75, v[24:25], v[26:27] offset0:60 offset1:61
	s_waitcnt vmcnt(54)
	ds_write_b64 v75, v[252:253] offset:496
	ds_read_b64 v[24:25], v74
	s_waitcnt lgkmcnt(0)
	v_cmp_neq_f64_e32 vcc, 0, v[24:25]
	s_and_b64 exec, exec, vcc
	s_cbranch_execz .LBB125_189
; %bb.188:
	v_div_scale_f64 v[26:27], s[6:7], v[24:25], v[24:25], 1.0
	v_rcp_f64_e32 v[28:29], v[26:27]
	v_div_scale_f64 v[30:31], vcc, 1.0, v[24:25], 1.0
	v_fma_f64 v[32:33], -v[26:27], v[28:29], 1.0
	v_fmac_f64_e32 v[28:29], v[28:29], v[32:33]
	v_fma_f64 v[32:33], -v[26:27], v[28:29], 1.0
	v_fmac_f64_e32 v[28:29], v[28:29], v[32:33]
	v_mul_f64 v[32:33], v[30:31], v[28:29]
	v_fma_f64 v[26:27], -v[26:27], v[32:33], v[30:31]
	v_div_fmas_f64 v[26:27], v[26:27], v[28:29], v[32:33]
	v_div_fixup_f64 v[24:25], v[26:27], v[24:25], 1.0
	ds_write_b64 v74, v[24:25]
.LBB125_189:
	s_or_b64 exec, exec, s[2:3]
	s_waitcnt lgkmcnt(0)
	s_barrier
	ds_read_b64 v[24:25], v74
	v_cmp_lt_u32_e32 vcc, 37, v76
	s_and_saveexec_b64 s[2:3], vcc
	s_cbranch_execz .LBB125_191
; %bb.190:
	ds_read2_b64 v[26:29], v75 offset0:38 offset1:39
	s_waitcnt lgkmcnt(1)
	v_mul_f64 v[154:155], v[24:25], v[154:155]
	s_waitcnt lgkmcnt(0)
	v_fma_f64 v[214:215], -v[154:155], v[26:27], v[214:215]
	v_fma_f64 v[152:153], -v[154:155], v[28:29], v[152:153]
	ds_read2_b64 v[26:29], v75 offset0:40 offset1:41
	s_waitcnt lgkmcnt(0)
	v_fma_f64 v[212:213], -v[154:155], v[26:27], v[212:213]
	v_fma_f64 v[150:151], -v[154:155], v[28:29], v[150:151]
	ds_read2_b64 v[26:29], v75 offset0:42 offset1:43
	;; [unrolled: 4-line block ×11, first 2 shown]
	s_waitcnt vmcnt(60) lgkmcnt(0)
	v_fma_f64 v[192:193], -v[154:155], v[26:27], v[192:193]
	ds_read_b64 v[26:27], v75 offset:496
	s_waitcnt vmcnt(57)
	v_fma_f64 v[130:131], -v[154:155], v[28:29], v[130:131]
	s_waitcnt vmcnt(54) lgkmcnt(0)
	v_fma_f64 v[252:253], -v[154:155], v[26:27], v[252:253]
.LBB125_191:
	s_or_b64 exec, exec, s[2:3]
	v_cmp_eq_u32_e32 vcc, 38, v76
	s_waitcnt lgkmcnt(0)
	s_barrier
	s_and_saveexec_b64 s[2:3], vcc
	s_cbranch_execz .LBB125_194
; %bb.192:
	ds_write_b64 v74, v[214:215]
	ds_write2_b64 v75, v[152:153], v[212:213] offset0:39 offset1:40
	ds_write2_b64 v75, v[150:151], v[210:211] offset0:41 offset1:42
	;; [unrolled: 1-line block ×10, first 2 shown]
	s_waitcnt vmcnt(60)
	ds_write2_b64 v75, v[132:133], v[192:193] offset0:59 offset1:60
	s_waitcnt vmcnt(54)
	ds_write2_b64 v75, v[130:131], v[252:253] offset0:61 offset1:62
	ds_read_b64 v[26:27], v74
	s_waitcnt lgkmcnt(0)
	v_cmp_neq_f64_e32 vcc, 0, v[26:27]
	s_and_b64 exec, exec, vcc
	s_cbranch_execz .LBB125_194
; %bb.193:
	v_div_scale_f64 v[28:29], s[6:7], v[26:27], v[26:27], 1.0
	v_rcp_f64_e32 v[30:31], v[28:29]
	v_div_scale_f64 v[32:33], vcc, 1.0, v[26:27], 1.0
	v_fma_f64 v[34:35], -v[28:29], v[30:31], 1.0
	v_fmac_f64_e32 v[30:31], v[30:31], v[34:35]
	v_fma_f64 v[34:35], -v[28:29], v[30:31], 1.0
	v_fmac_f64_e32 v[30:31], v[30:31], v[34:35]
	v_mul_f64 v[34:35], v[32:33], v[30:31]
	v_fma_f64 v[28:29], -v[28:29], v[34:35], v[32:33]
	v_div_fmas_f64 v[28:29], v[28:29], v[30:31], v[34:35]
	v_div_fixup_f64 v[26:27], v[28:29], v[26:27], 1.0
	ds_write_b64 v74, v[26:27]
.LBB125_194:
	s_or_b64 exec, exec, s[2:3]
	s_waitcnt lgkmcnt(0)
	s_barrier
	ds_read_b64 v[26:27], v74
	v_cmp_lt_u32_e32 vcc, 38, v76
	s_and_saveexec_b64 s[2:3], vcc
	s_cbranch_execz .LBB125_196
; %bb.195:
	ds_read2_b64 v[28:31], v75 offset0:39 offset1:40
	s_waitcnt lgkmcnt(1)
	v_mul_f64 v[214:215], v[26:27], v[214:215]
	s_waitcnt lgkmcnt(0)
	v_fma_f64 v[152:153], -v[214:215], v[28:29], v[152:153]
	v_fma_f64 v[212:213], -v[214:215], v[30:31], v[212:213]
	ds_read2_b64 v[28:31], v75 offset0:41 offset1:42
	s_waitcnt lgkmcnt(0)
	v_fma_f64 v[150:151], -v[214:215], v[28:29], v[150:151]
	v_fma_f64 v[210:211], -v[214:215], v[30:31], v[210:211]
	ds_read2_b64 v[28:31], v75 offset0:43 offset1:44
	;; [unrolled: 4-line block ×10, first 2 shown]
	s_waitcnt lgkmcnt(0)
	v_fma_f64 v[132:133], -v[214:215], v[28:29], v[132:133]
	s_waitcnt vmcnt(60)
	v_fma_f64 v[192:193], -v[214:215], v[30:31], v[192:193]
	ds_read2_b64 v[28:31], v75 offset0:61 offset1:62
	s_waitcnt vmcnt(57) lgkmcnt(0)
	v_fma_f64 v[130:131], -v[214:215], v[28:29], v[130:131]
	s_waitcnt vmcnt(54)
	v_fma_f64 v[252:253], -v[214:215], v[30:31], v[252:253]
.LBB125_196:
	s_or_b64 exec, exec, s[2:3]
	v_cmp_eq_u32_e32 vcc, 39, v76
	s_waitcnt lgkmcnt(0)
	s_barrier
	s_and_saveexec_b64 s[2:3], vcc
	s_cbranch_execz .LBB125_199
; %bb.197:
	v_mov_b32_e32 v28, v212
	v_mov_b32_e32 v29, v213
	;; [unrolled: 1-line block ×4, first 2 shown]
	ds_write_b64 v74, v[152:153]
	ds_write2_b64 v75, v[28:29], v[30:31] offset0:40 offset1:41
	v_mov_b32_e32 v28, v210
	v_mov_b32_e32 v29, v211
	v_mov_b32_e32 v30, v148
	v_mov_b32_e32 v31, v149
	ds_write2_b64 v75, v[28:29], v[30:31] offset0:42 offset1:43
	v_mov_b32_e32 v28, v208
	v_mov_b32_e32 v29, v209
	v_mov_b32_e32 v30, v146
	v_mov_b32_e32 v31, v147
	;; [unrolled: 5-line block ×9, first 2 shown]
	ds_write2_b64 v75, v[28:29], v[30:31] offset0:58 offset1:59
	s_waitcnt vmcnt(60)
	v_mov_b32_e32 v28, v192
	v_mov_b32_e32 v29, v193
	s_waitcnt vmcnt(57)
	v_mov_b32_e32 v30, v130
	v_mov_b32_e32 v31, v131
	ds_write2_b64 v75, v[28:29], v[30:31] offset0:60 offset1:61
	s_waitcnt vmcnt(54)
	ds_write_b64 v75, v[252:253] offset:496
	ds_read_b64 v[28:29], v74
	s_waitcnt lgkmcnt(0)
	v_cmp_neq_f64_e32 vcc, 0, v[28:29]
	s_and_b64 exec, exec, vcc
	s_cbranch_execz .LBB125_199
; %bb.198:
	v_div_scale_f64 v[30:31], s[6:7], v[28:29], v[28:29], 1.0
	v_rcp_f64_e32 v[32:33], v[30:31]
	v_div_scale_f64 v[34:35], vcc, 1.0, v[28:29], 1.0
	v_fma_f64 v[36:37], -v[30:31], v[32:33], 1.0
	v_fmac_f64_e32 v[32:33], v[32:33], v[36:37]
	v_fma_f64 v[36:37], -v[30:31], v[32:33], 1.0
	v_fmac_f64_e32 v[32:33], v[32:33], v[36:37]
	v_mul_f64 v[36:37], v[34:35], v[32:33]
	v_fma_f64 v[30:31], -v[30:31], v[36:37], v[34:35]
	v_div_fmas_f64 v[30:31], v[30:31], v[32:33], v[36:37]
	v_div_fixup_f64 v[28:29], v[30:31], v[28:29], 1.0
	ds_write_b64 v74, v[28:29]
.LBB125_199:
	s_or_b64 exec, exec, s[2:3]
	s_waitcnt lgkmcnt(0)
	s_barrier
	ds_read_b64 v[28:29], v74
	v_cmp_lt_u32_e32 vcc, 39, v76
	s_and_saveexec_b64 s[2:3], vcc
	s_cbranch_execz .LBB125_201
; %bb.200:
	ds_read2_b64 v[30:33], v75 offset0:40 offset1:41
	s_waitcnt lgkmcnt(1)
	v_mul_f64 v[152:153], v[28:29], v[152:153]
	s_waitcnt lgkmcnt(0)
	v_fma_f64 v[212:213], -v[152:153], v[30:31], v[212:213]
	v_fma_f64 v[150:151], -v[152:153], v[32:33], v[150:151]
	ds_read2_b64 v[30:33], v75 offset0:42 offset1:43
	s_waitcnt lgkmcnt(0)
	v_fma_f64 v[210:211], -v[152:153], v[30:31], v[210:211]
	v_fma_f64 v[148:149], -v[152:153], v[32:33], v[148:149]
	ds_read2_b64 v[30:33], v75 offset0:44 offset1:45
	;; [unrolled: 4-line block ×10, first 2 shown]
	s_waitcnt vmcnt(60) lgkmcnt(0)
	v_fma_f64 v[192:193], -v[152:153], v[30:31], v[192:193]
	ds_read_b64 v[30:31], v75 offset:496
	s_waitcnt vmcnt(57)
	v_fma_f64 v[130:131], -v[152:153], v[32:33], v[130:131]
	s_waitcnt vmcnt(54) lgkmcnt(0)
	v_fma_f64 v[252:253], -v[152:153], v[30:31], v[252:253]
.LBB125_201:
	s_or_b64 exec, exec, s[2:3]
	v_cmp_eq_u32_e32 vcc, 40, v76
	s_waitcnt lgkmcnt(0)
	s_barrier
	s_and_saveexec_b64 s[2:3], vcc
	s_cbranch_execz .LBB125_204
; %bb.202:
	ds_write_b64 v74, v[212:213]
	ds_write2_b64 v75, v[150:151], v[210:211] offset0:41 offset1:42
	ds_write2_b64 v75, v[148:149], v[208:209] offset0:43 offset1:44
	;; [unrolled: 1-line block ×9, first 2 shown]
	s_waitcnt vmcnt(60)
	ds_write2_b64 v75, v[132:133], v[192:193] offset0:59 offset1:60
	s_waitcnt vmcnt(54)
	ds_write2_b64 v75, v[130:131], v[252:253] offset0:61 offset1:62
	ds_read_b64 v[30:31], v74
	s_waitcnt lgkmcnt(0)
	v_cmp_neq_f64_e32 vcc, 0, v[30:31]
	s_and_b64 exec, exec, vcc
	s_cbranch_execz .LBB125_204
; %bb.203:
	v_div_scale_f64 v[32:33], s[6:7], v[30:31], v[30:31], 1.0
	v_rcp_f64_e32 v[34:35], v[32:33]
	v_div_scale_f64 v[36:37], vcc, 1.0, v[30:31], 1.0
	v_fma_f64 v[38:39], -v[32:33], v[34:35], 1.0
	v_fmac_f64_e32 v[34:35], v[34:35], v[38:39]
	v_fma_f64 v[38:39], -v[32:33], v[34:35], 1.0
	v_fmac_f64_e32 v[34:35], v[34:35], v[38:39]
	v_mul_f64 v[38:39], v[36:37], v[34:35]
	v_fma_f64 v[32:33], -v[32:33], v[38:39], v[36:37]
	v_div_fmas_f64 v[32:33], v[32:33], v[34:35], v[38:39]
	v_div_fixup_f64 v[30:31], v[32:33], v[30:31], 1.0
	ds_write_b64 v74, v[30:31]
.LBB125_204:
	s_or_b64 exec, exec, s[2:3]
	s_waitcnt lgkmcnt(0)
	s_barrier
	ds_read_b64 v[30:31], v74
	v_cmp_lt_u32_e32 vcc, 40, v76
	s_and_saveexec_b64 s[2:3], vcc
	s_cbranch_execz .LBB125_206
; %bb.205:
	ds_read2_b64 v[32:35], v75 offset0:41 offset1:42
	s_waitcnt lgkmcnt(1)
	v_mul_f64 v[212:213], v[30:31], v[212:213]
	s_waitcnt lgkmcnt(0)
	v_fma_f64 v[150:151], -v[212:213], v[32:33], v[150:151]
	v_fma_f64 v[210:211], -v[212:213], v[34:35], v[210:211]
	ds_read2_b64 v[32:35], v75 offset0:43 offset1:44
	s_waitcnt lgkmcnt(0)
	v_fma_f64 v[148:149], -v[212:213], v[32:33], v[148:149]
	v_fma_f64 v[208:209], -v[212:213], v[34:35], v[208:209]
	ds_read2_b64 v[32:35], v75 offset0:45 offset1:46
	;; [unrolled: 4-line block ×9, first 2 shown]
	s_waitcnt lgkmcnt(0)
	v_fma_f64 v[132:133], -v[212:213], v[32:33], v[132:133]
	s_waitcnt vmcnt(60)
	v_fma_f64 v[192:193], -v[212:213], v[34:35], v[192:193]
	ds_read2_b64 v[32:35], v75 offset0:61 offset1:62
	s_waitcnt vmcnt(57) lgkmcnt(0)
	v_fma_f64 v[130:131], -v[212:213], v[32:33], v[130:131]
	s_waitcnt vmcnt(54)
	v_fma_f64 v[252:253], -v[212:213], v[34:35], v[252:253]
.LBB125_206:
	s_or_b64 exec, exec, s[2:3]
	v_cmp_eq_u32_e32 vcc, 41, v76
	s_waitcnt lgkmcnt(0)
	s_barrier
	s_and_saveexec_b64 s[2:3], vcc
	s_cbranch_execz .LBB125_209
; %bb.207:
	v_mov_b32_e32 v32, v210
	v_mov_b32_e32 v33, v211
	v_mov_b32_e32 v34, v148
	v_mov_b32_e32 v35, v149
	ds_write_b64 v74, v[150:151]
	ds_write2_b64 v75, v[32:33], v[34:35] offset0:42 offset1:43
	v_mov_b32_e32 v32, v208
	v_mov_b32_e32 v33, v209
	v_mov_b32_e32 v34, v146
	v_mov_b32_e32 v35, v147
	ds_write2_b64 v75, v[32:33], v[34:35] offset0:44 offset1:45
	v_mov_b32_e32 v32, v206
	v_mov_b32_e32 v33, v207
	v_mov_b32_e32 v34, v144
	v_mov_b32_e32 v35, v145
	ds_write2_b64 v75, v[32:33], v[34:35] offset0:46 offset1:47
	v_mov_b32_e32 v32, v204
	v_mov_b32_e32 v33, v205
	v_mov_b32_e32 v34, v142
	v_mov_b32_e32 v35, v143
	ds_write2_b64 v75, v[32:33], v[34:35] offset0:48 offset1:49
	v_mov_b32_e32 v32, v202
	v_mov_b32_e32 v33, v203
	v_mov_b32_e32 v34, v140
	v_mov_b32_e32 v35, v141
	ds_write2_b64 v75, v[32:33], v[34:35] offset0:50 offset1:51
	v_mov_b32_e32 v32, v200
	v_mov_b32_e32 v33, v201
	v_mov_b32_e32 v34, v138
	v_mov_b32_e32 v35, v139
	ds_write2_b64 v75, v[32:33], v[34:35] offset0:52 offset1:53
	v_mov_b32_e32 v32, v198
	v_mov_b32_e32 v33, v199
	v_mov_b32_e32 v34, v136
	v_mov_b32_e32 v35, v137
	ds_write2_b64 v75, v[32:33], v[34:35] offset0:54 offset1:55
	v_mov_b32_e32 v32, v196
	v_mov_b32_e32 v33, v197
	v_mov_b32_e32 v34, v134
	v_mov_b32_e32 v35, v135
	ds_write2_b64 v75, v[32:33], v[34:35] offset0:56 offset1:57
	v_mov_b32_e32 v32, v194
	v_mov_b32_e32 v33, v195
	v_mov_b32_e32 v34, v132
	v_mov_b32_e32 v35, v133
	ds_write2_b64 v75, v[32:33], v[34:35] offset0:58 offset1:59
	s_waitcnt vmcnt(60)
	v_mov_b32_e32 v32, v192
	v_mov_b32_e32 v33, v193
	s_waitcnt vmcnt(57)
	v_mov_b32_e32 v34, v130
	v_mov_b32_e32 v35, v131
	ds_write2_b64 v75, v[32:33], v[34:35] offset0:60 offset1:61
	s_waitcnt vmcnt(54)
	ds_write_b64 v75, v[252:253] offset:496
	ds_read_b64 v[32:33], v74
	s_waitcnt lgkmcnt(0)
	v_cmp_neq_f64_e32 vcc, 0, v[32:33]
	s_and_b64 exec, exec, vcc
	s_cbranch_execz .LBB125_209
; %bb.208:
	v_div_scale_f64 v[34:35], s[6:7], v[32:33], v[32:33], 1.0
	v_rcp_f64_e32 v[36:37], v[34:35]
	v_div_scale_f64 v[38:39], vcc, 1.0, v[32:33], 1.0
	v_fma_f64 v[40:41], -v[34:35], v[36:37], 1.0
	v_fmac_f64_e32 v[36:37], v[36:37], v[40:41]
	v_fma_f64 v[40:41], -v[34:35], v[36:37], 1.0
	v_fmac_f64_e32 v[36:37], v[36:37], v[40:41]
	v_mul_f64 v[40:41], v[38:39], v[36:37]
	v_fma_f64 v[34:35], -v[34:35], v[40:41], v[38:39]
	v_div_fmas_f64 v[34:35], v[34:35], v[36:37], v[40:41]
	v_div_fixup_f64 v[32:33], v[34:35], v[32:33], 1.0
	ds_write_b64 v74, v[32:33]
.LBB125_209:
	s_or_b64 exec, exec, s[2:3]
	s_waitcnt lgkmcnt(0)
	s_barrier
	ds_read_b64 v[32:33], v74
	v_cmp_lt_u32_e32 vcc, 41, v76
	s_and_saveexec_b64 s[2:3], vcc
	s_cbranch_execz .LBB125_211
; %bb.210:
	ds_read2_b64 v[34:37], v75 offset0:42 offset1:43
	s_waitcnt lgkmcnt(1)
	v_mul_f64 v[150:151], v[32:33], v[150:151]
	s_waitcnt lgkmcnt(0)
	v_fma_f64 v[210:211], -v[150:151], v[34:35], v[210:211]
	v_fma_f64 v[148:149], -v[150:151], v[36:37], v[148:149]
	ds_read2_b64 v[34:37], v75 offset0:44 offset1:45
	s_waitcnt lgkmcnt(0)
	v_fma_f64 v[208:209], -v[150:151], v[34:35], v[208:209]
	v_fma_f64 v[146:147], -v[150:151], v[36:37], v[146:147]
	ds_read2_b64 v[34:37], v75 offset0:46 offset1:47
	;; [unrolled: 4-line block ×9, first 2 shown]
	s_waitcnt vmcnt(60) lgkmcnt(0)
	v_fma_f64 v[192:193], -v[150:151], v[34:35], v[192:193]
	ds_read_b64 v[34:35], v75 offset:496
	s_waitcnt vmcnt(57)
	v_fma_f64 v[130:131], -v[150:151], v[36:37], v[130:131]
	s_waitcnt vmcnt(54) lgkmcnt(0)
	v_fma_f64 v[252:253], -v[150:151], v[34:35], v[252:253]
.LBB125_211:
	s_or_b64 exec, exec, s[2:3]
	v_cmp_eq_u32_e32 vcc, 42, v76
	s_waitcnt lgkmcnt(0)
	s_barrier
	s_and_saveexec_b64 s[2:3], vcc
	s_cbranch_execz .LBB125_214
; %bb.212:
	ds_write_b64 v74, v[210:211]
	ds_write2_b64 v75, v[148:149], v[208:209] offset0:43 offset1:44
	ds_write2_b64 v75, v[146:147], v[206:207] offset0:45 offset1:46
	;; [unrolled: 1-line block ×8, first 2 shown]
	s_waitcnt vmcnt(60)
	ds_write2_b64 v75, v[132:133], v[192:193] offset0:59 offset1:60
	s_waitcnt vmcnt(54)
	ds_write2_b64 v75, v[130:131], v[252:253] offset0:61 offset1:62
	ds_read_b64 v[34:35], v74
	s_waitcnt lgkmcnt(0)
	v_cmp_neq_f64_e32 vcc, 0, v[34:35]
	s_and_b64 exec, exec, vcc
	s_cbranch_execz .LBB125_214
; %bb.213:
	v_div_scale_f64 v[36:37], s[6:7], v[34:35], v[34:35], 1.0
	v_rcp_f64_e32 v[38:39], v[36:37]
	v_div_scale_f64 v[40:41], vcc, 1.0, v[34:35], 1.0
	v_fma_f64 v[42:43], -v[36:37], v[38:39], 1.0
	v_fmac_f64_e32 v[38:39], v[38:39], v[42:43]
	v_fma_f64 v[42:43], -v[36:37], v[38:39], 1.0
	v_fmac_f64_e32 v[38:39], v[38:39], v[42:43]
	v_mul_f64 v[42:43], v[40:41], v[38:39]
	v_fma_f64 v[36:37], -v[36:37], v[42:43], v[40:41]
	v_div_fmas_f64 v[36:37], v[36:37], v[38:39], v[42:43]
	v_div_fixup_f64 v[34:35], v[36:37], v[34:35], 1.0
	ds_write_b64 v74, v[34:35]
.LBB125_214:
	s_or_b64 exec, exec, s[2:3]
	s_waitcnt lgkmcnt(0)
	s_barrier
	ds_read_b64 v[34:35], v74
	v_cmp_lt_u32_e32 vcc, 42, v76
	s_and_saveexec_b64 s[2:3], vcc
	s_cbranch_execz .LBB125_216
; %bb.215:
	ds_read2_b64 v[36:39], v75 offset0:43 offset1:44
	s_waitcnt lgkmcnt(1)
	v_mul_f64 v[210:211], v[34:35], v[210:211]
	s_waitcnt lgkmcnt(0)
	v_fma_f64 v[148:149], -v[210:211], v[36:37], v[148:149]
	v_fma_f64 v[208:209], -v[210:211], v[38:39], v[208:209]
	ds_read2_b64 v[36:39], v75 offset0:45 offset1:46
	s_waitcnt lgkmcnt(0)
	v_fma_f64 v[146:147], -v[210:211], v[36:37], v[146:147]
	v_fma_f64 v[206:207], -v[210:211], v[38:39], v[206:207]
	ds_read2_b64 v[36:39], v75 offset0:47 offset1:48
	;; [unrolled: 4-line block ×8, first 2 shown]
	s_waitcnt lgkmcnt(0)
	v_fma_f64 v[132:133], -v[210:211], v[36:37], v[132:133]
	s_waitcnt vmcnt(60)
	v_fma_f64 v[192:193], -v[210:211], v[38:39], v[192:193]
	ds_read2_b64 v[36:39], v75 offset0:61 offset1:62
	s_waitcnt vmcnt(57) lgkmcnt(0)
	v_fma_f64 v[130:131], -v[210:211], v[36:37], v[130:131]
	s_waitcnt vmcnt(54)
	v_fma_f64 v[252:253], -v[210:211], v[38:39], v[252:253]
.LBB125_216:
	s_or_b64 exec, exec, s[2:3]
	v_cmp_eq_u32_e32 vcc, 43, v76
	s_waitcnt lgkmcnt(0)
	s_barrier
	s_and_saveexec_b64 s[2:3], vcc
	s_cbranch_execz .LBB125_219
; %bb.217:
	v_mov_b32_e32 v36, v208
	v_mov_b32_e32 v37, v209
	;; [unrolled: 1-line block ×4, first 2 shown]
	ds_write_b64 v74, v[148:149]
	ds_write2_b64 v75, v[36:37], v[38:39] offset0:44 offset1:45
	v_mov_b32_e32 v36, v206
	v_mov_b32_e32 v37, v207
	v_mov_b32_e32 v38, v144
	v_mov_b32_e32 v39, v145
	ds_write2_b64 v75, v[36:37], v[38:39] offset0:46 offset1:47
	v_mov_b32_e32 v36, v204
	v_mov_b32_e32 v37, v205
	v_mov_b32_e32 v38, v142
	v_mov_b32_e32 v39, v143
	;; [unrolled: 5-line block ×7, first 2 shown]
	ds_write2_b64 v75, v[36:37], v[38:39] offset0:58 offset1:59
	s_waitcnt vmcnt(60)
	v_mov_b32_e32 v36, v192
	v_mov_b32_e32 v37, v193
	s_waitcnt vmcnt(57)
	v_mov_b32_e32 v38, v130
	v_mov_b32_e32 v39, v131
	ds_write2_b64 v75, v[36:37], v[38:39] offset0:60 offset1:61
	s_waitcnt vmcnt(54)
	ds_write_b64 v75, v[252:253] offset:496
	ds_read_b64 v[36:37], v74
	s_waitcnt lgkmcnt(0)
	v_cmp_neq_f64_e32 vcc, 0, v[36:37]
	s_and_b64 exec, exec, vcc
	s_cbranch_execz .LBB125_219
; %bb.218:
	v_div_scale_f64 v[38:39], s[6:7], v[36:37], v[36:37], 1.0
	v_rcp_f64_e32 v[40:41], v[38:39]
	v_div_scale_f64 v[42:43], vcc, 1.0, v[36:37], 1.0
	v_fma_f64 v[44:45], -v[38:39], v[40:41], 1.0
	v_fmac_f64_e32 v[40:41], v[40:41], v[44:45]
	v_fma_f64 v[44:45], -v[38:39], v[40:41], 1.0
	v_fmac_f64_e32 v[40:41], v[40:41], v[44:45]
	v_mul_f64 v[44:45], v[42:43], v[40:41]
	v_fma_f64 v[38:39], -v[38:39], v[44:45], v[42:43]
	v_div_fmas_f64 v[38:39], v[38:39], v[40:41], v[44:45]
	v_div_fixup_f64 v[36:37], v[38:39], v[36:37], 1.0
	ds_write_b64 v74, v[36:37]
.LBB125_219:
	s_or_b64 exec, exec, s[2:3]
	s_waitcnt lgkmcnt(0)
	s_barrier
	ds_read_b64 v[36:37], v74
	v_cmp_lt_u32_e32 vcc, 43, v76
	s_and_saveexec_b64 s[2:3], vcc
	s_cbranch_execz .LBB125_221
; %bb.220:
	ds_read2_b64 v[38:41], v75 offset0:44 offset1:45
	s_waitcnt lgkmcnt(1)
	v_mul_f64 v[148:149], v[36:37], v[148:149]
	s_waitcnt lgkmcnt(0)
	v_fma_f64 v[208:209], -v[148:149], v[38:39], v[208:209]
	v_fma_f64 v[146:147], -v[148:149], v[40:41], v[146:147]
	ds_read2_b64 v[38:41], v75 offset0:46 offset1:47
	s_waitcnt lgkmcnt(0)
	v_fma_f64 v[206:207], -v[148:149], v[38:39], v[206:207]
	v_fma_f64 v[144:145], -v[148:149], v[40:41], v[144:145]
	ds_read2_b64 v[38:41], v75 offset0:48 offset1:49
	;; [unrolled: 4-line block ×8, first 2 shown]
	s_waitcnt vmcnt(60) lgkmcnt(0)
	v_fma_f64 v[192:193], -v[148:149], v[38:39], v[192:193]
	ds_read_b64 v[38:39], v75 offset:496
	s_waitcnt vmcnt(57)
	v_fma_f64 v[130:131], -v[148:149], v[40:41], v[130:131]
	s_waitcnt vmcnt(54) lgkmcnt(0)
	v_fma_f64 v[252:253], -v[148:149], v[38:39], v[252:253]
.LBB125_221:
	s_or_b64 exec, exec, s[2:3]
	v_cmp_eq_u32_e32 vcc, 44, v76
	s_waitcnt lgkmcnt(0)
	s_barrier
	s_and_saveexec_b64 s[2:3], vcc
	s_cbranch_execz .LBB125_224
; %bb.222:
	ds_write_b64 v74, v[208:209]
	ds_write2_b64 v75, v[146:147], v[206:207] offset0:45 offset1:46
	ds_write2_b64 v75, v[144:145], v[204:205] offset0:47 offset1:48
	;; [unrolled: 1-line block ×7, first 2 shown]
	s_waitcnt vmcnt(60)
	ds_write2_b64 v75, v[132:133], v[192:193] offset0:59 offset1:60
	s_waitcnt vmcnt(54)
	ds_write2_b64 v75, v[130:131], v[252:253] offset0:61 offset1:62
	ds_read_b64 v[38:39], v74
	s_waitcnt lgkmcnt(0)
	v_cmp_neq_f64_e32 vcc, 0, v[38:39]
	s_and_b64 exec, exec, vcc
	s_cbranch_execz .LBB125_224
; %bb.223:
	v_div_scale_f64 v[40:41], s[6:7], v[38:39], v[38:39], 1.0
	v_rcp_f64_e32 v[42:43], v[40:41]
	v_div_scale_f64 v[44:45], vcc, 1.0, v[38:39], 1.0
	v_fma_f64 v[46:47], -v[40:41], v[42:43], 1.0
	v_fmac_f64_e32 v[42:43], v[42:43], v[46:47]
	v_fma_f64 v[46:47], -v[40:41], v[42:43], 1.0
	v_fmac_f64_e32 v[42:43], v[42:43], v[46:47]
	v_mul_f64 v[46:47], v[44:45], v[42:43]
	v_fma_f64 v[40:41], -v[40:41], v[46:47], v[44:45]
	v_div_fmas_f64 v[40:41], v[40:41], v[42:43], v[46:47]
	v_div_fixup_f64 v[38:39], v[40:41], v[38:39], 1.0
	ds_write_b64 v74, v[38:39]
.LBB125_224:
	s_or_b64 exec, exec, s[2:3]
	s_waitcnt lgkmcnt(0)
	s_barrier
	ds_read_b64 v[38:39], v74
	v_cmp_lt_u32_e32 vcc, 44, v76
	s_and_saveexec_b64 s[2:3], vcc
	s_cbranch_execz .LBB125_226
; %bb.225:
	ds_read2_b64 v[40:43], v75 offset0:45 offset1:46
	s_waitcnt lgkmcnt(1)
	v_mul_f64 v[208:209], v[38:39], v[208:209]
	s_waitcnt lgkmcnt(0)
	v_fma_f64 v[146:147], -v[208:209], v[40:41], v[146:147]
	v_fma_f64 v[206:207], -v[208:209], v[42:43], v[206:207]
	ds_read2_b64 v[40:43], v75 offset0:47 offset1:48
	s_waitcnt lgkmcnt(0)
	v_fma_f64 v[144:145], -v[208:209], v[40:41], v[144:145]
	v_fma_f64 v[204:205], -v[208:209], v[42:43], v[204:205]
	ds_read2_b64 v[40:43], v75 offset0:49 offset1:50
	;; [unrolled: 4-line block ×7, first 2 shown]
	s_waitcnt lgkmcnt(0)
	v_fma_f64 v[132:133], -v[208:209], v[40:41], v[132:133]
	s_waitcnt vmcnt(60)
	v_fma_f64 v[192:193], -v[208:209], v[42:43], v[192:193]
	ds_read2_b64 v[40:43], v75 offset0:61 offset1:62
	s_waitcnt vmcnt(57) lgkmcnt(0)
	v_fma_f64 v[130:131], -v[208:209], v[40:41], v[130:131]
	s_waitcnt vmcnt(54)
	v_fma_f64 v[252:253], -v[208:209], v[42:43], v[252:253]
.LBB125_226:
	s_or_b64 exec, exec, s[2:3]
	v_cmp_eq_u32_e32 vcc, 45, v76
	s_waitcnt lgkmcnt(0)
	s_barrier
	s_and_saveexec_b64 s[2:3], vcc
	s_cbranch_execz .LBB125_229
; %bb.227:
	v_mov_b32_e32 v40, v206
	v_mov_b32_e32 v41, v207
	;; [unrolled: 1-line block ×4, first 2 shown]
	ds_write_b64 v74, v[146:147]
	ds_write2_b64 v75, v[40:41], v[42:43] offset0:46 offset1:47
	v_mov_b32_e32 v40, v204
	v_mov_b32_e32 v41, v205
	v_mov_b32_e32 v42, v142
	v_mov_b32_e32 v43, v143
	ds_write2_b64 v75, v[40:41], v[42:43] offset0:48 offset1:49
	v_mov_b32_e32 v40, v202
	v_mov_b32_e32 v41, v203
	v_mov_b32_e32 v42, v140
	v_mov_b32_e32 v43, v141
	;; [unrolled: 5-line block ×6, first 2 shown]
	ds_write2_b64 v75, v[40:41], v[42:43] offset0:58 offset1:59
	s_waitcnt vmcnt(60)
	v_mov_b32_e32 v40, v192
	v_mov_b32_e32 v41, v193
	s_waitcnt vmcnt(57)
	v_mov_b32_e32 v42, v130
	v_mov_b32_e32 v43, v131
	ds_write2_b64 v75, v[40:41], v[42:43] offset0:60 offset1:61
	s_waitcnt vmcnt(54)
	ds_write_b64 v75, v[252:253] offset:496
	ds_read_b64 v[40:41], v74
	s_waitcnt lgkmcnt(0)
	v_cmp_neq_f64_e32 vcc, 0, v[40:41]
	s_and_b64 exec, exec, vcc
	s_cbranch_execz .LBB125_229
; %bb.228:
	v_div_scale_f64 v[42:43], s[6:7], v[40:41], v[40:41], 1.0
	v_rcp_f64_e32 v[44:45], v[42:43]
	v_div_scale_f64 v[46:47], vcc, 1.0, v[40:41], 1.0
	v_fma_f64 v[48:49], -v[42:43], v[44:45], 1.0
	v_fmac_f64_e32 v[44:45], v[44:45], v[48:49]
	v_fma_f64 v[48:49], -v[42:43], v[44:45], 1.0
	v_fmac_f64_e32 v[44:45], v[44:45], v[48:49]
	v_mul_f64 v[48:49], v[46:47], v[44:45]
	v_fma_f64 v[42:43], -v[42:43], v[48:49], v[46:47]
	v_div_fmas_f64 v[42:43], v[42:43], v[44:45], v[48:49]
	v_div_fixup_f64 v[40:41], v[42:43], v[40:41], 1.0
	ds_write_b64 v74, v[40:41]
.LBB125_229:
	s_or_b64 exec, exec, s[2:3]
	s_waitcnt lgkmcnt(0)
	s_barrier
	ds_read_b64 v[40:41], v74
	v_cmp_lt_u32_e32 vcc, 45, v76
	s_and_saveexec_b64 s[2:3], vcc
	s_cbranch_execz .LBB125_231
; %bb.230:
	ds_read2_b64 v[42:45], v75 offset0:46 offset1:47
	s_waitcnt lgkmcnt(1)
	v_mul_f64 v[146:147], v[40:41], v[146:147]
	s_waitcnt lgkmcnt(0)
	v_fma_f64 v[206:207], -v[146:147], v[42:43], v[206:207]
	v_fma_f64 v[144:145], -v[146:147], v[44:45], v[144:145]
	ds_read2_b64 v[42:45], v75 offset0:48 offset1:49
	s_waitcnt lgkmcnt(0)
	v_fma_f64 v[204:205], -v[146:147], v[42:43], v[204:205]
	v_fma_f64 v[142:143], -v[146:147], v[44:45], v[142:143]
	ds_read2_b64 v[42:45], v75 offset0:50 offset1:51
	;; [unrolled: 4-line block ×7, first 2 shown]
	s_waitcnt vmcnt(60) lgkmcnt(0)
	v_fma_f64 v[192:193], -v[146:147], v[42:43], v[192:193]
	ds_read_b64 v[42:43], v75 offset:496
	s_waitcnt vmcnt(57)
	v_fma_f64 v[130:131], -v[146:147], v[44:45], v[130:131]
	s_waitcnt vmcnt(54) lgkmcnt(0)
	v_fma_f64 v[252:253], -v[146:147], v[42:43], v[252:253]
.LBB125_231:
	s_or_b64 exec, exec, s[2:3]
	v_cmp_eq_u32_e32 vcc, 46, v76
	s_waitcnt lgkmcnt(0)
	s_barrier
	s_and_saveexec_b64 s[2:3], vcc
	s_cbranch_execz .LBB125_234
; %bb.232:
	ds_write_b64 v74, v[206:207]
	ds_write2_b64 v75, v[144:145], v[204:205] offset0:47 offset1:48
	ds_write2_b64 v75, v[142:143], v[202:203] offset0:49 offset1:50
	;; [unrolled: 1-line block ×6, first 2 shown]
	s_waitcnt vmcnt(60)
	ds_write2_b64 v75, v[132:133], v[192:193] offset0:59 offset1:60
	s_waitcnt vmcnt(54)
	ds_write2_b64 v75, v[130:131], v[252:253] offset0:61 offset1:62
	ds_read_b64 v[42:43], v74
	s_waitcnt lgkmcnt(0)
	v_cmp_neq_f64_e32 vcc, 0, v[42:43]
	s_and_b64 exec, exec, vcc
	s_cbranch_execz .LBB125_234
; %bb.233:
	v_div_scale_f64 v[44:45], s[6:7], v[42:43], v[42:43], 1.0
	v_rcp_f64_e32 v[46:47], v[44:45]
	v_div_scale_f64 v[48:49], vcc, 1.0, v[42:43], 1.0
	v_fma_f64 v[50:51], -v[44:45], v[46:47], 1.0
	v_fmac_f64_e32 v[46:47], v[46:47], v[50:51]
	v_fma_f64 v[50:51], -v[44:45], v[46:47], 1.0
	v_fmac_f64_e32 v[46:47], v[46:47], v[50:51]
	v_mul_f64 v[50:51], v[48:49], v[46:47]
	v_fma_f64 v[44:45], -v[44:45], v[50:51], v[48:49]
	v_div_fmas_f64 v[44:45], v[44:45], v[46:47], v[50:51]
	v_div_fixup_f64 v[42:43], v[44:45], v[42:43], 1.0
	ds_write_b64 v74, v[42:43]
.LBB125_234:
	s_or_b64 exec, exec, s[2:3]
	s_waitcnt lgkmcnt(0)
	s_barrier
	ds_read_b64 v[42:43], v74
	v_cmp_lt_u32_e32 vcc, 46, v76
	s_and_saveexec_b64 s[2:3], vcc
	s_cbranch_execz .LBB125_236
; %bb.235:
	ds_read2_b64 v[44:47], v75 offset0:47 offset1:48
	s_waitcnt lgkmcnt(1)
	v_mul_f64 v[206:207], v[42:43], v[206:207]
	s_waitcnt lgkmcnt(0)
	v_fma_f64 v[144:145], -v[206:207], v[44:45], v[144:145]
	v_fma_f64 v[204:205], -v[206:207], v[46:47], v[204:205]
	ds_read2_b64 v[44:47], v75 offset0:49 offset1:50
	s_waitcnt lgkmcnt(0)
	v_fma_f64 v[142:143], -v[206:207], v[44:45], v[142:143]
	v_fma_f64 v[202:203], -v[206:207], v[46:47], v[202:203]
	ds_read2_b64 v[44:47], v75 offset0:51 offset1:52
	;; [unrolled: 4-line block ×6, first 2 shown]
	s_waitcnt lgkmcnt(0)
	v_fma_f64 v[132:133], -v[206:207], v[44:45], v[132:133]
	s_waitcnt vmcnt(60)
	v_fma_f64 v[192:193], -v[206:207], v[46:47], v[192:193]
	ds_read2_b64 v[44:47], v75 offset0:61 offset1:62
	s_waitcnt vmcnt(57) lgkmcnt(0)
	v_fma_f64 v[130:131], -v[206:207], v[44:45], v[130:131]
	s_waitcnt vmcnt(54)
	v_fma_f64 v[252:253], -v[206:207], v[46:47], v[252:253]
.LBB125_236:
	s_or_b64 exec, exec, s[2:3]
	v_cmp_eq_u32_e32 vcc, 47, v76
	s_waitcnt lgkmcnt(0)
	s_barrier
	s_and_saveexec_b64 s[2:3], vcc
	s_cbranch_execz .LBB125_239
; %bb.237:
	v_mov_b32_e32 v44, v204
	v_mov_b32_e32 v45, v205
	;; [unrolled: 1-line block ×4, first 2 shown]
	ds_write_b64 v74, v[144:145]
	ds_write2_b64 v75, v[44:45], v[46:47] offset0:48 offset1:49
	v_mov_b32_e32 v44, v202
	v_mov_b32_e32 v45, v203
	v_mov_b32_e32 v46, v140
	v_mov_b32_e32 v47, v141
	ds_write2_b64 v75, v[44:45], v[46:47] offset0:50 offset1:51
	v_mov_b32_e32 v44, v200
	v_mov_b32_e32 v45, v201
	v_mov_b32_e32 v46, v138
	v_mov_b32_e32 v47, v139
	;; [unrolled: 5-line block ×5, first 2 shown]
	ds_write2_b64 v75, v[44:45], v[46:47] offset0:58 offset1:59
	s_waitcnt vmcnt(60)
	v_mov_b32_e32 v44, v192
	v_mov_b32_e32 v45, v193
	s_waitcnt vmcnt(57)
	v_mov_b32_e32 v46, v130
	v_mov_b32_e32 v47, v131
	ds_write2_b64 v75, v[44:45], v[46:47] offset0:60 offset1:61
	s_waitcnt vmcnt(54)
	ds_write_b64 v75, v[252:253] offset:496
	ds_read_b64 v[44:45], v74
	s_waitcnt lgkmcnt(0)
	v_cmp_neq_f64_e32 vcc, 0, v[44:45]
	s_and_b64 exec, exec, vcc
	s_cbranch_execz .LBB125_239
; %bb.238:
	v_div_scale_f64 v[46:47], s[6:7], v[44:45], v[44:45], 1.0
	v_rcp_f64_e32 v[48:49], v[46:47]
	v_div_scale_f64 v[50:51], vcc, 1.0, v[44:45], 1.0
	v_fma_f64 v[52:53], -v[46:47], v[48:49], 1.0
	v_fmac_f64_e32 v[48:49], v[48:49], v[52:53]
	v_fma_f64 v[52:53], -v[46:47], v[48:49], 1.0
	v_fmac_f64_e32 v[48:49], v[48:49], v[52:53]
	v_mul_f64 v[52:53], v[50:51], v[48:49]
	v_fma_f64 v[46:47], -v[46:47], v[52:53], v[50:51]
	v_div_fmas_f64 v[46:47], v[46:47], v[48:49], v[52:53]
	v_div_fixup_f64 v[44:45], v[46:47], v[44:45], 1.0
	ds_write_b64 v74, v[44:45]
.LBB125_239:
	s_or_b64 exec, exec, s[2:3]
	s_waitcnt lgkmcnt(0)
	s_barrier
	ds_read_b64 v[44:45], v74
	v_cmp_lt_u32_e32 vcc, 47, v76
	s_and_saveexec_b64 s[2:3], vcc
	s_cbranch_execz .LBB125_241
; %bb.240:
	ds_read2_b64 v[46:49], v75 offset0:48 offset1:49
	s_waitcnt lgkmcnt(1)
	v_mul_f64 v[144:145], v[44:45], v[144:145]
	s_waitcnt lgkmcnt(0)
	v_fma_f64 v[204:205], -v[144:145], v[46:47], v[204:205]
	v_fma_f64 v[142:143], -v[144:145], v[48:49], v[142:143]
	ds_read2_b64 v[46:49], v75 offset0:50 offset1:51
	s_waitcnt lgkmcnt(0)
	v_fma_f64 v[202:203], -v[144:145], v[46:47], v[202:203]
	v_fma_f64 v[140:141], -v[144:145], v[48:49], v[140:141]
	ds_read2_b64 v[46:49], v75 offset0:52 offset1:53
	;; [unrolled: 4-line block ×6, first 2 shown]
	s_waitcnt vmcnt(60) lgkmcnt(0)
	v_fma_f64 v[192:193], -v[144:145], v[46:47], v[192:193]
	ds_read_b64 v[46:47], v75 offset:496
	s_waitcnt vmcnt(57)
	v_fma_f64 v[130:131], -v[144:145], v[48:49], v[130:131]
	s_waitcnt vmcnt(54) lgkmcnt(0)
	v_fma_f64 v[252:253], -v[144:145], v[46:47], v[252:253]
.LBB125_241:
	s_or_b64 exec, exec, s[2:3]
	v_cmp_eq_u32_e32 vcc, 48, v76
	s_waitcnt lgkmcnt(0)
	s_barrier
	s_and_saveexec_b64 s[2:3], vcc
	s_cbranch_execz .LBB125_244
; %bb.242:
	ds_write_b64 v74, v[204:205]
	ds_write2_b64 v75, v[142:143], v[202:203] offset0:49 offset1:50
	ds_write2_b64 v75, v[140:141], v[200:201] offset0:51 offset1:52
	;; [unrolled: 1-line block ×5, first 2 shown]
	s_waitcnt vmcnt(60)
	ds_write2_b64 v75, v[132:133], v[192:193] offset0:59 offset1:60
	s_waitcnt vmcnt(54)
	ds_write2_b64 v75, v[130:131], v[252:253] offset0:61 offset1:62
	ds_read_b64 v[46:47], v74
	s_waitcnt lgkmcnt(0)
	v_cmp_neq_f64_e32 vcc, 0, v[46:47]
	s_and_b64 exec, exec, vcc
	s_cbranch_execz .LBB125_244
; %bb.243:
	v_div_scale_f64 v[48:49], s[6:7], v[46:47], v[46:47], 1.0
	v_rcp_f64_e32 v[50:51], v[48:49]
	v_div_scale_f64 v[52:53], vcc, 1.0, v[46:47], 1.0
	v_fma_f64 v[54:55], -v[48:49], v[50:51], 1.0
	v_fmac_f64_e32 v[50:51], v[50:51], v[54:55]
	v_fma_f64 v[54:55], -v[48:49], v[50:51], 1.0
	v_fmac_f64_e32 v[50:51], v[50:51], v[54:55]
	v_mul_f64 v[54:55], v[52:53], v[50:51]
	v_fma_f64 v[48:49], -v[48:49], v[54:55], v[52:53]
	v_div_fmas_f64 v[48:49], v[48:49], v[50:51], v[54:55]
	v_div_fixup_f64 v[46:47], v[48:49], v[46:47], 1.0
	ds_write_b64 v74, v[46:47]
.LBB125_244:
	s_or_b64 exec, exec, s[2:3]
	s_waitcnt lgkmcnt(0)
	s_barrier
	ds_read_b64 v[46:47], v74
	v_cmp_lt_u32_e32 vcc, 48, v76
	s_and_saveexec_b64 s[2:3], vcc
	s_cbranch_execz .LBB125_246
; %bb.245:
	ds_read2_b64 v[48:51], v75 offset0:49 offset1:50
	s_waitcnt lgkmcnt(1)
	v_mul_f64 v[204:205], v[46:47], v[204:205]
	s_waitcnt lgkmcnt(0)
	v_fma_f64 v[142:143], -v[204:205], v[48:49], v[142:143]
	v_fma_f64 v[202:203], -v[204:205], v[50:51], v[202:203]
	ds_read2_b64 v[48:51], v75 offset0:51 offset1:52
	s_waitcnt lgkmcnt(0)
	v_fma_f64 v[140:141], -v[204:205], v[48:49], v[140:141]
	v_fma_f64 v[200:201], -v[204:205], v[50:51], v[200:201]
	ds_read2_b64 v[48:51], v75 offset0:53 offset1:54
	;; [unrolled: 4-line block ×5, first 2 shown]
	s_waitcnt lgkmcnt(0)
	v_fma_f64 v[132:133], -v[204:205], v[48:49], v[132:133]
	s_waitcnt vmcnt(60)
	v_fma_f64 v[192:193], -v[204:205], v[50:51], v[192:193]
	ds_read2_b64 v[48:51], v75 offset0:61 offset1:62
	s_waitcnt vmcnt(57) lgkmcnt(0)
	v_fma_f64 v[130:131], -v[204:205], v[48:49], v[130:131]
	s_waitcnt vmcnt(54)
	v_fma_f64 v[252:253], -v[204:205], v[50:51], v[252:253]
.LBB125_246:
	s_or_b64 exec, exec, s[2:3]
	v_cmp_eq_u32_e32 vcc, 49, v76
	s_waitcnt lgkmcnt(0)
	s_barrier
	s_and_saveexec_b64 s[2:3], vcc
	s_cbranch_execz .LBB125_249
; %bb.247:
	v_mov_b32_e32 v48, v202
	v_mov_b32_e32 v49, v203
	;; [unrolled: 1-line block ×4, first 2 shown]
	ds_write_b64 v74, v[142:143]
	ds_write2_b64 v75, v[48:49], v[50:51] offset0:50 offset1:51
	v_mov_b32_e32 v48, v200
	v_mov_b32_e32 v49, v201
	v_mov_b32_e32 v50, v138
	v_mov_b32_e32 v51, v139
	ds_write2_b64 v75, v[48:49], v[50:51] offset0:52 offset1:53
	v_mov_b32_e32 v48, v198
	v_mov_b32_e32 v49, v199
	v_mov_b32_e32 v50, v136
	v_mov_b32_e32 v51, v137
	;; [unrolled: 5-line block ×4, first 2 shown]
	ds_write2_b64 v75, v[48:49], v[50:51] offset0:58 offset1:59
	s_waitcnt vmcnt(60)
	v_mov_b32_e32 v48, v192
	v_mov_b32_e32 v49, v193
	s_waitcnt vmcnt(57)
	v_mov_b32_e32 v50, v130
	v_mov_b32_e32 v51, v131
	ds_write2_b64 v75, v[48:49], v[50:51] offset0:60 offset1:61
	s_waitcnt vmcnt(54)
	ds_write_b64 v75, v[252:253] offset:496
	ds_read_b64 v[48:49], v74
	s_waitcnt lgkmcnt(0)
	v_cmp_neq_f64_e32 vcc, 0, v[48:49]
	s_and_b64 exec, exec, vcc
	s_cbranch_execz .LBB125_249
; %bb.248:
	v_div_scale_f64 v[50:51], s[6:7], v[48:49], v[48:49], 1.0
	v_rcp_f64_e32 v[52:53], v[50:51]
	v_div_scale_f64 v[54:55], vcc, 1.0, v[48:49], 1.0
	v_fma_f64 v[56:57], -v[50:51], v[52:53], 1.0
	v_fmac_f64_e32 v[52:53], v[52:53], v[56:57]
	v_fma_f64 v[56:57], -v[50:51], v[52:53], 1.0
	v_fmac_f64_e32 v[52:53], v[52:53], v[56:57]
	v_mul_f64 v[56:57], v[54:55], v[52:53]
	v_fma_f64 v[50:51], -v[50:51], v[56:57], v[54:55]
	v_div_fmas_f64 v[50:51], v[50:51], v[52:53], v[56:57]
	v_div_fixup_f64 v[48:49], v[50:51], v[48:49], 1.0
	ds_write_b64 v74, v[48:49]
.LBB125_249:
	s_or_b64 exec, exec, s[2:3]
	s_waitcnt lgkmcnt(0)
	s_barrier
	ds_read_b64 v[48:49], v74
	v_cmp_lt_u32_e32 vcc, 49, v76
	s_and_saveexec_b64 s[2:3], vcc
	s_cbranch_execz .LBB125_251
; %bb.250:
	ds_read2_b64 v[50:53], v75 offset0:50 offset1:51
	s_waitcnt lgkmcnt(1)
	v_mul_f64 v[142:143], v[48:49], v[142:143]
	s_waitcnt lgkmcnt(0)
	v_fma_f64 v[202:203], -v[142:143], v[50:51], v[202:203]
	v_fma_f64 v[140:141], -v[142:143], v[52:53], v[140:141]
	ds_read2_b64 v[50:53], v75 offset0:52 offset1:53
	s_waitcnt lgkmcnt(0)
	v_fma_f64 v[200:201], -v[142:143], v[50:51], v[200:201]
	v_fma_f64 v[138:139], -v[142:143], v[52:53], v[138:139]
	ds_read2_b64 v[50:53], v75 offset0:54 offset1:55
	;; [unrolled: 4-line block ×5, first 2 shown]
	s_waitcnt vmcnt(60) lgkmcnt(0)
	v_fma_f64 v[192:193], -v[142:143], v[50:51], v[192:193]
	ds_read_b64 v[50:51], v75 offset:496
	s_waitcnt vmcnt(57)
	v_fma_f64 v[130:131], -v[142:143], v[52:53], v[130:131]
	s_waitcnt vmcnt(54) lgkmcnt(0)
	v_fma_f64 v[252:253], -v[142:143], v[50:51], v[252:253]
.LBB125_251:
	s_or_b64 exec, exec, s[2:3]
	v_cmp_eq_u32_e32 vcc, 50, v76
	s_waitcnt lgkmcnt(0)
	s_barrier
	s_and_saveexec_b64 s[2:3], vcc
	s_cbranch_execz .LBB125_254
; %bb.252:
	ds_write_b64 v74, v[202:203]
	ds_write2_b64 v75, v[140:141], v[200:201] offset0:51 offset1:52
	ds_write2_b64 v75, v[138:139], v[198:199] offset0:53 offset1:54
	;; [unrolled: 1-line block ×4, first 2 shown]
	s_waitcnt vmcnt(60)
	ds_write2_b64 v75, v[132:133], v[192:193] offset0:59 offset1:60
	s_waitcnt vmcnt(54)
	ds_write2_b64 v75, v[130:131], v[252:253] offset0:61 offset1:62
	ds_read_b64 v[50:51], v74
	s_waitcnt lgkmcnt(0)
	v_cmp_neq_f64_e32 vcc, 0, v[50:51]
	s_and_b64 exec, exec, vcc
	s_cbranch_execz .LBB125_254
; %bb.253:
	v_div_scale_f64 v[52:53], s[6:7], v[50:51], v[50:51], 1.0
	v_rcp_f64_e32 v[54:55], v[52:53]
	v_div_scale_f64 v[56:57], vcc, 1.0, v[50:51], 1.0
	v_fma_f64 v[58:59], -v[52:53], v[54:55], 1.0
	v_fmac_f64_e32 v[54:55], v[54:55], v[58:59]
	v_fma_f64 v[58:59], -v[52:53], v[54:55], 1.0
	v_fmac_f64_e32 v[54:55], v[54:55], v[58:59]
	v_mul_f64 v[58:59], v[56:57], v[54:55]
	v_fma_f64 v[52:53], -v[52:53], v[58:59], v[56:57]
	v_div_fmas_f64 v[52:53], v[52:53], v[54:55], v[58:59]
	v_div_fixup_f64 v[50:51], v[52:53], v[50:51], 1.0
	ds_write_b64 v74, v[50:51]
.LBB125_254:
	s_or_b64 exec, exec, s[2:3]
	s_waitcnt lgkmcnt(0)
	s_barrier
	ds_read_b64 v[50:51], v74
	v_cmp_lt_u32_e32 vcc, 50, v76
	s_and_saveexec_b64 s[2:3], vcc
	s_cbranch_execz .LBB125_256
; %bb.255:
	ds_read2_b64 v[52:55], v75 offset0:51 offset1:52
	s_waitcnt lgkmcnt(1)
	v_mul_f64 v[202:203], v[50:51], v[202:203]
	s_waitcnt lgkmcnt(0)
	v_fma_f64 v[140:141], -v[202:203], v[52:53], v[140:141]
	v_fma_f64 v[200:201], -v[202:203], v[54:55], v[200:201]
	ds_read2_b64 v[52:55], v75 offset0:53 offset1:54
	s_waitcnt lgkmcnt(0)
	v_fma_f64 v[138:139], -v[202:203], v[52:53], v[138:139]
	v_fma_f64 v[198:199], -v[202:203], v[54:55], v[198:199]
	ds_read2_b64 v[52:55], v75 offset0:55 offset1:56
	;; [unrolled: 4-line block ×4, first 2 shown]
	s_waitcnt lgkmcnt(0)
	v_fma_f64 v[132:133], -v[202:203], v[52:53], v[132:133]
	s_waitcnt vmcnt(60)
	v_fma_f64 v[192:193], -v[202:203], v[54:55], v[192:193]
	ds_read2_b64 v[52:55], v75 offset0:61 offset1:62
	s_waitcnt vmcnt(57) lgkmcnt(0)
	v_fma_f64 v[130:131], -v[202:203], v[52:53], v[130:131]
	s_waitcnt vmcnt(54)
	v_fma_f64 v[252:253], -v[202:203], v[54:55], v[252:253]
.LBB125_256:
	s_or_b64 exec, exec, s[2:3]
	v_cmp_eq_u32_e32 vcc, 51, v76
	s_waitcnt lgkmcnt(0)
	s_barrier
	s_and_saveexec_b64 s[2:3], vcc
	s_cbranch_execz .LBB125_259
; %bb.257:
	v_mov_b32_e32 v52, v200
	v_mov_b32_e32 v53, v201
	;; [unrolled: 1-line block ×4, first 2 shown]
	ds_write_b64 v74, v[140:141]
	ds_write2_b64 v75, v[52:53], v[54:55] offset0:52 offset1:53
	v_mov_b32_e32 v52, v198
	v_mov_b32_e32 v53, v199
	v_mov_b32_e32 v54, v136
	v_mov_b32_e32 v55, v137
	ds_write2_b64 v75, v[52:53], v[54:55] offset0:54 offset1:55
	v_mov_b32_e32 v52, v196
	v_mov_b32_e32 v53, v197
	v_mov_b32_e32 v54, v134
	v_mov_b32_e32 v55, v135
	;; [unrolled: 5-line block ×3, first 2 shown]
	ds_write2_b64 v75, v[52:53], v[54:55] offset0:58 offset1:59
	s_waitcnt vmcnt(60)
	v_mov_b32_e32 v52, v192
	v_mov_b32_e32 v53, v193
	s_waitcnt vmcnt(57)
	v_mov_b32_e32 v54, v130
	v_mov_b32_e32 v55, v131
	ds_write2_b64 v75, v[52:53], v[54:55] offset0:60 offset1:61
	s_waitcnt vmcnt(54)
	ds_write_b64 v75, v[252:253] offset:496
	ds_read_b64 v[52:53], v74
	s_waitcnt lgkmcnt(0)
	v_cmp_neq_f64_e32 vcc, 0, v[52:53]
	s_and_b64 exec, exec, vcc
	s_cbranch_execz .LBB125_259
; %bb.258:
	v_div_scale_f64 v[54:55], s[6:7], v[52:53], v[52:53], 1.0
	v_rcp_f64_e32 v[56:57], v[54:55]
	v_div_scale_f64 v[58:59], vcc, 1.0, v[52:53], 1.0
	v_fma_f64 v[60:61], -v[54:55], v[56:57], 1.0
	v_fmac_f64_e32 v[56:57], v[56:57], v[60:61]
	v_fma_f64 v[60:61], -v[54:55], v[56:57], 1.0
	v_fmac_f64_e32 v[56:57], v[56:57], v[60:61]
	v_mul_f64 v[60:61], v[58:59], v[56:57]
	v_fma_f64 v[54:55], -v[54:55], v[60:61], v[58:59]
	v_div_fmas_f64 v[54:55], v[54:55], v[56:57], v[60:61]
	v_div_fixup_f64 v[52:53], v[54:55], v[52:53], 1.0
	ds_write_b64 v74, v[52:53]
.LBB125_259:
	s_or_b64 exec, exec, s[2:3]
	s_waitcnt lgkmcnt(0)
	s_barrier
	ds_read_b64 v[52:53], v74
	v_cmp_lt_u32_e32 vcc, 51, v76
	s_and_saveexec_b64 s[2:3], vcc
	s_cbranch_execz .LBB125_261
; %bb.260:
	ds_read2_b64 v[54:57], v75 offset0:52 offset1:53
	s_waitcnt lgkmcnt(1)
	v_mul_f64 v[140:141], v[52:53], v[140:141]
	s_waitcnt lgkmcnt(0)
	v_fma_f64 v[200:201], -v[140:141], v[54:55], v[200:201]
	v_fma_f64 v[138:139], -v[140:141], v[56:57], v[138:139]
	ds_read2_b64 v[54:57], v75 offset0:54 offset1:55
	s_waitcnt lgkmcnt(0)
	v_fma_f64 v[198:199], -v[140:141], v[54:55], v[198:199]
	v_fma_f64 v[136:137], -v[140:141], v[56:57], v[136:137]
	ds_read2_b64 v[54:57], v75 offset0:56 offset1:57
	;; [unrolled: 4-line block ×4, first 2 shown]
	s_waitcnt vmcnt(60) lgkmcnt(0)
	v_fma_f64 v[192:193], -v[140:141], v[54:55], v[192:193]
	ds_read_b64 v[54:55], v75 offset:496
	s_waitcnt vmcnt(57)
	v_fma_f64 v[130:131], -v[140:141], v[56:57], v[130:131]
	s_waitcnt vmcnt(54) lgkmcnt(0)
	v_fma_f64 v[252:253], -v[140:141], v[54:55], v[252:253]
.LBB125_261:
	s_or_b64 exec, exec, s[2:3]
	v_cmp_eq_u32_e32 vcc, 52, v76
	s_waitcnt lgkmcnt(0)
	s_barrier
	s_and_saveexec_b64 s[2:3], vcc
	s_cbranch_execz .LBB125_264
; %bb.262:
	ds_write_b64 v74, v[200:201]
	ds_write2_b64 v75, v[138:139], v[198:199] offset0:53 offset1:54
	ds_write2_b64 v75, v[136:137], v[196:197] offset0:55 offset1:56
	;; [unrolled: 1-line block ×3, first 2 shown]
	s_waitcnt vmcnt(60)
	ds_write2_b64 v75, v[132:133], v[192:193] offset0:59 offset1:60
	s_waitcnt vmcnt(54)
	ds_write2_b64 v75, v[130:131], v[252:253] offset0:61 offset1:62
	ds_read_b64 v[54:55], v74
	s_waitcnt lgkmcnt(0)
	v_cmp_neq_f64_e32 vcc, 0, v[54:55]
	s_and_b64 exec, exec, vcc
	s_cbranch_execz .LBB125_264
; %bb.263:
	v_div_scale_f64 v[56:57], s[6:7], v[54:55], v[54:55], 1.0
	v_rcp_f64_e32 v[58:59], v[56:57]
	v_div_scale_f64 v[60:61], vcc, 1.0, v[54:55], 1.0
	v_fma_f64 v[62:63], -v[56:57], v[58:59], 1.0
	v_fmac_f64_e32 v[58:59], v[58:59], v[62:63]
	v_fma_f64 v[62:63], -v[56:57], v[58:59], 1.0
	v_fmac_f64_e32 v[58:59], v[58:59], v[62:63]
	v_mul_f64 v[62:63], v[60:61], v[58:59]
	v_fma_f64 v[56:57], -v[56:57], v[62:63], v[60:61]
	v_div_fmas_f64 v[56:57], v[56:57], v[58:59], v[62:63]
	v_div_fixup_f64 v[54:55], v[56:57], v[54:55], 1.0
	ds_write_b64 v74, v[54:55]
.LBB125_264:
	s_or_b64 exec, exec, s[2:3]
	s_waitcnt lgkmcnt(0)
	s_barrier
	ds_read_b64 v[54:55], v74
	v_cmp_lt_u32_e32 vcc, 52, v76
	s_and_saveexec_b64 s[2:3], vcc
	s_cbranch_execz .LBB125_266
; %bb.265:
	ds_read2_b64 v[56:59], v75 offset0:53 offset1:54
	s_waitcnt lgkmcnt(1)
	v_mul_f64 v[200:201], v[54:55], v[200:201]
	s_waitcnt lgkmcnt(0)
	v_fma_f64 v[138:139], -v[200:201], v[56:57], v[138:139]
	v_fma_f64 v[198:199], -v[200:201], v[58:59], v[198:199]
	ds_read2_b64 v[56:59], v75 offset0:55 offset1:56
	s_waitcnt lgkmcnt(0)
	v_fma_f64 v[136:137], -v[200:201], v[56:57], v[136:137]
	v_fma_f64 v[196:197], -v[200:201], v[58:59], v[196:197]
	ds_read2_b64 v[56:59], v75 offset0:57 offset1:58
	;; [unrolled: 4-line block ×3, first 2 shown]
	s_waitcnt lgkmcnt(0)
	v_fma_f64 v[132:133], -v[200:201], v[56:57], v[132:133]
	s_waitcnt vmcnt(60)
	v_fma_f64 v[192:193], -v[200:201], v[58:59], v[192:193]
	ds_read2_b64 v[56:59], v75 offset0:61 offset1:62
	s_waitcnt vmcnt(57) lgkmcnt(0)
	v_fma_f64 v[130:131], -v[200:201], v[56:57], v[130:131]
	s_waitcnt vmcnt(54)
	v_fma_f64 v[252:253], -v[200:201], v[58:59], v[252:253]
.LBB125_266:
	s_or_b64 exec, exec, s[2:3]
	v_cmp_eq_u32_e32 vcc, 53, v76
	s_waitcnt lgkmcnt(0)
	s_barrier
	s_and_saveexec_b64 s[2:3], vcc
	s_cbranch_execz .LBB125_269
; %bb.267:
	v_mov_b32_e32 v56, v198
	v_mov_b32_e32 v57, v199
	;; [unrolled: 1-line block ×4, first 2 shown]
	ds_write_b64 v74, v[138:139]
	ds_write2_b64 v75, v[56:57], v[58:59] offset0:54 offset1:55
	v_mov_b32_e32 v56, v196
	v_mov_b32_e32 v57, v197
	;; [unrolled: 1-line block ×4, first 2 shown]
	ds_write2_b64 v75, v[56:57], v[58:59] offset0:56 offset1:57
	v_mov_b32_e32 v56, v194
	v_mov_b32_e32 v57, v195
	;; [unrolled: 1-line block ×4, first 2 shown]
	ds_write2_b64 v75, v[56:57], v[58:59] offset0:58 offset1:59
	s_waitcnt vmcnt(60)
	v_mov_b32_e32 v56, v192
	v_mov_b32_e32 v57, v193
	s_waitcnt vmcnt(57)
	v_mov_b32_e32 v58, v130
	v_mov_b32_e32 v59, v131
	ds_write2_b64 v75, v[56:57], v[58:59] offset0:60 offset1:61
	s_waitcnt vmcnt(54)
	ds_write_b64 v75, v[252:253] offset:496
	ds_read_b64 v[56:57], v74
	s_waitcnt lgkmcnt(0)
	v_cmp_neq_f64_e32 vcc, 0, v[56:57]
	s_and_b64 exec, exec, vcc
	s_cbranch_execz .LBB125_269
; %bb.268:
	v_div_scale_f64 v[58:59], s[6:7], v[56:57], v[56:57], 1.0
	v_rcp_f64_e32 v[60:61], v[58:59]
	v_div_scale_f64 v[62:63], vcc, 1.0, v[56:57], 1.0
	v_fma_f64 v[64:65], -v[58:59], v[60:61], 1.0
	v_fmac_f64_e32 v[60:61], v[60:61], v[64:65]
	v_fma_f64 v[64:65], -v[58:59], v[60:61], 1.0
	v_fmac_f64_e32 v[60:61], v[60:61], v[64:65]
	v_mul_f64 v[64:65], v[62:63], v[60:61]
	v_fma_f64 v[58:59], -v[58:59], v[64:65], v[62:63]
	v_div_fmas_f64 v[58:59], v[58:59], v[60:61], v[64:65]
	v_div_fixup_f64 v[56:57], v[58:59], v[56:57], 1.0
	ds_write_b64 v74, v[56:57]
.LBB125_269:
	s_or_b64 exec, exec, s[2:3]
	s_waitcnt lgkmcnt(0)
	s_barrier
	ds_read_b64 v[56:57], v74
	v_cmp_lt_u32_e32 vcc, 53, v76
	s_and_saveexec_b64 s[2:3], vcc
	s_cbranch_execz .LBB125_271
; %bb.270:
	ds_read2_b64 v[58:61], v75 offset0:54 offset1:55
	s_waitcnt lgkmcnt(1)
	v_mul_f64 v[138:139], v[56:57], v[138:139]
	s_waitcnt lgkmcnt(0)
	v_fma_f64 v[198:199], -v[138:139], v[58:59], v[198:199]
	v_fma_f64 v[136:137], -v[138:139], v[60:61], v[136:137]
	ds_read2_b64 v[58:61], v75 offset0:56 offset1:57
	s_waitcnt lgkmcnt(0)
	v_fma_f64 v[196:197], -v[138:139], v[58:59], v[196:197]
	v_fma_f64 v[134:135], -v[138:139], v[60:61], v[134:135]
	ds_read2_b64 v[58:61], v75 offset0:58 offset1:59
	;; [unrolled: 4-line block ×3, first 2 shown]
	s_waitcnt vmcnt(60) lgkmcnt(0)
	v_fma_f64 v[192:193], -v[138:139], v[58:59], v[192:193]
	ds_read_b64 v[58:59], v75 offset:496
	s_waitcnt vmcnt(57)
	v_fma_f64 v[130:131], -v[138:139], v[60:61], v[130:131]
	s_waitcnt vmcnt(54) lgkmcnt(0)
	v_fma_f64 v[252:253], -v[138:139], v[58:59], v[252:253]
.LBB125_271:
	s_or_b64 exec, exec, s[2:3]
	v_cmp_eq_u32_e32 vcc, 54, v76
	s_waitcnt lgkmcnt(0)
	s_barrier
	s_and_saveexec_b64 s[2:3], vcc
	s_cbranch_execz .LBB125_274
; %bb.272:
	ds_write_b64 v74, v[198:199]
	ds_write2_b64 v75, v[136:137], v[196:197] offset0:55 offset1:56
	ds_write2_b64 v75, v[134:135], v[194:195] offset0:57 offset1:58
	s_waitcnt vmcnt(60)
	ds_write2_b64 v75, v[132:133], v[192:193] offset0:59 offset1:60
	s_waitcnt vmcnt(54)
	ds_write2_b64 v75, v[130:131], v[252:253] offset0:61 offset1:62
	ds_read_b64 v[58:59], v74
	s_waitcnt lgkmcnt(0)
	v_cmp_neq_f64_e32 vcc, 0, v[58:59]
	s_and_b64 exec, exec, vcc
	s_cbranch_execz .LBB125_274
; %bb.273:
	v_div_scale_f64 v[60:61], s[6:7], v[58:59], v[58:59], 1.0
	v_rcp_f64_e32 v[62:63], v[60:61]
	v_div_scale_f64 v[64:65], vcc, 1.0, v[58:59], 1.0
	v_fma_f64 v[66:67], -v[60:61], v[62:63], 1.0
	v_fmac_f64_e32 v[62:63], v[62:63], v[66:67]
	v_fma_f64 v[66:67], -v[60:61], v[62:63], 1.0
	v_fmac_f64_e32 v[62:63], v[62:63], v[66:67]
	v_mul_f64 v[66:67], v[64:65], v[62:63]
	v_fma_f64 v[60:61], -v[60:61], v[66:67], v[64:65]
	v_div_fmas_f64 v[60:61], v[60:61], v[62:63], v[66:67]
	v_div_fixup_f64 v[58:59], v[60:61], v[58:59], 1.0
	ds_write_b64 v74, v[58:59]
.LBB125_274:
	s_or_b64 exec, exec, s[2:3]
	s_waitcnt lgkmcnt(0)
	s_barrier
	ds_read_b64 v[58:59], v74
	v_cmp_lt_u32_e32 vcc, 54, v76
	s_and_saveexec_b64 s[2:3], vcc
	s_cbranch_execz .LBB125_276
; %bb.275:
	ds_read2_b64 v[60:63], v75 offset0:55 offset1:56
	s_waitcnt lgkmcnt(1)
	v_mul_f64 v[198:199], v[58:59], v[198:199]
	s_waitcnt lgkmcnt(0)
	v_fma_f64 v[136:137], -v[198:199], v[60:61], v[136:137]
	v_fma_f64 v[196:197], -v[198:199], v[62:63], v[196:197]
	ds_read2_b64 v[60:63], v75 offset0:57 offset1:58
	s_waitcnt lgkmcnt(0)
	v_fma_f64 v[134:135], -v[198:199], v[60:61], v[134:135]
	v_fma_f64 v[194:195], -v[198:199], v[62:63], v[194:195]
	ds_read2_b64 v[60:63], v75 offset0:59 offset1:60
	s_waitcnt lgkmcnt(0)
	v_fma_f64 v[132:133], -v[198:199], v[60:61], v[132:133]
	s_waitcnt vmcnt(60)
	v_fma_f64 v[192:193], -v[198:199], v[62:63], v[192:193]
	ds_read2_b64 v[60:63], v75 offset0:61 offset1:62
	s_waitcnt vmcnt(57) lgkmcnt(0)
	v_fma_f64 v[130:131], -v[198:199], v[60:61], v[130:131]
	s_waitcnt vmcnt(54)
	v_fma_f64 v[252:253], -v[198:199], v[62:63], v[252:253]
.LBB125_276:
	s_or_b64 exec, exec, s[2:3]
	v_cmp_eq_u32_e32 vcc, 55, v76
	s_waitcnt lgkmcnt(0)
	s_barrier
	s_and_saveexec_b64 s[2:3], vcc
	s_cbranch_execz .LBB125_279
; %bb.277:
	v_mov_b32_e32 v60, v196
	v_mov_b32_e32 v61, v197
	;; [unrolled: 1-line block ×4, first 2 shown]
	ds_write_b64 v74, v[136:137]
	ds_write2_b64 v75, v[60:61], v[62:63] offset0:56 offset1:57
	v_mov_b32_e32 v60, v194
	v_mov_b32_e32 v61, v195
	;; [unrolled: 1-line block ×4, first 2 shown]
	ds_write2_b64 v75, v[60:61], v[62:63] offset0:58 offset1:59
	s_waitcnt vmcnt(60)
	v_mov_b32_e32 v60, v192
	v_mov_b32_e32 v61, v193
	s_waitcnt vmcnt(57)
	v_mov_b32_e32 v62, v130
	v_mov_b32_e32 v63, v131
	ds_write2_b64 v75, v[60:61], v[62:63] offset0:60 offset1:61
	s_waitcnt vmcnt(54)
	ds_write_b64 v75, v[252:253] offset:496
	ds_read_b64 v[60:61], v74
	s_waitcnt lgkmcnt(0)
	v_cmp_neq_f64_e32 vcc, 0, v[60:61]
	s_and_b64 exec, exec, vcc
	s_cbranch_execz .LBB125_279
; %bb.278:
	v_div_scale_f64 v[62:63], s[6:7], v[60:61], v[60:61], 1.0
	v_rcp_f64_e32 v[64:65], v[62:63]
	v_div_scale_f64 v[66:67], vcc, 1.0, v[60:61], 1.0
	v_fma_f64 v[68:69], -v[62:63], v[64:65], 1.0
	v_fmac_f64_e32 v[64:65], v[64:65], v[68:69]
	v_fma_f64 v[68:69], -v[62:63], v[64:65], 1.0
	v_fmac_f64_e32 v[64:65], v[64:65], v[68:69]
	v_mul_f64 v[68:69], v[66:67], v[64:65]
	v_fma_f64 v[62:63], -v[62:63], v[68:69], v[66:67]
	v_div_fmas_f64 v[62:63], v[62:63], v[64:65], v[68:69]
	v_div_fixup_f64 v[60:61], v[62:63], v[60:61], 1.0
	ds_write_b64 v74, v[60:61]
.LBB125_279:
	s_or_b64 exec, exec, s[2:3]
	s_waitcnt lgkmcnt(0)
	s_barrier
	ds_read_b64 v[60:61], v74
	v_cmp_lt_u32_e32 vcc, 55, v76
	s_and_saveexec_b64 s[2:3], vcc
	s_cbranch_execz .LBB125_281
; %bb.280:
	ds_read2_b64 v[62:65], v75 offset0:56 offset1:57
	s_waitcnt lgkmcnt(1)
	v_mul_f64 v[136:137], v[60:61], v[136:137]
	s_waitcnt lgkmcnt(0)
	v_fma_f64 v[196:197], -v[136:137], v[62:63], v[196:197]
	v_fma_f64 v[134:135], -v[136:137], v[64:65], v[134:135]
	ds_read2_b64 v[62:65], v75 offset0:58 offset1:59
	s_waitcnt lgkmcnt(0)
	v_fma_f64 v[194:195], -v[136:137], v[62:63], v[194:195]
	v_fma_f64 v[132:133], -v[136:137], v[64:65], v[132:133]
	ds_read2_b64 v[62:65], v75 offset0:60 offset1:61
	s_waitcnt vmcnt(60) lgkmcnt(0)
	v_fma_f64 v[192:193], -v[136:137], v[62:63], v[192:193]
	ds_read_b64 v[62:63], v75 offset:496
	s_waitcnt vmcnt(57)
	v_fma_f64 v[130:131], -v[136:137], v[64:65], v[130:131]
	s_waitcnt vmcnt(54) lgkmcnt(0)
	v_fma_f64 v[252:253], -v[136:137], v[62:63], v[252:253]
.LBB125_281:
	s_or_b64 exec, exec, s[2:3]
	v_cmp_eq_u32_e32 vcc, 56, v76
	s_waitcnt lgkmcnt(0)
	s_barrier
	s_and_saveexec_b64 s[2:3], vcc
	s_cbranch_execz .LBB125_284
; %bb.282:
	ds_write_b64 v74, v[196:197]
	ds_write2_b64 v75, v[134:135], v[194:195] offset0:57 offset1:58
	s_waitcnt vmcnt(60)
	ds_write2_b64 v75, v[132:133], v[192:193] offset0:59 offset1:60
	s_waitcnt vmcnt(54)
	ds_write2_b64 v75, v[130:131], v[252:253] offset0:61 offset1:62
	ds_read_b64 v[62:63], v74
	s_waitcnt lgkmcnt(0)
	v_cmp_neq_f64_e32 vcc, 0, v[62:63]
	s_and_b64 exec, exec, vcc
	s_cbranch_execz .LBB125_284
; %bb.283:
	v_div_scale_f64 v[64:65], s[6:7], v[62:63], v[62:63], 1.0
	v_rcp_f64_e32 v[66:67], v[64:65]
	v_div_scale_f64 v[68:69], vcc, 1.0, v[62:63], 1.0
	v_fma_f64 v[70:71], -v[64:65], v[66:67], 1.0
	v_fmac_f64_e32 v[66:67], v[66:67], v[70:71]
	v_fma_f64 v[70:71], -v[64:65], v[66:67], 1.0
	v_fmac_f64_e32 v[66:67], v[66:67], v[70:71]
	v_mul_f64 v[70:71], v[68:69], v[66:67]
	v_fma_f64 v[64:65], -v[64:65], v[70:71], v[68:69]
	v_div_fmas_f64 v[64:65], v[64:65], v[66:67], v[70:71]
	v_div_fixup_f64 v[62:63], v[64:65], v[62:63], 1.0
	ds_write_b64 v74, v[62:63]
.LBB125_284:
	s_or_b64 exec, exec, s[2:3]
	s_waitcnt lgkmcnt(0)
	s_barrier
	ds_read_b64 v[62:63], v74
	v_cmp_lt_u32_e32 vcc, 56, v76
	s_and_saveexec_b64 s[2:3], vcc
	s_cbranch_execz .LBB125_286
; %bb.285:
	ds_read2_b64 v[64:67], v75 offset0:57 offset1:58
	s_waitcnt lgkmcnt(1)
	v_mul_f64 v[196:197], v[62:63], v[196:197]
	s_waitcnt lgkmcnt(0)
	v_fma_f64 v[134:135], -v[196:197], v[64:65], v[134:135]
	v_fma_f64 v[194:195], -v[196:197], v[66:67], v[194:195]
	ds_read2_b64 v[64:67], v75 offset0:59 offset1:60
	s_waitcnt lgkmcnt(0)
	v_fma_f64 v[132:133], -v[196:197], v[64:65], v[132:133]
	s_waitcnt vmcnt(60)
	v_fma_f64 v[192:193], -v[196:197], v[66:67], v[192:193]
	ds_read2_b64 v[64:67], v75 offset0:61 offset1:62
	s_waitcnt vmcnt(57) lgkmcnt(0)
	v_fma_f64 v[130:131], -v[196:197], v[64:65], v[130:131]
	s_waitcnt vmcnt(54)
	v_fma_f64 v[252:253], -v[196:197], v[66:67], v[252:253]
.LBB125_286:
	s_or_b64 exec, exec, s[2:3]
	v_cmp_eq_u32_e32 vcc, 57, v76
	s_waitcnt lgkmcnt(0)
	s_barrier
	s_and_saveexec_b64 s[2:3], vcc
	s_cbranch_execz .LBB125_289
; %bb.287:
	v_mov_b32_e32 v64, v194
	v_mov_b32_e32 v65, v195
	;; [unrolled: 1-line block ×4, first 2 shown]
	ds_write_b64 v74, v[134:135]
	ds_write2_b64 v75, v[64:65], v[66:67] offset0:58 offset1:59
	s_waitcnt vmcnt(60)
	v_mov_b32_e32 v64, v192
	v_mov_b32_e32 v65, v193
	s_waitcnt vmcnt(57)
	v_mov_b32_e32 v66, v130
	v_mov_b32_e32 v67, v131
	ds_write2_b64 v75, v[64:65], v[66:67] offset0:60 offset1:61
	s_waitcnt vmcnt(54)
	ds_write_b64 v75, v[252:253] offset:496
	ds_read_b64 v[64:65], v74
	s_waitcnt lgkmcnt(0)
	v_cmp_neq_f64_e32 vcc, 0, v[64:65]
	s_and_b64 exec, exec, vcc
	s_cbranch_execz .LBB125_289
; %bb.288:
	v_div_scale_f64 v[66:67], s[6:7], v[64:65], v[64:65], 1.0
	v_rcp_f64_e32 v[68:69], v[66:67]
	v_div_scale_f64 v[70:71], vcc, 1.0, v[64:65], 1.0
	v_fma_f64 v[72:73], -v[66:67], v[68:69], 1.0
	v_fmac_f64_e32 v[68:69], v[68:69], v[72:73]
	v_fma_f64 v[72:73], -v[66:67], v[68:69], 1.0
	v_fmac_f64_e32 v[68:69], v[68:69], v[72:73]
	v_mul_f64 v[72:73], v[70:71], v[68:69]
	v_fma_f64 v[66:67], -v[66:67], v[72:73], v[70:71]
	v_div_fmas_f64 v[66:67], v[66:67], v[68:69], v[72:73]
	v_div_fixup_f64 v[64:65], v[66:67], v[64:65], 1.0
	ds_write_b64 v74, v[64:65]
.LBB125_289:
	s_or_b64 exec, exec, s[2:3]
	s_waitcnt lgkmcnt(0)
	s_barrier
	ds_read_b64 v[64:65], v74
	v_cmp_lt_u32_e32 vcc, 57, v76
	s_and_saveexec_b64 s[2:3], vcc
	s_cbranch_execz .LBB125_291
; %bb.290:
	ds_read2_b64 v[66:69], v75 offset0:58 offset1:59
	s_waitcnt lgkmcnt(1)
	v_mul_f64 v[134:135], v[64:65], v[134:135]
	s_waitcnt lgkmcnt(0)
	v_fma_f64 v[194:195], -v[134:135], v[66:67], v[194:195]
	v_fma_f64 v[132:133], -v[134:135], v[68:69], v[132:133]
	ds_read2_b64 v[66:69], v75 offset0:60 offset1:61
	s_waitcnt vmcnt(60) lgkmcnt(0)
	v_fma_f64 v[192:193], -v[134:135], v[66:67], v[192:193]
	ds_read_b64 v[66:67], v75 offset:496
	s_waitcnt vmcnt(57)
	v_fma_f64 v[130:131], -v[134:135], v[68:69], v[130:131]
	s_waitcnt vmcnt(54) lgkmcnt(0)
	v_fma_f64 v[252:253], -v[134:135], v[66:67], v[252:253]
.LBB125_291:
	s_or_b64 exec, exec, s[2:3]
	v_cmp_eq_u32_e32 vcc, 58, v76
	s_waitcnt lgkmcnt(0)
	s_barrier
	s_and_saveexec_b64 s[2:3], vcc
	s_cbranch_execz .LBB125_294
; %bb.292:
	ds_write_b64 v74, v[194:195]
	s_waitcnt vmcnt(60)
	ds_write2_b64 v75, v[132:133], v[192:193] offset0:59 offset1:60
	s_waitcnt vmcnt(54)
	ds_write2_b64 v75, v[130:131], v[252:253] offset0:61 offset1:62
	ds_read_b64 v[66:67], v74
	s_waitcnt lgkmcnt(0)
	v_cmp_neq_f64_e32 vcc, 0, v[66:67]
	s_and_b64 exec, exec, vcc
	s_cbranch_execz .LBB125_294
; %bb.293:
	v_div_scale_f64 v[68:69], s[6:7], v[66:67], v[66:67], 1.0
	v_rcp_f64_e32 v[70:71], v[68:69]
	v_div_scale_f64 v[72:73], vcc, 1.0, v[66:67], 1.0
	v_fma_f64 v[78:79], -v[68:69], v[70:71], 1.0
	v_fmac_f64_e32 v[70:71], v[70:71], v[78:79]
	v_fma_f64 v[78:79], -v[68:69], v[70:71], 1.0
	v_fmac_f64_e32 v[70:71], v[70:71], v[78:79]
	v_mul_f64 v[78:79], v[72:73], v[70:71]
	v_fma_f64 v[68:69], -v[68:69], v[78:79], v[72:73]
	v_div_fmas_f64 v[68:69], v[68:69], v[70:71], v[78:79]
	v_div_fixup_f64 v[66:67], v[68:69], v[66:67], 1.0
	ds_write_b64 v74, v[66:67]
.LBB125_294:
	s_or_b64 exec, exec, s[2:3]
	s_waitcnt lgkmcnt(0)
	s_barrier
	ds_read_b64 v[66:67], v74
	v_cmp_lt_u32_e32 vcc, 58, v76
	s_and_saveexec_b64 s[2:3], vcc
	s_cbranch_execz .LBB125_296
; %bb.295:
	ds_read2_b64 v[68:71], v75 offset0:59 offset1:60
	s_waitcnt lgkmcnt(1)
	v_mul_f64 v[194:195], v[66:67], v[194:195]
	s_waitcnt lgkmcnt(0)
	v_fma_f64 v[132:133], -v[194:195], v[68:69], v[132:133]
	s_waitcnt vmcnt(60)
	v_fma_f64 v[192:193], -v[194:195], v[70:71], v[192:193]
	ds_read2_b64 v[68:71], v75 offset0:61 offset1:62
	s_waitcnt vmcnt(57) lgkmcnt(0)
	v_fma_f64 v[130:131], -v[194:195], v[68:69], v[130:131]
	s_waitcnt vmcnt(54)
	v_fma_f64 v[252:253], -v[194:195], v[70:71], v[252:253]
.LBB125_296:
	s_or_b64 exec, exec, s[2:3]
	v_cmp_eq_u32_e32 vcc, 59, v76
	s_waitcnt lgkmcnt(0)
	s_barrier
	s_and_saveexec_b64 s[2:3], vcc
	s_cbranch_execz .LBB125_299
; %bb.297:
	s_waitcnt vmcnt(60)
	v_mov_b32_e32 v68, v192
	v_mov_b32_e32 v69, v193
	s_waitcnt vmcnt(57)
	v_mov_b32_e32 v70, v130
	v_mov_b32_e32 v71, v131
	ds_write_b64 v74, v[132:133]
	ds_write2_b64 v75, v[68:69], v[70:71] offset0:60 offset1:61
	s_waitcnt vmcnt(54)
	ds_write_b64 v75, v[252:253] offset:496
	ds_read_b64 v[68:69], v74
	s_waitcnt lgkmcnt(0)
	v_cmp_neq_f64_e32 vcc, 0, v[68:69]
	s_and_b64 exec, exec, vcc
	s_cbranch_execz .LBB125_299
; %bb.298:
	v_div_scale_f64 v[70:71], s[6:7], v[68:69], v[68:69], 1.0
	v_rcp_f64_e32 v[72:73], v[70:71]
	v_div_scale_f64 v[78:79], vcc, 1.0, v[68:69], 1.0
	v_fma_f64 v[80:81], -v[70:71], v[72:73], 1.0
	v_fmac_f64_e32 v[72:73], v[72:73], v[80:81]
	v_fma_f64 v[80:81], -v[70:71], v[72:73], 1.0
	v_fmac_f64_e32 v[72:73], v[72:73], v[80:81]
	v_mul_f64 v[80:81], v[78:79], v[72:73]
	v_fma_f64 v[70:71], -v[70:71], v[80:81], v[78:79]
	v_div_fmas_f64 v[70:71], v[70:71], v[72:73], v[80:81]
	v_div_fixup_f64 v[68:69], v[70:71], v[68:69], 1.0
	ds_write_b64 v74, v[68:69]
.LBB125_299:
	s_or_b64 exec, exec, s[2:3]
	s_waitcnt lgkmcnt(0)
	s_barrier
	ds_read_b64 v[68:69], v74
	v_cmp_lt_u32_e32 vcc, 59, v76
	s_and_saveexec_b64 s[2:3], vcc
	s_cbranch_execz .LBB125_301
; %bb.300:
	ds_read2_b64 v[70:73], v75 offset0:60 offset1:61
	s_waitcnt lgkmcnt(1)
	v_mul_f64 v[132:133], v[68:69], v[132:133]
	s_waitcnt vmcnt(60) lgkmcnt(0)
	v_fma_f64 v[192:193], -v[132:133], v[70:71], v[192:193]
	ds_read_b64 v[70:71], v75 offset:496
	s_waitcnt vmcnt(57)
	v_fma_f64 v[130:131], -v[132:133], v[72:73], v[130:131]
	s_waitcnt vmcnt(54) lgkmcnt(0)
	v_fma_f64 v[252:253], -v[132:133], v[70:71], v[252:253]
.LBB125_301:
	s_or_b64 exec, exec, s[2:3]
	v_cmp_eq_u32_e32 vcc, 60, v76
	s_waitcnt lgkmcnt(0)
	s_barrier
	s_and_saveexec_b64 s[2:3], vcc
	s_cbranch_execz .LBB125_304
; %bb.302:
	s_waitcnt vmcnt(60)
	ds_write_b64 v74, v[192:193]
	s_waitcnt vmcnt(54)
	ds_write2_b64 v75, v[130:131], v[252:253] offset0:61 offset1:62
	ds_read_b64 v[70:71], v74
	s_waitcnt lgkmcnt(0)
	v_cmp_neq_f64_e32 vcc, 0, v[70:71]
	s_and_b64 exec, exec, vcc
	s_cbranch_execz .LBB125_304
; %bb.303:
	v_div_scale_f64 v[72:73], s[6:7], v[70:71], v[70:71], 1.0
	v_rcp_f64_e32 v[78:79], v[72:73]
	v_pk_mov_b32 v[2:3], v[82:83], v[82:83] op_sel:[0,1]
	v_div_scale_f64 v[80:81], vcc, 1.0, v[70:71], 1.0
	v_fma_f64 v[82:83], -v[72:73], v[78:79], 1.0
	v_fmac_f64_e32 v[78:79], v[78:79], v[82:83]
	v_fma_f64 v[82:83], -v[72:73], v[78:79], 1.0
	v_fmac_f64_e32 v[78:79], v[78:79], v[82:83]
	v_mul_f64 v[82:83], v[80:81], v[78:79]
	v_fma_f64 v[72:73], -v[72:73], v[82:83], v[80:81]
	v_div_fmas_f64 v[72:73], v[72:73], v[78:79], v[82:83]
	v_pk_mov_b32 v[82:83], v[2:3], v[2:3] op_sel:[0,1]
	v_div_fixup_f64 v[70:71], v[72:73], v[70:71], 1.0
	ds_write_b64 v74, v[70:71]
.LBB125_304:
	s_or_b64 exec, exec, s[2:3]
	s_waitcnt lgkmcnt(0)
	s_barrier
	ds_read_b64 v[70:71], v74
	v_cmp_lt_u32_e32 vcc, 60, v76
	s_and_saveexec_b64 s[2:3], vcc
	s_cbranch_execz .LBB125_306
; %bb.305:
	ds_read2_b64 v[78:81], v75 offset0:61 offset1:62
	s_waitcnt vmcnt(60) lgkmcnt(1)
	v_mul_f64 v[192:193], v[70:71], v[192:193]
	s_waitcnt vmcnt(57) lgkmcnt(0)
	v_fma_f64 v[130:131], -v[192:193], v[78:79], v[130:131]
	s_waitcnt vmcnt(54)
	v_fma_f64 v[252:253], -v[192:193], v[80:81], v[252:253]
.LBB125_306:
	s_or_b64 exec, exec, s[2:3]
	v_cmp_eq_u32_e32 vcc, 61, v76
	s_waitcnt lgkmcnt(0)
	s_barrier
	s_and_saveexec_b64 s[2:3], vcc
	s_cbranch_execz .LBB125_309
; %bb.307:
	s_waitcnt vmcnt(57)
	ds_write_b64 v74, v[130:131]
	s_waitcnt vmcnt(54)
	ds_write_b64 v75, v[252:253] offset:496
	ds_read_b64 v[72:73], v74
	s_waitcnt lgkmcnt(0)
	v_cmp_neq_f64_e32 vcc, 0, v[72:73]
	s_and_b64 exec, exec, vcc
	s_cbranch_execz .LBB125_309
; %bb.308:
	v_div_scale_f64 v[78:79], s[6:7], v[72:73], v[72:73], 1.0
	v_rcp_f64_e32 v[80:81], v[78:79]
	v_pk_mov_b32 v[2:3], v[126:127], v[126:127] op_sel:[0,1]
	v_pk_mov_b32 v[126:127], v[122:123], v[122:123] op_sel:[0,1]
	;; [unrolled: 1-line block ×20, first 2 shown]
	v_fma_f64 v[84:85], -v[78:79], v[80:81], 1.0
	v_fmac_f64_e32 v[80:81], v[80:81], v[84:85]
	v_fma_f64 v[84:85], -v[78:79], v[80:81], 1.0
	v_pk_mov_b32 v[0:1], v[254:255], v[254:255] op_sel:[0,1]
	v_pk_mov_b32 v[254:255], v[82:83], v[82:83] op_sel:[0,1]
	v_div_scale_f64 v[82:83], vcc, 1.0, v[72:73], 1.0
	v_fmac_f64_e32 v[80:81], v[80:81], v[84:85]
	v_mul_f64 v[84:85], v[82:83], v[80:81]
	v_fma_f64 v[78:79], -v[78:79], v[84:85], v[82:83]
	s_nop 0
	v_div_fmas_f64 v[78:79], v[78:79], v[80:81], v[84:85]
	v_pk_mov_b32 v[82:83], v[254:255], v[254:255] op_sel:[0,1]
	v_pk_mov_b32 v[254:255], v[0:1], v[0:1] op_sel:[0,1]
	;; [unrolled: 1-line block ×22, first 2 shown]
	v_div_fixup_f64 v[72:73], v[78:79], v[72:73], 1.0
	ds_write_b64 v74, v[72:73]
.LBB125_309:
	s_or_b64 exec, exec, s[2:3]
	s_waitcnt lgkmcnt(0)
	s_barrier
	ds_read_b64 v[72:73], v74
	v_cmp_lt_u32_e32 vcc, 61, v76
	s_and_saveexec_b64 s[2:3], vcc
	s_cbranch_execz .LBB125_311
; %bb.310:
	ds_read_b64 v[78:79], v75 offset:496
	s_waitcnt vmcnt(57) lgkmcnt(1)
	v_mul_f64 v[130:131], v[72:73], v[130:131]
	s_waitcnt vmcnt(54) lgkmcnt(0)
	v_fma_f64 v[252:253], -v[130:131], v[78:79], v[252:253]
.LBB125_311:
	s_or_b64 exec, exec, s[2:3]
	v_cmp_eq_u32_e32 vcc, 62, v76
	s_waitcnt lgkmcnt(0)
	s_barrier
	s_and_saveexec_b64 s[2:3], vcc
	s_cbranch_execz .LBB125_314
; %bb.312:
	s_waitcnt vmcnt(54)
	v_cmp_neq_f64_e32 vcc, 0, v[252:253]
	ds_write_b64 v74, v[252:253]
	s_and_b64 exec, exec, vcc
	s_cbranch_execz .LBB125_314
; %bb.313:
	v_div_scale_f64 v[78:79], s[6:7], v[252:253], v[252:253], 1.0
	v_rcp_f64_e32 v[80:81], v[78:79]
	v_pk_mov_b32 v[2:3], v[126:127], v[126:127] op_sel:[0,1]
	v_pk_mov_b32 v[126:127], v[122:123], v[122:123] op_sel:[0,1]
	;; [unrolled: 1-line block ×21, first 2 shown]
	v_fma_f64 v[84:85], -v[78:79], v[80:81], 1.0
	v_fmac_f64_e32 v[80:81], v[80:81], v[84:85]
	v_fma_f64 v[84:85], -v[78:79], v[80:81], 1.0
	v_pk_mov_b32 v[0:1], v[254:255], v[254:255] op_sel:[0,1]
	v_pk_mov_b32 v[254:255], v[82:83], v[82:83] op_sel:[0,1]
	v_div_scale_f64 v[82:83], vcc, 1.0, v[252:253], 1.0
	v_fmac_f64_e32 v[80:81], v[80:81], v[84:85]
	v_mul_f64 v[84:85], v[82:83], v[80:81]
	v_fma_f64 v[78:79], -v[78:79], v[84:85], v[82:83]
	s_nop 0
	v_div_fmas_f64 v[78:79], v[78:79], v[80:81], v[84:85]
	v_pk_mov_b32 v[82:83], v[254:255], v[254:255] op_sel:[0,1]
	v_pk_mov_b32 v[254:255], v[0:1], v[0:1] op_sel:[0,1]
	;; [unrolled: 1-line block ×23, first 2 shown]
	v_div_fixup_f64 v[78:79], v[78:79], v[252:253], 1.0
	ds_write_b64 v74, v[78:79]
.LBB125_314:
	s_or_b64 exec, exec, s[2:3]
	s_waitcnt lgkmcnt(0)
	s_barrier
	ds_read_b64 v[74:75], v74
	s_waitcnt lgkmcnt(0)
	s_barrier
	s_and_saveexec_b64 s[2:3], s[0:1]
	s_cbranch_execz .LBB125_317
; %bb.315:
	buffer_load_dword v0, off, s[16:19], 0 offset:320 ; 4-byte Folded Reload
	buffer_load_dword v1, off, s[16:19], 0 offset:324 ; 4-byte Folded Reload
	s_load_dwordx2 s[4:5], s[4:5], 0x28
	s_waitcnt lgkmcnt(0)
	v_mov_b32_e32 v3, s5
	s_waitcnt vmcnt(0)
	v_cmp_eq_f64_e32 vcc, 0, v[0:1]
	buffer_load_dword v0, off, s[16:19], 0 offset:328 ; 4-byte Folded Reload
	buffer_load_dword v1, off, s[16:19], 0 offset:332 ; 4-byte Folded Reload
	v_cndmask_b32_e64 v77, 0, 1, vcc
	s_waitcnt vmcnt(0)
	v_cmp_neq_f64_e64 s[0:1], 0, v[0:1]
	buffer_load_dword v0, off, s[16:19], 0 offset:336 ; 4-byte Folded Reload
	buffer_load_dword v1, off, s[16:19], 0 offset:340 ; 4-byte Folded Reload
	s_or_b64 vcc, s[0:1], vcc
	v_cndmask_b32_e32 v77, 2, v77, vcc
	v_cmp_eq_u32_e64 s[0:1], 0, v77
	s_waitcnt vmcnt(0)
	v_cmp_eq_f64_e32 vcc, 0, v[0:1]
	buffer_load_dword v0, off, s[16:19], 0 offset:344 ; 4-byte Folded Reload
	buffer_load_dword v1, off, s[16:19], 0 offset:348 ; 4-byte Folded Reload
	s_and_b64 s[0:1], vcc, s[0:1]
	v_cndmask_b32_e64 v77, v77, 3, s[0:1]
	v_cmp_eq_u32_e64 s[0:1], 0, v77
	s_waitcnt vmcnt(0)
	v_cmp_eq_f64_e32 vcc, 0, v[0:1]
	buffer_load_dword v0, off, s[16:19], 0 offset:352 ; 4-byte Folded Reload
	buffer_load_dword v1, off, s[16:19], 0 offset:356 ; 4-byte Folded Reload
	s_and_b64 s[0:1], vcc, s[0:1]
	v_cndmask_b32_e64 v77, v77, 4, s[0:1]
	;; [unrolled: 7-line block ×24, first 2 shown]
	v_cmp_eq_u32_e64 s[0:1], 0, v2
	s_waitcnt vmcnt(0)
	v_cmp_eq_f64_e32 vcc, 0, v[0:1]
	s_and_b64 s[0:1], vcc, s[0:1]
	v_cndmask_b32_e64 v0, v2, 27, s[0:1]
	v_cmp_eq_f64_e32 vcc, 0, v[4:5]
	v_cmp_eq_u32_e64 s[0:1], 0, v0
	s_and_b64 s[0:1], vcc, s[0:1]
	v_cndmask_b32_e64 v0, v0, 28, s[0:1]
	v_cmp_eq_f64_e32 vcc, 0, v[6:7]
	v_cmp_eq_u32_e64 s[0:1], 0, v0
	;; [unrolled: 4-line block ×16, first 2 shown]
	s_and_b64 s[0:1], vcc, s[0:1]
	v_cndmask_b32_e64 v2, v0, 43, s[0:1]
	v_lshlrev_b64 v[0:1], 2, v[84:85]
	v_add_co_u32_e64 v0, s[0:1], s4, v0
	v_addc_co_u32_e64 v1, s[0:1], v3, v1, s[0:1]
	global_load_dword v3, v[0:1], off
	v_cmp_eq_f64_e32 vcc, 0, v[36:37]
	v_cmp_eq_u32_e64 s[0:1], 0, v2
	s_and_b64 s[0:1], vcc, s[0:1]
	v_cndmask_b32_e64 v2, v2, 44, s[0:1]
	v_cmp_eq_f64_e32 vcc, 0, v[38:39]
	v_cmp_eq_u32_e64 s[0:1], 0, v2
	s_and_b64 s[0:1], vcc, s[0:1]
	v_cndmask_b32_e64 v2, v2, 45, s[0:1]
	;; [unrolled: 4-line block ×20, first 2 shown]
	s_waitcnt vmcnt(0)
	v_cmp_eq_u32_e32 vcc, 0, v3
	v_cmp_ne_u32_e64 s[0:1], 0, v2
	s_and_b64 s[0:1], vcc, s[0:1]
	s_and_b64 exec, exec, s[0:1]
	s_cbranch_execz .LBB125_317
; %bb.316:
	v_add_u32_e32 v2, s9, v2
	global_store_dword v[0:1], v2, off
.LBB125_317:
	s_or_b64 exec, exec, s[2:3]
	global_store_dwordx2 v[124:125], v[128:129], off
	buffer_load_dword v2, off, s[16:19], 0 offset:312 ; 4-byte Folded Reload
	buffer_load_dword v3, off, s[16:19], 0 offset:316 ; 4-byte Folded Reload
	v_cmp_lt_u32_e32 vcc, 62, v76
	s_waitcnt vmcnt(57)
	v_mul_f64 v[0:1], v[74:75], v[252:253]
	v_cndmask_b32_e32 v1, v253, v1, vcc
	v_cndmask_b32_e32 v0, v252, v0, vcc
	s_waitcnt vmcnt(0)
	global_store_dwordx2 v[2:3], v[190:191], off
	global_store_dwordx2 v[86:87], v[250:251], off
	;; [unrolled: 1-line block ×23, first 2 shown]
	buffer_load_dword v2, off, s[16:19], 0  ; 4-byte Folded Reload
	buffer_load_dword v3, off, s[16:19], 0 offset:4 ; 4-byte Folded Reload
	s_waitcnt vmcnt(0)
	global_store_dwordx2 v[2:3], v[228:229], off
	buffer_load_dword v2, off, s[16:19], 0 offset:8 ; 4-byte Folded Reload
	s_nop 0
	buffer_load_dword v3, off, s[16:19], 0 offset:12 ; 4-byte Folded Reload
	s_waitcnt vmcnt(0)
	global_store_dwordx2 v[2:3], v[166:167], off
	buffer_load_dword v2, off, s[16:19], 0 offset:16 ; 4-byte Folded Reload
	s_nop 0
	;; [unrolled: 5-line block ×38, first 2 shown]
	buffer_load_dword v3, off, s[16:19], 0 offset:308 ; 4-byte Folded Reload
	s_waitcnt vmcnt(0)
	global_store_dwordx2 v[2:3], v[0:1], off
.LBB125_318:
	s_endpgm
	.section	.rodata,"a",@progbits
	.p2align	6, 0x0
	.amdhsa_kernel _ZN9rocsolver6v33100L23getf2_npvt_small_kernelILi63EdiiPKPdEEvT1_T3_lS5_lPT2_S5_S5_
		.amdhsa_group_segment_fixed_size 0
		.amdhsa_private_segment_fixed_size 540
		.amdhsa_kernarg_size 312
		.amdhsa_user_sgpr_count 6
		.amdhsa_user_sgpr_private_segment_buffer 1
		.amdhsa_user_sgpr_dispatch_ptr 0
		.amdhsa_user_sgpr_queue_ptr 0
		.amdhsa_user_sgpr_kernarg_segment_ptr 1
		.amdhsa_user_sgpr_dispatch_id 0
		.amdhsa_user_sgpr_flat_scratch_init 0
		.amdhsa_user_sgpr_kernarg_preload_length 0
		.amdhsa_user_sgpr_kernarg_preload_offset 0
		.amdhsa_user_sgpr_private_segment_size 0
		.amdhsa_uses_dynamic_stack 0
		.amdhsa_system_sgpr_private_segment_wavefront_offset 1
		.amdhsa_system_sgpr_workgroup_id_x 1
		.amdhsa_system_sgpr_workgroup_id_y 1
		.amdhsa_system_sgpr_workgroup_id_z 0
		.amdhsa_system_sgpr_workgroup_info 0
		.amdhsa_system_vgpr_workitem_id 1
		.amdhsa_next_free_vgpr 256
		.amdhsa_next_free_sgpr 20
		.amdhsa_accum_offset 256
		.amdhsa_reserve_vcc 1
		.amdhsa_reserve_flat_scratch 0
		.amdhsa_float_round_mode_32 0
		.amdhsa_float_round_mode_16_64 0
		.amdhsa_float_denorm_mode_32 3
		.amdhsa_float_denorm_mode_16_64 3
		.amdhsa_dx10_clamp 1
		.amdhsa_ieee_mode 1
		.amdhsa_fp16_overflow 0
		.amdhsa_tg_split 0
		.amdhsa_exception_fp_ieee_invalid_op 0
		.amdhsa_exception_fp_denorm_src 0
		.amdhsa_exception_fp_ieee_div_zero 0
		.amdhsa_exception_fp_ieee_overflow 0
		.amdhsa_exception_fp_ieee_underflow 0
		.amdhsa_exception_fp_ieee_inexact 0
		.amdhsa_exception_int_div_zero 0
	.end_amdhsa_kernel
	.section	.text._ZN9rocsolver6v33100L23getf2_npvt_small_kernelILi63EdiiPKPdEEvT1_T3_lS5_lPT2_S5_S5_,"axG",@progbits,_ZN9rocsolver6v33100L23getf2_npvt_small_kernelILi63EdiiPKPdEEvT1_T3_lS5_lPT2_S5_S5_,comdat
.Lfunc_end125:
	.size	_ZN9rocsolver6v33100L23getf2_npvt_small_kernelILi63EdiiPKPdEEvT1_T3_lS5_lPT2_S5_S5_, .Lfunc_end125-_ZN9rocsolver6v33100L23getf2_npvt_small_kernelILi63EdiiPKPdEEvT1_T3_lS5_lPT2_S5_S5_
                                        ; -- End function
	.section	.AMDGPU.csdata,"",@progbits
; Kernel info:
; codeLenInByte = 64628
; NumSgprs: 24
; NumVgprs: 256
; NumAgprs: 0
; TotalNumVgprs: 256
; ScratchSize: 540
; MemoryBound: 0
; FloatMode: 240
; IeeeMode: 1
; LDSByteSize: 0 bytes/workgroup (compile time only)
; SGPRBlocks: 2
; VGPRBlocks: 31
; NumSGPRsForWavesPerEU: 24
; NumVGPRsForWavesPerEU: 256
; AccumOffset: 256
; Occupancy: 2
; WaveLimiterHint : 1
; COMPUTE_PGM_RSRC2:SCRATCH_EN: 1
; COMPUTE_PGM_RSRC2:USER_SGPR: 6
; COMPUTE_PGM_RSRC2:TRAP_HANDLER: 0
; COMPUTE_PGM_RSRC2:TGID_X_EN: 1
; COMPUTE_PGM_RSRC2:TGID_Y_EN: 1
; COMPUTE_PGM_RSRC2:TGID_Z_EN: 0
; COMPUTE_PGM_RSRC2:TIDIG_COMP_CNT: 1
; COMPUTE_PGM_RSRC3_GFX90A:ACCUM_OFFSET: 63
; COMPUTE_PGM_RSRC3_GFX90A:TG_SPLIT: 0
	.section	.text._ZN9rocsolver6v33100L18getf2_small_kernelILi64EdiiPKPdEEvT1_T3_lS5_lPS5_llPT2_S5_S5_S7_l,"axG",@progbits,_ZN9rocsolver6v33100L18getf2_small_kernelILi64EdiiPKPdEEvT1_T3_lS5_lPS5_llPT2_S5_S5_S7_l,comdat
	.globl	_ZN9rocsolver6v33100L18getf2_small_kernelILi64EdiiPKPdEEvT1_T3_lS5_lPS5_llPT2_S5_S5_S7_l ; -- Begin function _ZN9rocsolver6v33100L18getf2_small_kernelILi64EdiiPKPdEEvT1_T3_lS5_lPS5_llPT2_S5_S5_S7_l
	.p2align	8
	.type	_ZN9rocsolver6v33100L18getf2_small_kernelILi64EdiiPKPdEEvT1_T3_lS5_lPS5_llPT2_S5_S5_S7_l,@function
_ZN9rocsolver6v33100L18getf2_small_kernelILi64EdiiPKPdEEvT1_T3_lS5_lPS5_llPT2_S5_S5_S7_l: ; @_ZN9rocsolver6v33100L18getf2_small_kernelILi64EdiiPKPdEEvT1_T3_lS5_lPS5_llPT2_S5_S5_S7_l
; %bb.0:
	s_load_dword s0, s[4:5], 0x6c
	s_load_dwordx2 s[12:13], s[4:5], 0x48
	v_bfe_u32 v132, v0, 10, 10
	s_waitcnt lgkmcnt(0)
	s_lshr_b32 s0, s0, 16
	s_mul_i32 s7, s7, s0
	v_add_u32_e32 v2, s7, v132
	v_cmp_gt_i32_e32 vcc, s12, v2
	s_and_saveexec_b64 s[0:1], vcc
	s_cbranch_execz .LBB126_1085
; %bb.1:
	s_load_dwordx4 s[0:3], s[4:5], 0x8
	s_load_dwordx4 s[8:11], s[4:5], 0x50
	v_ashrrev_i32_e32 v3, 31, v2
	v_lshlrev_b64 v[4:5], 3, v[2:3]
	s_waitcnt lgkmcnt(0)
	v_mov_b32_e32 v1, s1
	v_add_co_u32_e32 v4, vcc, s0, v4
	v_addc_co_u32_e32 v5, vcc, v1, v5, vcc
	global_load_dwordx2 v[6:7], v[4:5], off
	s_cmp_eq_u64 s[8:9], 0
	s_cselect_b64 s[6:7], -1, 0
	s_and_b64 vcc, exec, s[6:7]
	v_pk_mov_b32 v[4:5], 0, 0
	s_cbranch_vccnz .LBB126_3
; %bb.2:
	v_mul_lo_u32 v1, v3, s10
	v_mul_lo_u32 v8, v2, s11
	v_mad_u64_u32 v[4:5], s[0:1], v2, s10, 0
	v_add3_u32 v5, v5, v8, v1
	v_lshlrev_b64 v[4:5], 2, v[4:5]
	v_mov_b32_e32 v1, s9
	v_add_co_u32_e32 v4, vcc, s8, v4
	v_addc_co_u32_e32 v5, vcc, v1, v5, vcc
.LBB126_3:
	s_load_dword s8, s[4:5], 0x18
	s_load_dword s18, s[4:5], 0x0
	s_lshl_b64 s[0:1], s[2:3], 3
	v_and_b32_e32 v140, 0x3ff, v0
	v_mov_b32_e32 v1, s1
	s_waitcnt lgkmcnt(0)
	s_add_i32 s12, s8, s8
	s_waitcnt vmcnt(0)
	v_add_co_u32_e32 v138, vcc, s0, v6
	v_add_u32_e32 v6, s12, v140
	v_addc_co_u32_e32 v139, vcc, v7, v1, vcc
	v_ashrrev_i32_e32 v7, 31, v6
	v_lshlrev_b64 v[0:1], 3, v[6:7]
	v_add_u32_e32 v8, s8, v6
	v_add_co_u32_e32 v0, vcc, v138, v0
	v_ashrrev_i32_e32 v9, 31, v8
	v_addc_co_u32_e32 v1, vcc, v139, v1, vcc
	v_lshlrev_b64 v[6:7], 3, v[8:9]
	v_add_u32_e32 v10, s8, v8
	v_add_co_u32_e32 v6, vcc, v138, v6
	v_ashrrev_i32_e32 v11, 31, v10
	v_addc_co_u32_e32 v7, vcc, v139, v7, vcc
	;; [unrolled: 5-line block ×61, first 2 shown]
	v_lshlrev_b64 v[40:41], 3, v[40:41]
	v_add_co_u32_e32 v198, vcc, v138, v40
	v_addc_co_u32_e32 v199, vcc, v139, v41, vcc
	v_lshlrev_b32_e32 v133, 3, v140
	v_add_co_u32_e32 v40, vcc, v138, v133
	s_ashr_i32 s9, s8, 31
	v_addc_co_u32_e32 v41, vcc, 0, v139, vcc
	s_lshl_b64 s[10:11], s[8:9], 3
	v_mov_b32_e32 v67, s11
	v_add_co_u32_e32 v66, vcc, s10, v40
	v_addc_co_u32_e32 v67, vcc, v41, v67, vcc
	global_load_dwordx2 v[126:127], v[40:41], off
	global_load_dwordx2 v[128:129], v[66:67], off
	;; [unrolled: 1-line block ×32, first 2 shown]
	s_nop 0
	global_load_dwordx2 v[64:65], v[130:131], off
	global_load_dwordx2 v[62:63], v[134:135], off
	;; [unrolled: 1-line block ×32, first 2 shown]
	s_max_i32 s0, s18, 64
	v_mul_lo_u32 v134, s0, v132
	v_lshl_add_u32 v136, v134, 3, 0
	v_add_u32_e32 v132, v136, v133
	s_cmp_lt_i32 s18, 2
	v_lshlrev_b32_e32 v141, 3, v134
	v_mov_b32_e32 v134, 0
	s_waitcnt vmcnt(62)
	ds_write_b64 v132, v[126:127]
	s_waitcnt lgkmcnt(0)
	s_barrier
	ds_read_b64 v[132:133], v136
	s_cbranch_scc1 .LBB126_6
; %bb.4:
	v_add3_u32 v135, v141, 0, 8
	s_mov_b32 s0, 1
	v_mov_b32_e32 v134, 0
.LBB126_5:                              ; =>This Inner Loop Header: Depth=1
	ds_read_b64 v[142:143], v135
	v_mov_b32_e32 v137, s0
	s_add_i32 s0, s0, 1
	v_add_u32_e32 v135, 8, v135
	s_cmp_eq_u32 s18, s0
	s_waitcnt lgkmcnt(0)
	v_cmp_lt_f64_e64 vcc, |v[132:133]|, |v[142:143]|
	v_cndmask_b32_e32 v133, v133, v143, vcc
	v_cndmask_b32_e32 v132, v132, v142, vcc
	;; [unrolled: 1-line block ×3, first 2 shown]
	s_cbranch_scc0 .LBB126_5
.LBB126_6:
	v_cmp_ne_u32_e32 vcc, v140, v134
                                        ; implicit-def: $vgpr137
	s_and_saveexec_b64 s[0:1], vcc
	s_xor_b64 s[0:1], exec, s[0:1]
	s_cbranch_execz .LBB126_12
; %bb.7:
	v_cmp_eq_u32_e32 vcc, 0, v140
	s_and_saveexec_b64 s[2:3], vcc
	s_cbranch_execz .LBB126_11
; %bb.8:
	v_cmp_ne_u32_e32 vcc, 0, v134
	s_xor_b64 s[14:15], s[6:7], -1
	s_and_b64 s[16:17], s[14:15], vcc
	s_and_saveexec_b64 s[14:15], s[16:17]
	s_cbranch_execz .LBB126_10
; %bb.9:
	v_ashrrev_i32_e32 v135, 31, v134
	v_lshlrev_b64 v[142:143], 2, v[134:135]
	v_add_co_u32_e32 v142, vcc, v4, v142
	v_addc_co_u32_e32 v143, vcc, v5, v143, vcc
	flat_load_dword v135, v[142:143]
	flat_load_dword v137, v[4:5]
	s_waitcnt vmcnt(0) lgkmcnt(0)
	flat_store_dword v[4:5], v135
	flat_store_dword v[142:143], v137
.LBB126_10:
	s_or_b64 exec, exec, s[14:15]
	v_mov_b32_e32 v140, v134
.LBB126_11:
	s_or_b64 exec, exec, s[2:3]
	v_mov_b32_e32 v137, v140
                                        ; implicit-def: $vgpr140
.LBB126_12:
	s_or_saveexec_b64 s[0:1], s[0:1]
	v_mov_b32_e32 v135, v137
	s_xor_b64 exec, exec, s[0:1]
	s_cbranch_execz .LBB126_14
; %bb.13:
	v_mov_b32_e32 v137, 0
	v_mov_b32_e32 v135, v140
	s_waitcnt vmcnt(0)
	ds_write2_b64 v136, v[128:129], v[124:125] offset0:1 offset1:2
	ds_write2_b64 v136, v[122:123], v[120:121] offset0:3 offset1:4
	;; [unrolled: 1-line block ×31, first 2 shown]
	ds_write_b64 v136, v[130:131] offset:504
.LBB126_14:
	s_or_b64 exec, exec, s[0:1]
	s_waitcnt lgkmcnt(0)
	v_cmp_eq_f64_e64 s[0:1], 0, v[132:133]
	v_cmp_lt_i32_e32 vcc, 0, v137
	s_barrier
	s_and_saveexec_b64 s[2:3], vcc
	s_cbranch_execz .LBB126_16
; %bb.15:
	v_div_scale_f64 v[142:143], s[14:15], v[132:133], v[132:133], 1.0
	v_rcp_f64_e32 v[144:145], v[142:143]
	v_div_scale_f64 v[146:147], vcc, 1.0, v[132:133], 1.0
	ds_read2_b64 v[150:153], v136 offset0:5 offset1:6
	v_fma_f64 v[148:149], -v[142:143], v[144:145], 1.0
	v_fmac_f64_e32 v[144:145], v[144:145], v[148:149]
	v_fma_f64 v[148:149], -v[142:143], v[144:145], 1.0
	v_fmac_f64_e32 v[144:145], v[144:145], v[148:149]
	v_mul_f64 v[148:149], v[146:147], v[144:145]
	v_fma_f64 v[142:143], -v[142:143], v[148:149], v[146:147]
	v_div_fmas_f64 v[142:143], v[142:143], v[144:145], v[148:149]
	v_div_fixup_f64 v[146:147], v[142:143], v[132:133], 1.0
	ds_read2_b64 v[142:145], v136 offset0:1 offset1:2
	v_cndmask_b32_e64 v133, v147, v133, s[0:1]
	v_cndmask_b32_e64 v132, v146, v132, s[0:1]
	ds_read2_b64 v[146:149], v136 offset0:3 offset1:4
	v_mul_f64 v[126:127], v[132:133], v[126:127]
	s_waitcnt lgkmcnt(0)
	v_fma_f64 v[128:129], -v[126:127], v[142:143], v[128:129]
	s_waitcnt vmcnt(0)
	v_fma_f64 v[124:125], -v[126:127], v[144:145], v[124:125]
	ds_read2_b64 v[142:145], v136 offset0:7 offset1:8
	v_fma_f64 v[122:123], -v[126:127], v[146:147], v[122:123]
	v_fma_f64 v[120:121], -v[126:127], v[148:149], v[120:121]
	;; [unrolled: 1-line block ×3, first 2 shown]
	ds_read2_b64 v[146:149], v136 offset0:9 offset1:10
	v_fma_f64 v[116:117], -v[126:127], v[152:153], v[116:117]
	ds_read2_b64 v[150:153], v136 offset0:11 offset1:12
	s_waitcnt lgkmcnt(2)
	v_fma_f64 v[114:115], -v[126:127], v[142:143], v[114:115]
	v_fma_f64 v[112:113], -v[126:127], v[144:145], v[112:113]
	ds_read2_b64 v[142:145], v136 offset0:13 offset1:14
	s_waitcnt lgkmcnt(2)
	v_fma_f64 v[110:111], -v[126:127], v[146:147], v[110:111]
	v_fma_f64 v[108:109], -v[126:127], v[148:149], v[108:109]
	ds_read2_b64 v[146:149], v136 offset0:15 offset1:16
	s_waitcnt lgkmcnt(2)
	v_fma_f64 v[106:107], -v[126:127], v[150:151], v[106:107]
	v_fma_f64 v[104:105], -v[126:127], v[152:153], v[104:105]
	s_waitcnt lgkmcnt(1)
	v_fma_f64 v[102:103], -v[126:127], v[142:143], v[102:103]
	ds_read2_b64 v[150:153], v136 offset0:17 offset1:18
	v_fma_f64 v[100:101], -v[126:127], v[144:145], v[100:101]
	ds_read2_b64 v[142:145], v136 offset0:19 offset1:20
	s_waitcnt lgkmcnt(2)
	v_fma_f64 v[98:99], -v[126:127], v[146:147], v[98:99]
	v_fma_f64 v[96:97], -v[126:127], v[148:149], v[96:97]
	s_waitcnt lgkmcnt(1)
	v_fma_f64 v[94:95], -v[126:127], v[150:151], v[94:95]
	ds_read2_b64 v[146:149], v136 offset0:21 offset1:22
	v_fma_f64 v[92:93], -v[126:127], v[152:153], v[92:93]
	ds_read2_b64 v[150:153], v136 offset0:23 offset1:24
	s_waitcnt lgkmcnt(2)
	v_fma_f64 v[90:91], -v[126:127], v[142:143], v[90:91]
	v_fma_f64 v[88:89], -v[126:127], v[144:145], v[88:89]
	ds_read2_b64 v[142:145], v136 offset0:25 offset1:26
	s_waitcnt lgkmcnt(2)
	v_fma_f64 v[86:87], -v[126:127], v[146:147], v[86:87]
	v_fma_f64 v[84:85], -v[126:127], v[148:149], v[84:85]
	ds_read2_b64 v[146:149], v136 offset0:27 offset1:28
	s_waitcnt lgkmcnt(2)
	v_fma_f64 v[82:83], -v[126:127], v[150:151], v[82:83]
	v_fma_f64 v[80:81], -v[126:127], v[152:153], v[80:81]
	s_waitcnt lgkmcnt(1)
	v_fma_f64 v[78:79], -v[126:127], v[142:143], v[78:79]
	ds_read2_b64 v[150:153], v136 offset0:29 offset1:30
	v_fma_f64 v[76:77], -v[126:127], v[144:145], v[76:77]
	ds_read2_b64 v[142:145], v136 offset0:31 offset1:32
	s_waitcnt lgkmcnt(2)
	v_fma_f64 v[74:75], -v[126:127], v[146:147], v[74:75]
	v_fma_f64 v[72:73], -v[126:127], v[148:149], v[72:73]
	s_waitcnt lgkmcnt(1)
	v_fma_f64 v[70:71], -v[126:127], v[150:151], v[70:71]
	ds_read2_b64 v[146:149], v136 offset0:33 offset1:34
	v_fma_f64 v[68:69], -v[126:127], v[152:153], v[68:69]
	ds_read2_b64 v[150:153], v136 offset0:35 offset1:36
	s_waitcnt lgkmcnt(2)
	v_fma_f64 v[66:67], -v[126:127], v[142:143], v[66:67]
	v_fma_f64 v[64:65], -v[126:127], v[144:145], v[64:65]
	ds_read2_b64 v[142:145], v136 offset0:37 offset1:38
	s_waitcnt lgkmcnt(2)
	v_fma_f64 v[62:63], -v[126:127], v[146:147], v[62:63]
	v_fma_f64 v[60:61], -v[126:127], v[148:149], v[60:61]
	ds_read2_b64 v[146:149], v136 offset0:39 offset1:40
	s_waitcnt lgkmcnt(2)
	v_fma_f64 v[58:59], -v[126:127], v[150:151], v[58:59]
	v_fma_f64 v[56:57], -v[126:127], v[152:153], v[56:57]
	s_waitcnt lgkmcnt(1)
	v_fma_f64 v[54:55], -v[126:127], v[142:143], v[54:55]
	ds_read2_b64 v[150:153], v136 offset0:41 offset1:42
	v_fma_f64 v[52:53], -v[126:127], v[144:145], v[52:53]
	ds_read2_b64 v[142:145], v136 offset0:43 offset1:44
	s_waitcnt lgkmcnt(2)
	v_fma_f64 v[50:51], -v[126:127], v[146:147], v[50:51]
	v_fma_f64 v[48:49], -v[126:127], v[148:149], v[48:49]
	s_waitcnt lgkmcnt(1)
	v_fma_f64 v[46:47], -v[126:127], v[150:151], v[46:47]
	ds_read2_b64 v[146:149], v136 offset0:45 offset1:46
	v_fma_f64 v[44:45], -v[126:127], v[152:153], v[44:45]
	ds_read2_b64 v[150:153], v136 offset0:47 offset1:48
	s_waitcnt lgkmcnt(2)
	v_fma_f64 v[42:43], -v[126:127], v[142:143], v[42:43]
	v_fma_f64 v[40:41], -v[126:127], v[144:145], v[40:41]
	ds_read2_b64 v[142:145], v136 offset0:49 offset1:50
	s_waitcnt lgkmcnt(2)
	v_fma_f64 v[38:39], -v[126:127], v[146:147], v[38:39]
	v_fma_f64 v[36:37], -v[126:127], v[148:149], v[36:37]
	ds_read2_b64 v[146:149], v136 offset0:51 offset1:52
	s_waitcnt lgkmcnt(2)
	v_fma_f64 v[34:35], -v[126:127], v[150:151], v[34:35]
	v_fma_f64 v[32:33], -v[126:127], v[152:153], v[32:33]
	s_waitcnt lgkmcnt(1)
	v_fma_f64 v[30:31], -v[126:127], v[142:143], v[30:31]
	ds_read2_b64 v[150:153], v136 offset0:53 offset1:54
	v_fma_f64 v[28:29], -v[126:127], v[144:145], v[28:29]
	ds_read2_b64 v[142:145], v136 offset0:55 offset1:56
	s_waitcnt lgkmcnt(2)
	v_fma_f64 v[26:27], -v[126:127], v[146:147], v[26:27]
	v_fma_f64 v[24:25], -v[126:127], v[148:149], v[24:25]
	s_waitcnt lgkmcnt(1)
	v_fma_f64 v[22:23], -v[126:127], v[150:151], v[22:23]
	ds_read2_b64 v[146:149], v136 offset0:57 offset1:58
	v_fma_f64 v[20:21], -v[126:127], v[152:153], v[20:21]
	s_waitcnt lgkmcnt(1)
	v_fma_f64 v[18:19], -v[126:127], v[142:143], v[18:19]
	v_fma_f64 v[16:17], -v[126:127], v[144:145], v[16:17]
	ds_read2_b64 v[142:145], v136 offset0:59 offset1:60
	ds_read2_b64 v[150:153], v136 offset0:61 offset1:62
	ds_read_b64 v[132:133], v136 offset:504
	s_waitcnt lgkmcnt(3)
	v_fma_f64 v[14:15], -v[126:127], v[146:147], v[14:15]
	v_fma_f64 v[12:13], -v[126:127], v[148:149], v[12:13]
	s_waitcnt lgkmcnt(2)
	v_fma_f64 v[10:11], -v[126:127], v[142:143], v[10:11]
	v_fma_f64 v[8:9], -v[126:127], v[144:145], v[8:9]
	s_waitcnt lgkmcnt(1)
	v_fma_f64 v[6:7], -v[126:127], v[150:151], v[6:7]
	v_fma_f64 v[0:1], -v[126:127], v[152:153], v[0:1]
	s_waitcnt lgkmcnt(0)
	v_fma_f64 v[130:131], -v[126:127], v[132:133], v[130:131]
.LBB126_16:
	s_or_b64 exec, exec, s[2:3]
	v_lshl_add_u32 v132, v137, 3, v136
	s_barrier
	ds_write_b64 v132, v[128:129]
	s_waitcnt lgkmcnt(0)
	s_barrier
	ds_read_b64 v[132:133], v136 offset:8
	s_cmp_lt_i32 s18, 3
	v_mov_b32_e32 v134, 1
	s_cbranch_scc1 .LBB126_19
; %bb.17:
	v_add3_u32 v140, v141, 0, 16
	s_mov_b32 s2, 2
	v_mov_b32_e32 v134, 1
.LBB126_18:                             ; =>This Inner Loop Header: Depth=1
	ds_read_b64 v[142:143], v140
	v_mov_b32_e32 v144, s2
	s_add_i32 s2, s2, 1
	v_add_u32_e32 v140, 8, v140
	s_cmp_lg_u32 s18, s2
	s_waitcnt lgkmcnt(0)
	v_cmp_lt_f64_e64 vcc, |v[132:133]|, |v[142:143]|
	v_cndmask_b32_e32 v133, v133, v143, vcc
	v_cndmask_b32_e32 v132, v132, v142, vcc
	;; [unrolled: 1-line block ×3, first 2 shown]
	s_cbranch_scc1 .LBB126_18
.LBB126_19:
	v_cmp_ne_u32_e32 vcc, v137, v134
	s_and_saveexec_b64 s[2:3], vcc
	s_xor_b64 s[2:3], exec, s[2:3]
	s_cbranch_execz .LBB126_25
; %bb.20:
	v_cmp_eq_u32_e32 vcc, 1, v137
	s_and_saveexec_b64 s[14:15], vcc
	s_cbranch_execz .LBB126_24
; %bb.21:
	v_cmp_ne_u32_e32 vcc, 1, v134
	s_xor_b64 s[16:17], s[6:7], -1
	s_and_b64 s[20:21], s[16:17], vcc
	s_and_saveexec_b64 s[16:17], s[20:21]
	s_cbranch_execz .LBB126_23
; %bb.22:
	v_ashrrev_i32_e32 v135, 31, v134
	v_lshlrev_b64 v[142:143], 2, v[134:135]
	v_add_co_u32_e32 v142, vcc, v4, v142
	v_addc_co_u32_e32 v143, vcc, v5, v143, vcc
	flat_load_dword v135, v[142:143]
	flat_load_dword v137, v[4:5] offset:4
	s_waitcnt vmcnt(0) lgkmcnt(0)
	flat_store_dword v[4:5], v135 offset:4
	flat_store_dword v[142:143], v137
.LBB126_23:
	s_or_b64 exec, exec, s[16:17]
	v_mov_b32_e32 v135, v134
	v_mov_b32_e32 v137, v134
.LBB126_24:
	s_or_b64 exec, exec, s[14:15]
.LBB126_25:
	s_andn2_saveexec_b64 s[2:3], s[2:3]
	s_cbranch_execz .LBB126_27
; %bb.26:
	s_waitcnt vmcnt(0)
	v_mov_b32_e32 v142, v124
	v_mov_b32_e32 v143, v125
	v_mov_b32_e32 v144, v122
	v_mov_b32_e32 v145, v123
	ds_write2_b64 v136, v[142:143], v[144:145] offset0:2 offset1:3
	v_mov_b32_e32 v142, v120
	v_mov_b32_e32 v143, v121
	v_mov_b32_e32 v144, v118
	v_mov_b32_e32 v145, v119
	ds_write2_b64 v136, v[142:143], v[144:145] offset0:4 offset1:5
	;; [unrolled: 5-line block ×30, first 2 shown]
	v_mov_b32_e32 v142, v0
	v_mov_b32_e32 v143, v1
	;; [unrolled: 1-line block ×3, first 2 shown]
	ds_write2_b64 v136, v[142:143], v[130:131] offset0:62 offset1:63
.LBB126_27:
	s_or_b64 exec, exec, s[2:3]
	s_waitcnt lgkmcnt(0)
	v_cmp_neq_f64_e64 s[2:3], 0, v[132:133]
	v_cmp_lt_i32_e32 vcc, 1, v137
	s_barrier
	s_and_saveexec_b64 s[14:15], vcc
	s_cbranch_execz .LBB126_29
; %bb.28:
	v_div_scale_f64 v[142:143], s[16:17], v[132:133], v[132:133], 1.0
	v_rcp_f64_e32 v[144:145], v[142:143]
	v_div_scale_f64 v[146:147], vcc, 1.0, v[132:133], 1.0
	ds_read2_b64 v[150:153], v136 offset0:6 offset1:7
	v_fma_f64 v[148:149], -v[142:143], v[144:145], 1.0
	v_fmac_f64_e32 v[144:145], v[144:145], v[148:149]
	v_fma_f64 v[148:149], -v[142:143], v[144:145], 1.0
	v_fmac_f64_e32 v[144:145], v[144:145], v[148:149]
	v_mul_f64 v[148:149], v[146:147], v[144:145]
	v_fma_f64 v[142:143], -v[142:143], v[148:149], v[146:147]
	v_div_fmas_f64 v[142:143], v[142:143], v[144:145], v[148:149]
	v_div_fixup_f64 v[146:147], v[142:143], v[132:133], 1.0
	ds_read2_b64 v[142:145], v136 offset0:2 offset1:3
	v_cndmask_b32_e64 v133, v133, v147, s[2:3]
	v_cndmask_b32_e64 v132, v132, v146, s[2:3]
	ds_read2_b64 v[146:149], v136 offset0:4 offset1:5
	v_mul_f64 v[128:129], v[132:133], v[128:129]
	s_waitcnt vmcnt(0) lgkmcnt(0)
	v_fma_f64 v[124:125], -v[128:129], v[142:143], v[124:125]
	v_fma_f64 v[122:123], -v[128:129], v[144:145], v[122:123]
	ds_read2_b64 v[142:145], v136 offset0:8 offset1:9
	v_fma_f64 v[120:121], -v[128:129], v[146:147], v[120:121]
	v_fma_f64 v[118:119], -v[128:129], v[148:149], v[118:119]
	;; [unrolled: 1-line block ×3, first 2 shown]
	ds_read2_b64 v[146:149], v136 offset0:10 offset1:11
	v_fma_f64 v[114:115], -v[128:129], v[152:153], v[114:115]
	ds_read2_b64 v[150:153], v136 offset0:12 offset1:13
	s_waitcnt lgkmcnt(2)
	v_fma_f64 v[112:113], -v[128:129], v[142:143], v[112:113]
	v_fma_f64 v[110:111], -v[128:129], v[144:145], v[110:111]
	ds_read2_b64 v[142:145], v136 offset0:14 offset1:15
	s_waitcnt lgkmcnt(2)
	v_fma_f64 v[108:109], -v[128:129], v[146:147], v[108:109]
	v_fma_f64 v[106:107], -v[128:129], v[148:149], v[106:107]
	ds_read2_b64 v[146:149], v136 offset0:16 offset1:17
	s_waitcnt lgkmcnt(2)
	v_fma_f64 v[104:105], -v[128:129], v[150:151], v[104:105]
	v_fma_f64 v[102:103], -v[128:129], v[152:153], v[102:103]
	s_waitcnt lgkmcnt(1)
	v_fma_f64 v[100:101], -v[128:129], v[142:143], v[100:101]
	ds_read2_b64 v[150:153], v136 offset0:18 offset1:19
	v_fma_f64 v[98:99], -v[128:129], v[144:145], v[98:99]
	ds_read2_b64 v[142:145], v136 offset0:20 offset1:21
	s_waitcnt lgkmcnt(2)
	v_fma_f64 v[96:97], -v[128:129], v[146:147], v[96:97]
	v_fma_f64 v[94:95], -v[128:129], v[148:149], v[94:95]
	s_waitcnt lgkmcnt(1)
	v_fma_f64 v[92:93], -v[128:129], v[150:151], v[92:93]
	ds_read2_b64 v[146:149], v136 offset0:22 offset1:23
	v_fma_f64 v[90:91], -v[128:129], v[152:153], v[90:91]
	ds_read2_b64 v[150:153], v136 offset0:24 offset1:25
	s_waitcnt lgkmcnt(2)
	v_fma_f64 v[88:89], -v[128:129], v[142:143], v[88:89]
	v_fma_f64 v[86:87], -v[128:129], v[144:145], v[86:87]
	ds_read2_b64 v[142:145], v136 offset0:26 offset1:27
	s_waitcnt lgkmcnt(2)
	v_fma_f64 v[84:85], -v[128:129], v[146:147], v[84:85]
	v_fma_f64 v[82:83], -v[128:129], v[148:149], v[82:83]
	ds_read2_b64 v[146:149], v136 offset0:28 offset1:29
	s_waitcnt lgkmcnt(2)
	v_fma_f64 v[80:81], -v[128:129], v[150:151], v[80:81]
	v_fma_f64 v[78:79], -v[128:129], v[152:153], v[78:79]
	s_waitcnt lgkmcnt(1)
	v_fma_f64 v[76:77], -v[128:129], v[142:143], v[76:77]
	ds_read2_b64 v[150:153], v136 offset0:30 offset1:31
	v_fma_f64 v[74:75], -v[128:129], v[144:145], v[74:75]
	ds_read2_b64 v[142:145], v136 offset0:32 offset1:33
	s_waitcnt lgkmcnt(2)
	v_fma_f64 v[72:73], -v[128:129], v[146:147], v[72:73]
	v_fma_f64 v[70:71], -v[128:129], v[148:149], v[70:71]
	s_waitcnt lgkmcnt(1)
	v_fma_f64 v[68:69], -v[128:129], v[150:151], v[68:69]
	;; [unrolled: 24-line block ×4, first 2 shown]
	v_fma_f64 v[18:19], -v[128:129], v[152:153], v[18:19]
	ds_read2_b64 v[146:149], v136 offset0:58 offset1:59
	ds_read2_b64 v[150:153], v136 offset0:60 offset1:61
	s_waitcnt lgkmcnt(2)
	v_fma_f64 v[16:17], -v[128:129], v[142:143], v[16:17]
	v_fma_f64 v[14:15], -v[128:129], v[144:145], v[14:15]
	ds_read2_b64 v[142:145], v136 offset0:62 offset1:63
	s_waitcnt lgkmcnt(2)
	v_fma_f64 v[12:13], -v[128:129], v[146:147], v[12:13]
	v_fma_f64 v[10:11], -v[128:129], v[148:149], v[10:11]
	s_waitcnt lgkmcnt(1)
	v_fma_f64 v[8:9], -v[128:129], v[150:151], v[8:9]
	v_fma_f64 v[6:7], -v[128:129], v[152:153], v[6:7]
	;; [unrolled: 3-line block ×3, first 2 shown]
.LBB126_29:
	s_or_b64 exec, exec, s[14:15]
	v_lshl_add_u32 v132, v137, 3, v136
	s_barrier
	s_waitcnt vmcnt(0)
	ds_write_b64 v132, v[124:125]
	s_waitcnt lgkmcnt(0)
	s_barrier
	ds_read_b64 v[132:133], v136 offset:16
	s_mov_b32 s9, 3
	s_cmp_lt_i32 s18, 4
	v_mov_b32_e32 v134, 2
	s_cbranch_scc1 .LBB126_32
; %bb.30:
	v_add3_u32 v140, v141, 0, 24
	v_mov_b32_e32 v134, 2
.LBB126_31:                             ; =>This Inner Loop Header: Depth=1
	ds_read_b64 v[142:143], v140
	v_mov_b32_e32 v144, s9
	s_add_i32 s9, s9, 1
	v_add_u32_e32 v140, 8, v140
	s_cmp_lg_u32 s18, s9
	s_waitcnt lgkmcnt(0)
	v_cmp_lt_f64_e64 vcc, |v[132:133]|, |v[142:143]|
	v_cndmask_b32_e32 v133, v133, v143, vcc
	v_cndmask_b32_e32 v132, v132, v142, vcc
	;; [unrolled: 1-line block ×3, first 2 shown]
	s_cbranch_scc1 .LBB126_31
.LBB126_32:
	v_cndmask_b32_e64 v140, 2, 1, s[0:1]
	v_cndmask_b32_e64 v142, 0, 1, s[0:1]
	;; [unrolled: 1-line block ×3, first 2 shown]
	s_waitcnt lgkmcnt(0)
	v_cmp_eq_f64_e32 vcc, 0, v[132:133]
	s_and_saveexec_b64 s[0:1], vcc
	s_xor_b64 s[0:1], exec, s[0:1]
; %bb.33:
	v_cmp_ne_u32_e32 vcc, 0, v140
	v_cndmask_b32_e32 v140, 3, v140, vcc
; %bb.34:
	s_andn2_saveexec_b64 s[0:1], s[0:1]
; %bb.35:
	v_div_scale_f64 v[142:143], s[2:3], v[132:133], v[132:133], 1.0
	v_rcp_f64_e32 v[144:145], v[142:143]
	v_div_scale_f64 v[146:147], vcc, 1.0, v[132:133], 1.0
	v_fma_f64 v[148:149], -v[142:143], v[144:145], 1.0
	v_fmac_f64_e32 v[144:145], v[144:145], v[148:149]
	v_fma_f64 v[148:149], -v[142:143], v[144:145], 1.0
	v_fmac_f64_e32 v[144:145], v[144:145], v[148:149]
	v_mul_f64 v[148:149], v[146:147], v[144:145]
	v_fma_f64 v[142:143], -v[142:143], v[148:149], v[146:147]
	v_div_fmas_f64 v[142:143], v[142:143], v[144:145], v[148:149]
	v_div_fixup_f64 v[132:133], v[142:143], v[132:133], 1.0
; %bb.36:
	s_or_b64 exec, exec, s[0:1]
	v_cmp_ne_u32_e32 vcc, v137, v134
	s_and_saveexec_b64 s[0:1], vcc
	s_xor_b64 s[0:1], exec, s[0:1]
	s_cbranch_execz .LBB126_42
; %bb.37:
	v_cmp_eq_u32_e32 vcc, 2, v137
	s_and_saveexec_b64 s[2:3], vcc
	s_cbranch_execz .LBB126_41
; %bb.38:
	v_cmp_ne_u32_e32 vcc, 2, v134
	s_xor_b64 s[14:15], s[6:7], -1
	s_and_b64 s[16:17], s[14:15], vcc
	s_and_saveexec_b64 s[14:15], s[16:17]
	s_cbranch_execz .LBB126_40
; %bb.39:
	v_ashrrev_i32_e32 v135, 31, v134
	v_lshlrev_b64 v[142:143], 2, v[134:135]
	v_add_co_u32_e32 v142, vcc, v4, v142
	v_addc_co_u32_e32 v143, vcc, v5, v143, vcc
	flat_load_dword v135, v[142:143]
	flat_load_dword v137, v[4:5] offset:8
	s_waitcnt vmcnt(0) lgkmcnt(0)
	flat_store_dword v[4:5], v135 offset:8
	flat_store_dword v[142:143], v137
.LBB126_40:
	s_or_b64 exec, exec, s[14:15]
	v_mov_b32_e32 v135, v134
	v_mov_b32_e32 v137, v134
.LBB126_41:
	s_or_b64 exec, exec, s[2:3]
.LBB126_42:
	s_andn2_saveexec_b64 s[0:1], s[0:1]
	s_cbranch_execz .LBB126_44
; %bb.43:
	v_mov_b32_e32 v137, 2
	ds_write2_b64 v136, v[122:123], v[120:121] offset0:3 offset1:4
	ds_write2_b64 v136, v[118:119], v[116:117] offset0:5 offset1:6
	;; [unrolled: 1-line block ×30, first 2 shown]
	ds_write_b64 v136, v[130:131] offset:504
.LBB126_44:
	s_or_b64 exec, exec, s[0:1]
	v_cmp_lt_i32_e32 vcc, 2, v137
	s_waitcnt lgkmcnt(0)
	s_barrier
	s_and_saveexec_b64 s[0:1], vcc
	s_cbranch_execz .LBB126_46
; %bb.45:
	ds_read2_b64 v[142:145], v136 offset0:3 offset1:4
	ds_read2_b64 v[146:149], v136 offset0:5 offset1:6
	;; [unrolled: 1-line block ×3, first 2 shown]
	v_mul_f64 v[124:125], v[132:133], v[124:125]
	ds_read_b64 v[132:133], v136 offset:504
	s_waitcnt lgkmcnt(0)
	v_fma_f64 v[122:123], -v[124:125], v[142:143], v[122:123]
	v_fma_f64 v[120:121], -v[124:125], v[144:145], v[120:121]
	ds_read2_b64 v[142:145], v136 offset0:9 offset1:10
	v_fma_f64 v[118:119], -v[124:125], v[146:147], v[118:119]
	v_fma_f64 v[116:117], -v[124:125], v[148:149], v[116:117]
	v_fma_f64 v[114:115], -v[124:125], v[150:151], v[114:115]
	ds_read2_b64 v[146:149], v136 offset0:11 offset1:12
	v_fma_f64 v[112:113], -v[124:125], v[152:153], v[112:113]
	ds_read2_b64 v[150:153], v136 offset0:13 offset1:14
	s_waitcnt lgkmcnt(0)
	v_fma_f64 v[110:111], -v[124:125], v[142:143], v[110:111]
	v_fma_f64 v[108:109], -v[124:125], v[144:145], v[108:109]
	v_fma_f64 v[106:107], -v[124:125], v[146:147], v[106:107]
	ds_read2_b64 v[142:145], v136 offset0:15 offset1:16
	v_fma_f64 v[104:105], -v[124:125], v[148:149], v[104:105]
	ds_read2_b64 v[146:149], v136 offset0:17 offset1:18
	v_fma_f64 v[102:103], -v[124:125], v[150:151], v[102:103]
	v_fma_f64 v[100:101], -v[124:125], v[152:153], v[100:101]
	ds_read2_b64 v[150:153], v136 offset0:19 offset1:20
	s_waitcnt lgkmcnt(0)
	v_fma_f64 v[98:99], -v[124:125], v[142:143], v[98:99]
	v_fma_f64 v[96:97], -v[124:125], v[144:145], v[96:97]
	ds_read2_b64 v[142:145], v136 offset0:21 offset1:22
	v_fma_f64 v[94:95], -v[124:125], v[146:147], v[94:95]
	v_fma_f64 v[92:93], -v[124:125], v[148:149], v[92:93]
	v_fma_f64 v[90:91], -v[124:125], v[150:151], v[90:91]
	ds_read2_b64 v[146:149], v136 offset0:23 offset1:24
	v_fma_f64 v[88:89], -v[124:125], v[152:153], v[88:89]
	ds_read2_b64 v[150:153], v136 offset0:25 offset1:26
	s_waitcnt lgkmcnt(0)
	v_fma_f64 v[86:87], -v[124:125], v[142:143], v[86:87]
	v_fma_f64 v[84:85], -v[124:125], v[144:145], v[84:85]
	v_fma_f64 v[82:83], -v[124:125], v[146:147], v[82:83]
	ds_read2_b64 v[142:145], v136 offset0:27 offset1:28
	v_fma_f64 v[80:81], -v[124:125], v[148:149], v[80:81]
	ds_read2_b64 v[146:149], v136 offset0:29 offset1:30
	v_fma_f64 v[78:79], -v[124:125], v[150:151], v[78:79]
	v_fma_f64 v[76:77], -v[124:125], v[152:153], v[76:77]
	ds_read2_b64 v[150:153], v136 offset0:31 offset1:32
	;; [unrolled: 20-line block ×4, first 2 shown]
	s_waitcnt lgkmcnt(0)
	v_fma_f64 v[26:27], -v[124:125], v[142:143], v[26:27]
	v_fma_f64 v[24:25], -v[124:125], v[144:145], v[24:25]
	ds_read2_b64 v[142:145], v136 offset0:57 offset1:58
	v_fma_f64 v[22:23], -v[124:125], v[146:147], v[22:23]
	v_fma_f64 v[20:21], -v[124:125], v[148:149], v[20:21]
	;; [unrolled: 1-line block ×4, first 2 shown]
	ds_read2_b64 v[146:149], v136 offset0:59 offset1:60
	ds_read2_b64 v[150:153], v136 offset0:61 offset1:62
	s_waitcnt lgkmcnt(0)
	v_fma_f64 v[14:15], -v[124:125], v[142:143], v[14:15]
	v_fma_f64 v[12:13], -v[124:125], v[144:145], v[12:13]
	;; [unrolled: 1-line block ×7, first 2 shown]
.LBB126_46:
	s_or_b64 exec, exec, s[0:1]
	v_lshl_add_u32 v132, v137, 3, v136
	s_barrier
	ds_write_b64 v132, v[122:123]
	s_waitcnt lgkmcnt(0)
	s_barrier
	ds_read_b64 v[132:133], v136 offset:24
	s_cmp_lt_i32 s18, 5
	v_mov_b32_e32 v134, 3
	s_cbranch_scc1 .LBB126_49
; %bb.47:
	v_add3_u32 v142, v141, 0, 32
	s_mov_b32 s0, 4
	v_mov_b32_e32 v134, 3
.LBB126_48:                             ; =>This Inner Loop Header: Depth=1
	ds_read_b64 v[144:145], v142
	v_mov_b32_e32 v143, s0
	s_add_i32 s0, s0, 1
	v_add_u32_e32 v142, 8, v142
	s_cmp_lg_u32 s18, s0
	s_waitcnt lgkmcnt(0)
	v_cmp_lt_f64_e64 vcc, |v[132:133]|, |v[144:145]|
	v_cndmask_b32_e32 v133, v133, v145, vcc
	v_cndmask_b32_e32 v132, v132, v144, vcc
	;; [unrolled: 1-line block ×3, first 2 shown]
	s_cbranch_scc1 .LBB126_48
.LBB126_49:
	s_waitcnt lgkmcnt(0)
	v_cmp_eq_f64_e32 vcc, 0, v[132:133]
	s_and_saveexec_b64 s[0:1], vcc
	s_xor_b64 s[0:1], exec, s[0:1]
; %bb.50:
	v_cmp_ne_u32_e32 vcc, 0, v140
	v_cndmask_b32_e32 v140, 4, v140, vcc
; %bb.51:
	s_andn2_saveexec_b64 s[0:1], s[0:1]
; %bb.52:
	v_div_scale_f64 v[142:143], s[2:3], v[132:133], v[132:133], 1.0
	v_rcp_f64_e32 v[144:145], v[142:143]
	v_div_scale_f64 v[146:147], vcc, 1.0, v[132:133], 1.0
	v_fma_f64 v[148:149], -v[142:143], v[144:145], 1.0
	v_fmac_f64_e32 v[144:145], v[144:145], v[148:149]
	v_fma_f64 v[148:149], -v[142:143], v[144:145], 1.0
	v_fmac_f64_e32 v[144:145], v[144:145], v[148:149]
	v_mul_f64 v[148:149], v[146:147], v[144:145]
	v_fma_f64 v[142:143], -v[142:143], v[148:149], v[146:147]
	v_div_fmas_f64 v[142:143], v[142:143], v[144:145], v[148:149]
	v_div_fixup_f64 v[132:133], v[142:143], v[132:133], 1.0
; %bb.53:
	s_or_b64 exec, exec, s[0:1]
	v_cmp_ne_u32_e32 vcc, v137, v134
	s_and_saveexec_b64 s[0:1], vcc
	s_xor_b64 s[0:1], exec, s[0:1]
	s_cbranch_execz .LBB126_59
; %bb.54:
	v_cmp_eq_u32_e32 vcc, 3, v137
	s_and_saveexec_b64 s[2:3], vcc
	s_cbranch_execz .LBB126_58
; %bb.55:
	v_cmp_ne_u32_e32 vcc, 3, v134
	s_xor_b64 s[14:15], s[6:7], -1
	s_and_b64 s[16:17], s[14:15], vcc
	s_and_saveexec_b64 s[14:15], s[16:17]
	s_cbranch_execz .LBB126_57
; %bb.56:
	v_ashrrev_i32_e32 v135, 31, v134
	v_lshlrev_b64 v[142:143], 2, v[134:135]
	v_add_co_u32_e32 v142, vcc, v4, v142
	v_addc_co_u32_e32 v143, vcc, v5, v143, vcc
	flat_load_dword v135, v[142:143]
	flat_load_dword v137, v[4:5] offset:12
	s_waitcnt vmcnt(0) lgkmcnt(0)
	flat_store_dword v[4:5], v135 offset:12
	flat_store_dword v[142:143], v137
.LBB126_57:
	s_or_b64 exec, exec, s[14:15]
	v_mov_b32_e32 v135, v134
	v_mov_b32_e32 v137, v134
.LBB126_58:
	s_or_b64 exec, exec, s[2:3]
.LBB126_59:
	s_andn2_saveexec_b64 s[0:1], s[0:1]
	s_cbranch_execz .LBB126_61
; %bb.60:
	v_mov_b32_e32 v142, v120
	v_mov_b32_e32 v143, v121
	v_mov_b32_e32 v144, v118
	v_mov_b32_e32 v145, v119
	ds_write2_b64 v136, v[142:143], v[144:145] offset0:4 offset1:5
	v_mov_b32_e32 v142, v116
	v_mov_b32_e32 v143, v117
	v_mov_b32_e32 v144, v114
	v_mov_b32_e32 v145, v115
	ds_write2_b64 v136, v[142:143], v[144:145] offset0:6 offset1:7
	;; [unrolled: 5-line block ×29, first 2 shown]
	v_mov_b32_e32 v142, v0
	v_mov_b32_e32 v143, v1
	;; [unrolled: 1-line block ×3, first 2 shown]
	ds_write2_b64 v136, v[142:143], v[130:131] offset0:62 offset1:63
.LBB126_61:
	s_or_b64 exec, exec, s[0:1]
	v_cmp_lt_i32_e32 vcc, 3, v137
	s_waitcnt lgkmcnt(0)
	s_barrier
	s_and_saveexec_b64 s[0:1], vcc
	s_cbranch_execz .LBB126_63
; %bb.62:
	ds_read2_b64 v[142:145], v136 offset0:4 offset1:5
	ds_read2_b64 v[146:149], v136 offset0:6 offset1:7
	;; [unrolled: 1-line block ×3, first 2 shown]
	v_mul_f64 v[122:123], v[132:133], v[122:123]
	s_waitcnt lgkmcnt(0)
	v_fma_f64 v[120:121], -v[122:123], v[142:143], v[120:121]
	v_fma_f64 v[118:119], -v[122:123], v[144:145], v[118:119]
	ds_read2_b64 v[142:145], v136 offset0:10 offset1:11
	v_fma_f64 v[116:117], -v[122:123], v[146:147], v[116:117]
	v_fma_f64 v[114:115], -v[122:123], v[148:149], v[114:115]
	v_fma_f64 v[112:113], -v[122:123], v[150:151], v[112:113]
	ds_read2_b64 v[146:149], v136 offset0:12 offset1:13
	v_fma_f64 v[110:111], -v[122:123], v[152:153], v[110:111]
	ds_read2_b64 v[150:153], v136 offset0:14 offset1:15
	s_waitcnt lgkmcnt(0)
	v_fma_f64 v[108:109], -v[122:123], v[142:143], v[108:109]
	v_fma_f64 v[106:107], -v[122:123], v[144:145], v[106:107]
	v_fma_f64 v[104:105], -v[122:123], v[146:147], v[104:105]
	ds_read2_b64 v[142:145], v136 offset0:16 offset1:17
	v_fma_f64 v[102:103], -v[122:123], v[148:149], v[102:103]
	ds_read2_b64 v[146:149], v136 offset0:18 offset1:19
	v_fma_f64 v[100:101], -v[122:123], v[150:151], v[100:101]
	v_fma_f64 v[98:99], -v[122:123], v[152:153], v[98:99]
	ds_read2_b64 v[150:153], v136 offset0:20 offset1:21
	s_waitcnt lgkmcnt(0)
	v_fma_f64 v[96:97], -v[122:123], v[142:143], v[96:97]
	v_fma_f64 v[94:95], -v[122:123], v[144:145], v[94:95]
	ds_read2_b64 v[142:145], v136 offset0:22 offset1:23
	v_fma_f64 v[92:93], -v[122:123], v[146:147], v[92:93]
	v_fma_f64 v[90:91], -v[122:123], v[148:149], v[90:91]
	v_fma_f64 v[88:89], -v[122:123], v[150:151], v[88:89]
	ds_read2_b64 v[146:149], v136 offset0:24 offset1:25
	v_fma_f64 v[86:87], -v[122:123], v[152:153], v[86:87]
	ds_read2_b64 v[150:153], v136 offset0:26 offset1:27
	s_waitcnt lgkmcnt(0)
	v_fma_f64 v[84:85], -v[122:123], v[142:143], v[84:85]
	v_fma_f64 v[82:83], -v[122:123], v[144:145], v[82:83]
	v_fma_f64 v[80:81], -v[122:123], v[146:147], v[80:81]
	ds_read2_b64 v[142:145], v136 offset0:28 offset1:29
	v_fma_f64 v[78:79], -v[122:123], v[148:149], v[78:79]
	ds_read2_b64 v[146:149], v136 offset0:30 offset1:31
	v_fma_f64 v[76:77], -v[122:123], v[150:151], v[76:77]
	v_fma_f64 v[74:75], -v[122:123], v[152:153], v[74:75]
	ds_read2_b64 v[150:153], v136 offset0:32 offset1:33
	;; [unrolled: 20-line block ×4, first 2 shown]
	s_waitcnt lgkmcnt(0)
	v_fma_f64 v[24:25], -v[122:123], v[142:143], v[24:25]
	v_fma_f64 v[22:23], -v[122:123], v[144:145], v[22:23]
	ds_read2_b64 v[142:145], v136 offset0:58 offset1:59
	v_fma_f64 v[20:21], -v[122:123], v[146:147], v[20:21]
	v_fma_f64 v[18:19], -v[122:123], v[148:149], v[18:19]
	v_fma_f64 v[16:17], -v[122:123], v[150:151], v[16:17]
	ds_read2_b64 v[146:149], v136 offset0:60 offset1:61
	v_fma_f64 v[14:15], -v[122:123], v[152:153], v[14:15]
	ds_read2_b64 v[150:153], v136 offset0:62 offset1:63
	s_waitcnt lgkmcnt(0)
	v_fma_f64 v[12:13], -v[122:123], v[142:143], v[12:13]
	v_fma_f64 v[10:11], -v[122:123], v[144:145], v[10:11]
	;; [unrolled: 1-line block ×6, first 2 shown]
.LBB126_63:
	s_or_b64 exec, exec, s[0:1]
	v_lshl_add_u32 v132, v137, 3, v136
	s_barrier
	ds_write_b64 v132, v[120:121]
	s_waitcnt lgkmcnt(0)
	s_barrier
	ds_read_b64 v[132:133], v136 offset:32
	s_cmp_lt_i32 s18, 6
	v_mov_b32_e32 v134, 4
	s_cbranch_scc1 .LBB126_66
; %bb.64:
	v_add3_u32 v142, v141, 0, 40
	s_mov_b32 s0, 5
	v_mov_b32_e32 v134, 4
.LBB126_65:                             ; =>This Inner Loop Header: Depth=1
	ds_read_b64 v[144:145], v142
	v_mov_b32_e32 v143, s0
	s_add_i32 s0, s0, 1
	v_add_u32_e32 v142, 8, v142
	s_cmp_lg_u32 s18, s0
	s_waitcnt lgkmcnt(0)
	v_cmp_lt_f64_e64 vcc, |v[132:133]|, |v[144:145]|
	v_cndmask_b32_e32 v133, v133, v145, vcc
	v_cndmask_b32_e32 v132, v132, v144, vcc
	;; [unrolled: 1-line block ×3, first 2 shown]
	s_cbranch_scc1 .LBB126_65
.LBB126_66:
	s_waitcnt lgkmcnt(0)
	v_cmp_eq_f64_e32 vcc, 0, v[132:133]
	s_and_saveexec_b64 s[0:1], vcc
	s_xor_b64 s[0:1], exec, s[0:1]
; %bb.67:
	v_cmp_ne_u32_e32 vcc, 0, v140
	v_cndmask_b32_e32 v140, 5, v140, vcc
; %bb.68:
	s_andn2_saveexec_b64 s[0:1], s[0:1]
; %bb.69:
	v_div_scale_f64 v[142:143], s[2:3], v[132:133], v[132:133], 1.0
	v_rcp_f64_e32 v[144:145], v[142:143]
	v_div_scale_f64 v[146:147], vcc, 1.0, v[132:133], 1.0
	v_fma_f64 v[148:149], -v[142:143], v[144:145], 1.0
	v_fmac_f64_e32 v[144:145], v[144:145], v[148:149]
	v_fma_f64 v[148:149], -v[142:143], v[144:145], 1.0
	v_fmac_f64_e32 v[144:145], v[144:145], v[148:149]
	v_mul_f64 v[148:149], v[146:147], v[144:145]
	v_fma_f64 v[142:143], -v[142:143], v[148:149], v[146:147]
	v_div_fmas_f64 v[142:143], v[142:143], v[144:145], v[148:149]
	v_div_fixup_f64 v[132:133], v[142:143], v[132:133], 1.0
; %bb.70:
	s_or_b64 exec, exec, s[0:1]
	v_cmp_ne_u32_e32 vcc, v137, v134
	s_and_saveexec_b64 s[0:1], vcc
	s_xor_b64 s[0:1], exec, s[0:1]
	s_cbranch_execz .LBB126_76
; %bb.71:
	v_cmp_eq_u32_e32 vcc, 4, v137
	s_and_saveexec_b64 s[2:3], vcc
	s_cbranch_execz .LBB126_75
; %bb.72:
	v_cmp_ne_u32_e32 vcc, 4, v134
	s_xor_b64 s[14:15], s[6:7], -1
	s_and_b64 s[16:17], s[14:15], vcc
	s_and_saveexec_b64 s[14:15], s[16:17]
	s_cbranch_execz .LBB126_74
; %bb.73:
	v_ashrrev_i32_e32 v135, 31, v134
	v_lshlrev_b64 v[142:143], 2, v[134:135]
	v_add_co_u32_e32 v142, vcc, v4, v142
	v_addc_co_u32_e32 v143, vcc, v5, v143, vcc
	flat_load_dword v135, v[142:143]
	flat_load_dword v137, v[4:5] offset:16
	s_waitcnt vmcnt(0) lgkmcnt(0)
	flat_store_dword v[4:5], v135 offset:16
	flat_store_dword v[142:143], v137
.LBB126_74:
	s_or_b64 exec, exec, s[14:15]
	v_mov_b32_e32 v135, v134
	v_mov_b32_e32 v137, v134
.LBB126_75:
	s_or_b64 exec, exec, s[2:3]
.LBB126_76:
	s_andn2_saveexec_b64 s[0:1], s[0:1]
	s_cbranch_execz .LBB126_78
; %bb.77:
	v_mov_b32_e32 v137, 4
	ds_write2_b64 v136, v[118:119], v[116:117] offset0:5 offset1:6
	ds_write2_b64 v136, v[114:115], v[112:113] offset0:7 offset1:8
	;; [unrolled: 1-line block ×29, first 2 shown]
	ds_write_b64 v136, v[130:131] offset:504
.LBB126_78:
	s_or_b64 exec, exec, s[0:1]
	v_cmp_lt_i32_e32 vcc, 4, v137
	s_waitcnt lgkmcnt(0)
	s_barrier
	s_and_saveexec_b64 s[0:1], vcc
	s_cbranch_execz .LBB126_80
; %bb.79:
	ds_read2_b64 v[142:145], v136 offset0:5 offset1:6
	ds_read2_b64 v[146:149], v136 offset0:7 offset1:8
	v_mul_f64 v[120:121], v[132:133], v[120:121]
	ds_read2_b64 v[150:153], v136 offset0:9 offset1:10
	ds_read_b64 v[132:133], v136 offset:504
	s_waitcnt lgkmcnt(0)
	v_fma_f64 v[118:119], -v[120:121], v[142:143], v[118:119]
	v_fma_f64 v[116:117], -v[120:121], v[144:145], v[116:117]
	ds_read2_b64 v[142:145], v136 offset0:11 offset1:12
	v_fma_f64 v[114:115], -v[120:121], v[146:147], v[114:115]
	v_fma_f64 v[112:113], -v[120:121], v[148:149], v[112:113]
	ds_read2_b64 v[146:149], v136 offset0:13 offset1:14
	;; [unrolled: 3-line block ×3, first 2 shown]
	s_waitcnt lgkmcnt(0)
	v_fma_f64 v[106:107], -v[120:121], v[142:143], v[106:107]
	v_fma_f64 v[104:105], -v[120:121], v[144:145], v[104:105]
	;; [unrolled: 1-line block ×3, first 2 shown]
	ds_read2_b64 v[142:145], v136 offset0:17 offset1:18
	v_fma_f64 v[100:101], -v[120:121], v[148:149], v[100:101]
	ds_read2_b64 v[146:149], v136 offset0:19 offset1:20
	v_fma_f64 v[98:99], -v[120:121], v[150:151], v[98:99]
	v_fma_f64 v[96:97], -v[120:121], v[152:153], v[96:97]
	s_waitcnt lgkmcnt(0)
	v_fma_f64 v[94:95], -v[120:121], v[142:143], v[94:95]
	ds_read2_b64 v[150:153], v136 offset0:21 offset1:22
	v_fma_f64 v[92:93], -v[120:121], v[144:145], v[92:93]
	ds_read2_b64 v[142:145], v136 offset0:23 offset1:24
	v_fma_f64 v[90:91], -v[120:121], v[146:147], v[90:91]
	v_fma_f64 v[88:89], -v[120:121], v[148:149], v[88:89]
	ds_read2_b64 v[146:149], v136 offset0:25 offset1:26
	s_waitcnt lgkmcnt(0)
	v_fma_f64 v[86:87], -v[120:121], v[150:151], v[86:87]
	v_fma_f64 v[84:85], -v[120:121], v[152:153], v[84:85]
	ds_read2_b64 v[150:153], v136 offset0:27 offset1:28
	v_fma_f64 v[82:83], -v[120:121], v[142:143], v[82:83]
	v_fma_f64 v[80:81], -v[120:121], v[144:145], v[80:81]
	v_fma_f64 v[78:79], -v[120:121], v[146:147], v[78:79]
	ds_read2_b64 v[142:145], v136 offset0:29 offset1:30
	v_fma_f64 v[76:77], -v[120:121], v[148:149], v[76:77]
	ds_read2_b64 v[146:149], v136 offset0:31 offset1:32
	s_waitcnt lgkmcnt(0)
	v_fma_f64 v[74:75], -v[120:121], v[150:151], v[74:75]
	v_fma_f64 v[72:73], -v[120:121], v[152:153], v[72:73]
	v_fma_f64 v[70:71], -v[120:121], v[142:143], v[70:71]
	ds_read2_b64 v[150:153], v136 offset0:33 offset1:34
	v_fma_f64 v[68:69], -v[120:121], v[144:145], v[68:69]
	ds_read2_b64 v[142:145], v136 offset0:35 offset1:36
	v_fma_f64 v[66:67], -v[120:121], v[146:147], v[66:67]
	v_fma_f64 v[64:65], -v[120:121], v[148:149], v[64:65]
	ds_read2_b64 v[146:149], v136 offset0:37 offset1:38
	s_waitcnt lgkmcnt(0)
	v_fma_f64 v[62:63], -v[120:121], v[150:151], v[62:63]
	v_fma_f64 v[60:61], -v[120:121], v[152:153], v[60:61]
	ds_read2_b64 v[150:153], v136 offset0:39 offset1:40
	v_fma_f64 v[58:59], -v[120:121], v[142:143], v[58:59]
	v_fma_f64 v[56:57], -v[120:121], v[144:145], v[56:57]
	v_fma_f64 v[54:55], -v[120:121], v[146:147], v[54:55]
	ds_read2_b64 v[142:145], v136 offset0:41 offset1:42
	v_fma_f64 v[52:53], -v[120:121], v[148:149], v[52:53]
	ds_read2_b64 v[146:149], v136 offset0:43 offset1:44
	s_waitcnt lgkmcnt(0)
	v_fma_f64 v[50:51], -v[120:121], v[150:151], v[50:51]
	v_fma_f64 v[48:49], -v[120:121], v[152:153], v[48:49]
	;; [unrolled: 20-line block ×3, first 2 shown]
	v_fma_f64 v[22:23], -v[120:121], v[142:143], v[22:23]
	ds_read2_b64 v[150:153], v136 offset0:57 offset1:58
	v_fma_f64 v[20:21], -v[120:121], v[144:145], v[20:21]
	ds_read2_b64 v[142:145], v136 offset0:59 offset1:60
	v_fma_f64 v[18:19], -v[120:121], v[146:147], v[18:19]
	v_fma_f64 v[16:17], -v[120:121], v[148:149], v[16:17]
	ds_read2_b64 v[146:149], v136 offset0:61 offset1:62
	s_waitcnt lgkmcnt(0)
	v_fma_f64 v[14:15], -v[120:121], v[150:151], v[14:15]
	v_fma_f64 v[12:13], -v[120:121], v[152:153], v[12:13]
	;; [unrolled: 1-line block ×7, first 2 shown]
.LBB126_80:
	s_or_b64 exec, exec, s[0:1]
	v_lshl_add_u32 v132, v137, 3, v136
	s_barrier
	ds_write_b64 v132, v[118:119]
	s_waitcnt lgkmcnt(0)
	s_barrier
	ds_read_b64 v[132:133], v136 offset:40
	s_cmp_lt_i32 s18, 7
	v_mov_b32_e32 v134, 5
	s_cbranch_scc1 .LBB126_83
; %bb.81:
	v_add3_u32 v142, v141, 0, 48
	s_mov_b32 s0, 6
	v_mov_b32_e32 v134, 5
.LBB126_82:                             ; =>This Inner Loop Header: Depth=1
	ds_read_b64 v[144:145], v142
	v_mov_b32_e32 v143, s0
	s_add_i32 s0, s0, 1
	v_add_u32_e32 v142, 8, v142
	s_cmp_lg_u32 s18, s0
	s_waitcnt lgkmcnt(0)
	v_cmp_lt_f64_e64 vcc, |v[132:133]|, |v[144:145]|
	v_cndmask_b32_e32 v133, v133, v145, vcc
	v_cndmask_b32_e32 v132, v132, v144, vcc
	;; [unrolled: 1-line block ×3, first 2 shown]
	s_cbranch_scc1 .LBB126_82
.LBB126_83:
	s_waitcnt lgkmcnt(0)
	v_cmp_eq_f64_e32 vcc, 0, v[132:133]
	s_and_saveexec_b64 s[0:1], vcc
	s_xor_b64 s[0:1], exec, s[0:1]
; %bb.84:
	v_cmp_ne_u32_e32 vcc, 0, v140
	v_cndmask_b32_e32 v140, 6, v140, vcc
; %bb.85:
	s_andn2_saveexec_b64 s[0:1], s[0:1]
; %bb.86:
	v_div_scale_f64 v[142:143], s[2:3], v[132:133], v[132:133], 1.0
	v_rcp_f64_e32 v[144:145], v[142:143]
	v_div_scale_f64 v[146:147], vcc, 1.0, v[132:133], 1.0
	v_fma_f64 v[148:149], -v[142:143], v[144:145], 1.0
	v_fmac_f64_e32 v[144:145], v[144:145], v[148:149]
	v_fma_f64 v[148:149], -v[142:143], v[144:145], 1.0
	v_fmac_f64_e32 v[144:145], v[144:145], v[148:149]
	v_mul_f64 v[148:149], v[146:147], v[144:145]
	v_fma_f64 v[142:143], -v[142:143], v[148:149], v[146:147]
	v_div_fmas_f64 v[142:143], v[142:143], v[144:145], v[148:149]
	v_div_fixup_f64 v[132:133], v[142:143], v[132:133], 1.0
; %bb.87:
	s_or_b64 exec, exec, s[0:1]
	v_cmp_ne_u32_e32 vcc, v137, v134
	s_and_saveexec_b64 s[0:1], vcc
	s_xor_b64 s[0:1], exec, s[0:1]
	s_cbranch_execz .LBB126_93
; %bb.88:
	v_cmp_eq_u32_e32 vcc, 5, v137
	s_and_saveexec_b64 s[2:3], vcc
	s_cbranch_execz .LBB126_92
; %bb.89:
	v_cmp_ne_u32_e32 vcc, 5, v134
	s_xor_b64 s[14:15], s[6:7], -1
	s_and_b64 s[16:17], s[14:15], vcc
	s_and_saveexec_b64 s[14:15], s[16:17]
	s_cbranch_execz .LBB126_91
; %bb.90:
	v_ashrrev_i32_e32 v135, 31, v134
	v_lshlrev_b64 v[142:143], 2, v[134:135]
	v_add_co_u32_e32 v142, vcc, v4, v142
	v_addc_co_u32_e32 v143, vcc, v5, v143, vcc
	flat_load_dword v135, v[142:143]
	flat_load_dword v137, v[4:5] offset:20
	s_waitcnt vmcnt(0) lgkmcnt(0)
	flat_store_dword v[4:5], v135 offset:20
	flat_store_dword v[142:143], v137
.LBB126_91:
	s_or_b64 exec, exec, s[14:15]
	v_mov_b32_e32 v135, v134
	v_mov_b32_e32 v137, v134
.LBB126_92:
	s_or_b64 exec, exec, s[2:3]
.LBB126_93:
	s_andn2_saveexec_b64 s[0:1], s[0:1]
	s_cbranch_execz .LBB126_95
; %bb.94:
	v_mov_b32_e32 v142, v116
	v_mov_b32_e32 v143, v117
	v_mov_b32_e32 v144, v114
	v_mov_b32_e32 v145, v115
	ds_write2_b64 v136, v[142:143], v[144:145] offset0:6 offset1:7
	v_mov_b32_e32 v142, v112
	v_mov_b32_e32 v143, v113
	v_mov_b32_e32 v144, v110
	v_mov_b32_e32 v145, v111
	ds_write2_b64 v136, v[142:143], v[144:145] offset0:8 offset1:9
	;; [unrolled: 5-line block ×28, first 2 shown]
	v_mov_b32_e32 v142, v0
	v_mov_b32_e32 v143, v1
	;; [unrolled: 1-line block ×3, first 2 shown]
	ds_write2_b64 v136, v[142:143], v[130:131] offset0:62 offset1:63
.LBB126_95:
	s_or_b64 exec, exec, s[0:1]
	v_cmp_lt_i32_e32 vcc, 5, v137
	s_waitcnt lgkmcnt(0)
	s_barrier
	s_and_saveexec_b64 s[0:1], vcc
	s_cbranch_execz .LBB126_97
; %bb.96:
	ds_read2_b64 v[142:145], v136 offset0:6 offset1:7
	ds_read2_b64 v[146:149], v136 offset0:8 offset1:9
	v_mul_f64 v[118:119], v[132:133], v[118:119]
	ds_read2_b64 v[150:153], v136 offset0:10 offset1:11
	s_waitcnt lgkmcnt(0)
	v_fma_f64 v[116:117], -v[118:119], v[142:143], v[116:117]
	v_fma_f64 v[114:115], -v[118:119], v[144:145], v[114:115]
	ds_read2_b64 v[142:145], v136 offset0:12 offset1:13
	v_fma_f64 v[112:113], -v[118:119], v[146:147], v[112:113]
	v_fma_f64 v[110:111], -v[118:119], v[148:149], v[110:111]
	ds_read2_b64 v[146:149], v136 offset0:14 offset1:15
	;; [unrolled: 3-line block ×3, first 2 shown]
	s_waitcnt lgkmcnt(0)
	v_fma_f64 v[104:105], -v[118:119], v[142:143], v[104:105]
	v_fma_f64 v[102:103], -v[118:119], v[144:145], v[102:103]
	;; [unrolled: 1-line block ×3, first 2 shown]
	ds_read2_b64 v[142:145], v136 offset0:18 offset1:19
	v_fma_f64 v[98:99], -v[118:119], v[148:149], v[98:99]
	ds_read2_b64 v[146:149], v136 offset0:20 offset1:21
	v_fma_f64 v[96:97], -v[118:119], v[150:151], v[96:97]
	v_fma_f64 v[94:95], -v[118:119], v[152:153], v[94:95]
	s_waitcnt lgkmcnt(0)
	v_fma_f64 v[92:93], -v[118:119], v[142:143], v[92:93]
	ds_read2_b64 v[150:153], v136 offset0:22 offset1:23
	v_fma_f64 v[90:91], -v[118:119], v[144:145], v[90:91]
	ds_read2_b64 v[142:145], v136 offset0:24 offset1:25
	v_fma_f64 v[88:89], -v[118:119], v[146:147], v[88:89]
	v_fma_f64 v[86:87], -v[118:119], v[148:149], v[86:87]
	ds_read2_b64 v[146:149], v136 offset0:26 offset1:27
	s_waitcnt lgkmcnt(0)
	v_fma_f64 v[84:85], -v[118:119], v[150:151], v[84:85]
	v_fma_f64 v[82:83], -v[118:119], v[152:153], v[82:83]
	ds_read2_b64 v[150:153], v136 offset0:28 offset1:29
	v_fma_f64 v[80:81], -v[118:119], v[142:143], v[80:81]
	v_fma_f64 v[78:79], -v[118:119], v[144:145], v[78:79]
	v_fma_f64 v[76:77], -v[118:119], v[146:147], v[76:77]
	ds_read2_b64 v[142:145], v136 offset0:30 offset1:31
	v_fma_f64 v[74:75], -v[118:119], v[148:149], v[74:75]
	ds_read2_b64 v[146:149], v136 offset0:32 offset1:33
	s_waitcnt lgkmcnt(0)
	v_fma_f64 v[72:73], -v[118:119], v[150:151], v[72:73]
	v_fma_f64 v[70:71], -v[118:119], v[152:153], v[70:71]
	v_fma_f64 v[68:69], -v[118:119], v[142:143], v[68:69]
	ds_read2_b64 v[150:153], v136 offset0:34 offset1:35
	v_fma_f64 v[66:67], -v[118:119], v[144:145], v[66:67]
	ds_read2_b64 v[142:145], v136 offset0:36 offset1:37
	v_fma_f64 v[64:65], -v[118:119], v[146:147], v[64:65]
	v_fma_f64 v[62:63], -v[118:119], v[148:149], v[62:63]
	ds_read2_b64 v[146:149], v136 offset0:38 offset1:39
	s_waitcnt lgkmcnt(0)
	v_fma_f64 v[60:61], -v[118:119], v[150:151], v[60:61]
	v_fma_f64 v[58:59], -v[118:119], v[152:153], v[58:59]
	ds_read2_b64 v[150:153], v136 offset0:40 offset1:41
	v_fma_f64 v[56:57], -v[118:119], v[142:143], v[56:57]
	v_fma_f64 v[54:55], -v[118:119], v[144:145], v[54:55]
	v_fma_f64 v[52:53], -v[118:119], v[146:147], v[52:53]
	ds_read2_b64 v[142:145], v136 offset0:42 offset1:43
	v_fma_f64 v[50:51], -v[118:119], v[148:149], v[50:51]
	ds_read2_b64 v[146:149], v136 offset0:44 offset1:45
	s_waitcnt lgkmcnt(0)
	v_fma_f64 v[48:49], -v[118:119], v[150:151], v[48:49]
	v_fma_f64 v[46:47], -v[118:119], v[152:153], v[46:47]
	;; [unrolled: 20-line block ×3, first 2 shown]
	v_fma_f64 v[20:21], -v[118:119], v[142:143], v[20:21]
	v_fma_f64 v[18:19], -v[118:119], v[144:145], v[18:19]
	ds_read2_b64 v[142:145], v136 offset0:58 offset1:59
	ds_read2_b64 v[150:153], v136 offset0:60 offset1:61
	v_fma_f64 v[16:17], -v[118:119], v[146:147], v[16:17]
	v_fma_f64 v[14:15], -v[118:119], v[148:149], v[14:15]
	ds_read2_b64 v[146:149], v136 offset0:62 offset1:63
	s_waitcnt lgkmcnt(0)
	v_fma_f64 v[12:13], -v[118:119], v[142:143], v[12:13]
	v_fma_f64 v[10:11], -v[118:119], v[144:145], v[10:11]
	;; [unrolled: 1-line block ×6, first 2 shown]
.LBB126_97:
	s_or_b64 exec, exec, s[0:1]
	v_lshl_add_u32 v132, v137, 3, v136
	s_barrier
	ds_write_b64 v132, v[116:117]
	s_waitcnt lgkmcnt(0)
	s_barrier
	ds_read_b64 v[132:133], v136 offset:48
	s_cmp_lt_i32 s18, 8
	v_mov_b32_e32 v134, 6
	s_cbranch_scc1 .LBB126_100
; %bb.98:
	v_add3_u32 v142, v141, 0, 56
	s_mov_b32 s0, 7
	v_mov_b32_e32 v134, 6
.LBB126_99:                             ; =>This Inner Loop Header: Depth=1
	ds_read_b64 v[144:145], v142
	v_mov_b32_e32 v143, s0
	s_add_i32 s0, s0, 1
	v_add_u32_e32 v142, 8, v142
	s_cmp_lg_u32 s18, s0
	s_waitcnt lgkmcnt(0)
	v_cmp_lt_f64_e64 vcc, |v[132:133]|, |v[144:145]|
	v_cndmask_b32_e32 v133, v133, v145, vcc
	v_cndmask_b32_e32 v132, v132, v144, vcc
	;; [unrolled: 1-line block ×3, first 2 shown]
	s_cbranch_scc1 .LBB126_99
.LBB126_100:
	s_waitcnt lgkmcnt(0)
	v_cmp_eq_f64_e32 vcc, 0, v[132:133]
	s_and_saveexec_b64 s[0:1], vcc
	s_xor_b64 s[0:1], exec, s[0:1]
; %bb.101:
	v_cmp_ne_u32_e32 vcc, 0, v140
	v_cndmask_b32_e32 v140, 7, v140, vcc
; %bb.102:
	s_andn2_saveexec_b64 s[0:1], s[0:1]
; %bb.103:
	v_div_scale_f64 v[142:143], s[2:3], v[132:133], v[132:133], 1.0
	v_rcp_f64_e32 v[144:145], v[142:143]
	v_div_scale_f64 v[146:147], vcc, 1.0, v[132:133], 1.0
	v_fma_f64 v[148:149], -v[142:143], v[144:145], 1.0
	v_fmac_f64_e32 v[144:145], v[144:145], v[148:149]
	v_fma_f64 v[148:149], -v[142:143], v[144:145], 1.0
	v_fmac_f64_e32 v[144:145], v[144:145], v[148:149]
	v_mul_f64 v[148:149], v[146:147], v[144:145]
	v_fma_f64 v[142:143], -v[142:143], v[148:149], v[146:147]
	v_div_fmas_f64 v[142:143], v[142:143], v[144:145], v[148:149]
	v_div_fixup_f64 v[132:133], v[142:143], v[132:133], 1.0
; %bb.104:
	s_or_b64 exec, exec, s[0:1]
	v_cmp_ne_u32_e32 vcc, v137, v134
	s_and_saveexec_b64 s[0:1], vcc
	s_xor_b64 s[0:1], exec, s[0:1]
	s_cbranch_execz .LBB126_110
; %bb.105:
	v_cmp_eq_u32_e32 vcc, 6, v137
	s_and_saveexec_b64 s[2:3], vcc
	s_cbranch_execz .LBB126_109
; %bb.106:
	v_cmp_ne_u32_e32 vcc, 6, v134
	s_xor_b64 s[14:15], s[6:7], -1
	s_and_b64 s[16:17], s[14:15], vcc
	s_and_saveexec_b64 s[14:15], s[16:17]
	s_cbranch_execz .LBB126_108
; %bb.107:
	v_ashrrev_i32_e32 v135, 31, v134
	v_lshlrev_b64 v[142:143], 2, v[134:135]
	v_add_co_u32_e32 v142, vcc, v4, v142
	v_addc_co_u32_e32 v143, vcc, v5, v143, vcc
	flat_load_dword v135, v[142:143]
	flat_load_dword v137, v[4:5] offset:24
	s_waitcnt vmcnt(0) lgkmcnt(0)
	flat_store_dword v[4:5], v135 offset:24
	flat_store_dword v[142:143], v137
.LBB126_108:
	s_or_b64 exec, exec, s[14:15]
	v_mov_b32_e32 v135, v134
	v_mov_b32_e32 v137, v134
.LBB126_109:
	s_or_b64 exec, exec, s[2:3]
.LBB126_110:
	s_andn2_saveexec_b64 s[0:1], s[0:1]
	s_cbranch_execz .LBB126_112
; %bb.111:
	v_mov_b32_e32 v137, 6
	ds_write2_b64 v136, v[114:115], v[112:113] offset0:7 offset1:8
	ds_write2_b64 v136, v[110:111], v[108:109] offset0:9 offset1:10
	;; [unrolled: 1-line block ×28, first 2 shown]
	ds_write_b64 v136, v[130:131] offset:504
.LBB126_112:
	s_or_b64 exec, exec, s[0:1]
	v_cmp_lt_i32_e32 vcc, 6, v137
	s_waitcnt lgkmcnt(0)
	s_barrier
	s_and_saveexec_b64 s[0:1], vcc
	s_cbranch_execz .LBB126_114
; %bb.113:
	ds_read2_b64 v[142:145], v136 offset0:7 offset1:8
	ds_read2_b64 v[146:149], v136 offset0:9 offset1:10
	v_mul_f64 v[116:117], v[132:133], v[116:117]
	ds_read2_b64 v[150:153], v136 offset0:11 offset1:12
	ds_read_b64 v[132:133], v136 offset:504
	s_waitcnt lgkmcnt(0)
	v_fma_f64 v[114:115], -v[116:117], v[142:143], v[114:115]
	v_fma_f64 v[112:113], -v[116:117], v[144:145], v[112:113]
	ds_read2_b64 v[142:145], v136 offset0:13 offset1:14
	v_fma_f64 v[110:111], -v[116:117], v[146:147], v[110:111]
	v_fma_f64 v[108:109], -v[116:117], v[148:149], v[108:109]
	;; [unrolled: 1-line block ×3, first 2 shown]
	ds_read2_b64 v[146:149], v136 offset0:15 offset1:16
	v_fma_f64 v[104:105], -v[116:117], v[152:153], v[104:105]
	ds_read2_b64 v[150:153], v136 offset0:17 offset1:18
	s_waitcnt lgkmcnt(0)
	v_fma_f64 v[102:103], -v[116:117], v[142:143], v[102:103]
	v_fma_f64 v[100:101], -v[116:117], v[144:145], v[100:101]
	ds_read2_b64 v[142:145], v136 offset0:19 offset1:20
	v_fma_f64 v[98:99], -v[116:117], v[146:147], v[98:99]
	v_fma_f64 v[96:97], -v[116:117], v[148:149], v[96:97]
	ds_read2_b64 v[146:149], v136 offset0:21 offset1:22
	v_fma_f64 v[94:95], -v[116:117], v[150:151], v[94:95]
	v_fma_f64 v[92:93], -v[116:117], v[152:153], v[92:93]
	s_waitcnt lgkmcnt(0)
	v_fma_f64 v[90:91], -v[116:117], v[142:143], v[90:91]
	ds_read2_b64 v[150:153], v136 offset0:23 offset1:24
	v_fma_f64 v[88:89], -v[116:117], v[144:145], v[88:89]
	ds_read2_b64 v[142:145], v136 offset0:25 offset1:26
	v_fma_f64 v[86:87], -v[116:117], v[146:147], v[86:87]
	v_fma_f64 v[84:85], -v[116:117], v[148:149], v[84:85]
	s_waitcnt lgkmcnt(0)
	v_fma_f64 v[82:83], -v[116:117], v[150:151], v[82:83]
	ds_read2_b64 v[146:149], v136 offset0:27 offset1:28
	v_fma_f64 v[80:81], -v[116:117], v[152:153], v[80:81]
	ds_read2_b64 v[150:153], v136 offset0:29 offset1:30
	v_fma_f64 v[78:79], -v[116:117], v[142:143], v[78:79]
	v_fma_f64 v[76:77], -v[116:117], v[144:145], v[76:77]
	ds_read2_b64 v[142:145], v136 offset0:31 offset1:32
	s_waitcnt lgkmcnt(0)
	v_fma_f64 v[74:75], -v[116:117], v[146:147], v[74:75]
	v_fma_f64 v[72:73], -v[116:117], v[148:149], v[72:73]
	ds_read2_b64 v[146:149], v136 offset0:33 offset1:34
	v_fma_f64 v[70:71], -v[116:117], v[150:151], v[70:71]
	v_fma_f64 v[68:69], -v[116:117], v[152:153], v[68:69]
	;; [unrolled: 1-line block ×3, first 2 shown]
	ds_read2_b64 v[150:153], v136 offset0:35 offset1:36
	v_fma_f64 v[64:65], -v[116:117], v[144:145], v[64:65]
	ds_read2_b64 v[142:145], v136 offset0:37 offset1:38
	s_waitcnt lgkmcnt(0)
	v_fma_f64 v[62:63], -v[116:117], v[146:147], v[62:63]
	v_fma_f64 v[60:61], -v[116:117], v[148:149], v[60:61]
	;; [unrolled: 1-line block ×3, first 2 shown]
	ds_read2_b64 v[146:149], v136 offset0:39 offset1:40
	v_fma_f64 v[56:57], -v[116:117], v[152:153], v[56:57]
	ds_read2_b64 v[150:153], v136 offset0:41 offset1:42
	v_fma_f64 v[54:55], -v[116:117], v[142:143], v[54:55]
	v_fma_f64 v[52:53], -v[116:117], v[144:145], v[52:53]
	ds_read2_b64 v[142:145], v136 offset0:43 offset1:44
	s_waitcnt lgkmcnt(0)
	v_fma_f64 v[50:51], -v[116:117], v[146:147], v[50:51]
	v_fma_f64 v[48:49], -v[116:117], v[148:149], v[48:49]
	ds_read2_b64 v[146:149], v136 offset0:45 offset1:46
	v_fma_f64 v[46:47], -v[116:117], v[150:151], v[46:47]
	v_fma_f64 v[44:45], -v[116:117], v[152:153], v[44:45]
	;; [unrolled: 1-line block ×3, first 2 shown]
	ds_read2_b64 v[150:153], v136 offset0:47 offset1:48
	v_fma_f64 v[40:41], -v[116:117], v[144:145], v[40:41]
	ds_read2_b64 v[142:145], v136 offset0:49 offset1:50
	s_waitcnt lgkmcnt(0)
	v_fma_f64 v[38:39], -v[116:117], v[146:147], v[38:39]
	v_fma_f64 v[36:37], -v[116:117], v[148:149], v[36:37]
	;; [unrolled: 1-line block ×3, first 2 shown]
	ds_read2_b64 v[146:149], v136 offset0:51 offset1:52
	v_fma_f64 v[32:33], -v[116:117], v[152:153], v[32:33]
	ds_read2_b64 v[150:153], v136 offset0:53 offset1:54
	v_fma_f64 v[30:31], -v[116:117], v[142:143], v[30:31]
	v_fma_f64 v[28:29], -v[116:117], v[144:145], v[28:29]
	ds_read2_b64 v[142:145], v136 offset0:55 offset1:56
	s_waitcnt lgkmcnt(0)
	v_fma_f64 v[26:27], -v[116:117], v[146:147], v[26:27]
	v_fma_f64 v[24:25], -v[116:117], v[148:149], v[24:25]
	ds_read2_b64 v[146:149], v136 offset0:57 offset1:58
	v_fma_f64 v[22:23], -v[116:117], v[150:151], v[22:23]
	v_fma_f64 v[20:21], -v[116:117], v[152:153], v[20:21]
	;; [unrolled: 1-line block ×4, first 2 shown]
	ds_read2_b64 v[142:145], v136 offset0:59 offset1:60
	ds_read2_b64 v[150:153], v136 offset0:61 offset1:62
	s_waitcnt lgkmcnt(0)
	v_fma_f64 v[14:15], -v[116:117], v[146:147], v[14:15]
	v_fma_f64 v[12:13], -v[116:117], v[148:149], v[12:13]
	;; [unrolled: 1-line block ×7, first 2 shown]
.LBB126_114:
	s_or_b64 exec, exec, s[0:1]
	v_lshl_add_u32 v132, v137, 3, v136
	s_barrier
	ds_write_b64 v132, v[114:115]
	s_waitcnt lgkmcnt(0)
	s_barrier
	ds_read_b64 v[132:133], v136 offset:56
	s_cmp_lt_i32 s18, 9
	v_mov_b32_e32 v134, 7
	s_cbranch_scc1 .LBB126_117
; %bb.115:
	v_add3_u32 v141, v141, 0, 64
	s_mov_b32 s0, 8
	v_mov_b32_e32 v134, 7
.LBB126_116:                            ; =>This Inner Loop Header: Depth=1
	ds_read_b64 v[142:143], v141
	v_mov_b32_e32 v144, s0
	s_add_i32 s0, s0, 1
	v_add_u32_e32 v141, 8, v141
	s_cmp_lg_u32 s18, s0
	s_waitcnt lgkmcnt(0)
	v_cmp_lt_f64_e64 vcc, |v[132:133]|, |v[142:143]|
	v_cndmask_b32_e32 v133, v133, v143, vcc
	v_cndmask_b32_e32 v132, v132, v142, vcc
	;; [unrolled: 1-line block ×3, first 2 shown]
	s_cbranch_scc1 .LBB126_116
.LBB126_117:
	s_waitcnt lgkmcnt(0)
	v_cmp_eq_f64_e32 vcc, 0, v[132:133]
	s_and_saveexec_b64 s[0:1], vcc
	s_xor_b64 s[0:1], exec, s[0:1]
; %bb.118:
	v_cmp_ne_u32_e32 vcc, 0, v140
	v_cndmask_b32_e32 v140, 8, v140, vcc
; %bb.119:
	s_andn2_saveexec_b64 s[0:1], s[0:1]
; %bb.120:
	v_div_scale_f64 v[142:143], s[2:3], v[132:133], v[132:133], 1.0
	v_rcp_f64_e32 v[144:145], v[142:143]
	v_div_scale_f64 v[146:147], vcc, 1.0, v[132:133], 1.0
	v_fma_f64 v[148:149], -v[142:143], v[144:145], 1.0
	v_fmac_f64_e32 v[144:145], v[144:145], v[148:149]
	v_fma_f64 v[148:149], -v[142:143], v[144:145], 1.0
	v_fmac_f64_e32 v[144:145], v[144:145], v[148:149]
	v_mul_f64 v[148:149], v[146:147], v[144:145]
	v_fma_f64 v[142:143], -v[142:143], v[148:149], v[146:147]
	v_div_fmas_f64 v[142:143], v[142:143], v[144:145], v[148:149]
	v_div_fixup_f64 v[132:133], v[142:143], v[132:133], 1.0
; %bb.121:
	s_or_b64 exec, exec, s[0:1]
	v_cmp_ne_u32_e32 vcc, v137, v134
	s_and_saveexec_b64 s[0:1], vcc
	s_xor_b64 s[0:1], exec, s[0:1]
	s_cbranch_execz .LBB126_127
; %bb.122:
	v_cmp_eq_u32_e32 vcc, 7, v137
	s_and_saveexec_b64 s[2:3], vcc
	s_cbranch_execz .LBB126_126
; %bb.123:
	v_cmp_ne_u32_e32 vcc, 7, v134
	s_xor_b64 s[14:15], s[6:7], -1
	s_and_b64 s[16:17], s[14:15], vcc
	s_and_saveexec_b64 s[14:15], s[16:17]
	s_cbranch_execz .LBB126_125
; %bb.124:
	v_ashrrev_i32_e32 v135, 31, v134
	v_lshlrev_b64 v[142:143], 2, v[134:135]
	v_add_co_u32_e32 v142, vcc, v4, v142
	v_addc_co_u32_e32 v143, vcc, v5, v143, vcc
	flat_load_dword v135, v[142:143]
	flat_load_dword v137, v[4:5] offset:28
	s_waitcnt vmcnt(0) lgkmcnt(0)
	flat_store_dword v[4:5], v135 offset:28
	flat_store_dword v[142:143], v137
.LBB126_125:
	s_or_b64 exec, exec, s[14:15]
	v_mov_b32_e32 v135, v134
	v_mov_b32_e32 v137, v134
.LBB126_126:
	s_or_b64 exec, exec, s[2:3]
.LBB126_127:
	s_andn2_saveexec_b64 s[0:1], s[0:1]
	s_cbranch_execz .LBB126_129
; %bb.128:
	v_mov_b32_e32 v142, v112
	v_mov_b32_e32 v143, v113
	v_mov_b32_e32 v144, v110
	v_mov_b32_e32 v145, v111
	ds_write2_b64 v136, v[142:143], v[144:145] offset0:8 offset1:9
	v_mov_b32_e32 v142, v108
	v_mov_b32_e32 v143, v109
	v_mov_b32_e32 v144, v106
	v_mov_b32_e32 v145, v107
	ds_write2_b64 v136, v[142:143], v[144:145] offset0:10 offset1:11
	;; [unrolled: 5-line block ×27, first 2 shown]
	v_mov_b32_e32 v142, v0
	v_mov_b32_e32 v143, v1
	;; [unrolled: 1-line block ×3, first 2 shown]
	ds_write2_b64 v136, v[142:143], v[130:131] offset0:62 offset1:63
.LBB126_129:
	s_or_b64 exec, exec, s[0:1]
	v_cmp_lt_i32_e32 vcc, 7, v137
	s_waitcnt lgkmcnt(0)
	s_barrier
	s_and_saveexec_b64 s[0:1], vcc
	s_cbranch_execz .LBB126_131
; %bb.130:
	ds_read2_b64 v[142:145], v136 offset0:8 offset1:9
	ds_read2_b64 v[146:149], v136 offset0:10 offset1:11
	v_mul_f64 v[114:115], v[132:133], v[114:115]
	ds_read2_b64 v[150:153], v136 offset0:12 offset1:13
	s_waitcnt lgkmcnt(0)
	v_fma_f64 v[112:113], -v[114:115], v[142:143], v[112:113]
	v_fma_f64 v[110:111], -v[114:115], v[144:145], v[110:111]
	ds_read2_b64 v[142:145], v136 offset0:14 offset1:15
	v_fma_f64 v[108:109], -v[114:115], v[146:147], v[108:109]
	v_fma_f64 v[106:107], -v[114:115], v[148:149], v[106:107]
	;; [unrolled: 1-line block ×3, first 2 shown]
	ds_read2_b64 v[146:149], v136 offset0:16 offset1:17
	v_fma_f64 v[102:103], -v[114:115], v[152:153], v[102:103]
	ds_read2_b64 v[150:153], v136 offset0:18 offset1:19
	s_waitcnt lgkmcnt(0)
	v_fma_f64 v[100:101], -v[114:115], v[142:143], v[100:101]
	v_fma_f64 v[98:99], -v[114:115], v[144:145], v[98:99]
	ds_read2_b64 v[142:145], v136 offset0:20 offset1:21
	v_fma_f64 v[96:97], -v[114:115], v[146:147], v[96:97]
	v_fma_f64 v[94:95], -v[114:115], v[148:149], v[94:95]
	ds_read2_b64 v[146:149], v136 offset0:22 offset1:23
	v_fma_f64 v[92:93], -v[114:115], v[150:151], v[92:93]
	v_fma_f64 v[90:91], -v[114:115], v[152:153], v[90:91]
	s_waitcnt lgkmcnt(0)
	v_fma_f64 v[88:89], -v[114:115], v[142:143], v[88:89]
	ds_read2_b64 v[150:153], v136 offset0:24 offset1:25
	v_fma_f64 v[86:87], -v[114:115], v[144:145], v[86:87]
	ds_read2_b64 v[142:145], v136 offset0:26 offset1:27
	v_fma_f64 v[84:85], -v[114:115], v[146:147], v[84:85]
	v_fma_f64 v[82:83], -v[114:115], v[148:149], v[82:83]
	s_waitcnt lgkmcnt(0)
	v_fma_f64 v[80:81], -v[114:115], v[150:151], v[80:81]
	ds_read2_b64 v[146:149], v136 offset0:28 offset1:29
	v_fma_f64 v[78:79], -v[114:115], v[152:153], v[78:79]
	ds_read2_b64 v[150:153], v136 offset0:30 offset1:31
	v_fma_f64 v[76:77], -v[114:115], v[142:143], v[76:77]
	v_fma_f64 v[74:75], -v[114:115], v[144:145], v[74:75]
	ds_read2_b64 v[142:145], v136 offset0:32 offset1:33
	s_waitcnt lgkmcnt(0)
	v_fma_f64 v[72:73], -v[114:115], v[146:147], v[72:73]
	v_fma_f64 v[70:71], -v[114:115], v[148:149], v[70:71]
	ds_read2_b64 v[146:149], v136 offset0:34 offset1:35
	v_fma_f64 v[68:69], -v[114:115], v[150:151], v[68:69]
	v_fma_f64 v[66:67], -v[114:115], v[152:153], v[66:67]
	v_fma_f64 v[64:65], -v[114:115], v[142:143], v[64:65]
	ds_read2_b64 v[150:153], v136 offset0:36 offset1:37
	v_fma_f64 v[62:63], -v[114:115], v[144:145], v[62:63]
	ds_read2_b64 v[142:145], v136 offset0:38 offset1:39
	s_waitcnt lgkmcnt(0)
	v_fma_f64 v[60:61], -v[114:115], v[146:147], v[60:61]
	v_fma_f64 v[58:59], -v[114:115], v[148:149], v[58:59]
	v_fma_f64 v[56:57], -v[114:115], v[150:151], v[56:57]
	ds_read2_b64 v[146:149], v136 offset0:40 offset1:41
	v_fma_f64 v[54:55], -v[114:115], v[152:153], v[54:55]
	ds_read2_b64 v[150:153], v136 offset0:42 offset1:43
	v_fma_f64 v[52:53], -v[114:115], v[142:143], v[52:53]
	v_fma_f64 v[50:51], -v[114:115], v[144:145], v[50:51]
	ds_read2_b64 v[142:145], v136 offset0:44 offset1:45
	s_waitcnt lgkmcnt(0)
	v_fma_f64 v[48:49], -v[114:115], v[146:147], v[48:49]
	v_fma_f64 v[46:47], -v[114:115], v[148:149], v[46:47]
	ds_read2_b64 v[146:149], v136 offset0:46 offset1:47
	v_fma_f64 v[44:45], -v[114:115], v[150:151], v[44:45]
	v_fma_f64 v[42:43], -v[114:115], v[152:153], v[42:43]
	v_fma_f64 v[40:41], -v[114:115], v[142:143], v[40:41]
	ds_read2_b64 v[150:153], v136 offset0:48 offset1:49
	v_fma_f64 v[38:39], -v[114:115], v[144:145], v[38:39]
	ds_read2_b64 v[142:145], v136 offset0:50 offset1:51
	s_waitcnt lgkmcnt(0)
	v_fma_f64 v[36:37], -v[114:115], v[146:147], v[36:37]
	v_fma_f64 v[34:35], -v[114:115], v[148:149], v[34:35]
	;; [unrolled: 20-line block ×3, first 2 shown]
	v_fma_f64 v[8:9], -v[114:115], v[150:151], v[8:9]
	v_fma_f64 v[6:7], -v[114:115], v[152:153], v[6:7]
	;; [unrolled: 1-line block ×4, first 2 shown]
.LBB126_131:
	s_or_b64 exec, exec, s[0:1]
	v_lshl_add_u32 v132, v137, 3, v136
	s_barrier
	ds_write_b64 v132, v[112:113]
	s_waitcnt lgkmcnt(0)
	s_barrier
	ds_read_b64 v[132:133], v136 offset:64
	s_cmp_lt_i32 s18, 10
	v_mov_b32_e32 v134, 8
	s_cbranch_scc1 .LBB126_134
; %bb.132:
	v_add_u32_e32 v141, 0x48, v136
	s_mov_b32 s0, 9
	v_mov_b32_e32 v134, 8
.LBB126_133:                            ; =>This Inner Loop Header: Depth=1
	ds_read_b64 v[142:143], v141
	v_mov_b32_e32 v144, s0
	s_add_i32 s0, s0, 1
	v_add_u32_e32 v141, 8, v141
	s_cmp_lg_u32 s18, s0
	s_waitcnt lgkmcnt(0)
	v_cmp_lt_f64_e64 vcc, |v[132:133]|, |v[142:143]|
	v_cndmask_b32_e32 v133, v133, v143, vcc
	v_cndmask_b32_e32 v132, v132, v142, vcc
	;; [unrolled: 1-line block ×3, first 2 shown]
	s_cbranch_scc1 .LBB126_133
.LBB126_134:
	s_waitcnt lgkmcnt(0)
	v_cmp_eq_f64_e32 vcc, 0, v[132:133]
	s_and_saveexec_b64 s[0:1], vcc
	s_xor_b64 s[0:1], exec, s[0:1]
; %bb.135:
	v_cmp_ne_u32_e32 vcc, 0, v140
	v_cndmask_b32_e32 v140, 9, v140, vcc
; %bb.136:
	s_andn2_saveexec_b64 s[0:1], s[0:1]
; %bb.137:
	v_div_scale_f64 v[142:143], s[2:3], v[132:133], v[132:133], 1.0
	v_rcp_f64_e32 v[144:145], v[142:143]
	v_div_scale_f64 v[146:147], vcc, 1.0, v[132:133], 1.0
	v_fma_f64 v[148:149], -v[142:143], v[144:145], 1.0
	v_fmac_f64_e32 v[144:145], v[144:145], v[148:149]
	v_fma_f64 v[148:149], -v[142:143], v[144:145], 1.0
	v_fmac_f64_e32 v[144:145], v[144:145], v[148:149]
	v_mul_f64 v[148:149], v[146:147], v[144:145]
	v_fma_f64 v[142:143], -v[142:143], v[148:149], v[146:147]
	v_div_fmas_f64 v[142:143], v[142:143], v[144:145], v[148:149]
	v_div_fixup_f64 v[132:133], v[142:143], v[132:133], 1.0
; %bb.138:
	s_or_b64 exec, exec, s[0:1]
	v_cmp_ne_u32_e32 vcc, v137, v134
	s_and_saveexec_b64 s[0:1], vcc
	s_xor_b64 s[0:1], exec, s[0:1]
	s_cbranch_execz .LBB126_144
; %bb.139:
	v_cmp_eq_u32_e32 vcc, 8, v137
	s_and_saveexec_b64 s[2:3], vcc
	s_cbranch_execz .LBB126_143
; %bb.140:
	v_cmp_ne_u32_e32 vcc, 8, v134
	s_xor_b64 s[14:15], s[6:7], -1
	s_and_b64 s[16:17], s[14:15], vcc
	s_and_saveexec_b64 s[14:15], s[16:17]
	s_cbranch_execz .LBB126_142
; %bb.141:
	v_ashrrev_i32_e32 v135, 31, v134
	v_lshlrev_b64 v[142:143], 2, v[134:135]
	v_add_co_u32_e32 v142, vcc, v4, v142
	v_addc_co_u32_e32 v143, vcc, v5, v143, vcc
	flat_load_dword v135, v[142:143]
	flat_load_dword v137, v[4:5] offset:32
	s_waitcnt vmcnt(0) lgkmcnt(0)
	flat_store_dword v[4:5], v135 offset:32
	flat_store_dword v[142:143], v137
.LBB126_142:
	s_or_b64 exec, exec, s[14:15]
	v_mov_b32_e32 v135, v134
	v_mov_b32_e32 v137, v134
.LBB126_143:
	s_or_b64 exec, exec, s[2:3]
.LBB126_144:
	s_andn2_saveexec_b64 s[0:1], s[0:1]
	s_cbranch_execz .LBB126_146
; %bb.145:
	v_mov_b32_e32 v137, 8
	ds_write2_b64 v136, v[110:111], v[108:109] offset0:9 offset1:10
	ds_write2_b64 v136, v[106:107], v[104:105] offset0:11 offset1:12
	;; [unrolled: 1-line block ×27, first 2 shown]
	ds_write_b64 v136, v[130:131] offset:504
.LBB126_146:
	s_or_b64 exec, exec, s[0:1]
	v_cmp_lt_i32_e32 vcc, 8, v137
	s_waitcnt lgkmcnt(0)
	s_barrier
	s_and_saveexec_b64 s[0:1], vcc
	s_cbranch_execz .LBB126_148
; %bb.147:
	ds_read2_b64 v[142:145], v136 offset0:9 offset1:10
	ds_read2_b64 v[146:149], v136 offset0:11 offset1:12
	;; [unrolled: 1-line block ×3, first 2 shown]
	v_mul_f64 v[112:113], v[132:133], v[112:113]
	ds_read_b64 v[132:133], v136 offset:504
	s_waitcnt lgkmcnt(0)
	v_fma_f64 v[110:111], -v[112:113], v[142:143], v[110:111]
	v_fma_f64 v[108:109], -v[112:113], v[144:145], v[108:109]
	ds_read2_b64 v[142:145], v136 offset0:15 offset1:16
	v_fma_f64 v[106:107], -v[112:113], v[146:147], v[106:107]
	v_fma_f64 v[104:105], -v[112:113], v[148:149], v[104:105]
	v_fma_f64 v[102:103], -v[112:113], v[150:151], v[102:103]
	ds_read2_b64 v[146:149], v136 offset0:17 offset1:18
	v_fma_f64 v[100:101], -v[112:113], v[152:153], v[100:101]
	ds_read2_b64 v[150:153], v136 offset0:19 offset1:20
	s_waitcnt lgkmcnt(0)
	v_fma_f64 v[98:99], -v[112:113], v[142:143], v[98:99]
	v_fma_f64 v[96:97], -v[112:113], v[144:145], v[96:97]
	v_fma_f64 v[94:95], -v[112:113], v[146:147], v[94:95]
	ds_read2_b64 v[142:145], v136 offset0:21 offset1:22
	v_fma_f64 v[92:93], -v[112:113], v[148:149], v[92:93]
	ds_read2_b64 v[146:149], v136 offset0:23 offset1:24
	v_fma_f64 v[90:91], -v[112:113], v[150:151], v[90:91]
	v_fma_f64 v[88:89], -v[112:113], v[152:153], v[88:89]
	ds_read2_b64 v[150:153], v136 offset0:25 offset1:26
	s_waitcnt lgkmcnt(0)
	v_fma_f64 v[86:87], -v[112:113], v[142:143], v[86:87]
	v_fma_f64 v[84:85], -v[112:113], v[144:145], v[84:85]
	ds_read2_b64 v[142:145], v136 offset0:27 offset1:28
	v_fma_f64 v[82:83], -v[112:113], v[146:147], v[82:83]
	v_fma_f64 v[80:81], -v[112:113], v[148:149], v[80:81]
	v_fma_f64 v[78:79], -v[112:113], v[150:151], v[78:79]
	ds_read2_b64 v[146:149], v136 offset0:29 offset1:30
	v_fma_f64 v[76:77], -v[112:113], v[152:153], v[76:77]
	ds_read2_b64 v[150:153], v136 offset0:31 offset1:32
	s_waitcnt lgkmcnt(0)
	v_fma_f64 v[74:75], -v[112:113], v[142:143], v[74:75]
	v_fma_f64 v[72:73], -v[112:113], v[144:145], v[72:73]
	v_fma_f64 v[70:71], -v[112:113], v[146:147], v[70:71]
	ds_read2_b64 v[142:145], v136 offset0:33 offset1:34
	v_fma_f64 v[68:69], -v[112:113], v[148:149], v[68:69]
	ds_read2_b64 v[146:149], v136 offset0:35 offset1:36
	v_fma_f64 v[66:67], -v[112:113], v[150:151], v[66:67]
	v_fma_f64 v[64:65], -v[112:113], v[152:153], v[64:65]
	ds_read2_b64 v[150:153], v136 offset0:37 offset1:38
	s_waitcnt lgkmcnt(0)
	v_fma_f64 v[62:63], -v[112:113], v[142:143], v[62:63]
	v_fma_f64 v[60:61], -v[112:113], v[144:145], v[60:61]
	ds_read2_b64 v[142:145], v136 offset0:39 offset1:40
	v_fma_f64 v[58:59], -v[112:113], v[146:147], v[58:59]
	v_fma_f64 v[56:57], -v[112:113], v[148:149], v[56:57]
	v_fma_f64 v[54:55], -v[112:113], v[150:151], v[54:55]
	ds_read2_b64 v[146:149], v136 offset0:41 offset1:42
	v_fma_f64 v[52:53], -v[112:113], v[152:153], v[52:53]
	ds_read2_b64 v[150:153], v136 offset0:43 offset1:44
	s_waitcnt lgkmcnt(0)
	v_fma_f64 v[50:51], -v[112:113], v[142:143], v[50:51]
	v_fma_f64 v[48:49], -v[112:113], v[144:145], v[48:49]
	v_fma_f64 v[46:47], -v[112:113], v[146:147], v[46:47]
	ds_read2_b64 v[142:145], v136 offset0:45 offset1:46
	v_fma_f64 v[44:45], -v[112:113], v[148:149], v[44:45]
	ds_read2_b64 v[146:149], v136 offset0:47 offset1:48
	v_fma_f64 v[42:43], -v[112:113], v[150:151], v[42:43]
	v_fma_f64 v[40:41], -v[112:113], v[152:153], v[40:41]
	ds_read2_b64 v[150:153], v136 offset0:49 offset1:50
	s_waitcnt lgkmcnt(0)
	v_fma_f64 v[38:39], -v[112:113], v[142:143], v[38:39]
	v_fma_f64 v[36:37], -v[112:113], v[144:145], v[36:37]
	ds_read2_b64 v[142:145], v136 offset0:51 offset1:52
	v_fma_f64 v[34:35], -v[112:113], v[146:147], v[34:35]
	v_fma_f64 v[32:33], -v[112:113], v[148:149], v[32:33]
	v_fma_f64 v[30:31], -v[112:113], v[150:151], v[30:31]
	ds_read2_b64 v[146:149], v136 offset0:53 offset1:54
	v_fma_f64 v[28:29], -v[112:113], v[152:153], v[28:29]
	ds_read2_b64 v[150:153], v136 offset0:55 offset1:56
	s_waitcnt lgkmcnt(0)
	v_fma_f64 v[26:27], -v[112:113], v[142:143], v[26:27]
	v_fma_f64 v[24:25], -v[112:113], v[144:145], v[24:25]
	v_fma_f64 v[22:23], -v[112:113], v[146:147], v[22:23]
	ds_read2_b64 v[142:145], v136 offset0:57 offset1:58
	v_fma_f64 v[20:21], -v[112:113], v[148:149], v[20:21]
	ds_read2_b64 v[146:149], v136 offset0:59 offset1:60
	v_fma_f64 v[18:19], -v[112:113], v[150:151], v[18:19]
	v_fma_f64 v[16:17], -v[112:113], v[152:153], v[16:17]
	ds_read2_b64 v[150:153], v136 offset0:61 offset1:62
	s_waitcnt lgkmcnt(0)
	v_fma_f64 v[14:15], -v[112:113], v[142:143], v[14:15]
	v_fma_f64 v[12:13], -v[112:113], v[144:145], v[12:13]
	;; [unrolled: 1-line block ×7, first 2 shown]
.LBB126_148:
	s_or_b64 exec, exec, s[0:1]
	v_lshl_add_u32 v132, v137, 3, v136
	s_barrier
	ds_write_b64 v132, v[110:111]
	s_waitcnt lgkmcnt(0)
	s_barrier
	ds_read_b64 v[132:133], v136 offset:72
	s_cmp_lt_i32 s18, 11
	v_mov_b32_e32 v134, 9
	s_cbranch_scc1 .LBB126_151
; %bb.149:
	v_add_u32_e32 v141, 0x50, v136
	s_mov_b32 s0, 10
	v_mov_b32_e32 v134, 9
.LBB126_150:                            ; =>This Inner Loop Header: Depth=1
	ds_read_b64 v[142:143], v141
	v_mov_b32_e32 v144, s0
	s_add_i32 s0, s0, 1
	v_add_u32_e32 v141, 8, v141
	s_cmp_lg_u32 s18, s0
	s_waitcnt lgkmcnt(0)
	v_cmp_lt_f64_e64 vcc, |v[132:133]|, |v[142:143]|
	v_cndmask_b32_e32 v133, v133, v143, vcc
	v_cndmask_b32_e32 v132, v132, v142, vcc
	;; [unrolled: 1-line block ×3, first 2 shown]
	s_cbranch_scc1 .LBB126_150
.LBB126_151:
	s_waitcnt lgkmcnt(0)
	v_cmp_eq_f64_e32 vcc, 0, v[132:133]
	s_and_saveexec_b64 s[0:1], vcc
	s_xor_b64 s[0:1], exec, s[0:1]
; %bb.152:
	v_cmp_ne_u32_e32 vcc, 0, v140
	v_cndmask_b32_e32 v140, 10, v140, vcc
; %bb.153:
	s_andn2_saveexec_b64 s[0:1], s[0:1]
; %bb.154:
	v_div_scale_f64 v[142:143], s[2:3], v[132:133], v[132:133], 1.0
	v_rcp_f64_e32 v[144:145], v[142:143]
	v_div_scale_f64 v[146:147], vcc, 1.0, v[132:133], 1.0
	v_fma_f64 v[148:149], -v[142:143], v[144:145], 1.0
	v_fmac_f64_e32 v[144:145], v[144:145], v[148:149]
	v_fma_f64 v[148:149], -v[142:143], v[144:145], 1.0
	v_fmac_f64_e32 v[144:145], v[144:145], v[148:149]
	v_mul_f64 v[148:149], v[146:147], v[144:145]
	v_fma_f64 v[142:143], -v[142:143], v[148:149], v[146:147]
	v_div_fmas_f64 v[142:143], v[142:143], v[144:145], v[148:149]
	v_div_fixup_f64 v[132:133], v[142:143], v[132:133], 1.0
; %bb.155:
	s_or_b64 exec, exec, s[0:1]
	v_cmp_ne_u32_e32 vcc, v137, v134
	s_and_saveexec_b64 s[0:1], vcc
	s_xor_b64 s[0:1], exec, s[0:1]
	s_cbranch_execz .LBB126_161
; %bb.156:
	v_cmp_eq_u32_e32 vcc, 9, v137
	s_and_saveexec_b64 s[2:3], vcc
	s_cbranch_execz .LBB126_160
; %bb.157:
	v_cmp_ne_u32_e32 vcc, 9, v134
	s_xor_b64 s[14:15], s[6:7], -1
	s_and_b64 s[16:17], s[14:15], vcc
	s_and_saveexec_b64 s[14:15], s[16:17]
	s_cbranch_execz .LBB126_159
; %bb.158:
	v_ashrrev_i32_e32 v135, 31, v134
	v_lshlrev_b64 v[142:143], 2, v[134:135]
	v_add_co_u32_e32 v142, vcc, v4, v142
	v_addc_co_u32_e32 v143, vcc, v5, v143, vcc
	flat_load_dword v135, v[142:143]
	flat_load_dword v137, v[4:5] offset:36
	s_waitcnt vmcnt(0) lgkmcnt(0)
	flat_store_dword v[4:5], v135 offset:36
	flat_store_dword v[142:143], v137
.LBB126_159:
	s_or_b64 exec, exec, s[14:15]
	v_mov_b32_e32 v135, v134
	v_mov_b32_e32 v137, v134
.LBB126_160:
	s_or_b64 exec, exec, s[2:3]
.LBB126_161:
	s_andn2_saveexec_b64 s[0:1], s[0:1]
	s_cbranch_execz .LBB126_163
; %bb.162:
	v_mov_b32_e32 v142, v108
	v_mov_b32_e32 v143, v109
	v_mov_b32_e32 v144, v106
	v_mov_b32_e32 v145, v107
	ds_write2_b64 v136, v[142:143], v[144:145] offset0:10 offset1:11
	v_mov_b32_e32 v142, v104
	v_mov_b32_e32 v143, v105
	v_mov_b32_e32 v144, v102
	v_mov_b32_e32 v145, v103
	ds_write2_b64 v136, v[142:143], v[144:145] offset0:12 offset1:13
	;; [unrolled: 5-line block ×26, first 2 shown]
	v_mov_b32_e32 v142, v0
	v_mov_b32_e32 v143, v1
	;; [unrolled: 1-line block ×3, first 2 shown]
	ds_write2_b64 v136, v[142:143], v[130:131] offset0:62 offset1:63
.LBB126_163:
	s_or_b64 exec, exec, s[0:1]
	v_cmp_lt_i32_e32 vcc, 9, v137
	s_waitcnt lgkmcnt(0)
	s_barrier
	s_and_saveexec_b64 s[0:1], vcc
	s_cbranch_execz .LBB126_165
; %bb.164:
	ds_read2_b64 v[142:145], v136 offset0:10 offset1:11
	ds_read2_b64 v[146:149], v136 offset0:12 offset1:13
	;; [unrolled: 1-line block ×3, first 2 shown]
	v_mul_f64 v[110:111], v[132:133], v[110:111]
	s_waitcnt lgkmcnt(0)
	v_fma_f64 v[108:109], -v[110:111], v[142:143], v[108:109]
	v_fma_f64 v[106:107], -v[110:111], v[144:145], v[106:107]
	ds_read2_b64 v[142:145], v136 offset0:16 offset1:17
	v_fma_f64 v[104:105], -v[110:111], v[146:147], v[104:105]
	v_fma_f64 v[102:103], -v[110:111], v[148:149], v[102:103]
	v_fma_f64 v[100:101], -v[110:111], v[150:151], v[100:101]
	ds_read2_b64 v[146:149], v136 offset0:18 offset1:19
	v_fma_f64 v[98:99], -v[110:111], v[152:153], v[98:99]
	ds_read2_b64 v[150:153], v136 offset0:20 offset1:21
	s_waitcnt lgkmcnt(0)
	v_fma_f64 v[96:97], -v[110:111], v[142:143], v[96:97]
	v_fma_f64 v[94:95], -v[110:111], v[144:145], v[94:95]
	v_fma_f64 v[92:93], -v[110:111], v[146:147], v[92:93]
	ds_read2_b64 v[142:145], v136 offset0:22 offset1:23
	v_fma_f64 v[90:91], -v[110:111], v[148:149], v[90:91]
	ds_read2_b64 v[146:149], v136 offset0:24 offset1:25
	v_fma_f64 v[88:89], -v[110:111], v[150:151], v[88:89]
	v_fma_f64 v[86:87], -v[110:111], v[152:153], v[86:87]
	ds_read2_b64 v[150:153], v136 offset0:26 offset1:27
	s_waitcnt lgkmcnt(0)
	v_fma_f64 v[84:85], -v[110:111], v[142:143], v[84:85]
	v_fma_f64 v[82:83], -v[110:111], v[144:145], v[82:83]
	ds_read2_b64 v[142:145], v136 offset0:28 offset1:29
	v_fma_f64 v[80:81], -v[110:111], v[146:147], v[80:81]
	v_fma_f64 v[78:79], -v[110:111], v[148:149], v[78:79]
	v_fma_f64 v[76:77], -v[110:111], v[150:151], v[76:77]
	ds_read2_b64 v[146:149], v136 offset0:30 offset1:31
	v_fma_f64 v[74:75], -v[110:111], v[152:153], v[74:75]
	ds_read2_b64 v[150:153], v136 offset0:32 offset1:33
	s_waitcnt lgkmcnt(0)
	v_fma_f64 v[72:73], -v[110:111], v[142:143], v[72:73]
	v_fma_f64 v[70:71], -v[110:111], v[144:145], v[70:71]
	v_fma_f64 v[68:69], -v[110:111], v[146:147], v[68:69]
	ds_read2_b64 v[142:145], v136 offset0:34 offset1:35
	v_fma_f64 v[66:67], -v[110:111], v[148:149], v[66:67]
	ds_read2_b64 v[146:149], v136 offset0:36 offset1:37
	v_fma_f64 v[64:65], -v[110:111], v[150:151], v[64:65]
	v_fma_f64 v[62:63], -v[110:111], v[152:153], v[62:63]
	ds_read2_b64 v[150:153], v136 offset0:38 offset1:39
	;; [unrolled: 20-line block ×3, first 2 shown]
	s_waitcnt lgkmcnt(0)
	v_fma_f64 v[36:37], -v[110:111], v[142:143], v[36:37]
	v_fma_f64 v[34:35], -v[110:111], v[144:145], v[34:35]
	ds_read2_b64 v[142:145], v136 offset0:52 offset1:53
	v_fma_f64 v[32:33], -v[110:111], v[146:147], v[32:33]
	v_fma_f64 v[30:31], -v[110:111], v[148:149], v[30:31]
	;; [unrolled: 1-line block ×3, first 2 shown]
	ds_read2_b64 v[146:149], v136 offset0:54 offset1:55
	v_fma_f64 v[26:27], -v[110:111], v[152:153], v[26:27]
	ds_read2_b64 v[150:153], v136 offset0:56 offset1:57
	s_waitcnt lgkmcnt(0)
	v_fma_f64 v[24:25], -v[110:111], v[142:143], v[24:25]
	v_fma_f64 v[22:23], -v[110:111], v[144:145], v[22:23]
	;; [unrolled: 1-line block ×4, first 2 shown]
	ds_read2_b64 v[142:145], v136 offset0:58 offset1:59
	ds_read2_b64 v[146:149], v136 offset0:60 offset1:61
	v_fma_f64 v[16:17], -v[110:111], v[150:151], v[16:17]
	v_fma_f64 v[14:15], -v[110:111], v[152:153], v[14:15]
	ds_read2_b64 v[150:153], v136 offset0:62 offset1:63
	s_waitcnt lgkmcnt(0)
	v_fma_f64 v[12:13], -v[110:111], v[142:143], v[12:13]
	v_fma_f64 v[10:11], -v[110:111], v[144:145], v[10:11]
	;; [unrolled: 1-line block ×6, first 2 shown]
.LBB126_165:
	s_or_b64 exec, exec, s[0:1]
	v_lshl_add_u32 v132, v137, 3, v136
	s_barrier
	ds_write_b64 v132, v[108:109]
	s_waitcnt lgkmcnt(0)
	s_barrier
	ds_read_b64 v[132:133], v136 offset:80
	s_cmp_lt_i32 s18, 12
	v_mov_b32_e32 v134, 10
	s_cbranch_scc1 .LBB126_168
; %bb.166:
	v_add_u32_e32 v141, 0x58, v136
	s_mov_b32 s0, 11
	v_mov_b32_e32 v134, 10
.LBB126_167:                            ; =>This Inner Loop Header: Depth=1
	ds_read_b64 v[142:143], v141
	v_mov_b32_e32 v144, s0
	s_add_i32 s0, s0, 1
	v_add_u32_e32 v141, 8, v141
	s_cmp_lg_u32 s18, s0
	s_waitcnt lgkmcnt(0)
	v_cmp_lt_f64_e64 vcc, |v[132:133]|, |v[142:143]|
	v_cndmask_b32_e32 v133, v133, v143, vcc
	v_cndmask_b32_e32 v132, v132, v142, vcc
	;; [unrolled: 1-line block ×3, first 2 shown]
	s_cbranch_scc1 .LBB126_167
.LBB126_168:
	s_waitcnt lgkmcnt(0)
	v_cmp_eq_f64_e32 vcc, 0, v[132:133]
	s_and_saveexec_b64 s[0:1], vcc
	s_xor_b64 s[0:1], exec, s[0:1]
; %bb.169:
	v_cmp_ne_u32_e32 vcc, 0, v140
	v_cndmask_b32_e32 v140, 11, v140, vcc
; %bb.170:
	s_andn2_saveexec_b64 s[0:1], s[0:1]
; %bb.171:
	v_div_scale_f64 v[142:143], s[2:3], v[132:133], v[132:133], 1.0
	v_rcp_f64_e32 v[144:145], v[142:143]
	v_div_scale_f64 v[146:147], vcc, 1.0, v[132:133], 1.0
	v_fma_f64 v[148:149], -v[142:143], v[144:145], 1.0
	v_fmac_f64_e32 v[144:145], v[144:145], v[148:149]
	v_fma_f64 v[148:149], -v[142:143], v[144:145], 1.0
	v_fmac_f64_e32 v[144:145], v[144:145], v[148:149]
	v_mul_f64 v[148:149], v[146:147], v[144:145]
	v_fma_f64 v[142:143], -v[142:143], v[148:149], v[146:147]
	v_div_fmas_f64 v[142:143], v[142:143], v[144:145], v[148:149]
	v_div_fixup_f64 v[132:133], v[142:143], v[132:133], 1.0
; %bb.172:
	s_or_b64 exec, exec, s[0:1]
	v_cmp_ne_u32_e32 vcc, v137, v134
	s_and_saveexec_b64 s[0:1], vcc
	s_xor_b64 s[0:1], exec, s[0:1]
	s_cbranch_execz .LBB126_178
; %bb.173:
	v_cmp_eq_u32_e32 vcc, 10, v137
	s_and_saveexec_b64 s[2:3], vcc
	s_cbranch_execz .LBB126_177
; %bb.174:
	v_cmp_ne_u32_e32 vcc, 10, v134
	s_xor_b64 s[14:15], s[6:7], -1
	s_and_b64 s[16:17], s[14:15], vcc
	s_and_saveexec_b64 s[14:15], s[16:17]
	s_cbranch_execz .LBB126_176
; %bb.175:
	v_ashrrev_i32_e32 v135, 31, v134
	v_lshlrev_b64 v[142:143], 2, v[134:135]
	v_add_co_u32_e32 v142, vcc, v4, v142
	v_addc_co_u32_e32 v143, vcc, v5, v143, vcc
	flat_load_dword v135, v[142:143]
	flat_load_dword v137, v[4:5] offset:40
	s_waitcnt vmcnt(0) lgkmcnt(0)
	flat_store_dword v[4:5], v135 offset:40
	flat_store_dword v[142:143], v137
.LBB126_176:
	s_or_b64 exec, exec, s[14:15]
	v_mov_b32_e32 v135, v134
	v_mov_b32_e32 v137, v134
.LBB126_177:
	s_or_b64 exec, exec, s[2:3]
.LBB126_178:
	s_andn2_saveexec_b64 s[0:1], s[0:1]
	s_cbranch_execz .LBB126_180
; %bb.179:
	v_mov_b32_e32 v137, 10
	ds_write2_b64 v136, v[106:107], v[104:105] offset0:11 offset1:12
	ds_write2_b64 v136, v[102:103], v[100:101] offset0:13 offset1:14
	;; [unrolled: 1-line block ×26, first 2 shown]
	ds_write_b64 v136, v[130:131] offset:504
.LBB126_180:
	s_or_b64 exec, exec, s[0:1]
	v_cmp_lt_i32_e32 vcc, 10, v137
	s_waitcnt lgkmcnt(0)
	s_barrier
	s_and_saveexec_b64 s[0:1], vcc
	s_cbranch_execz .LBB126_182
; %bb.181:
	ds_read2_b64 v[142:145], v136 offset0:11 offset1:12
	ds_read2_b64 v[146:149], v136 offset0:13 offset1:14
	v_mul_f64 v[108:109], v[132:133], v[108:109]
	ds_read2_b64 v[150:153], v136 offset0:15 offset1:16
	ds_read_b64 v[132:133], v136 offset:504
	s_waitcnt lgkmcnt(0)
	v_fma_f64 v[106:107], -v[108:109], v[142:143], v[106:107]
	v_fma_f64 v[104:105], -v[108:109], v[144:145], v[104:105]
	ds_read2_b64 v[142:145], v136 offset0:17 offset1:18
	v_fma_f64 v[102:103], -v[108:109], v[146:147], v[102:103]
	v_fma_f64 v[100:101], -v[108:109], v[148:149], v[100:101]
	ds_read2_b64 v[146:149], v136 offset0:19 offset1:20
	;; [unrolled: 3-line block ×3, first 2 shown]
	s_waitcnt lgkmcnt(0)
	v_fma_f64 v[94:95], -v[108:109], v[142:143], v[94:95]
	v_fma_f64 v[92:93], -v[108:109], v[144:145], v[92:93]
	;; [unrolled: 1-line block ×3, first 2 shown]
	ds_read2_b64 v[142:145], v136 offset0:23 offset1:24
	v_fma_f64 v[88:89], -v[108:109], v[148:149], v[88:89]
	ds_read2_b64 v[146:149], v136 offset0:25 offset1:26
	v_fma_f64 v[86:87], -v[108:109], v[150:151], v[86:87]
	v_fma_f64 v[84:85], -v[108:109], v[152:153], v[84:85]
	s_waitcnt lgkmcnt(0)
	v_fma_f64 v[82:83], -v[108:109], v[142:143], v[82:83]
	ds_read2_b64 v[150:153], v136 offset0:27 offset1:28
	v_fma_f64 v[80:81], -v[108:109], v[144:145], v[80:81]
	ds_read2_b64 v[142:145], v136 offset0:29 offset1:30
	v_fma_f64 v[78:79], -v[108:109], v[146:147], v[78:79]
	v_fma_f64 v[76:77], -v[108:109], v[148:149], v[76:77]
	ds_read2_b64 v[146:149], v136 offset0:31 offset1:32
	s_waitcnt lgkmcnt(0)
	v_fma_f64 v[74:75], -v[108:109], v[150:151], v[74:75]
	v_fma_f64 v[72:73], -v[108:109], v[152:153], v[72:73]
	ds_read2_b64 v[150:153], v136 offset0:33 offset1:34
	v_fma_f64 v[70:71], -v[108:109], v[142:143], v[70:71]
	v_fma_f64 v[68:69], -v[108:109], v[144:145], v[68:69]
	;; [unrolled: 1-line block ×3, first 2 shown]
	ds_read2_b64 v[142:145], v136 offset0:35 offset1:36
	v_fma_f64 v[64:65], -v[108:109], v[148:149], v[64:65]
	ds_read2_b64 v[146:149], v136 offset0:37 offset1:38
	s_waitcnt lgkmcnt(0)
	v_fma_f64 v[62:63], -v[108:109], v[150:151], v[62:63]
	v_fma_f64 v[60:61], -v[108:109], v[152:153], v[60:61]
	;; [unrolled: 1-line block ×3, first 2 shown]
	ds_read2_b64 v[150:153], v136 offset0:39 offset1:40
	v_fma_f64 v[56:57], -v[108:109], v[144:145], v[56:57]
	ds_read2_b64 v[142:145], v136 offset0:41 offset1:42
	v_fma_f64 v[54:55], -v[108:109], v[146:147], v[54:55]
	v_fma_f64 v[52:53], -v[108:109], v[148:149], v[52:53]
	ds_read2_b64 v[146:149], v136 offset0:43 offset1:44
	s_waitcnt lgkmcnt(0)
	v_fma_f64 v[50:51], -v[108:109], v[150:151], v[50:51]
	v_fma_f64 v[48:49], -v[108:109], v[152:153], v[48:49]
	ds_read2_b64 v[150:153], v136 offset0:45 offset1:46
	v_fma_f64 v[46:47], -v[108:109], v[142:143], v[46:47]
	v_fma_f64 v[44:45], -v[108:109], v[144:145], v[44:45]
	;; [unrolled: 1-line block ×3, first 2 shown]
	ds_read2_b64 v[142:145], v136 offset0:47 offset1:48
	v_fma_f64 v[40:41], -v[108:109], v[148:149], v[40:41]
	ds_read2_b64 v[146:149], v136 offset0:49 offset1:50
	s_waitcnt lgkmcnt(0)
	v_fma_f64 v[38:39], -v[108:109], v[150:151], v[38:39]
	v_fma_f64 v[36:37], -v[108:109], v[152:153], v[36:37]
	;; [unrolled: 1-line block ×3, first 2 shown]
	ds_read2_b64 v[150:153], v136 offset0:51 offset1:52
	v_fma_f64 v[32:33], -v[108:109], v[144:145], v[32:33]
	ds_read2_b64 v[142:145], v136 offset0:53 offset1:54
	v_fma_f64 v[30:31], -v[108:109], v[146:147], v[30:31]
	v_fma_f64 v[28:29], -v[108:109], v[148:149], v[28:29]
	ds_read2_b64 v[146:149], v136 offset0:55 offset1:56
	s_waitcnt lgkmcnt(0)
	v_fma_f64 v[26:27], -v[108:109], v[150:151], v[26:27]
	v_fma_f64 v[24:25], -v[108:109], v[152:153], v[24:25]
	ds_read2_b64 v[150:153], v136 offset0:57 offset1:58
	v_fma_f64 v[22:23], -v[108:109], v[142:143], v[22:23]
	v_fma_f64 v[20:21], -v[108:109], v[144:145], v[20:21]
	v_fma_f64 v[18:19], -v[108:109], v[146:147], v[18:19]
	v_fma_f64 v[16:17], -v[108:109], v[148:149], v[16:17]
	ds_read2_b64 v[142:145], v136 offset0:59 offset1:60
	ds_read2_b64 v[146:149], v136 offset0:61 offset1:62
	s_waitcnt lgkmcnt(0)
	v_fma_f64 v[14:15], -v[108:109], v[150:151], v[14:15]
	v_fma_f64 v[12:13], -v[108:109], v[152:153], v[12:13]
	;; [unrolled: 1-line block ×7, first 2 shown]
.LBB126_182:
	s_or_b64 exec, exec, s[0:1]
	v_lshl_add_u32 v132, v137, 3, v136
	s_barrier
	ds_write_b64 v132, v[106:107]
	s_waitcnt lgkmcnt(0)
	s_barrier
	ds_read_b64 v[132:133], v136 offset:88
	s_cmp_lt_i32 s18, 13
	v_mov_b32_e32 v134, 11
	s_cbranch_scc1 .LBB126_185
; %bb.183:
	v_add_u32_e32 v141, 0x60, v136
	s_mov_b32 s0, 12
	v_mov_b32_e32 v134, 11
.LBB126_184:                            ; =>This Inner Loop Header: Depth=1
	ds_read_b64 v[142:143], v141
	v_mov_b32_e32 v144, s0
	s_add_i32 s0, s0, 1
	v_add_u32_e32 v141, 8, v141
	s_cmp_lg_u32 s18, s0
	s_waitcnt lgkmcnt(0)
	v_cmp_lt_f64_e64 vcc, |v[132:133]|, |v[142:143]|
	v_cndmask_b32_e32 v133, v133, v143, vcc
	v_cndmask_b32_e32 v132, v132, v142, vcc
	;; [unrolled: 1-line block ×3, first 2 shown]
	s_cbranch_scc1 .LBB126_184
.LBB126_185:
	s_waitcnt lgkmcnt(0)
	v_cmp_eq_f64_e32 vcc, 0, v[132:133]
	s_and_saveexec_b64 s[0:1], vcc
	s_xor_b64 s[0:1], exec, s[0:1]
; %bb.186:
	v_cmp_ne_u32_e32 vcc, 0, v140
	v_cndmask_b32_e32 v140, 12, v140, vcc
; %bb.187:
	s_andn2_saveexec_b64 s[0:1], s[0:1]
; %bb.188:
	v_div_scale_f64 v[142:143], s[2:3], v[132:133], v[132:133], 1.0
	v_rcp_f64_e32 v[144:145], v[142:143]
	v_div_scale_f64 v[146:147], vcc, 1.0, v[132:133], 1.0
	v_fma_f64 v[148:149], -v[142:143], v[144:145], 1.0
	v_fmac_f64_e32 v[144:145], v[144:145], v[148:149]
	v_fma_f64 v[148:149], -v[142:143], v[144:145], 1.0
	v_fmac_f64_e32 v[144:145], v[144:145], v[148:149]
	v_mul_f64 v[148:149], v[146:147], v[144:145]
	v_fma_f64 v[142:143], -v[142:143], v[148:149], v[146:147]
	v_div_fmas_f64 v[142:143], v[142:143], v[144:145], v[148:149]
	v_div_fixup_f64 v[132:133], v[142:143], v[132:133], 1.0
; %bb.189:
	s_or_b64 exec, exec, s[0:1]
	v_cmp_ne_u32_e32 vcc, v137, v134
	s_and_saveexec_b64 s[0:1], vcc
	s_xor_b64 s[0:1], exec, s[0:1]
	s_cbranch_execz .LBB126_195
; %bb.190:
	v_cmp_eq_u32_e32 vcc, 11, v137
	s_and_saveexec_b64 s[2:3], vcc
	s_cbranch_execz .LBB126_194
; %bb.191:
	v_cmp_ne_u32_e32 vcc, 11, v134
	s_xor_b64 s[14:15], s[6:7], -1
	s_and_b64 s[16:17], s[14:15], vcc
	s_and_saveexec_b64 s[14:15], s[16:17]
	s_cbranch_execz .LBB126_193
; %bb.192:
	v_ashrrev_i32_e32 v135, 31, v134
	v_lshlrev_b64 v[142:143], 2, v[134:135]
	v_add_co_u32_e32 v142, vcc, v4, v142
	v_addc_co_u32_e32 v143, vcc, v5, v143, vcc
	flat_load_dword v135, v[142:143]
	flat_load_dword v137, v[4:5] offset:44
	s_waitcnt vmcnt(0) lgkmcnt(0)
	flat_store_dword v[4:5], v135 offset:44
	flat_store_dword v[142:143], v137
.LBB126_193:
	s_or_b64 exec, exec, s[14:15]
	v_mov_b32_e32 v135, v134
	v_mov_b32_e32 v137, v134
.LBB126_194:
	s_or_b64 exec, exec, s[2:3]
.LBB126_195:
	s_andn2_saveexec_b64 s[0:1], s[0:1]
	s_cbranch_execz .LBB126_197
; %bb.196:
	v_mov_b32_e32 v142, v104
	v_mov_b32_e32 v143, v105
	v_mov_b32_e32 v144, v102
	v_mov_b32_e32 v145, v103
	ds_write2_b64 v136, v[142:143], v[144:145] offset0:12 offset1:13
	v_mov_b32_e32 v142, v100
	v_mov_b32_e32 v143, v101
	v_mov_b32_e32 v144, v98
	v_mov_b32_e32 v145, v99
	ds_write2_b64 v136, v[142:143], v[144:145] offset0:14 offset1:15
	;; [unrolled: 5-line block ×25, first 2 shown]
	v_mov_b32_e32 v142, v0
	v_mov_b32_e32 v143, v1
	;; [unrolled: 1-line block ×3, first 2 shown]
	ds_write2_b64 v136, v[142:143], v[130:131] offset0:62 offset1:63
.LBB126_197:
	s_or_b64 exec, exec, s[0:1]
	v_cmp_lt_i32_e32 vcc, 11, v137
	s_waitcnt lgkmcnt(0)
	s_barrier
	s_and_saveexec_b64 s[0:1], vcc
	s_cbranch_execz .LBB126_199
; %bb.198:
	ds_read2_b64 v[142:145], v136 offset0:12 offset1:13
	ds_read2_b64 v[146:149], v136 offset0:14 offset1:15
	v_mul_f64 v[106:107], v[132:133], v[106:107]
	ds_read2_b64 v[150:153], v136 offset0:16 offset1:17
	s_waitcnt lgkmcnt(0)
	v_fma_f64 v[104:105], -v[106:107], v[142:143], v[104:105]
	v_fma_f64 v[102:103], -v[106:107], v[144:145], v[102:103]
	ds_read2_b64 v[142:145], v136 offset0:18 offset1:19
	v_fma_f64 v[100:101], -v[106:107], v[146:147], v[100:101]
	v_fma_f64 v[98:99], -v[106:107], v[148:149], v[98:99]
	ds_read2_b64 v[146:149], v136 offset0:20 offset1:21
	;; [unrolled: 3-line block ×3, first 2 shown]
	s_waitcnt lgkmcnt(0)
	v_fma_f64 v[92:93], -v[106:107], v[142:143], v[92:93]
	v_fma_f64 v[90:91], -v[106:107], v[144:145], v[90:91]
	;; [unrolled: 1-line block ×3, first 2 shown]
	ds_read2_b64 v[142:145], v136 offset0:24 offset1:25
	v_fma_f64 v[86:87], -v[106:107], v[148:149], v[86:87]
	ds_read2_b64 v[146:149], v136 offset0:26 offset1:27
	v_fma_f64 v[84:85], -v[106:107], v[150:151], v[84:85]
	v_fma_f64 v[82:83], -v[106:107], v[152:153], v[82:83]
	s_waitcnt lgkmcnt(0)
	v_fma_f64 v[80:81], -v[106:107], v[142:143], v[80:81]
	ds_read2_b64 v[150:153], v136 offset0:28 offset1:29
	v_fma_f64 v[78:79], -v[106:107], v[144:145], v[78:79]
	ds_read2_b64 v[142:145], v136 offset0:30 offset1:31
	v_fma_f64 v[76:77], -v[106:107], v[146:147], v[76:77]
	v_fma_f64 v[74:75], -v[106:107], v[148:149], v[74:75]
	ds_read2_b64 v[146:149], v136 offset0:32 offset1:33
	s_waitcnt lgkmcnt(0)
	v_fma_f64 v[72:73], -v[106:107], v[150:151], v[72:73]
	v_fma_f64 v[70:71], -v[106:107], v[152:153], v[70:71]
	ds_read2_b64 v[150:153], v136 offset0:34 offset1:35
	v_fma_f64 v[68:69], -v[106:107], v[142:143], v[68:69]
	v_fma_f64 v[66:67], -v[106:107], v[144:145], v[66:67]
	;; [unrolled: 1-line block ×3, first 2 shown]
	ds_read2_b64 v[142:145], v136 offset0:36 offset1:37
	v_fma_f64 v[62:63], -v[106:107], v[148:149], v[62:63]
	ds_read2_b64 v[146:149], v136 offset0:38 offset1:39
	s_waitcnt lgkmcnt(0)
	v_fma_f64 v[60:61], -v[106:107], v[150:151], v[60:61]
	v_fma_f64 v[58:59], -v[106:107], v[152:153], v[58:59]
	v_fma_f64 v[56:57], -v[106:107], v[142:143], v[56:57]
	ds_read2_b64 v[150:153], v136 offset0:40 offset1:41
	v_fma_f64 v[54:55], -v[106:107], v[144:145], v[54:55]
	ds_read2_b64 v[142:145], v136 offset0:42 offset1:43
	v_fma_f64 v[52:53], -v[106:107], v[146:147], v[52:53]
	v_fma_f64 v[50:51], -v[106:107], v[148:149], v[50:51]
	ds_read2_b64 v[146:149], v136 offset0:44 offset1:45
	s_waitcnt lgkmcnt(0)
	v_fma_f64 v[48:49], -v[106:107], v[150:151], v[48:49]
	v_fma_f64 v[46:47], -v[106:107], v[152:153], v[46:47]
	ds_read2_b64 v[150:153], v136 offset0:46 offset1:47
	v_fma_f64 v[44:45], -v[106:107], v[142:143], v[44:45]
	v_fma_f64 v[42:43], -v[106:107], v[144:145], v[42:43]
	;; [unrolled: 1-line block ×3, first 2 shown]
	ds_read2_b64 v[142:145], v136 offset0:48 offset1:49
	v_fma_f64 v[38:39], -v[106:107], v[148:149], v[38:39]
	ds_read2_b64 v[146:149], v136 offset0:50 offset1:51
	s_waitcnt lgkmcnt(0)
	v_fma_f64 v[36:37], -v[106:107], v[150:151], v[36:37]
	v_fma_f64 v[34:35], -v[106:107], v[152:153], v[34:35]
	;; [unrolled: 1-line block ×3, first 2 shown]
	ds_read2_b64 v[150:153], v136 offset0:52 offset1:53
	v_fma_f64 v[30:31], -v[106:107], v[144:145], v[30:31]
	ds_read2_b64 v[142:145], v136 offset0:54 offset1:55
	v_fma_f64 v[28:29], -v[106:107], v[146:147], v[28:29]
	v_fma_f64 v[26:27], -v[106:107], v[148:149], v[26:27]
	ds_read2_b64 v[146:149], v136 offset0:56 offset1:57
	s_waitcnt lgkmcnt(0)
	v_fma_f64 v[24:25], -v[106:107], v[150:151], v[24:25]
	v_fma_f64 v[22:23], -v[106:107], v[152:153], v[22:23]
	;; [unrolled: 1-line block ×4, first 2 shown]
	ds_read2_b64 v[142:145], v136 offset0:58 offset1:59
	v_fma_f64 v[16:17], -v[106:107], v[146:147], v[16:17]
	ds_read2_b64 v[150:153], v136 offset0:60 offset1:61
	v_fma_f64 v[14:15], -v[106:107], v[148:149], v[14:15]
	ds_read2_b64 v[146:149], v136 offset0:62 offset1:63
	s_waitcnt lgkmcnt(0)
	v_fma_f64 v[12:13], -v[106:107], v[142:143], v[12:13]
	v_fma_f64 v[10:11], -v[106:107], v[144:145], v[10:11]
	;; [unrolled: 1-line block ×6, first 2 shown]
.LBB126_199:
	s_or_b64 exec, exec, s[0:1]
	v_lshl_add_u32 v132, v137, 3, v136
	s_barrier
	ds_write_b64 v132, v[104:105]
	s_waitcnt lgkmcnt(0)
	s_barrier
	ds_read_b64 v[132:133], v136 offset:96
	s_cmp_lt_i32 s18, 14
	v_mov_b32_e32 v134, 12
	s_cbranch_scc1 .LBB126_202
; %bb.200:
	v_add_u32_e32 v141, 0x68, v136
	s_mov_b32 s0, 13
	v_mov_b32_e32 v134, 12
.LBB126_201:                            ; =>This Inner Loop Header: Depth=1
	ds_read_b64 v[142:143], v141
	v_mov_b32_e32 v144, s0
	s_add_i32 s0, s0, 1
	v_add_u32_e32 v141, 8, v141
	s_cmp_lg_u32 s18, s0
	s_waitcnt lgkmcnt(0)
	v_cmp_lt_f64_e64 vcc, |v[132:133]|, |v[142:143]|
	v_cndmask_b32_e32 v133, v133, v143, vcc
	v_cndmask_b32_e32 v132, v132, v142, vcc
	;; [unrolled: 1-line block ×3, first 2 shown]
	s_cbranch_scc1 .LBB126_201
.LBB126_202:
	s_waitcnt lgkmcnt(0)
	v_cmp_eq_f64_e32 vcc, 0, v[132:133]
	s_and_saveexec_b64 s[0:1], vcc
	s_xor_b64 s[0:1], exec, s[0:1]
; %bb.203:
	v_cmp_ne_u32_e32 vcc, 0, v140
	v_cndmask_b32_e32 v140, 13, v140, vcc
; %bb.204:
	s_andn2_saveexec_b64 s[0:1], s[0:1]
; %bb.205:
	v_div_scale_f64 v[142:143], s[2:3], v[132:133], v[132:133], 1.0
	v_rcp_f64_e32 v[144:145], v[142:143]
	v_div_scale_f64 v[146:147], vcc, 1.0, v[132:133], 1.0
	v_fma_f64 v[148:149], -v[142:143], v[144:145], 1.0
	v_fmac_f64_e32 v[144:145], v[144:145], v[148:149]
	v_fma_f64 v[148:149], -v[142:143], v[144:145], 1.0
	v_fmac_f64_e32 v[144:145], v[144:145], v[148:149]
	v_mul_f64 v[148:149], v[146:147], v[144:145]
	v_fma_f64 v[142:143], -v[142:143], v[148:149], v[146:147]
	v_div_fmas_f64 v[142:143], v[142:143], v[144:145], v[148:149]
	v_div_fixup_f64 v[132:133], v[142:143], v[132:133], 1.0
; %bb.206:
	s_or_b64 exec, exec, s[0:1]
	v_cmp_ne_u32_e32 vcc, v137, v134
	s_and_saveexec_b64 s[0:1], vcc
	s_xor_b64 s[0:1], exec, s[0:1]
	s_cbranch_execz .LBB126_212
; %bb.207:
	v_cmp_eq_u32_e32 vcc, 12, v137
	s_and_saveexec_b64 s[2:3], vcc
	s_cbranch_execz .LBB126_211
; %bb.208:
	v_cmp_ne_u32_e32 vcc, 12, v134
	s_xor_b64 s[14:15], s[6:7], -1
	s_and_b64 s[16:17], s[14:15], vcc
	s_and_saveexec_b64 s[14:15], s[16:17]
	s_cbranch_execz .LBB126_210
; %bb.209:
	v_ashrrev_i32_e32 v135, 31, v134
	v_lshlrev_b64 v[142:143], 2, v[134:135]
	v_add_co_u32_e32 v142, vcc, v4, v142
	v_addc_co_u32_e32 v143, vcc, v5, v143, vcc
	flat_load_dword v135, v[142:143]
	flat_load_dword v137, v[4:5] offset:48
	s_waitcnt vmcnt(0) lgkmcnt(0)
	flat_store_dword v[4:5], v135 offset:48
	flat_store_dword v[142:143], v137
.LBB126_210:
	s_or_b64 exec, exec, s[14:15]
	v_mov_b32_e32 v135, v134
	v_mov_b32_e32 v137, v134
.LBB126_211:
	s_or_b64 exec, exec, s[2:3]
.LBB126_212:
	s_andn2_saveexec_b64 s[0:1], s[0:1]
	s_cbranch_execz .LBB126_214
; %bb.213:
	v_mov_b32_e32 v137, 12
	ds_write2_b64 v136, v[102:103], v[100:101] offset0:13 offset1:14
	ds_write2_b64 v136, v[98:99], v[96:97] offset0:15 offset1:16
	;; [unrolled: 1-line block ×25, first 2 shown]
	ds_write_b64 v136, v[130:131] offset:504
.LBB126_214:
	s_or_b64 exec, exec, s[0:1]
	v_cmp_lt_i32_e32 vcc, 12, v137
	s_waitcnt lgkmcnt(0)
	s_barrier
	s_and_saveexec_b64 s[0:1], vcc
	s_cbranch_execz .LBB126_216
; %bb.215:
	ds_read2_b64 v[142:145], v136 offset0:13 offset1:14
	ds_read2_b64 v[146:149], v136 offset0:15 offset1:16
	v_mul_f64 v[104:105], v[132:133], v[104:105]
	ds_read2_b64 v[150:153], v136 offset0:17 offset1:18
	ds_read_b64 v[132:133], v136 offset:504
	s_waitcnt lgkmcnt(0)
	v_fma_f64 v[102:103], -v[104:105], v[142:143], v[102:103]
	v_fma_f64 v[100:101], -v[104:105], v[144:145], v[100:101]
	ds_read2_b64 v[142:145], v136 offset0:19 offset1:20
	v_fma_f64 v[98:99], -v[104:105], v[146:147], v[98:99]
	v_fma_f64 v[96:97], -v[104:105], v[148:149], v[96:97]
	;; [unrolled: 1-line block ×3, first 2 shown]
	ds_read2_b64 v[146:149], v136 offset0:21 offset1:22
	v_fma_f64 v[92:93], -v[104:105], v[152:153], v[92:93]
	ds_read2_b64 v[150:153], v136 offset0:23 offset1:24
	s_waitcnt lgkmcnt(0)
	v_fma_f64 v[90:91], -v[104:105], v[142:143], v[90:91]
	v_fma_f64 v[88:89], -v[104:105], v[144:145], v[88:89]
	ds_read2_b64 v[142:145], v136 offset0:25 offset1:26
	v_fma_f64 v[86:87], -v[104:105], v[146:147], v[86:87]
	v_fma_f64 v[84:85], -v[104:105], v[148:149], v[84:85]
	ds_read2_b64 v[146:149], v136 offset0:27 offset1:28
	v_fma_f64 v[82:83], -v[104:105], v[150:151], v[82:83]
	v_fma_f64 v[80:81], -v[104:105], v[152:153], v[80:81]
	s_waitcnt lgkmcnt(0)
	v_fma_f64 v[78:79], -v[104:105], v[142:143], v[78:79]
	ds_read2_b64 v[150:153], v136 offset0:29 offset1:30
	v_fma_f64 v[76:77], -v[104:105], v[144:145], v[76:77]
	ds_read2_b64 v[142:145], v136 offset0:31 offset1:32
	v_fma_f64 v[74:75], -v[104:105], v[146:147], v[74:75]
	v_fma_f64 v[72:73], -v[104:105], v[148:149], v[72:73]
	s_waitcnt lgkmcnt(0)
	v_fma_f64 v[70:71], -v[104:105], v[150:151], v[70:71]
	ds_read2_b64 v[146:149], v136 offset0:33 offset1:34
	v_fma_f64 v[68:69], -v[104:105], v[152:153], v[68:69]
	ds_read2_b64 v[150:153], v136 offset0:35 offset1:36
	v_fma_f64 v[66:67], -v[104:105], v[142:143], v[66:67]
	v_fma_f64 v[64:65], -v[104:105], v[144:145], v[64:65]
	ds_read2_b64 v[142:145], v136 offset0:37 offset1:38
	s_waitcnt lgkmcnt(0)
	v_fma_f64 v[62:63], -v[104:105], v[146:147], v[62:63]
	v_fma_f64 v[60:61], -v[104:105], v[148:149], v[60:61]
	ds_read2_b64 v[146:149], v136 offset0:39 offset1:40
	v_fma_f64 v[58:59], -v[104:105], v[150:151], v[58:59]
	v_fma_f64 v[56:57], -v[104:105], v[152:153], v[56:57]
	;; [unrolled: 1-line block ×3, first 2 shown]
	ds_read2_b64 v[150:153], v136 offset0:41 offset1:42
	v_fma_f64 v[52:53], -v[104:105], v[144:145], v[52:53]
	ds_read2_b64 v[142:145], v136 offset0:43 offset1:44
	s_waitcnt lgkmcnt(0)
	v_fma_f64 v[50:51], -v[104:105], v[146:147], v[50:51]
	v_fma_f64 v[48:49], -v[104:105], v[148:149], v[48:49]
	v_fma_f64 v[46:47], -v[104:105], v[150:151], v[46:47]
	ds_read2_b64 v[146:149], v136 offset0:45 offset1:46
	v_fma_f64 v[44:45], -v[104:105], v[152:153], v[44:45]
	ds_read2_b64 v[150:153], v136 offset0:47 offset1:48
	v_fma_f64 v[42:43], -v[104:105], v[142:143], v[42:43]
	v_fma_f64 v[40:41], -v[104:105], v[144:145], v[40:41]
	ds_read2_b64 v[142:145], v136 offset0:49 offset1:50
	s_waitcnt lgkmcnt(0)
	v_fma_f64 v[38:39], -v[104:105], v[146:147], v[38:39]
	v_fma_f64 v[36:37], -v[104:105], v[148:149], v[36:37]
	ds_read2_b64 v[146:149], v136 offset0:51 offset1:52
	v_fma_f64 v[34:35], -v[104:105], v[150:151], v[34:35]
	v_fma_f64 v[32:33], -v[104:105], v[152:153], v[32:33]
	;; [unrolled: 1-line block ×3, first 2 shown]
	ds_read2_b64 v[150:153], v136 offset0:53 offset1:54
	v_fma_f64 v[28:29], -v[104:105], v[144:145], v[28:29]
	ds_read2_b64 v[142:145], v136 offset0:55 offset1:56
	s_waitcnt lgkmcnt(0)
	v_fma_f64 v[26:27], -v[104:105], v[146:147], v[26:27]
	v_fma_f64 v[24:25], -v[104:105], v[148:149], v[24:25]
	;; [unrolled: 1-line block ×3, first 2 shown]
	ds_read2_b64 v[146:149], v136 offset0:57 offset1:58
	v_fma_f64 v[20:21], -v[104:105], v[152:153], v[20:21]
	v_fma_f64 v[18:19], -v[104:105], v[142:143], v[18:19]
	;; [unrolled: 1-line block ×3, first 2 shown]
	ds_read2_b64 v[142:145], v136 offset0:59 offset1:60
	ds_read2_b64 v[150:153], v136 offset0:61 offset1:62
	s_waitcnt lgkmcnt(0)
	v_fma_f64 v[14:15], -v[104:105], v[146:147], v[14:15]
	v_fma_f64 v[12:13], -v[104:105], v[148:149], v[12:13]
	;; [unrolled: 1-line block ×7, first 2 shown]
.LBB126_216:
	s_or_b64 exec, exec, s[0:1]
	v_lshl_add_u32 v132, v137, 3, v136
	s_barrier
	ds_write_b64 v132, v[102:103]
	s_waitcnt lgkmcnt(0)
	s_barrier
	ds_read_b64 v[132:133], v136 offset:104
	s_cmp_lt_i32 s18, 15
	v_mov_b32_e32 v134, 13
	s_cbranch_scc1 .LBB126_219
; %bb.217:
	v_add_u32_e32 v141, 0x70, v136
	s_mov_b32 s0, 14
	v_mov_b32_e32 v134, 13
.LBB126_218:                            ; =>This Inner Loop Header: Depth=1
	ds_read_b64 v[142:143], v141
	v_mov_b32_e32 v144, s0
	s_add_i32 s0, s0, 1
	v_add_u32_e32 v141, 8, v141
	s_cmp_lg_u32 s18, s0
	s_waitcnt lgkmcnt(0)
	v_cmp_lt_f64_e64 vcc, |v[132:133]|, |v[142:143]|
	v_cndmask_b32_e32 v133, v133, v143, vcc
	v_cndmask_b32_e32 v132, v132, v142, vcc
	v_cndmask_b32_e32 v134, v134, v144, vcc
	s_cbranch_scc1 .LBB126_218
.LBB126_219:
	s_waitcnt lgkmcnt(0)
	v_cmp_eq_f64_e32 vcc, 0, v[132:133]
	s_and_saveexec_b64 s[0:1], vcc
	s_xor_b64 s[0:1], exec, s[0:1]
; %bb.220:
	v_cmp_ne_u32_e32 vcc, 0, v140
	v_cndmask_b32_e32 v140, 14, v140, vcc
; %bb.221:
	s_andn2_saveexec_b64 s[0:1], s[0:1]
; %bb.222:
	v_div_scale_f64 v[142:143], s[2:3], v[132:133], v[132:133], 1.0
	v_rcp_f64_e32 v[144:145], v[142:143]
	v_div_scale_f64 v[146:147], vcc, 1.0, v[132:133], 1.0
	v_fma_f64 v[148:149], -v[142:143], v[144:145], 1.0
	v_fmac_f64_e32 v[144:145], v[144:145], v[148:149]
	v_fma_f64 v[148:149], -v[142:143], v[144:145], 1.0
	v_fmac_f64_e32 v[144:145], v[144:145], v[148:149]
	v_mul_f64 v[148:149], v[146:147], v[144:145]
	v_fma_f64 v[142:143], -v[142:143], v[148:149], v[146:147]
	v_div_fmas_f64 v[142:143], v[142:143], v[144:145], v[148:149]
	v_div_fixup_f64 v[132:133], v[142:143], v[132:133], 1.0
; %bb.223:
	s_or_b64 exec, exec, s[0:1]
	v_cmp_ne_u32_e32 vcc, v137, v134
	s_and_saveexec_b64 s[0:1], vcc
	s_xor_b64 s[0:1], exec, s[0:1]
	s_cbranch_execz .LBB126_229
; %bb.224:
	v_cmp_eq_u32_e32 vcc, 13, v137
	s_and_saveexec_b64 s[2:3], vcc
	s_cbranch_execz .LBB126_228
; %bb.225:
	v_cmp_ne_u32_e32 vcc, 13, v134
	s_xor_b64 s[14:15], s[6:7], -1
	s_and_b64 s[16:17], s[14:15], vcc
	s_and_saveexec_b64 s[14:15], s[16:17]
	s_cbranch_execz .LBB126_227
; %bb.226:
	v_ashrrev_i32_e32 v135, 31, v134
	v_lshlrev_b64 v[142:143], 2, v[134:135]
	v_add_co_u32_e32 v142, vcc, v4, v142
	v_addc_co_u32_e32 v143, vcc, v5, v143, vcc
	flat_load_dword v135, v[142:143]
	flat_load_dword v137, v[4:5] offset:52
	s_waitcnt vmcnt(0) lgkmcnt(0)
	flat_store_dword v[4:5], v135 offset:52
	flat_store_dword v[142:143], v137
.LBB126_227:
	s_or_b64 exec, exec, s[14:15]
	v_mov_b32_e32 v135, v134
	v_mov_b32_e32 v137, v134
.LBB126_228:
	s_or_b64 exec, exec, s[2:3]
.LBB126_229:
	s_andn2_saveexec_b64 s[0:1], s[0:1]
	s_cbranch_execz .LBB126_231
; %bb.230:
	v_mov_b32_e32 v142, v100
	v_mov_b32_e32 v143, v101
	v_mov_b32_e32 v144, v98
	v_mov_b32_e32 v145, v99
	ds_write2_b64 v136, v[142:143], v[144:145] offset0:14 offset1:15
	v_mov_b32_e32 v142, v96
	v_mov_b32_e32 v143, v97
	v_mov_b32_e32 v144, v94
	v_mov_b32_e32 v145, v95
	ds_write2_b64 v136, v[142:143], v[144:145] offset0:16 offset1:17
	;; [unrolled: 5-line block ×24, first 2 shown]
	v_mov_b32_e32 v142, v0
	v_mov_b32_e32 v143, v1
	;; [unrolled: 1-line block ×3, first 2 shown]
	ds_write2_b64 v136, v[142:143], v[130:131] offset0:62 offset1:63
.LBB126_231:
	s_or_b64 exec, exec, s[0:1]
	v_cmp_lt_i32_e32 vcc, 13, v137
	s_waitcnt lgkmcnt(0)
	s_barrier
	s_and_saveexec_b64 s[0:1], vcc
	s_cbranch_execz .LBB126_233
; %bb.232:
	ds_read2_b64 v[142:145], v136 offset0:14 offset1:15
	ds_read2_b64 v[146:149], v136 offset0:16 offset1:17
	v_mul_f64 v[102:103], v[132:133], v[102:103]
	ds_read2_b64 v[150:153], v136 offset0:18 offset1:19
	s_waitcnt lgkmcnt(0)
	v_fma_f64 v[100:101], -v[102:103], v[142:143], v[100:101]
	v_fma_f64 v[98:99], -v[102:103], v[144:145], v[98:99]
	ds_read2_b64 v[142:145], v136 offset0:20 offset1:21
	v_fma_f64 v[96:97], -v[102:103], v[146:147], v[96:97]
	v_fma_f64 v[94:95], -v[102:103], v[148:149], v[94:95]
	;; [unrolled: 1-line block ×3, first 2 shown]
	ds_read2_b64 v[146:149], v136 offset0:22 offset1:23
	v_fma_f64 v[90:91], -v[102:103], v[152:153], v[90:91]
	ds_read2_b64 v[150:153], v136 offset0:24 offset1:25
	s_waitcnt lgkmcnt(0)
	v_fma_f64 v[88:89], -v[102:103], v[142:143], v[88:89]
	v_fma_f64 v[86:87], -v[102:103], v[144:145], v[86:87]
	ds_read2_b64 v[142:145], v136 offset0:26 offset1:27
	v_fma_f64 v[84:85], -v[102:103], v[146:147], v[84:85]
	v_fma_f64 v[82:83], -v[102:103], v[148:149], v[82:83]
	ds_read2_b64 v[146:149], v136 offset0:28 offset1:29
	v_fma_f64 v[80:81], -v[102:103], v[150:151], v[80:81]
	v_fma_f64 v[78:79], -v[102:103], v[152:153], v[78:79]
	s_waitcnt lgkmcnt(0)
	v_fma_f64 v[76:77], -v[102:103], v[142:143], v[76:77]
	ds_read2_b64 v[150:153], v136 offset0:30 offset1:31
	v_fma_f64 v[74:75], -v[102:103], v[144:145], v[74:75]
	ds_read2_b64 v[142:145], v136 offset0:32 offset1:33
	v_fma_f64 v[72:73], -v[102:103], v[146:147], v[72:73]
	v_fma_f64 v[70:71], -v[102:103], v[148:149], v[70:71]
	s_waitcnt lgkmcnt(0)
	v_fma_f64 v[68:69], -v[102:103], v[150:151], v[68:69]
	ds_read2_b64 v[146:149], v136 offset0:34 offset1:35
	v_fma_f64 v[66:67], -v[102:103], v[152:153], v[66:67]
	ds_read2_b64 v[150:153], v136 offset0:36 offset1:37
	v_fma_f64 v[64:65], -v[102:103], v[142:143], v[64:65]
	v_fma_f64 v[62:63], -v[102:103], v[144:145], v[62:63]
	ds_read2_b64 v[142:145], v136 offset0:38 offset1:39
	s_waitcnt lgkmcnt(0)
	v_fma_f64 v[60:61], -v[102:103], v[146:147], v[60:61]
	v_fma_f64 v[58:59], -v[102:103], v[148:149], v[58:59]
	ds_read2_b64 v[146:149], v136 offset0:40 offset1:41
	v_fma_f64 v[56:57], -v[102:103], v[150:151], v[56:57]
	v_fma_f64 v[54:55], -v[102:103], v[152:153], v[54:55]
	;; [unrolled: 1-line block ×3, first 2 shown]
	ds_read2_b64 v[150:153], v136 offset0:42 offset1:43
	v_fma_f64 v[50:51], -v[102:103], v[144:145], v[50:51]
	ds_read2_b64 v[142:145], v136 offset0:44 offset1:45
	s_waitcnt lgkmcnt(0)
	v_fma_f64 v[48:49], -v[102:103], v[146:147], v[48:49]
	v_fma_f64 v[46:47], -v[102:103], v[148:149], v[46:47]
	;; [unrolled: 1-line block ×3, first 2 shown]
	ds_read2_b64 v[146:149], v136 offset0:46 offset1:47
	v_fma_f64 v[42:43], -v[102:103], v[152:153], v[42:43]
	ds_read2_b64 v[150:153], v136 offset0:48 offset1:49
	v_fma_f64 v[40:41], -v[102:103], v[142:143], v[40:41]
	v_fma_f64 v[38:39], -v[102:103], v[144:145], v[38:39]
	ds_read2_b64 v[142:145], v136 offset0:50 offset1:51
	s_waitcnt lgkmcnt(0)
	v_fma_f64 v[36:37], -v[102:103], v[146:147], v[36:37]
	v_fma_f64 v[34:35], -v[102:103], v[148:149], v[34:35]
	ds_read2_b64 v[146:149], v136 offset0:52 offset1:53
	v_fma_f64 v[32:33], -v[102:103], v[150:151], v[32:33]
	v_fma_f64 v[30:31], -v[102:103], v[152:153], v[30:31]
	;; [unrolled: 1-line block ×3, first 2 shown]
	ds_read2_b64 v[150:153], v136 offset0:54 offset1:55
	v_fma_f64 v[26:27], -v[102:103], v[144:145], v[26:27]
	ds_read2_b64 v[142:145], v136 offset0:56 offset1:57
	s_waitcnt lgkmcnt(0)
	v_fma_f64 v[24:25], -v[102:103], v[146:147], v[24:25]
	v_fma_f64 v[22:23], -v[102:103], v[148:149], v[22:23]
	;; [unrolled: 1-line block ×4, first 2 shown]
	ds_read2_b64 v[146:149], v136 offset0:58 offset1:59
	ds_read2_b64 v[150:153], v136 offset0:60 offset1:61
	v_fma_f64 v[16:17], -v[102:103], v[142:143], v[16:17]
	v_fma_f64 v[14:15], -v[102:103], v[144:145], v[14:15]
	ds_read2_b64 v[142:145], v136 offset0:62 offset1:63
	s_waitcnt lgkmcnt(0)
	v_fma_f64 v[12:13], -v[102:103], v[146:147], v[12:13]
	v_fma_f64 v[10:11], -v[102:103], v[148:149], v[10:11]
	v_fma_f64 v[8:9], -v[102:103], v[150:151], v[8:9]
	v_fma_f64 v[6:7], -v[102:103], v[152:153], v[6:7]
	v_fma_f64 v[0:1], -v[102:103], v[142:143], v[0:1]
	v_fma_f64 v[130:131], -v[102:103], v[144:145], v[130:131]
.LBB126_233:
	s_or_b64 exec, exec, s[0:1]
	v_lshl_add_u32 v132, v137, 3, v136
	s_barrier
	ds_write_b64 v132, v[100:101]
	s_waitcnt lgkmcnt(0)
	s_barrier
	ds_read_b64 v[132:133], v136 offset:112
	s_cmp_lt_i32 s18, 16
	v_mov_b32_e32 v134, 14
	s_cbranch_scc1 .LBB126_236
; %bb.234:
	v_add_u32_e32 v141, 0x78, v136
	s_mov_b32 s0, 15
	v_mov_b32_e32 v134, 14
.LBB126_235:                            ; =>This Inner Loop Header: Depth=1
	ds_read_b64 v[142:143], v141
	v_mov_b32_e32 v144, s0
	s_add_i32 s0, s0, 1
	v_add_u32_e32 v141, 8, v141
	s_cmp_lg_u32 s18, s0
	s_waitcnt lgkmcnt(0)
	v_cmp_lt_f64_e64 vcc, |v[132:133]|, |v[142:143]|
	v_cndmask_b32_e32 v133, v133, v143, vcc
	v_cndmask_b32_e32 v132, v132, v142, vcc
	;; [unrolled: 1-line block ×3, first 2 shown]
	s_cbranch_scc1 .LBB126_235
.LBB126_236:
	s_waitcnt lgkmcnt(0)
	v_cmp_eq_f64_e32 vcc, 0, v[132:133]
	s_and_saveexec_b64 s[0:1], vcc
	s_xor_b64 s[0:1], exec, s[0:1]
; %bb.237:
	v_cmp_ne_u32_e32 vcc, 0, v140
	v_cndmask_b32_e32 v140, 15, v140, vcc
; %bb.238:
	s_andn2_saveexec_b64 s[0:1], s[0:1]
; %bb.239:
	v_div_scale_f64 v[142:143], s[2:3], v[132:133], v[132:133], 1.0
	v_rcp_f64_e32 v[144:145], v[142:143]
	v_div_scale_f64 v[146:147], vcc, 1.0, v[132:133], 1.0
	v_fma_f64 v[148:149], -v[142:143], v[144:145], 1.0
	v_fmac_f64_e32 v[144:145], v[144:145], v[148:149]
	v_fma_f64 v[148:149], -v[142:143], v[144:145], 1.0
	v_fmac_f64_e32 v[144:145], v[144:145], v[148:149]
	v_mul_f64 v[148:149], v[146:147], v[144:145]
	v_fma_f64 v[142:143], -v[142:143], v[148:149], v[146:147]
	v_div_fmas_f64 v[142:143], v[142:143], v[144:145], v[148:149]
	v_div_fixup_f64 v[132:133], v[142:143], v[132:133], 1.0
; %bb.240:
	s_or_b64 exec, exec, s[0:1]
	v_cmp_ne_u32_e32 vcc, v137, v134
	s_and_saveexec_b64 s[0:1], vcc
	s_xor_b64 s[0:1], exec, s[0:1]
	s_cbranch_execz .LBB126_246
; %bb.241:
	v_cmp_eq_u32_e32 vcc, 14, v137
	s_and_saveexec_b64 s[2:3], vcc
	s_cbranch_execz .LBB126_245
; %bb.242:
	v_cmp_ne_u32_e32 vcc, 14, v134
	s_xor_b64 s[14:15], s[6:7], -1
	s_and_b64 s[16:17], s[14:15], vcc
	s_and_saveexec_b64 s[14:15], s[16:17]
	s_cbranch_execz .LBB126_244
; %bb.243:
	v_ashrrev_i32_e32 v135, 31, v134
	v_lshlrev_b64 v[142:143], 2, v[134:135]
	v_add_co_u32_e32 v142, vcc, v4, v142
	v_addc_co_u32_e32 v143, vcc, v5, v143, vcc
	flat_load_dword v135, v[142:143]
	flat_load_dword v137, v[4:5] offset:56
	s_waitcnt vmcnt(0) lgkmcnt(0)
	flat_store_dword v[4:5], v135 offset:56
	flat_store_dword v[142:143], v137
.LBB126_244:
	s_or_b64 exec, exec, s[14:15]
	v_mov_b32_e32 v135, v134
	v_mov_b32_e32 v137, v134
.LBB126_245:
	s_or_b64 exec, exec, s[2:3]
.LBB126_246:
	s_andn2_saveexec_b64 s[0:1], s[0:1]
	s_cbranch_execz .LBB126_248
; %bb.247:
	v_mov_b32_e32 v137, 14
	ds_write2_b64 v136, v[98:99], v[96:97] offset0:15 offset1:16
	ds_write2_b64 v136, v[94:95], v[92:93] offset0:17 offset1:18
	;; [unrolled: 1-line block ×24, first 2 shown]
	ds_write_b64 v136, v[130:131] offset:504
.LBB126_248:
	s_or_b64 exec, exec, s[0:1]
	v_cmp_lt_i32_e32 vcc, 14, v137
	s_waitcnt lgkmcnt(0)
	s_barrier
	s_and_saveexec_b64 s[0:1], vcc
	s_cbranch_execz .LBB126_250
; %bb.249:
	ds_read2_b64 v[142:145], v136 offset0:15 offset1:16
	ds_read2_b64 v[146:149], v136 offset0:17 offset1:18
	ds_read2_b64 v[150:153], v136 offset0:19 offset1:20
	v_mul_f64 v[100:101], v[132:133], v[100:101]
	ds_read_b64 v[132:133], v136 offset:504
	s_waitcnt lgkmcnt(0)
	v_fma_f64 v[98:99], -v[100:101], v[142:143], v[98:99]
	v_fma_f64 v[96:97], -v[100:101], v[144:145], v[96:97]
	ds_read2_b64 v[142:145], v136 offset0:21 offset1:22
	v_fma_f64 v[94:95], -v[100:101], v[146:147], v[94:95]
	v_fma_f64 v[92:93], -v[100:101], v[148:149], v[92:93]
	v_fma_f64 v[90:91], -v[100:101], v[150:151], v[90:91]
	ds_read2_b64 v[146:149], v136 offset0:23 offset1:24
	v_fma_f64 v[88:89], -v[100:101], v[152:153], v[88:89]
	ds_read2_b64 v[150:153], v136 offset0:25 offset1:26
	s_waitcnt lgkmcnt(0)
	v_fma_f64 v[86:87], -v[100:101], v[142:143], v[86:87]
	v_fma_f64 v[84:85], -v[100:101], v[144:145], v[84:85]
	v_fma_f64 v[82:83], -v[100:101], v[146:147], v[82:83]
	ds_read2_b64 v[142:145], v136 offset0:27 offset1:28
	v_fma_f64 v[80:81], -v[100:101], v[148:149], v[80:81]
	ds_read2_b64 v[146:149], v136 offset0:29 offset1:30
	v_fma_f64 v[78:79], -v[100:101], v[150:151], v[78:79]
	v_fma_f64 v[76:77], -v[100:101], v[152:153], v[76:77]
	ds_read2_b64 v[150:153], v136 offset0:31 offset1:32
	s_waitcnt lgkmcnt(0)
	v_fma_f64 v[74:75], -v[100:101], v[142:143], v[74:75]
	v_fma_f64 v[72:73], -v[100:101], v[144:145], v[72:73]
	ds_read2_b64 v[142:145], v136 offset0:33 offset1:34
	v_fma_f64 v[70:71], -v[100:101], v[146:147], v[70:71]
	v_fma_f64 v[68:69], -v[100:101], v[148:149], v[68:69]
	v_fma_f64 v[66:67], -v[100:101], v[150:151], v[66:67]
	ds_read2_b64 v[146:149], v136 offset0:35 offset1:36
	v_fma_f64 v[64:65], -v[100:101], v[152:153], v[64:65]
	ds_read2_b64 v[150:153], v136 offset0:37 offset1:38
	s_waitcnt lgkmcnt(0)
	v_fma_f64 v[62:63], -v[100:101], v[142:143], v[62:63]
	v_fma_f64 v[60:61], -v[100:101], v[144:145], v[60:61]
	v_fma_f64 v[58:59], -v[100:101], v[146:147], v[58:59]
	ds_read2_b64 v[142:145], v136 offset0:39 offset1:40
	v_fma_f64 v[56:57], -v[100:101], v[148:149], v[56:57]
	ds_read2_b64 v[146:149], v136 offset0:41 offset1:42
	v_fma_f64 v[54:55], -v[100:101], v[150:151], v[54:55]
	v_fma_f64 v[52:53], -v[100:101], v[152:153], v[52:53]
	ds_read2_b64 v[150:153], v136 offset0:43 offset1:44
	s_waitcnt lgkmcnt(0)
	v_fma_f64 v[50:51], -v[100:101], v[142:143], v[50:51]
	v_fma_f64 v[48:49], -v[100:101], v[144:145], v[48:49]
	ds_read2_b64 v[142:145], v136 offset0:45 offset1:46
	v_fma_f64 v[46:47], -v[100:101], v[146:147], v[46:47]
	v_fma_f64 v[44:45], -v[100:101], v[148:149], v[44:45]
	v_fma_f64 v[42:43], -v[100:101], v[150:151], v[42:43]
	ds_read2_b64 v[146:149], v136 offset0:47 offset1:48
	v_fma_f64 v[40:41], -v[100:101], v[152:153], v[40:41]
	ds_read2_b64 v[150:153], v136 offset0:49 offset1:50
	s_waitcnt lgkmcnt(0)
	v_fma_f64 v[38:39], -v[100:101], v[142:143], v[38:39]
	v_fma_f64 v[36:37], -v[100:101], v[144:145], v[36:37]
	v_fma_f64 v[34:35], -v[100:101], v[146:147], v[34:35]
	ds_read2_b64 v[142:145], v136 offset0:51 offset1:52
	v_fma_f64 v[32:33], -v[100:101], v[148:149], v[32:33]
	ds_read2_b64 v[146:149], v136 offset0:53 offset1:54
	v_fma_f64 v[30:31], -v[100:101], v[150:151], v[30:31]
	v_fma_f64 v[28:29], -v[100:101], v[152:153], v[28:29]
	ds_read2_b64 v[150:153], v136 offset0:55 offset1:56
	s_waitcnt lgkmcnt(0)
	v_fma_f64 v[26:27], -v[100:101], v[142:143], v[26:27]
	v_fma_f64 v[24:25], -v[100:101], v[144:145], v[24:25]
	ds_read2_b64 v[142:145], v136 offset0:57 offset1:58
	v_fma_f64 v[22:23], -v[100:101], v[146:147], v[22:23]
	v_fma_f64 v[20:21], -v[100:101], v[148:149], v[20:21]
	;; [unrolled: 1-line block ×4, first 2 shown]
	ds_read2_b64 v[146:149], v136 offset0:59 offset1:60
	ds_read2_b64 v[150:153], v136 offset0:61 offset1:62
	s_waitcnt lgkmcnt(0)
	v_fma_f64 v[14:15], -v[100:101], v[142:143], v[14:15]
	v_fma_f64 v[12:13], -v[100:101], v[144:145], v[12:13]
	;; [unrolled: 1-line block ×7, first 2 shown]
.LBB126_250:
	s_or_b64 exec, exec, s[0:1]
	v_lshl_add_u32 v132, v137, 3, v136
	s_barrier
	ds_write_b64 v132, v[98:99]
	s_waitcnt lgkmcnt(0)
	s_barrier
	ds_read_b64 v[132:133], v136 offset:120
	s_cmp_lt_i32 s18, 17
	v_mov_b32_e32 v134, 15
	s_cbranch_scc1 .LBB126_253
; %bb.251:
	v_add_u32_e32 v141, 0x80, v136
	s_mov_b32 s0, 16
	v_mov_b32_e32 v134, 15
.LBB126_252:                            ; =>This Inner Loop Header: Depth=1
	ds_read_b64 v[142:143], v141
	v_mov_b32_e32 v144, s0
	s_add_i32 s0, s0, 1
	v_add_u32_e32 v141, 8, v141
	s_cmp_lg_u32 s18, s0
	s_waitcnt lgkmcnt(0)
	v_cmp_lt_f64_e64 vcc, |v[132:133]|, |v[142:143]|
	v_cndmask_b32_e32 v133, v133, v143, vcc
	v_cndmask_b32_e32 v132, v132, v142, vcc
	;; [unrolled: 1-line block ×3, first 2 shown]
	s_cbranch_scc1 .LBB126_252
.LBB126_253:
	s_waitcnt lgkmcnt(0)
	v_cmp_eq_f64_e32 vcc, 0, v[132:133]
	s_and_saveexec_b64 s[0:1], vcc
	s_xor_b64 s[0:1], exec, s[0:1]
; %bb.254:
	v_cmp_ne_u32_e32 vcc, 0, v140
	v_cndmask_b32_e32 v140, 16, v140, vcc
; %bb.255:
	s_andn2_saveexec_b64 s[0:1], s[0:1]
; %bb.256:
	v_div_scale_f64 v[142:143], s[2:3], v[132:133], v[132:133], 1.0
	v_rcp_f64_e32 v[144:145], v[142:143]
	v_div_scale_f64 v[146:147], vcc, 1.0, v[132:133], 1.0
	v_fma_f64 v[148:149], -v[142:143], v[144:145], 1.0
	v_fmac_f64_e32 v[144:145], v[144:145], v[148:149]
	v_fma_f64 v[148:149], -v[142:143], v[144:145], 1.0
	v_fmac_f64_e32 v[144:145], v[144:145], v[148:149]
	v_mul_f64 v[148:149], v[146:147], v[144:145]
	v_fma_f64 v[142:143], -v[142:143], v[148:149], v[146:147]
	v_div_fmas_f64 v[142:143], v[142:143], v[144:145], v[148:149]
	v_div_fixup_f64 v[132:133], v[142:143], v[132:133], 1.0
; %bb.257:
	s_or_b64 exec, exec, s[0:1]
	v_cmp_ne_u32_e32 vcc, v137, v134
	s_and_saveexec_b64 s[0:1], vcc
	s_xor_b64 s[0:1], exec, s[0:1]
	s_cbranch_execz .LBB126_263
; %bb.258:
	v_cmp_eq_u32_e32 vcc, 15, v137
	s_and_saveexec_b64 s[2:3], vcc
	s_cbranch_execz .LBB126_262
; %bb.259:
	v_cmp_ne_u32_e32 vcc, 15, v134
	s_xor_b64 s[14:15], s[6:7], -1
	s_and_b64 s[16:17], s[14:15], vcc
	s_and_saveexec_b64 s[14:15], s[16:17]
	s_cbranch_execz .LBB126_261
; %bb.260:
	v_ashrrev_i32_e32 v135, 31, v134
	v_lshlrev_b64 v[142:143], 2, v[134:135]
	v_add_co_u32_e32 v142, vcc, v4, v142
	v_addc_co_u32_e32 v143, vcc, v5, v143, vcc
	flat_load_dword v135, v[142:143]
	flat_load_dword v137, v[4:5] offset:60
	s_waitcnt vmcnt(0) lgkmcnt(0)
	flat_store_dword v[4:5], v135 offset:60
	flat_store_dword v[142:143], v137
.LBB126_261:
	s_or_b64 exec, exec, s[14:15]
	v_mov_b32_e32 v135, v134
	v_mov_b32_e32 v137, v134
.LBB126_262:
	s_or_b64 exec, exec, s[2:3]
.LBB126_263:
	s_andn2_saveexec_b64 s[0:1], s[0:1]
	s_cbranch_execz .LBB126_265
; %bb.264:
	v_mov_b32_e32 v142, v96
	v_mov_b32_e32 v143, v97
	v_mov_b32_e32 v144, v94
	v_mov_b32_e32 v145, v95
	ds_write2_b64 v136, v[142:143], v[144:145] offset0:16 offset1:17
	v_mov_b32_e32 v142, v92
	v_mov_b32_e32 v143, v93
	v_mov_b32_e32 v144, v90
	v_mov_b32_e32 v145, v91
	ds_write2_b64 v136, v[142:143], v[144:145] offset0:18 offset1:19
	;; [unrolled: 5-line block ×23, first 2 shown]
	v_mov_b32_e32 v142, v0
	v_mov_b32_e32 v143, v1
	;; [unrolled: 1-line block ×3, first 2 shown]
	ds_write2_b64 v136, v[142:143], v[130:131] offset0:62 offset1:63
.LBB126_265:
	s_or_b64 exec, exec, s[0:1]
	v_cmp_lt_i32_e32 vcc, 15, v137
	s_waitcnt lgkmcnt(0)
	s_barrier
	s_and_saveexec_b64 s[0:1], vcc
	s_cbranch_execz .LBB126_267
; %bb.266:
	ds_read2_b64 v[142:145], v136 offset0:16 offset1:17
	ds_read2_b64 v[146:149], v136 offset0:18 offset1:19
	;; [unrolled: 1-line block ×3, first 2 shown]
	v_mul_f64 v[98:99], v[132:133], v[98:99]
	s_waitcnt lgkmcnt(0)
	v_fma_f64 v[96:97], -v[98:99], v[142:143], v[96:97]
	v_fma_f64 v[94:95], -v[98:99], v[144:145], v[94:95]
	ds_read2_b64 v[142:145], v136 offset0:22 offset1:23
	v_fma_f64 v[92:93], -v[98:99], v[146:147], v[92:93]
	v_fma_f64 v[90:91], -v[98:99], v[148:149], v[90:91]
	v_fma_f64 v[88:89], -v[98:99], v[150:151], v[88:89]
	ds_read2_b64 v[146:149], v136 offset0:24 offset1:25
	v_fma_f64 v[86:87], -v[98:99], v[152:153], v[86:87]
	ds_read2_b64 v[150:153], v136 offset0:26 offset1:27
	s_waitcnt lgkmcnt(0)
	v_fma_f64 v[84:85], -v[98:99], v[142:143], v[84:85]
	v_fma_f64 v[82:83], -v[98:99], v[144:145], v[82:83]
	v_fma_f64 v[80:81], -v[98:99], v[146:147], v[80:81]
	ds_read2_b64 v[142:145], v136 offset0:28 offset1:29
	v_fma_f64 v[78:79], -v[98:99], v[148:149], v[78:79]
	ds_read2_b64 v[146:149], v136 offset0:30 offset1:31
	v_fma_f64 v[76:77], -v[98:99], v[150:151], v[76:77]
	v_fma_f64 v[74:75], -v[98:99], v[152:153], v[74:75]
	ds_read2_b64 v[150:153], v136 offset0:32 offset1:33
	s_waitcnt lgkmcnt(0)
	v_fma_f64 v[72:73], -v[98:99], v[142:143], v[72:73]
	v_fma_f64 v[70:71], -v[98:99], v[144:145], v[70:71]
	ds_read2_b64 v[142:145], v136 offset0:34 offset1:35
	v_fma_f64 v[68:69], -v[98:99], v[146:147], v[68:69]
	v_fma_f64 v[66:67], -v[98:99], v[148:149], v[66:67]
	v_fma_f64 v[64:65], -v[98:99], v[150:151], v[64:65]
	ds_read2_b64 v[146:149], v136 offset0:36 offset1:37
	v_fma_f64 v[62:63], -v[98:99], v[152:153], v[62:63]
	ds_read2_b64 v[150:153], v136 offset0:38 offset1:39
	s_waitcnt lgkmcnt(0)
	v_fma_f64 v[60:61], -v[98:99], v[142:143], v[60:61]
	v_fma_f64 v[58:59], -v[98:99], v[144:145], v[58:59]
	v_fma_f64 v[56:57], -v[98:99], v[146:147], v[56:57]
	ds_read2_b64 v[142:145], v136 offset0:40 offset1:41
	v_fma_f64 v[54:55], -v[98:99], v[148:149], v[54:55]
	ds_read2_b64 v[146:149], v136 offset0:42 offset1:43
	v_fma_f64 v[52:53], -v[98:99], v[150:151], v[52:53]
	v_fma_f64 v[50:51], -v[98:99], v[152:153], v[50:51]
	ds_read2_b64 v[150:153], v136 offset0:44 offset1:45
	;; [unrolled: 20-line block ×3, first 2 shown]
	s_waitcnt lgkmcnt(0)
	v_fma_f64 v[24:25], -v[98:99], v[142:143], v[24:25]
	v_fma_f64 v[22:23], -v[98:99], v[144:145], v[22:23]
	ds_read2_b64 v[142:145], v136 offset0:58 offset1:59
	v_fma_f64 v[20:21], -v[98:99], v[146:147], v[20:21]
	v_fma_f64 v[18:19], -v[98:99], v[148:149], v[18:19]
	;; [unrolled: 1-line block ×3, first 2 shown]
	ds_read2_b64 v[146:149], v136 offset0:60 offset1:61
	v_fma_f64 v[14:15], -v[98:99], v[152:153], v[14:15]
	ds_read2_b64 v[150:153], v136 offset0:62 offset1:63
	s_waitcnt lgkmcnt(0)
	v_fma_f64 v[12:13], -v[98:99], v[142:143], v[12:13]
	v_fma_f64 v[10:11], -v[98:99], v[144:145], v[10:11]
	;; [unrolled: 1-line block ×6, first 2 shown]
.LBB126_267:
	s_or_b64 exec, exec, s[0:1]
	v_lshl_add_u32 v132, v137, 3, v136
	s_barrier
	ds_write_b64 v132, v[96:97]
	s_waitcnt lgkmcnt(0)
	s_barrier
	ds_read_b64 v[132:133], v136 offset:128
	s_cmp_lt_i32 s18, 18
	v_mov_b32_e32 v134, 16
	s_cbranch_scc1 .LBB126_270
; %bb.268:
	v_add_u32_e32 v141, 0x88, v136
	s_mov_b32 s0, 17
	v_mov_b32_e32 v134, 16
.LBB126_269:                            ; =>This Inner Loop Header: Depth=1
	ds_read_b64 v[142:143], v141
	v_mov_b32_e32 v144, s0
	s_add_i32 s0, s0, 1
	v_add_u32_e32 v141, 8, v141
	s_cmp_lg_u32 s18, s0
	s_waitcnt lgkmcnt(0)
	v_cmp_lt_f64_e64 vcc, |v[132:133]|, |v[142:143]|
	v_cndmask_b32_e32 v133, v133, v143, vcc
	v_cndmask_b32_e32 v132, v132, v142, vcc
	;; [unrolled: 1-line block ×3, first 2 shown]
	s_cbranch_scc1 .LBB126_269
.LBB126_270:
	s_waitcnt lgkmcnt(0)
	v_cmp_eq_f64_e32 vcc, 0, v[132:133]
	s_and_saveexec_b64 s[0:1], vcc
	s_xor_b64 s[0:1], exec, s[0:1]
; %bb.271:
	v_cmp_ne_u32_e32 vcc, 0, v140
	v_cndmask_b32_e32 v140, 17, v140, vcc
; %bb.272:
	s_andn2_saveexec_b64 s[0:1], s[0:1]
; %bb.273:
	v_div_scale_f64 v[142:143], s[2:3], v[132:133], v[132:133], 1.0
	v_rcp_f64_e32 v[144:145], v[142:143]
	v_div_scale_f64 v[146:147], vcc, 1.0, v[132:133], 1.0
	v_fma_f64 v[148:149], -v[142:143], v[144:145], 1.0
	v_fmac_f64_e32 v[144:145], v[144:145], v[148:149]
	v_fma_f64 v[148:149], -v[142:143], v[144:145], 1.0
	v_fmac_f64_e32 v[144:145], v[144:145], v[148:149]
	v_mul_f64 v[148:149], v[146:147], v[144:145]
	v_fma_f64 v[142:143], -v[142:143], v[148:149], v[146:147]
	v_div_fmas_f64 v[142:143], v[142:143], v[144:145], v[148:149]
	v_div_fixup_f64 v[132:133], v[142:143], v[132:133], 1.0
; %bb.274:
	s_or_b64 exec, exec, s[0:1]
	v_cmp_ne_u32_e32 vcc, v137, v134
	s_and_saveexec_b64 s[0:1], vcc
	s_xor_b64 s[0:1], exec, s[0:1]
	s_cbranch_execz .LBB126_280
; %bb.275:
	v_cmp_eq_u32_e32 vcc, 16, v137
	s_and_saveexec_b64 s[2:3], vcc
	s_cbranch_execz .LBB126_279
; %bb.276:
	v_cmp_ne_u32_e32 vcc, 16, v134
	s_xor_b64 s[14:15], s[6:7], -1
	s_and_b64 s[16:17], s[14:15], vcc
	s_and_saveexec_b64 s[14:15], s[16:17]
	s_cbranch_execz .LBB126_278
; %bb.277:
	v_ashrrev_i32_e32 v135, 31, v134
	v_lshlrev_b64 v[142:143], 2, v[134:135]
	v_add_co_u32_e32 v142, vcc, v4, v142
	v_addc_co_u32_e32 v143, vcc, v5, v143, vcc
	flat_load_dword v135, v[142:143]
	flat_load_dword v137, v[4:5] offset:64
	s_waitcnt vmcnt(0) lgkmcnt(0)
	flat_store_dword v[4:5], v135 offset:64
	flat_store_dword v[142:143], v137
.LBB126_278:
	s_or_b64 exec, exec, s[14:15]
	v_mov_b32_e32 v135, v134
	v_mov_b32_e32 v137, v134
.LBB126_279:
	s_or_b64 exec, exec, s[2:3]
.LBB126_280:
	s_andn2_saveexec_b64 s[0:1], s[0:1]
	s_cbranch_execz .LBB126_282
; %bb.281:
	v_mov_b32_e32 v137, 16
	ds_write2_b64 v136, v[94:95], v[92:93] offset0:17 offset1:18
	ds_write2_b64 v136, v[90:91], v[88:89] offset0:19 offset1:20
	;; [unrolled: 1-line block ×23, first 2 shown]
	ds_write_b64 v136, v[130:131] offset:504
.LBB126_282:
	s_or_b64 exec, exec, s[0:1]
	v_cmp_lt_i32_e32 vcc, 16, v137
	s_waitcnt lgkmcnt(0)
	s_barrier
	s_and_saveexec_b64 s[0:1], vcc
	s_cbranch_execz .LBB126_284
; %bb.283:
	ds_read2_b64 v[142:145], v136 offset0:17 offset1:18
	ds_read2_b64 v[146:149], v136 offset0:19 offset1:20
	v_mul_f64 v[96:97], v[132:133], v[96:97]
	ds_read2_b64 v[150:153], v136 offset0:21 offset1:22
	ds_read_b64 v[132:133], v136 offset:504
	s_waitcnt lgkmcnt(0)
	v_fma_f64 v[94:95], -v[96:97], v[142:143], v[94:95]
	v_fma_f64 v[92:93], -v[96:97], v[144:145], v[92:93]
	ds_read2_b64 v[142:145], v136 offset0:23 offset1:24
	v_fma_f64 v[90:91], -v[96:97], v[146:147], v[90:91]
	v_fma_f64 v[88:89], -v[96:97], v[148:149], v[88:89]
	ds_read2_b64 v[146:149], v136 offset0:25 offset1:26
	;; [unrolled: 3-line block ×3, first 2 shown]
	s_waitcnt lgkmcnt(0)
	v_fma_f64 v[82:83], -v[96:97], v[142:143], v[82:83]
	v_fma_f64 v[80:81], -v[96:97], v[144:145], v[80:81]
	;; [unrolled: 1-line block ×3, first 2 shown]
	ds_read2_b64 v[142:145], v136 offset0:29 offset1:30
	v_fma_f64 v[76:77], -v[96:97], v[148:149], v[76:77]
	ds_read2_b64 v[146:149], v136 offset0:31 offset1:32
	v_fma_f64 v[74:75], -v[96:97], v[150:151], v[74:75]
	v_fma_f64 v[72:73], -v[96:97], v[152:153], v[72:73]
	s_waitcnt lgkmcnt(0)
	v_fma_f64 v[70:71], -v[96:97], v[142:143], v[70:71]
	ds_read2_b64 v[150:153], v136 offset0:33 offset1:34
	v_fma_f64 v[68:69], -v[96:97], v[144:145], v[68:69]
	ds_read2_b64 v[142:145], v136 offset0:35 offset1:36
	v_fma_f64 v[66:67], -v[96:97], v[146:147], v[66:67]
	v_fma_f64 v[64:65], -v[96:97], v[148:149], v[64:65]
	ds_read2_b64 v[146:149], v136 offset0:37 offset1:38
	s_waitcnt lgkmcnt(0)
	v_fma_f64 v[62:63], -v[96:97], v[150:151], v[62:63]
	v_fma_f64 v[60:61], -v[96:97], v[152:153], v[60:61]
	ds_read2_b64 v[150:153], v136 offset0:39 offset1:40
	v_fma_f64 v[58:59], -v[96:97], v[142:143], v[58:59]
	v_fma_f64 v[56:57], -v[96:97], v[144:145], v[56:57]
	;; [unrolled: 1-line block ×3, first 2 shown]
	ds_read2_b64 v[142:145], v136 offset0:41 offset1:42
	v_fma_f64 v[52:53], -v[96:97], v[148:149], v[52:53]
	ds_read2_b64 v[146:149], v136 offset0:43 offset1:44
	s_waitcnt lgkmcnt(0)
	v_fma_f64 v[50:51], -v[96:97], v[150:151], v[50:51]
	v_fma_f64 v[48:49], -v[96:97], v[152:153], v[48:49]
	;; [unrolled: 1-line block ×3, first 2 shown]
	ds_read2_b64 v[150:153], v136 offset0:45 offset1:46
	v_fma_f64 v[44:45], -v[96:97], v[144:145], v[44:45]
	ds_read2_b64 v[142:145], v136 offset0:47 offset1:48
	v_fma_f64 v[42:43], -v[96:97], v[146:147], v[42:43]
	v_fma_f64 v[40:41], -v[96:97], v[148:149], v[40:41]
	ds_read2_b64 v[146:149], v136 offset0:49 offset1:50
	s_waitcnt lgkmcnt(0)
	v_fma_f64 v[38:39], -v[96:97], v[150:151], v[38:39]
	v_fma_f64 v[36:37], -v[96:97], v[152:153], v[36:37]
	ds_read2_b64 v[150:153], v136 offset0:51 offset1:52
	v_fma_f64 v[34:35], -v[96:97], v[142:143], v[34:35]
	v_fma_f64 v[32:33], -v[96:97], v[144:145], v[32:33]
	;; [unrolled: 1-line block ×3, first 2 shown]
	ds_read2_b64 v[142:145], v136 offset0:53 offset1:54
	v_fma_f64 v[28:29], -v[96:97], v[148:149], v[28:29]
	ds_read2_b64 v[146:149], v136 offset0:55 offset1:56
	s_waitcnt lgkmcnt(0)
	v_fma_f64 v[26:27], -v[96:97], v[150:151], v[26:27]
	v_fma_f64 v[24:25], -v[96:97], v[152:153], v[24:25]
	;; [unrolled: 1-line block ×3, first 2 shown]
	ds_read2_b64 v[150:153], v136 offset0:57 offset1:58
	v_fma_f64 v[20:21], -v[96:97], v[144:145], v[20:21]
	ds_read2_b64 v[142:145], v136 offset0:59 offset1:60
	v_fma_f64 v[18:19], -v[96:97], v[146:147], v[18:19]
	v_fma_f64 v[16:17], -v[96:97], v[148:149], v[16:17]
	ds_read2_b64 v[146:149], v136 offset0:61 offset1:62
	s_waitcnt lgkmcnt(0)
	v_fma_f64 v[14:15], -v[96:97], v[150:151], v[14:15]
	v_fma_f64 v[12:13], -v[96:97], v[152:153], v[12:13]
	v_fma_f64 v[10:11], -v[96:97], v[142:143], v[10:11]
	v_fma_f64 v[8:9], -v[96:97], v[144:145], v[8:9]
	v_fma_f64 v[6:7], -v[96:97], v[146:147], v[6:7]
	v_fma_f64 v[0:1], -v[96:97], v[148:149], v[0:1]
	v_fma_f64 v[130:131], -v[96:97], v[132:133], v[130:131]
.LBB126_284:
	s_or_b64 exec, exec, s[0:1]
	v_lshl_add_u32 v132, v137, 3, v136
	s_barrier
	ds_write_b64 v132, v[94:95]
	s_waitcnt lgkmcnt(0)
	s_barrier
	ds_read_b64 v[132:133], v136 offset:136
	s_cmp_lt_i32 s18, 19
	v_mov_b32_e32 v134, 17
	s_cbranch_scc1 .LBB126_287
; %bb.285:
	v_add_u32_e32 v141, 0x90, v136
	s_mov_b32 s0, 18
	v_mov_b32_e32 v134, 17
.LBB126_286:                            ; =>This Inner Loop Header: Depth=1
	ds_read_b64 v[142:143], v141
	v_mov_b32_e32 v144, s0
	s_add_i32 s0, s0, 1
	v_add_u32_e32 v141, 8, v141
	s_cmp_lg_u32 s18, s0
	s_waitcnt lgkmcnt(0)
	v_cmp_lt_f64_e64 vcc, |v[132:133]|, |v[142:143]|
	v_cndmask_b32_e32 v133, v133, v143, vcc
	v_cndmask_b32_e32 v132, v132, v142, vcc
	;; [unrolled: 1-line block ×3, first 2 shown]
	s_cbranch_scc1 .LBB126_286
.LBB126_287:
	s_waitcnt lgkmcnt(0)
	v_cmp_eq_f64_e32 vcc, 0, v[132:133]
	s_and_saveexec_b64 s[0:1], vcc
	s_xor_b64 s[0:1], exec, s[0:1]
; %bb.288:
	v_cmp_ne_u32_e32 vcc, 0, v140
	v_cndmask_b32_e32 v140, 18, v140, vcc
; %bb.289:
	s_andn2_saveexec_b64 s[0:1], s[0:1]
; %bb.290:
	v_div_scale_f64 v[142:143], s[2:3], v[132:133], v[132:133], 1.0
	v_rcp_f64_e32 v[144:145], v[142:143]
	v_div_scale_f64 v[146:147], vcc, 1.0, v[132:133], 1.0
	v_fma_f64 v[148:149], -v[142:143], v[144:145], 1.0
	v_fmac_f64_e32 v[144:145], v[144:145], v[148:149]
	v_fma_f64 v[148:149], -v[142:143], v[144:145], 1.0
	v_fmac_f64_e32 v[144:145], v[144:145], v[148:149]
	v_mul_f64 v[148:149], v[146:147], v[144:145]
	v_fma_f64 v[142:143], -v[142:143], v[148:149], v[146:147]
	v_div_fmas_f64 v[142:143], v[142:143], v[144:145], v[148:149]
	v_div_fixup_f64 v[132:133], v[142:143], v[132:133], 1.0
; %bb.291:
	s_or_b64 exec, exec, s[0:1]
	v_cmp_ne_u32_e32 vcc, v137, v134
	s_and_saveexec_b64 s[0:1], vcc
	s_xor_b64 s[0:1], exec, s[0:1]
	s_cbranch_execz .LBB126_297
; %bb.292:
	v_cmp_eq_u32_e32 vcc, 17, v137
	s_and_saveexec_b64 s[2:3], vcc
	s_cbranch_execz .LBB126_296
; %bb.293:
	v_cmp_ne_u32_e32 vcc, 17, v134
	s_xor_b64 s[14:15], s[6:7], -1
	s_and_b64 s[16:17], s[14:15], vcc
	s_and_saveexec_b64 s[14:15], s[16:17]
	s_cbranch_execz .LBB126_295
; %bb.294:
	v_ashrrev_i32_e32 v135, 31, v134
	v_lshlrev_b64 v[142:143], 2, v[134:135]
	v_add_co_u32_e32 v142, vcc, v4, v142
	v_addc_co_u32_e32 v143, vcc, v5, v143, vcc
	flat_load_dword v135, v[142:143]
	flat_load_dword v137, v[4:5] offset:68
	s_waitcnt vmcnt(0) lgkmcnt(0)
	flat_store_dword v[4:5], v135 offset:68
	flat_store_dword v[142:143], v137
.LBB126_295:
	s_or_b64 exec, exec, s[14:15]
	v_mov_b32_e32 v135, v134
	v_mov_b32_e32 v137, v134
.LBB126_296:
	s_or_b64 exec, exec, s[2:3]
.LBB126_297:
	s_andn2_saveexec_b64 s[0:1], s[0:1]
	s_cbranch_execz .LBB126_299
; %bb.298:
	v_mov_b32_e32 v142, v92
	v_mov_b32_e32 v143, v93
	v_mov_b32_e32 v144, v90
	v_mov_b32_e32 v145, v91
	ds_write2_b64 v136, v[142:143], v[144:145] offset0:18 offset1:19
	v_mov_b32_e32 v142, v88
	v_mov_b32_e32 v143, v89
	v_mov_b32_e32 v144, v86
	v_mov_b32_e32 v145, v87
	ds_write2_b64 v136, v[142:143], v[144:145] offset0:20 offset1:21
	;; [unrolled: 5-line block ×22, first 2 shown]
	v_mov_b32_e32 v142, v0
	v_mov_b32_e32 v143, v1
	v_mov_b32_e32 v137, 17
	ds_write2_b64 v136, v[142:143], v[130:131] offset0:62 offset1:63
.LBB126_299:
	s_or_b64 exec, exec, s[0:1]
	v_cmp_lt_i32_e32 vcc, 17, v137
	s_waitcnt lgkmcnt(0)
	s_barrier
	s_and_saveexec_b64 s[0:1], vcc
	s_cbranch_execz .LBB126_301
; %bb.300:
	ds_read2_b64 v[142:145], v136 offset0:18 offset1:19
	ds_read2_b64 v[146:149], v136 offset0:20 offset1:21
	v_mul_f64 v[94:95], v[132:133], v[94:95]
	ds_read2_b64 v[150:153], v136 offset0:22 offset1:23
	s_waitcnt lgkmcnt(0)
	v_fma_f64 v[92:93], -v[94:95], v[142:143], v[92:93]
	v_fma_f64 v[90:91], -v[94:95], v[144:145], v[90:91]
	ds_read2_b64 v[142:145], v136 offset0:24 offset1:25
	v_fma_f64 v[88:89], -v[94:95], v[146:147], v[88:89]
	v_fma_f64 v[86:87], -v[94:95], v[148:149], v[86:87]
	ds_read2_b64 v[146:149], v136 offset0:26 offset1:27
	;; [unrolled: 3-line block ×3, first 2 shown]
	s_waitcnt lgkmcnt(0)
	v_fma_f64 v[80:81], -v[94:95], v[142:143], v[80:81]
	v_fma_f64 v[78:79], -v[94:95], v[144:145], v[78:79]
	;; [unrolled: 1-line block ×3, first 2 shown]
	ds_read2_b64 v[142:145], v136 offset0:30 offset1:31
	v_fma_f64 v[74:75], -v[94:95], v[148:149], v[74:75]
	ds_read2_b64 v[146:149], v136 offset0:32 offset1:33
	v_fma_f64 v[72:73], -v[94:95], v[150:151], v[72:73]
	v_fma_f64 v[70:71], -v[94:95], v[152:153], v[70:71]
	s_waitcnt lgkmcnt(0)
	v_fma_f64 v[68:69], -v[94:95], v[142:143], v[68:69]
	ds_read2_b64 v[150:153], v136 offset0:34 offset1:35
	v_fma_f64 v[66:67], -v[94:95], v[144:145], v[66:67]
	ds_read2_b64 v[142:145], v136 offset0:36 offset1:37
	v_fma_f64 v[64:65], -v[94:95], v[146:147], v[64:65]
	v_fma_f64 v[62:63], -v[94:95], v[148:149], v[62:63]
	ds_read2_b64 v[146:149], v136 offset0:38 offset1:39
	s_waitcnt lgkmcnt(0)
	v_fma_f64 v[60:61], -v[94:95], v[150:151], v[60:61]
	v_fma_f64 v[58:59], -v[94:95], v[152:153], v[58:59]
	ds_read2_b64 v[150:153], v136 offset0:40 offset1:41
	v_fma_f64 v[56:57], -v[94:95], v[142:143], v[56:57]
	v_fma_f64 v[54:55], -v[94:95], v[144:145], v[54:55]
	;; [unrolled: 1-line block ×3, first 2 shown]
	ds_read2_b64 v[142:145], v136 offset0:42 offset1:43
	v_fma_f64 v[50:51], -v[94:95], v[148:149], v[50:51]
	ds_read2_b64 v[146:149], v136 offset0:44 offset1:45
	s_waitcnt lgkmcnt(0)
	v_fma_f64 v[48:49], -v[94:95], v[150:151], v[48:49]
	v_fma_f64 v[46:47], -v[94:95], v[152:153], v[46:47]
	;; [unrolled: 1-line block ×3, first 2 shown]
	ds_read2_b64 v[150:153], v136 offset0:46 offset1:47
	v_fma_f64 v[42:43], -v[94:95], v[144:145], v[42:43]
	ds_read2_b64 v[142:145], v136 offset0:48 offset1:49
	v_fma_f64 v[40:41], -v[94:95], v[146:147], v[40:41]
	v_fma_f64 v[38:39], -v[94:95], v[148:149], v[38:39]
	ds_read2_b64 v[146:149], v136 offset0:50 offset1:51
	s_waitcnt lgkmcnt(0)
	v_fma_f64 v[36:37], -v[94:95], v[150:151], v[36:37]
	v_fma_f64 v[34:35], -v[94:95], v[152:153], v[34:35]
	ds_read2_b64 v[150:153], v136 offset0:52 offset1:53
	v_fma_f64 v[32:33], -v[94:95], v[142:143], v[32:33]
	v_fma_f64 v[30:31], -v[94:95], v[144:145], v[30:31]
	;; [unrolled: 1-line block ×3, first 2 shown]
	ds_read2_b64 v[142:145], v136 offset0:54 offset1:55
	v_fma_f64 v[26:27], -v[94:95], v[148:149], v[26:27]
	ds_read2_b64 v[146:149], v136 offset0:56 offset1:57
	s_waitcnt lgkmcnt(0)
	v_fma_f64 v[24:25], -v[94:95], v[150:151], v[24:25]
	v_fma_f64 v[22:23], -v[94:95], v[152:153], v[22:23]
	;; [unrolled: 1-line block ×4, first 2 shown]
	ds_read2_b64 v[142:145], v136 offset0:58 offset1:59
	ds_read2_b64 v[150:153], v136 offset0:60 offset1:61
	v_fma_f64 v[16:17], -v[94:95], v[146:147], v[16:17]
	v_fma_f64 v[14:15], -v[94:95], v[148:149], v[14:15]
	ds_read2_b64 v[146:149], v136 offset0:62 offset1:63
	s_waitcnt lgkmcnt(0)
	v_fma_f64 v[12:13], -v[94:95], v[142:143], v[12:13]
	v_fma_f64 v[10:11], -v[94:95], v[144:145], v[10:11]
	;; [unrolled: 1-line block ×6, first 2 shown]
.LBB126_301:
	s_or_b64 exec, exec, s[0:1]
	v_lshl_add_u32 v132, v137, 3, v136
	s_barrier
	ds_write_b64 v132, v[92:93]
	s_waitcnt lgkmcnt(0)
	s_barrier
	ds_read_b64 v[132:133], v136 offset:144
	s_cmp_lt_i32 s18, 20
	v_mov_b32_e32 v134, 18
	s_cbranch_scc1 .LBB126_304
; %bb.302:
	v_add_u32_e32 v141, 0x98, v136
	s_mov_b32 s0, 19
	v_mov_b32_e32 v134, 18
.LBB126_303:                            ; =>This Inner Loop Header: Depth=1
	ds_read_b64 v[142:143], v141
	v_mov_b32_e32 v144, s0
	s_add_i32 s0, s0, 1
	v_add_u32_e32 v141, 8, v141
	s_cmp_lg_u32 s18, s0
	s_waitcnt lgkmcnt(0)
	v_cmp_lt_f64_e64 vcc, |v[132:133]|, |v[142:143]|
	v_cndmask_b32_e32 v133, v133, v143, vcc
	v_cndmask_b32_e32 v132, v132, v142, vcc
	;; [unrolled: 1-line block ×3, first 2 shown]
	s_cbranch_scc1 .LBB126_303
.LBB126_304:
	s_waitcnt lgkmcnt(0)
	v_cmp_eq_f64_e32 vcc, 0, v[132:133]
	s_and_saveexec_b64 s[0:1], vcc
	s_xor_b64 s[0:1], exec, s[0:1]
; %bb.305:
	v_cmp_ne_u32_e32 vcc, 0, v140
	v_cndmask_b32_e32 v140, 19, v140, vcc
; %bb.306:
	s_andn2_saveexec_b64 s[0:1], s[0:1]
; %bb.307:
	v_div_scale_f64 v[142:143], s[2:3], v[132:133], v[132:133], 1.0
	v_rcp_f64_e32 v[144:145], v[142:143]
	v_div_scale_f64 v[146:147], vcc, 1.0, v[132:133], 1.0
	v_fma_f64 v[148:149], -v[142:143], v[144:145], 1.0
	v_fmac_f64_e32 v[144:145], v[144:145], v[148:149]
	v_fma_f64 v[148:149], -v[142:143], v[144:145], 1.0
	v_fmac_f64_e32 v[144:145], v[144:145], v[148:149]
	v_mul_f64 v[148:149], v[146:147], v[144:145]
	v_fma_f64 v[142:143], -v[142:143], v[148:149], v[146:147]
	v_div_fmas_f64 v[142:143], v[142:143], v[144:145], v[148:149]
	v_div_fixup_f64 v[132:133], v[142:143], v[132:133], 1.0
; %bb.308:
	s_or_b64 exec, exec, s[0:1]
	v_cmp_ne_u32_e32 vcc, v137, v134
	s_and_saveexec_b64 s[0:1], vcc
	s_xor_b64 s[0:1], exec, s[0:1]
	s_cbranch_execz .LBB126_314
; %bb.309:
	v_cmp_eq_u32_e32 vcc, 18, v137
	s_and_saveexec_b64 s[2:3], vcc
	s_cbranch_execz .LBB126_313
; %bb.310:
	v_cmp_ne_u32_e32 vcc, 18, v134
	s_xor_b64 s[14:15], s[6:7], -1
	s_and_b64 s[16:17], s[14:15], vcc
	s_and_saveexec_b64 s[14:15], s[16:17]
	s_cbranch_execz .LBB126_312
; %bb.311:
	v_ashrrev_i32_e32 v135, 31, v134
	v_lshlrev_b64 v[142:143], 2, v[134:135]
	v_add_co_u32_e32 v142, vcc, v4, v142
	v_addc_co_u32_e32 v143, vcc, v5, v143, vcc
	flat_load_dword v135, v[142:143]
	flat_load_dword v137, v[4:5] offset:72
	s_waitcnt vmcnt(0) lgkmcnt(0)
	flat_store_dword v[4:5], v135 offset:72
	flat_store_dword v[142:143], v137
.LBB126_312:
	s_or_b64 exec, exec, s[14:15]
	v_mov_b32_e32 v135, v134
	v_mov_b32_e32 v137, v134
.LBB126_313:
	s_or_b64 exec, exec, s[2:3]
.LBB126_314:
	s_andn2_saveexec_b64 s[0:1], s[0:1]
	s_cbranch_execz .LBB126_316
; %bb.315:
	v_mov_b32_e32 v137, 18
	ds_write2_b64 v136, v[90:91], v[88:89] offset0:19 offset1:20
	ds_write2_b64 v136, v[86:87], v[84:85] offset0:21 offset1:22
	;; [unrolled: 1-line block ×22, first 2 shown]
	ds_write_b64 v136, v[130:131] offset:504
.LBB126_316:
	s_or_b64 exec, exec, s[0:1]
	v_cmp_lt_i32_e32 vcc, 18, v137
	s_waitcnt lgkmcnt(0)
	s_barrier
	s_and_saveexec_b64 s[0:1], vcc
	s_cbranch_execz .LBB126_318
; %bb.317:
	ds_read2_b64 v[142:145], v136 offset0:19 offset1:20
	ds_read2_b64 v[146:149], v136 offset0:21 offset1:22
	v_mul_f64 v[92:93], v[132:133], v[92:93]
	ds_read2_b64 v[150:153], v136 offset0:23 offset1:24
	ds_read_b64 v[132:133], v136 offset:504
	s_waitcnt lgkmcnt(0)
	v_fma_f64 v[90:91], -v[92:93], v[142:143], v[90:91]
	v_fma_f64 v[88:89], -v[92:93], v[144:145], v[88:89]
	ds_read2_b64 v[142:145], v136 offset0:25 offset1:26
	v_fma_f64 v[86:87], -v[92:93], v[146:147], v[86:87]
	v_fma_f64 v[84:85], -v[92:93], v[148:149], v[84:85]
	;; [unrolled: 1-line block ×3, first 2 shown]
	ds_read2_b64 v[146:149], v136 offset0:27 offset1:28
	v_fma_f64 v[80:81], -v[92:93], v[152:153], v[80:81]
	ds_read2_b64 v[150:153], v136 offset0:29 offset1:30
	s_waitcnt lgkmcnt(0)
	v_fma_f64 v[78:79], -v[92:93], v[142:143], v[78:79]
	v_fma_f64 v[76:77], -v[92:93], v[144:145], v[76:77]
	ds_read2_b64 v[142:145], v136 offset0:31 offset1:32
	v_fma_f64 v[74:75], -v[92:93], v[146:147], v[74:75]
	v_fma_f64 v[72:73], -v[92:93], v[148:149], v[72:73]
	ds_read2_b64 v[146:149], v136 offset0:33 offset1:34
	v_fma_f64 v[70:71], -v[92:93], v[150:151], v[70:71]
	v_fma_f64 v[68:69], -v[92:93], v[152:153], v[68:69]
	s_waitcnt lgkmcnt(0)
	v_fma_f64 v[66:67], -v[92:93], v[142:143], v[66:67]
	ds_read2_b64 v[150:153], v136 offset0:35 offset1:36
	v_fma_f64 v[64:65], -v[92:93], v[144:145], v[64:65]
	ds_read2_b64 v[142:145], v136 offset0:37 offset1:38
	v_fma_f64 v[62:63], -v[92:93], v[146:147], v[62:63]
	v_fma_f64 v[60:61], -v[92:93], v[148:149], v[60:61]
	s_waitcnt lgkmcnt(0)
	v_fma_f64 v[58:59], -v[92:93], v[150:151], v[58:59]
	ds_read2_b64 v[146:149], v136 offset0:39 offset1:40
	v_fma_f64 v[56:57], -v[92:93], v[152:153], v[56:57]
	ds_read2_b64 v[150:153], v136 offset0:41 offset1:42
	v_fma_f64 v[54:55], -v[92:93], v[142:143], v[54:55]
	v_fma_f64 v[52:53], -v[92:93], v[144:145], v[52:53]
	ds_read2_b64 v[142:145], v136 offset0:43 offset1:44
	s_waitcnt lgkmcnt(0)
	v_fma_f64 v[50:51], -v[92:93], v[146:147], v[50:51]
	v_fma_f64 v[48:49], -v[92:93], v[148:149], v[48:49]
	ds_read2_b64 v[146:149], v136 offset0:45 offset1:46
	v_fma_f64 v[46:47], -v[92:93], v[150:151], v[46:47]
	v_fma_f64 v[44:45], -v[92:93], v[152:153], v[44:45]
	;; [unrolled: 1-line block ×3, first 2 shown]
	ds_read2_b64 v[150:153], v136 offset0:47 offset1:48
	v_fma_f64 v[40:41], -v[92:93], v[144:145], v[40:41]
	ds_read2_b64 v[142:145], v136 offset0:49 offset1:50
	s_waitcnt lgkmcnt(0)
	v_fma_f64 v[38:39], -v[92:93], v[146:147], v[38:39]
	v_fma_f64 v[36:37], -v[92:93], v[148:149], v[36:37]
	;; [unrolled: 1-line block ×3, first 2 shown]
	ds_read2_b64 v[146:149], v136 offset0:51 offset1:52
	v_fma_f64 v[32:33], -v[92:93], v[152:153], v[32:33]
	ds_read2_b64 v[150:153], v136 offset0:53 offset1:54
	v_fma_f64 v[30:31], -v[92:93], v[142:143], v[30:31]
	v_fma_f64 v[28:29], -v[92:93], v[144:145], v[28:29]
	ds_read2_b64 v[142:145], v136 offset0:55 offset1:56
	s_waitcnt lgkmcnt(0)
	v_fma_f64 v[26:27], -v[92:93], v[146:147], v[26:27]
	v_fma_f64 v[24:25], -v[92:93], v[148:149], v[24:25]
	ds_read2_b64 v[146:149], v136 offset0:57 offset1:58
	v_fma_f64 v[22:23], -v[92:93], v[150:151], v[22:23]
	v_fma_f64 v[20:21], -v[92:93], v[152:153], v[20:21]
	;; [unrolled: 1-line block ×4, first 2 shown]
	ds_read2_b64 v[142:145], v136 offset0:59 offset1:60
	ds_read2_b64 v[150:153], v136 offset0:61 offset1:62
	s_waitcnt lgkmcnt(0)
	v_fma_f64 v[14:15], -v[92:93], v[146:147], v[14:15]
	v_fma_f64 v[12:13], -v[92:93], v[148:149], v[12:13]
	v_fma_f64 v[130:131], -v[92:93], v[132:133], v[130:131]
	v_fma_f64 v[10:11], -v[92:93], v[142:143], v[10:11]
	v_fma_f64 v[8:9], -v[92:93], v[144:145], v[8:9]
	v_fma_f64 v[6:7], -v[92:93], v[150:151], v[6:7]
	v_fma_f64 v[0:1], -v[92:93], v[152:153], v[0:1]
.LBB126_318:
	s_or_b64 exec, exec, s[0:1]
	v_lshl_add_u32 v132, v137, 3, v136
	s_barrier
	ds_write_b64 v132, v[90:91]
	s_waitcnt lgkmcnt(0)
	s_barrier
	ds_read_b64 v[132:133], v136 offset:152
	s_cmp_lt_i32 s18, 21
	v_mov_b32_e32 v134, 19
	s_cbranch_scc1 .LBB126_321
; %bb.319:
	v_add_u32_e32 v141, 0xa0, v136
	s_mov_b32 s0, 20
	v_mov_b32_e32 v134, 19
.LBB126_320:                            ; =>This Inner Loop Header: Depth=1
	ds_read_b64 v[142:143], v141
	v_mov_b32_e32 v144, s0
	s_add_i32 s0, s0, 1
	v_add_u32_e32 v141, 8, v141
	s_cmp_lg_u32 s18, s0
	s_waitcnt lgkmcnt(0)
	v_cmp_lt_f64_e64 vcc, |v[132:133]|, |v[142:143]|
	v_cndmask_b32_e32 v133, v133, v143, vcc
	v_cndmask_b32_e32 v132, v132, v142, vcc
	;; [unrolled: 1-line block ×3, first 2 shown]
	s_cbranch_scc1 .LBB126_320
.LBB126_321:
	s_waitcnt lgkmcnt(0)
	v_cmp_eq_f64_e32 vcc, 0, v[132:133]
	s_and_saveexec_b64 s[0:1], vcc
	s_xor_b64 s[0:1], exec, s[0:1]
; %bb.322:
	v_cmp_ne_u32_e32 vcc, 0, v140
	v_cndmask_b32_e32 v140, 20, v140, vcc
; %bb.323:
	s_andn2_saveexec_b64 s[0:1], s[0:1]
; %bb.324:
	v_div_scale_f64 v[142:143], s[2:3], v[132:133], v[132:133], 1.0
	v_rcp_f64_e32 v[144:145], v[142:143]
	v_div_scale_f64 v[146:147], vcc, 1.0, v[132:133], 1.0
	v_fma_f64 v[148:149], -v[142:143], v[144:145], 1.0
	v_fmac_f64_e32 v[144:145], v[144:145], v[148:149]
	v_fma_f64 v[148:149], -v[142:143], v[144:145], 1.0
	v_fmac_f64_e32 v[144:145], v[144:145], v[148:149]
	v_mul_f64 v[148:149], v[146:147], v[144:145]
	v_fma_f64 v[142:143], -v[142:143], v[148:149], v[146:147]
	v_div_fmas_f64 v[142:143], v[142:143], v[144:145], v[148:149]
	v_div_fixup_f64 v[132:133], v[142:143], v[132:133], 1.0
; %bb.325:
	s_or_b64 exec, exec, s[0:1]
	v_cmp_ne_u32_e32 vcc, v137, v134
	s_and_saveexec_b64 s[0:1], vcc
	s_xor_b64 s[0:1], exec, s[0:1]
	s_cbranch_execz .LBB126_331
; %bb.326:
	v_cmp_eq_u32_e32 vcc, 19, v137
	s_and_saveexec_b64 s[2:3], vcc
	s_cbranch_execz .LBB126_330
; %bb.327:
	v_cmp_ne_u32_e32 vcc, 19, v134
	s_xor_b64 s[14:15], s[6:7], -1
	s_and_b64 s[16:17], s[14:15], vcc
	s_and_saveexec_b64 s[14:15], s[16:17]
	s_cbranch_execz .LBB126_329
; %bb.328:
	v_ashrrev_i32_e32 v135, 31, v134
	v_lshlrev_b64 v[142:143], 2, v[134:135]
	v_add_co_u32_e32 v142, vcc, v4, v142
	v_addc_co_u32_e32 v143, vcc, v5, v143, vcc
	flat_load_dword v135, v[142:143]
	flat_load_dword v137, v[4:5] offset:76
	s_waitcnt vmcnt(0) lgkmcnt(0)
	flat_store_dword v[4:5], v135 offset:76
	flat_store_dword v[142:143], v137
.LBB126_329:
	s_or_b64 exec, exec, s[14:15]
	v_mov_b32_e32 v135, v134
	v_mov_b32_e32 v137, v134
.LBB126_330:
	s_or_b64 exec, exec, s[2:3]
.LBB126_331:
	s_andn2_saveexec_b64 s[0:1], s[0:1]
	s_cbranch_execz .LBB126_333
; %bb.332:
	v_mov_b32_e32 v142, v88
	v_mov_b32_e32 v143, v89
	v_mov_b32_e32 v144, v86
	v_mov_b32_e32 v145, v87
	ds_write2_b64 v136, v[142:143], v[144:145] offset0:20 offset1:21
	v_mov_b32_e32 v142, v84
	v_mov_b32_e32 v143, v85
	v_mov_b32_e32 v144, v82
	v_mov_b32_e32 v145, v83
	ds_write2_b64 v136, v[142:143], v[144:145] offset0:22 offset1:23
	;; [unrolled: 5-line block ×21, first 2 shown]
	v_mov_b32_e32 v142, v0
	v_mov_b32_e32 v143, v1
	;; [unrolled: 1-line block ×3, first 2 shown]
	ds_write2_b64 v136, v[142:143], v[130:131] offset0:62 offset1:63
.LBB126_333:
	s_or_b64 exec, exec, s[0:1]
	v_cmp_lt_i32_e32 vcc, 19, v137
	s_waitcnt lgkmcnt(0)
	s_barrier
	s_and_saveexec_b64 s[0:1], vcc
	s_cbranch_execz .LBB126_335
; %bb.334:
	ds_read2_b64 v[142:145], v136 offset0:20 offset1:21
	ds_read2_b64 v[146:149], v136 offset0:22 offset1:23
	v_mul_f64 v[90:91], v[132:133], v[90:91]
	ds_read2_b64 v[150:153], v136 offset0:24 offset1:25
	s_waitcnt lgkmcnt(0)
	v_fma_f64 v[88:89], -v[90:91], v[142:143], v[88:89]
	v_fma_f64 v[86:87], -v[90:91], v[144:145], v[86:87]
	ds_read2_b64 v[142:145], v136 offset0:26 offset1:27
	v_fma_f64 v[84:85], -v[90:91], v[146:147], v[84:85]
	v_fma_f64 v[82:83], -v[90:91], v[148:149], v[82:83]
	;; [unrolled: 1-line block ×3, first 2 shown]
	ds_read2_b64 v[146:149], v136 offset0:28 offset1:29
	v_fma_f64 v[78:79], -v[90:91], v[152:153], v[78:79]
	ds_read2_b64 v[150:153], v136 offset0:30 offset1:31
	s_waitcnt lgkmcnt(0)
	v_fma_f64 v[76:77], -v[90:91], v[142:143], v[76:77]
	v_fma_f64 v[74:75], -v[90:91], v[144:145], v[74:75]
	ds_read2_b64 v[142:145], v136 offset0:32 offset1:33
	v_fma_f64 v[72:73], -v[90:91], v[146:147], v[72:73]
	v_fma_f64 v[70:71], -v[90:91], v[148:149], v[70:71]
	ds_read2_b64 v[146:149], v136 offset0:34 offset1:35
	v_fma_f64 v[68:69], -v[90:91], v[150:151], v[68:69]
	v_fma_f64 v[66:67], -v[90:91], v[152:153], v[66:67]
	s_waitcnt lgkmcnt(0)
	v_fma_f64 v[64:65], -v[90:91], v[142:143], v[64:65]
	ds_read2_b64 v[150:153], v136 offset0:36 offset1:37
	v_fma_f64 v[62:63], -v[90:91], v[144:145], v[62:63]
	ds_read2_b64 v[142:145], v136 offset0:38 offset1:39
	v_fma_f64 v[60:61], -v[90:91], v[146:147], v[60:61]
	v_fma_f64 v[58:59], -v[90:91], v[148:149], v[58:59]
	s_waitcnt lgkmcnt(0)
	v_fma_f64 v[56:57], -v[90:91], v[150:151], v[56:57]
	ds_read2_b64 v[146:149], v136 offset0:40 offset1:41
	v_fma_f64 v[54:55], -v[90:91], v[152:153], v[54:55]
	ds_read2_b64 v[150:153], v136 offset0:42 offset1:43
	v_fma_f64 v[52:53], -v[90:91], v[142:143], v[52:53]
	v_fma_f64 v[50:51], -v[90:91], v[144:145], v[50:51]
	ds_read2_b64 v[142:145], v136 offset0:44 offset1:45
	s_waitcnt lgkmcnt(0)
	v_fma_f64 v[48:49], -v[90:91], v[146:147], v[48:49]
	v_fma_f64 v[46:47], -v[90:91], v[148:149], v[46:47]
	ds_read2_b64 v[146:149], v136 offset0:46 offset1:47
	v_fma_f64 v[44:45], -v[90:91], v[150:151], v[44:45]
	v_fma_f64 v[42:43], -v[90:91], v[152:153], v[42:43]
	;; [unrolled: 1-line block ×3, first 2 shown]
	ds_read2_b64 v[150:153], v136 offset0:48 offset1:49
	v_fma_f64 v[38:39], -v[90:91], v[144:145], v[38:39]
	ds_read2_b64 v[142:145], v136 offset0:50 offset1:51
	s_waitcnt lgkmcnt(0)
	v_fma_f64 v[36:37], -v[90:91], v[146:147], v[36:37]
	v_fma_f64 v[34:35], -v[90:91], v[148:149], v[34:35]
	v_fma_f64 v[32:33], -v[90:91], v[150:151], v[32:33]
	ds_read2_b64 v[146:149], v136 offset0:52 offset1:53
	v_fma_f64 v[30:31], -v[90:91], v[152:153], v[30:31]
	ds_read2_b64 v[150:153], v136 offset0:54 offset1:55
	v_fma_f64 v[28:29], -v[90:91], v[142:143], v[28:29]
	v_fma_f64 v[26:27], -v[90:91], v[144:145], v[26:27]
	ds_read2_b64 v[142:145], v136 offset0:56 offset1:57
	s_waitcnt lgkmcnt(0)
	v_fma_f64 v[24:25], -v[90:91], v[146:147], v[24:25]
	v_fma_f64 v[22:23], -v[90:91], v[148:149], v[22:23]
	ds_read2_b64 v[146:149], v136 offset0:58 offset1:59
	v_fma_f64 v[20:21], -v[90:91], v[150:151], v[20:21]
	v_fma_f64 v[18:19], -v[90:91], v[152:153], v[18:19]
	;; [unrolled: 1-line block ×3, first 2 shown]
	ds_read2_b64 v[150:153], v136 offset0:60 offset1:61
	v_fma_f64 v[14:15], -v[90:91], v[144:145], v[14:15]
	ds_read2_b64 v[142:145], v136 offset0:62 offset1:63
	s_waitcnt lgkmcnt(0)
	v_fma_f64 v[12:13], -v[90:91], v[146:147], v[12:13]
	v_fma_f64 v[10:11], -v[90:91], v[148:149], v[10:11]
	v_fma_f64 v[8:9], -v[90:91], v[150:151], v[8:9]
	v_fma_f64 v[6:7], -v[90:91], v[152:153], v[6:7]
	v_fma_f64 v[0:1], -v[90:91], v[142:143], v[0:1]
	v_fma_f64 v[130:131], -v[90:91], v[144:145], v[130:131]
.LBB126_335:
	s_or_b64 exec, exec, s[0:1]
	v_lshl_add_u32 v132, v137, 3, v136
	s_barrier
	ds_write_b64 v132, v[88:89]
	s_waitcnt lgkmcnt(0)
	s_barrier
	ds_read_b64 v[132:133], v136 offset:160
	s_cmp_lt_i32 s18, 22
	v_mov_b32_e32 v134, 20
	s_cbranch_scc1 .LBB126_338
; %bb.336:
	v_add_u32_e32 v141, 0xa8, v136
	s_mov_b32 s0, 21
	v_mov_b32_e32 v134, 20
.LBB126_337:                            ; =>This Inner Loop Header: Depth=1
	ds_read_b64 v[142:143], v141
	v_mov_b32_e32 v144, s0
	s_add_i32 s0, s0, 1
	v_add_u32_e32 v141, 8, v141
	s_cmp_lg_u32 s18, s0
	s_waitcnt lgkmcnt(0)
	v_cmp_lt_f64_e64 vcc, |v[132:133]|, |v[142:143]|
	v_cndmask_b32_e32 v133, v133, v143, vcc
	v_cndmask_b32_e32 v132, v132, v142, vcc
	;; [unrolled: 1-line block ×3, first 2 shown]
	s_cbranch_scc1 .LBB126_337
.LBB126_338:
	s_waitcnt lgkmcnt(0)
	v_cmp_eq_f64_e32 vcc, 0, v[132:133]
	s_and_saveexec_b64 s[0:1], vcc
	s_xor_b64 s[0:1], exec, s[0:1]
; %bb.339:
	v_cmp_ne_u32_e32 vcc, 0, v140
	v_cndmask_b32_e32 v140, 21, v140, vcc
; %bb.340:
	s_andn2_saveexec_b64 s[0:1], s[0:1]
; %bb.341:
	v_div_scale_f64 v[142:143], s[2:3], v[132:133], v[132:133], 1.0
	v_rcp_f64_e32 v[144:145], v[142:143]
	v_div_scale_f64 v[146:147], vcc, 1.0, v[132:133], 1.0
	v_fma_f64 v[148:149], -v[142:143], v[144:145], 1.0
	v_fmac_f64_e32 v[144:145], v[144:145], v[148:149]
	v_fma_f64 v[148:149], -v[142:143], v[144:145], 1.0
	v_fmac_f64_e32 v[144:145], v[144:145], v[148:149]
	v_mul_f64 v[148:149], v[146:147], v[144:145]
	v_fma_f64 v[142:143], -v[142:143], v[148:149], v[146:147]
	v_div_fmas_f64 v[142:143], v[142:143], v[144:145], v[148:149]
	v_div_fixup_f64 v[132:133], v[142:143], v[132:133], 1.0
; %bb.342:
	s_or_b64 exec, exec, s[0:1]
	v_cmp_ne_u32_e32 vcc, v137, v134
	s_and_saveexec_b64 s[0:1], vcc
	s_xor_b64 s[0:1], exec, s[0:1]
	s_cbranch_execz .LBB126_348
; %bb.343:
	v_cmp_eq_u32_e32 vcc, 20, v137
	s_and_saveexec_b64 s[2:3], vcc
	s_cbranch_execz .LBB126_347
; %bb.344:
	v_cmp_ne_u32_e32 vcc, 20, v134
	s_xor_b64 s[14:15], s[6:7], -1
	s_and_b64 s[16:17], s[14:15], vcc
	s_and_saveexec_b64 s[14:15], s[16:17]
	s_cbranch_execz .LBB126_346
; %bb.345:
	v_ashrrev_i32_e32 v135, 31, v134
	v_lshlrev_b64 v[142:143], 2, v[134:135]
	v_add_co_u32_e32 v142, vcc, v4, v142
	v_addc_co_u32_e32 v143, vcc, v5, v143, vcc
	flat_load_dword v135, v[142:143]
	flat_load_dword v137, v[4:5] offset:80
	s_waitcnt vmcnt(0) lgkmcnt(0)
	flat_store_dword v[4:5], v135 offset:80
	flat_store_dword v[142:143], v137
.LBB126_346:
	s_or_b64 exec, exec, s[14:15]
	v_mov_b32_e32 v135, v134
	v_mov_b32_e32 v137, v134
.LBB126_347:
	s_or_b64 exec, exec, s[2:3]
.LBB126_348:
	s_andn2_saveexec_b64 s[0:1], s[0:1]
	s_cbranch_execz .LBB126_350
; %bb.349:
	v_mov_b32_e32 v137, 20
	ds_write2_b64 v136, v[86:87], v[84:85] offset0:21 offset1:22
	ds_write2_b64 v136, v[82:83], v[80:81] offset0:23 offset1:24
	;; [unrolled: 1-line block ×21, first 2 shown]
	ds_write_b64 v136, v[130:131] offset:504
.LBB126_350:
	s_or_b64 exec, exec, s[0:1]
	v_cmp_lt_i32_e32 vcc, 20, v137
	s_waitcnt lgkmcnt(0)
	s_barrier
	s_and_saveexec_b64 s[0:1], vcc
	s_cbranch_execz .LBB126_352
; %bb.351:
	ds_read2_b64 v[142:145], v136 offset0:21 offset1:22
	ds_read2_b64 v[146:149], v136 offset0:23 offset1:24
	;; [unrolled: 1-line block ×3, first 2 shown]
	v_mul_f64 v[88:89], v[132:133], v[88:89]
	ds_read_b64 v[132:133], v136 offset:504
	s_waitcnt lgkmcnt(0)
	v_fma_f64 v[86:87], -v[88:89], v[142:143], v[86:87]
	v_fma_f64 v[84:85], -v[88:89], v[144:145], v[84:85]
	ds_read2_b64 v[142:145], v136 offset0:27 offset1:28
	v_fma_f64 v[82:83], -v[88:89], v[146:147], v[82:83]
	v_fma_f64 v[80:81], -v[88:89], v[148:149], v[80:81]
	v_fma_f64 v[78:79], -v[88:89], v[150:151], v[78:79]
	ds_read2_b64 v[146:149], v136 offset0:29 offset1:30
	v_fma_f64 v[76:77], -v[88:89], v[152:153], v[76:77]
	ds_read2_b64 v[150:153], v136 offset0:31 offset1:32
	s_waitcnt lgkmcnt(0)
	v_fma_f64 v[74:75], -v[88:89], v[142:143], v[74:75]
	v_fma_f64 v[72:73], -v[88:89], v[144:145], v[72:73]
	v_fma_f64 v[70:71], -v[88:89], v[146:147], v[70:71]
	ds_read2_b64 v[142:145], v136 offset0:33 offset1:34
	v_fma_f64 v[68:69], -v[88:89], v[148:149], v[68:69]
	ds_read2_b64 v[146:149], v136 offset0:35 offset1:36
	v_fma_f64 v[66:67], -v[88:89], v[150:151], v[66:67]
	v_fma_f64 v[64:65], -v[88:89], v[152:153], v[64:65]
	ds_read2_b64 v[150:153], v136 offset0:37 offset1:38
	s_waitcnt lgkmcnt(0)
	v_fma_f64 v[62:63], -v[88:89], v[142:143], v[62:63]
	v_fma_f64 v[60:61], -v[88:89], v[144:145], v[60:61]
	ds_read2_b64 v[142:145], v136 offset0:39 offset1:40
	v_fma_f64 v[58:59], -v[88:89], v[146:147], v[58:59]
	v_fma_f64 v[56:57], -v[88:89], v[148:149], v[56:57]
	v_fma_f64 v[54:55], -v[88:89], v[150:151], v[54:55]
	ds_read2_b64 v[146:149], v136 offset0:41 offset1:42
	v_fma_f64 v[52:53], -v[88:89], v[152:153], v[52:53]
	ds_read2_b64 v[150:153], v136 offset0:43 offset1:44
	s_waitcnt lgkmcnt(0)
	v_fma_f64 v[50:51], -v[88:89], v[142:143], v[50:51]
	v_fma_f64 v[48:49], -v[88:89], v[144:145], v[48:49]
	v_fma_f64 v[46:47], -v[88:89], v[146:147], v[46:47]
	ds_read2_b64 v[142:145], v136 offset0:45 offset1:46
	v_fma_f64 v[44:45], -v[88:89], v[148:149], v[44:45]
	ds_read2_b64 v[146:149], v136 offset0:47 offset1:48
	v_fma_f64 v[42:43], -v[88:89], v[150:151], v[42:43]
	v_fma_f64 v[40:41], -v[88:89], v[152:153], v[40:41]
	ds_read2_b64 v[150:153], v136 offset0:49 offset1:50
	;; [unrolled: 20-line block ×3, first 2 shown]
	s_waitcnt lgkmcnt(0)
	v_fma_f64 v[14:15], -v[88:89], v[142:143], v[14:15]
	v_fma_f64 v[12:13], -v[88:89], v[144:145], v[12:13]
	;; [unrolled: 1-line block ×7, first 2 shown]
.LBB126_352:
	s_or_b64 exec, exec, s[0:1]
	v_lshl_add_u32 v132, v137, 3, v136
	s_barrier
	ds_write_b64 v132, v[86:87]
	s_waitcnt lgkmcnt(0)
	s_barrier
	ds_read_b64 v[132:133], v136 offset:168
	s_cmp_lt_i32 s18, 23
	v_mov_b32_e32 v134, 21
	s_cbranch_scc1 .LBB126_355
; %bb.353:
	v_add_u32_e32 v141, 0xb0, v136
	s_mov_b32 s0, 22
	v_mov_b32_e32 v134, 21
.LBB126_354:                            ; =>This Inner Loop Header: Depth=1
	ds_read_b64 v[142:143], v141
	v_mov_b32_e32 v144, s0
	s_add_i32 s0, s0, 1
	v_add_u32_e32 v141, 8, v141
	s_cmp_lg_u32 s18, s0
	s_waitcnt lgkmcnt(0)
	v_cmp_lt_f64_e64 vcc, |v[132:133]|, |v[142:143]|
	v_cndmask_b32_e32 v133, v133, v143, vcc
	v_cndmask_b32_e32 v132, v132, v142, vcc
	;; [unrolled: 1-line block ×3, first 2 shown]
	s_cbranch_scc1 .LBB126_354
.LBB126_355:
	s_waitcnt lgkmcnt(0)
	v_cmp_eq_f64_e32 vcc, 0, v[132:133]
	s_and_saveexec_b64 s[0:1], vcc
	s_xor_b64 s[0:1], exec, s[0:1]
; %bb.356:
	v_cmp_ne_u32_e32 vcc, 0, v140
	v_cndmask_b32_e32 v140, 22, v140, vcc
; %bb.357:
	s_andn2_saveexec_b64 s[0:1], s[0:1]
; %bb.358:
	v_div_scale_f64 v[142:143], s[2:3], v[132:133], v[132:133], 1.0
	v_rcp_f64_e32 v[144:145], v[142:143]
	v_div_scale_f64 v[146:147], vcc, 1.0, v[132:133], 1.0
	v_fma_f64 v[148:149], -v[142:143], v[144:145], 1.0
	v_fmac_f64_e32 v[144:145], v[144:145], v[148:149]
	v_fma_f64 v[148:149], -v[142:143], v[144:145], 1.0
	v_fmac_f64_e32 v[144:145], v[144:145], v[148:149]
	v_mul_f64 v[148:149], v[146:147], v[144:145]
	v_fma_f64 v[142:143], -v[142:143], v[148:149], v[146:147]
	v_div_fmas_f64 v[142:143], v[142:143], v[144:145], v[148:149]
	v_div_fixup_f64 v[132:133], v[142:143], v[132:133], 1.0
; %bb.359:
	s_or_b64 exec, exec, s[0:1]
	v_cmp_ne_u32_e32 vcc, v137, v134
	s_and_saveexec_b64 s[0:1], vcc
	s_xor_b64 s[0:1], exec, s[0:1]
	s_cbranch_execz .LBB126_365
; %bb.360:
	v_cmp_eq_u32_e32 vcc, 21, v137
	s_and_saveexec_b64 s[2:3], vcc
	s_cbranch_execz .LBB126_364
; %bb.361:
	v_cmp_ne_u32_e32 vcc, 21, v134
	s_xor_b64 s[14:15], s[6:7], -1
	s_and_b64 s[16:17], s[14:15], vcc
	s_and_saveexec_b64 s[14:15], s[16:17]
	s_cbranch_execz .LBB126_363
; %bb.362:
	v_ashrrev_i32_e32 v135, 31, v134
	v_lshlrev_b64 v[142:143], 2, v[134:135]
	v_add_co_u32_e32 v142, vcc, v4, v142
	v_addc_co_u32_e32 v143, vcc, v5, v143, vcc
	flat_load_dword v135, v[142:143]
	flat_load_dword v137, v[4:5] offset:84
	s_waitcnt vmcnt(0) lgkmcnt(0)
	flat_store_dword v[4:5], v135 offset:84
	flat_store_dword v[142:143], v137
.LBB126_363:
	s_or_b64 exec, exec, s[14:15]
	v_mov_b32_e32 v135, v134
	v_mov_b32_e32 v137, v134
.LBB126_364:
	s_or_b64 exec, exec, s[2:3]
.LBB126_365:
	s_andn2_saveexec_b64 s[0:1], s[0:1]
	s_cbranch_execz .LBB126_367
; %bb.366:
	v_mov_b32_e32 v142, v84
	v_mov_b32_e32 v143, v85
	v_mov_b32_e32 v144, v82
	v_mov_b32_e32 v145, v83
	ds_write2_b64 v136, v[142:143], v[144:145] offset0:22 offset1:23
	v_mov_b32_e32 v142, v80
	v_mov_b32_e32 v143, v81
	v_mov_b32_e32 v144, v78
	v_mov_b32_e32 v145, v79
	ds_write2_b64 v136, v[142:143], v[144:145] offset0:24 offset1:25
	;; [unrolled: 5-line block ×20, first 2 shown]
	v_mov_b32_e32 v142, v0
	v_mov_b32_e32 v143, v1
	;; [unrolled: 1-line block ×3, first 2 shown]
	ds_write2_b64 v136, v[142:143], v[130:131] offset0:62 offset1:63
.LBB126_367:
	s_or_b64 exec, exec, s[0:1]
	v_cmp_lt_i32_e32 vcc, 21, v137
	s_waitcnt lgkmcnt(0)
	s_barrier
	s_and_saveexec_b64 s[0:1], vcc
	s_cbranch_execz .LBB126_369
; %bb.368:
	ds_read2_b64 v[142:145], v136 offset0:22 offset1:23
	ds_read2_b64 v[146:149], v136 offset0:24 offset1:25
	;; [unrolled: 1-line block ×3, first 2 shown]
	v_mul_f64 v[86:87], v[132:133], v[86:87]
	s_waitcnt lgkmcnt(0)
	v_fma_f64 v[84:85], -v[86:87], v[142:143], v[84:85]
	v_fma_f64 v[82:83], -v[86:87], v[144:145], v[82:83]
	ds_read2_b64 v[142:145], v136 offset0:28 offset1:29
	v_fma_f64 v[80:81], -v[86:87], v[146:147], v[80:81]
	v_fma_f64 v[78:79], -v[86:87], v[148:149], v[78:79]
	;; [unrolled: 1-line block ×3, first 2 shown]
	ds_read2_b64 v[146:149], v136 offset0:30 offset1:31
	v_fma_f64 v[74:75], -v[86:87], v[152:153], v[74:75]
	ds_read2_b64 v[150:153], v136 offset0:32 offset1:33
	s_waitcnt lgkmcnt(0)
	v_fma_f64 v[72:73], -v[86:87], v[142:143], v[72:73]
	v_fma_f64 v[70:71], -v[86:87], v[144:145], v[70:71]
	;; [unrolled: 1-line block ×3, first 2 shown]
	ds_read2_b64 v[142:145], v136 offset0:34 offset1:35
	v_fma_f64 v[66:67], -v[86:87], v[148:149], v[66:67]
	ds_read2_b64 v[146:149], v136 offset0:36 offset1:37
	v_fma_f64 v[64:65], -v[86:87], v[150:151], v[64:65]
	v_fma_f64 v[62:63], -v[86:87], v[152:153], v[62:63]
	ds_read2_b64 v[150:153], v136 offset0:38 offset1:39
	s_waitcnt lgkmcnt(0)
	v_fma_f64 v[60:61], -v[86:87], v[142:143], v[60:61]
	v_fma_f64 v[58:59], -v[86:87], v[144:145], v[58:59]
	ds_read2_b64 v[142:145], v136 offset0:40 offset1:41
	v_fma_f64 v[56:57], -v[86:87], v[146:147], v[56:57]
	v_fma_f64 v[54:55], -v[86:87], v[148:149], v[54:55]
	;; [unrolled: 1-line block ×3, first 2 shown]
	ds_read2_b64 v[146:149], v136 offset0:42 offset1:43
	v_fma_f64 v[50:51], -v[86:87], v[152:153], v[50:51]
	ds_read2_b64 v[150:153], v136 offset0:44 offset1:45
	s_waitcnt lgkmcnt(0)
	v_fma_f64 v[48:49], -v[86:87], v[142:143], v[48:49]
	v_fma_f64 v[46:47], -v[86:87], v[144:145], v[46:47]
	v_fma_f64 v[44:45], -v[86:87], v[146:147], v[44:45]
	ds_read2_b64 v[142:145], v136 offset0:46 offset1:47
	v_fma_f64 v[42:43], -v[86:87], v[148:149], v[42:43]
	ds_read2_b64 v[146:149], v136 offset0:48 offset1:49
	v_fma_f64 v[40:41], -v[86:87], v[150:151], v[40:41]
	v_fma_f64 v[38:39], -v[86:87], v[152:153], v[38:39]
	ds_read2_b64 v[150:153], v136 offset0:50 offset1:51
	s_waitcnt lgkmcnt(0)
	v_fma_f64 v[36:37], -v[86:87], v[142:143], v[36:37]
	v_fma_f64 v[34:35], -v[86:87], v[144:145], v[34:35]
	ds_read2_b64 v[142:145], v136 offset0:52 offset1:53
	v_fma_f64 v[32:33], -v[86:87], v[146:147], v[32:33]
	v_fma_f64 v[30:31], -v[86:87], v[148:149], v[30:31]
	;; [unrolled: 1-line block ×3, first 2 shown]
	ds_read2_b64 v[146:149], v136 offset0:54 offset1:55
	v_fma_f64 v[26:27], -v[86:87], v[152:153], v[26:27]
	ds_read2_b64 v[150:153], v136 offset0:56 offset1:57
	s_waitcnt lgkmcnt(0)
	v_fma_f64 v[24:25], -v[86:87], v[142:143], v[24:25]
	v_fma_f64 v[22:23], -v[86:87], v[144:145], v[22:23]
	;; [unrolled: 1-line block ×4, first 2 shown]
	ds_read2_b64 v[142:145], v136 offset0:58 offset1:59
	ds_read2_b64 v[146:149], v136 offset0:60 offset1:61
	v_fma_f64 v[16:17], -v[86:87], v[150:151], v[16:17]
	v_fma_f64 v[14:15], -v[86:87], v[152:153], v[14:15]
	ds_read2_b64 v[150:153], v136 offset0:62 offset1:63
	s_waitcnt lgkmcnt(0)
	v_fma_f64 v[12:13], -v[86:87], v[142:143], v[12:13]
	v_fma_f64 v[10:11], -v[86:87], v[144:145], v[10:11]
	v_fma_f64 v[8:9], -v[86:87], v[146:147], v[8:9]
	v_fma_f64 v[6:7], -v[86:87], v[148:149], v[6:7]
	v_fma_f64 v[0:1], -v[86:87], v[150:151], v[0:1]
	v_fma_f64 v[130:131], -v[86:87], v[152:153], v[130:131]
.LBB126_369:
	s_or_b64 exec, exec, s[0:1]
	v_lshl_add_u32 v132, v137, 3, v136
	s_barrier
	ds_write_b64 v132, v[84:85]
	s_waitcnt lgkmcnt(0)
	s_barrier
	ds_read_b64 v[132:133], v136 offset:176
	s_cmp_lt_i32 s18, 24
	v_mov_b32_e32 v134, 22
	s_cbranch_scc1 .LBB126_372
; %bb.370:
	v_add_u32_e32 v141, 0xb8, v136
	s_mov_b32 s0, 23
	v_mov_b32_e32 v134, 22
.LBB126_371:                            ; =>This Inner Loop Header: Depth=1
	ds_read_b64 v[142:143], v141
	v_mov_b32_e32 v144, s0
	s_add_i32 s0, s0, 1
	v_add_u32_e32 v141, 8, v141
	s_cmp_lg_u32 s18, s0
	s_waitcnt lgkmcnt(0)
	v_cmp_lt_f64_e64 vcc, |v[132:133]|, |v[142:143]|
	v_cndmask_b32_e32 v133, v133, v143, vcc
	v_cndmask_b32_e32 v132, v132, v142, vcc
	;; [unrolled: 1-line block ×3, first 2 shown]
	s_cbranch_scc1 .LBB126_371
.LBB126_372:
	s_waitcnt lgkmcnt(0)
	v_cmp_eq_f64_e32 vcc, 0, v[132:133]
	s_and_saveexec_b64 s[0:1], vcc
	s_xor_b64 s[0:1], exec, s[0:1]
; %bb.373:
	v_cmp_ne_u32_e32 vcc, 0, v140
	v_cndmask_b32_e32 v140, 23, v140, vcc
; %bb.374:
	s_andn2_saveexec_b64 s[0:1], s[0:1]
; %bb.375:
	v_div_scale_f64 v[142:143], s[2:3], v[132:133], v[132:133], 1.0
	v_rcp_f64_e32 v[144:145], v[142:143]
	v_div_scale_f64 v[146:147], vcc, 1.0, v[132:133], 1.0
	v_fma_f64 v[148:149], -v[142:143], v[144:145], 1.0
	v_fmac_f64_e32 v[144:145], v[144:145], v[148:149]
	v_fma_f64 v[148:149], -v[142:143], v[144:145], 1.0
	v_fmac_f64_e32 v[144:145], v[144:145], v[148:149]
	v_mul_f64 v[148:149], v[146:147], v[144:145]
	v_fma_f64 v[142:143], -v[142:143], v[148:149], v[146:147]
	v_div_fmas_f64 v[142:143], v[142:143], v[144:145], v[148:149]
	v_div_fixup_f64 v[132:133], v[142:143], v[132:133], 1.0
; %bb.376:
	s_or_b64 exec, exec, s[0:1]
	v_cmp_ne_u32_e32 vcc, v137, v134
	s_and_saveexec_b64 s[0:1], vcc
	s_xor_b64 s[0:1], exec, s[0:1]
	s_cbranch_execz .LBB126_382
; %bb.377:
	v_cmp_eq_u32_e32 vcc, 22, v137
	s_and_saveexec_b64 s[2:3], vcc
	s_cbranch_execz .LBB126_381
; %bb.378:
	v_cmp_ne_u32_e32 vcc, 22, v134
	s_xor_b64 s[14:15], s[6:7], -1
	s_and_b64 s[16:17], s[14:15], vcc
	s_and_saveexec_b64 s[14:15], s[16:17]
	s_cbranch_execz .LBB126_380
; %bb.379:
	v_ashrrev_i32_e32 v135, 31, v134
	v_lshlrev_b64 v[142:143], 2, v[134:135]
	v_add_co_u32_e32 v142, vcc, v4, v142
	v_addc_co_u32_e32 v143, vcc, v5, v143, vcc
	flat_load_dword v135, v[142:143]
	flat_load_dword v137, v[4:5] offset:88
	s_waitcnt vmcnt(0) lgkmcnt(0)
	flat_store_dword v[4:5], v135 offset:88
	flat_store_dword v[142:143], v137
.LBB126_380:
	s_or_b64 exec, exec, s[14:15]
	v_mov_b32_e32 v135, v134
	v_mov_b32_e32 v137, v134
.LBB126_381:
	s_or_b64 exec, exec, s[2:3]
.LBB126_382:
	s_andn2_saveexec_b64 s[0:1], s[0:1]
	s_cbranch_execz .LBB126_384
; %bb.383:
	v_mov_b32_e32 v137, 22
	ds_write2_b64 v136, v[82:83], v[80:81] offset0:23 offset1:24
	ds_write2_b64 v136, v[78:79], v[76:77] offset0:25 offset1:26
	ds_write2_b64 v136, v[74:75], v[72:73] offset0:27 offset1:28
	ds_write2_b64 v136, v[70:71], v[68:69] offset0:29 offset1:30
	ds_write2_b64 v136, v[66:67], v[64:65] offset0:31 offset1:32
	ds_write2_b64 v136, v[62:63], v[60:61] offset0:33 offset1:34
	ds_write2_b64 v136, v[58:59], v[56:57] offset0:35 offset1:36
	ds_write2_b64 v136, v[54:55], v[52:53] offset0:37 offset1:38
	ds_write2_b64 v136, v[50:51], v[48:49] offset0:39 offset1:40
	ds_write2_b64 v136, v[46:47], v[44:45] offset0:41 offset1:42
	ds_write2_b64 v136, v[42:43], v[40:41] offset0:43 offset1:44
	ds_write2_b64 v136, v[38:39], v[36:37] offset0:45 offset1:46
	ds_write2_b64 v136, v[34:35], v[32:33] offset0:47 offset1:48
	ds_write2_b64 v136, v[30:31], v[28:29] offset0:49 offset1:50
	ds_write2_b64 v136, v[26:27], v[24:25] offset0:51 offset1:52
	ds_write2_b64 v136, v[22:23], v[20:21] offset0:53 offset1:54
	ds_write2_b64 v136, v[18:19], v[16:17] offset0:55 offset1:56
	ds_write2_b64 v136, v[14:15], v[12:13] offset0:57 offset1:58
	ds_write2_b64 v136, v[10:11], v[8:9] offset0:59 offset1:60
	ds_write2_b64 v136, v[6:7], v[0:1] offset0:61 offset1:62
	ds_write_b64 v136, v[130:131] offset:504
.LBB126_384:
	s_or_b64 exec, exec, s[0:1]
	v_cmp_lt_i32_e32 vcc, 22, v137
	s_waitcnt lgkmcnt(0)
	s_barrier
	s_and_saveexec_b64 s[0:1], vcc
	s_cbranch_execz .LBB126_386
; %bb.385:
	ds_read2_b64 v[142:145], v136 offset0:23 offset1:24
	ds_read2_b64 v[146:149], v136 offset0:25 offset1:26
	v_mul_f64 v[84:85], v[132:133], v[84:85]
	ds_read2_b64 v[150:153], v136 offset0:27 offset1:28
	ds_read_b64 v[132:133], v136 offset:504
	s_waitcnt lgkmcnt(0)
	v_fma_f64 v[82:83], -v[84:85], v[142:143], v[82:83]
	v_fma_f64 v[80:81], -v[84:85], v[144:145], v[80:81]
	ds_read2_b64 v[142:145], v136 offset0:29 offset1:30
	v_fma_f64 v[78:79], -v[84:85], v[146:147], v[78:79]
	v_fma_f64 v[76:77], -v[84:85], v[148:149], v[76:77]
	ds_read2_b64 v[146:149], v136 offset0:31 offset1:32
	;; [unrolled: 3-line block ×3, first 2 shown]
	s_waitcnt lgkmcnt(0)
	v_fma_f64 v[70:71], -v[84:85], v[142:143], v[70:71]
	v_fma_f64 v[68:69], -v[84:85], v[144:145], v[68:69]
	;; [unrolled: 1-line block ×3, first 2 shown]
	ds_read2_b64 v[142:145], v136 offset0:35 offset1:36
	v_fma_f64 v[64:65], -v[84:85], v[148:149], v[64:65]
	ds_read2_b64 v[146:149], v136 offset0:37 offset1:38
	v_fma_f64 v[62:63], -v[84:85], v[150:151], v[62:63]
	v_fma_f64 v[60:61], -v[84:85], v[152:153], v[60:61]
	s_waitcnt lgkmcnt(0)
	v_fma_f64 v[58:59], -v[84:85], v[142:143], v[58:59]
	ds_read2_b64 v[150:153], v136 offset0:39 offset1:40
	v_fma_f64 v[56:57], -v[84:85], v[144:145], v[56:57]
	ds_read2_b64 v[142:145], v136 offset0:41 offset1:42
	v_fma_f64 v[54:55], -v[84:85], v[146:147], v[54:55]
	v_fma_f64 v[52:53], -v[84:85], v[148:149], v[52:53]
	ds_read2_b64 v[146:149], v136 offset0:43 offset1:44
	s_waitcnt lgkmcnt(0)
	v_fma_f64 v[50:51], -v[84:85], v[150:151], v[50:51]
	v_fma_f64 v[48:49], -v[84:85], v[152:153], v[48:49]
	ds_read2_b64 v[150:153], v136 offset0:45 offset1:46
	v_fma_f64 v[46:47], -v[84:85], v[142:143], v[46:47]
	v_fma_f64 v[44:45], -v[84:85], v[144:145], v[44:45]
	;; [unrolled: 1-line block ×3, first 2 shown]
	ds_read2_b64 v[142:145], v136 offset0:47 offset1:48
	v_fma_f64 v[40:41], -v[84:85], v[148:149], v[40:41]
	ds_read2_b64 v[146:149], v136 offset0:49 offset1:50
	s_waitcnt lgkmcnt(0)
	v_fma_f64 v[38:39], -v[84:85], v[150:151], v[38:39]
	v_fma_f64 v[36:37], -v[84:85], v[152:153], v[36:37]
	v_fma_f64 v[34:35], -v[84:85], v[142:143], v[34:35]
	ds_read2_b64 v[150:153], v136 offset0:51 offset1:52
	v_fma_f64 v[32:33], -v[84:85], v[144:145], v[32:33]
	ds_read2_b64 v[142:145], v136 offset0:53 offset1:54
	v_fma_f64 v[30:31], -v[84:85], v[146:147], v[30:31]
	v_fma_f64 v[28:29], -v[84:85], v[148:149], v[28:29]
	ds_read2_b64 v[146:149], v136 offset0:55 offset1:56
	s_waitcnt lgkmcnt(0)
	v_fma_f64 v[26:27], -v[84:85], v[150:151], v[26:27]
	v_fma_f64 v[24:25], -v[84:85], v[152:153], v[24:25]
	ds_read2_b64 v[150:153], v136 offset0:57 offset1:58
	v_fma_f64 v[22:23], -v[84:85], v[142:143], v[22:23]
	v_fma_f64 v[20:21], -v[84:85], v[144:145], v[20:21]
	v_fma_f64 v[18:19], -v[84:85], v[146:147], v[18:19]
	v_fma_f64 v[16:17], -v[84:85], v[148:149], v[16:17]
	ds_read2_b64 v[142:145], v136 offset0:59 offset1:60
	ds_read2_b64 v[146:149], v136 offset0:61 offset1:62
	s_waitcnt lgkmcnt(0)
	v_fma_f64 v[14:15], -v[84:85], v[150:151], v[14:15]
	v_fma_f64 v[12:13], -v[84:85], v[152:153], v[12:13]
	v_fma_f64 v[130:131], -v[84:85], v[132:133], v[130:131]
	v_fma_f64 v[10:11], -v[84:85], v[142:143], v[10:11]
	v_fma_f64 v[8:9], -v[84:85], v[144:145], v[8:9]
	v_fma_f64 v[6:7], -v[84:85], v[146:147], v[6:7]
	v_fma_f64 v[0:1], -v[84:85], v[148:149], v[0:1]
.LBB126_386:
	s_or_b64 exec, exec, s[0:1]
	v_lshl_add_u32 v132, v137, 3, v136
	s_barrier
	ds_write_b64 v132, v[82:83]
	s_waitcnt lgkmcnt(0)
	s_barrier
	ds_read_b64 v[132:133], v136 offset:184
	s_cmp_lt_i32 s18, 25
	v_mov_b32_e32 v134, 23
	s_cbranch_scc1 .LBB126_389
; %bb.387:
	v_add_u32_e32 v141, 0xc0, v136
	s_mov_b32 s0, 24
	v_mov_b32_e32 v134, 23
.LBB126_388:                            ; =>This Inner Loop Header: Depth=1
	ds_read_b64 v[142:143], v141
	v_mov_b32_e32 v144, s0
	s_add_i32 s0, s0, 1
	v_add_u32_e32 v141, 8, v141
	s_cmp_lg_u32 s18, s0
	s_waitcnt lgkmcnt(0)
	v_cmp_lt_f64_e64 vcc, |v[132:133]|, |v[142:143]|
	v_cndmask_b32_e32 v133, v133, v143, vcc
	v_cndmask_b32_e32 v132, v132, v142, vcc
	;; [unrolled: 1-line block ×3, first 2 shown]
	s_cbranch_scc1 .LBB126_388
.LBB126_389:
	s_waitcnt lgkmcnt(0)
	v_cmp_eq_f64_e32 vcc, 0, v[132:133]
	s_and_saveexec_b64 s[0:1], vcc
	s_xor_b64 s[0:1], exec, s[0:1]
; %bb.390:
	v_cmp_ne_u32_e32 vcc, 0, v140
	v_cndmask_b32_e32 v140, 24, v140, vcc
; %bb.391:
	s_andn2_saveexec_b64 s[0:1], s[0:1]
; %bb.392:
	v_div_scale_f64 v[142:143], s[2:3], v[132:133], v[132:133], 1.0
	v_rcp_f64_e32 v[144:145], v[142:143]
	v_div_scale_f64 v[146:147], vcc, 1.0, v[132:133], 1.0
	v_fma_f64 v[148:149], -v[142:143], v[144:145], 1.0
	v_fmac_f64_e32 v[144:145], v[144:145], v[148:149]
	v_fma_f64 v[148:149], -v[142:143], v[144:145], 1.0
	v_fmac_f64_e32 v[144:145], v[144:145], v[148:149]
	v_mul_f64 v[148:149], v[146:147], v[144:145]
	v_fma_f64 v[142:143], -v[142:143], v[148:149], v[146:147]
	v_div_fmas_f64 v[142:143], v[142:143], v[144:145], v[148:149]
	v_div_fixup_f64 v[132:133], v[142:143], v[132:133], 1.0
; %bb.393:
	s_or_b64 exec, exec, s[0:1]
	v_cmp_ne_u32_e32 vcc, v137, v134
	s_and_saveexec_b64 s[0:1], vcc
	s_xor_b64 s[0:1], exec, s[0:1]
	s_cbranch_execz .LBB126_399
; %bb.394:
	v_cmp_eq_u32_e32 vcc, 23, v137
	s_and_saveexec_b64 s[2:3], vcc
	s_cbranch_execz .LBB126_398
; %bb.395:
	v_cmp_ne_u32_e32 vcc, 23, v134
	s_xor_b64 s[14:15], s[6:7], -1
	s_and_b64 s[16:17], s[14:15], vcc
	s_and_saveexec_b64 s[14:15], s[16:17]
	s_cbranch_execz .LBB126_397
; %bb.396:
	v_ashrrev_i32_e32 v135, 31, v134
	v_lshlrev_b64 v[142:143], 2, v[134:135]
	v_add_co_u32_e32 v142, vcc, v4, v142
	v_addc_co_u32_e32 v143, vcc, v5, v143, vcc
	flat_load_dword v135, v[142:143]
	flat_load_dword v137, v[4:5] offset:92
	s_waitcnt vmcnt(0) lgkmcnt(0)
	flat_store_dword v[4:5], v135 offset:92
	flat_store_dword v[142:143], v137
.LBB126_397:
	s_or_b64 exec, exec, s[14:15]
	v_mov_b32_e32 v135, v134
	v_mov_b32_e32 v137, v134
.LBB126_398:
	s_or_b64 exec, exec, s[2:3]
.LBB126_399:
	s_andn2_saveexec_b64 s[0:1], s[0:1]
	s_cbranch_execz .LBB126_401
; %bb.400:
	v_mov_b32_e32 v142, v80
	v_mov_b32_e32 v143, v81
	v_mov_b32_e32 v144, v78
	v_mov_b32_e32 v145, v79
	ds_write2_b64 v136, v[142:143], v[144:145] offset0:24 offset1:25
	v_mov_b32_e32 v142, v76
	v_mov_b32_e32 v143, v77
	v_mov_b32_e32 v144, v74
	v_mov_b32_e32 v145, v75
	ds_write2_b64 v136, v[142:143], v[144:145] offset0:26 offset1:27
	v_mov_b32_e32 v142, v72
	v_mov_b32_e32 v143, v73
	v_mov_b32_e32 v144, v70
	v_mov_b32_e32 v145, v71
	ds_write2_b64 v136, v[142:143], v[144:145] offset0:28 offset1:29
	v_mov_b32_e32 v142, v68
	v_mov_b32_e32 v143, v69
	v_mov_b32_e32 v144, v66
	v_mov_b32_e32 v145, v67
	ds_write2_b64 v136, v[142:143], v[144:145] offset0:30 offset1:31
	v_mov_b32_e32 v142, v64
	v_mov_b32_e32 v143, v65
	v_mov_b32_e32 v144, v62
	v_mov_b32_e32 v145, v63
	ds_write2_b64 v136, v[142:143], v[144:145] offset0:32 offset1:33
	v_mov_b32_e32 v142, v60
	v_mov_b32_e32 v143, v61
	v_mov_b32_e32 v144, v58
	v_mov_b32_e32 v145, v59
	ds_write2_b64 v136, v[142:143], v[144:145] offset0:34 offset1:35
	v_mov_b32_e32 v142, v56
	v_mov_b32_e32 v143, v57
	v_mov_b32_e32 v144, v54
	v_mov_b32_e32 v145, v55
	ds_write2_b64 v136, v[142:143], v[144:145] offset0:36 offset1:37
	v_mov_b32_e32 v142, v52
	v_mov_b32_e32 v143, v53
	v_mov_b32_e32 v144, v50
	v_mov_b32_e32 v145, v51
	ds_write2_b64 v136, v[142:143], v[144:145] offset0:38 offset1:39
	v_mov_b32_e32 v142, v48
	v_mov_b32_e32 v143, v49
	v_mov_b32_e32 v144, v46
	v_mov_b32_e32 v145, v47
	ds_write2_b64 v136, v[142:143], v[144:145] offset0:40 offset1:41
	v_mov_b32_e32 v142, v44
	v_mov_b32_e32 v143, v45
	v_mov_b32_e32 v144, v42
	v_mov_b32_e32 v145, v43
	ds_write2_b64 v136, v[142:143], v[144:145] offset0:42 offset1:43
	v_mov_b32_e32 v142, v40
	v_mov_b32_e32 v143, v41
	v_mov_b32_e32 v144, v38
	v_mov_b32_e32 v145, v39
	ds_write2_b64 v136, v[142:143], v[144:145] offset0:44 offset1:45
	v_mov_b32_e32 v142, v36
	v_mov_b32_e32 v143, v37
	v_mov_b32_e32 v144, v34
	v_mov_b32_e32 v145, v35
	ds_write2_b64 v136, v[142:143], v[144:145] offset0:46 offset1:47
	v_mov_b32_e32 v142, v32
	v_mov_b32_e32 v143, v33
	v_mov_b32_e32 v144, v30
	v_mov_b32_e32 v145, v31
	ds_write2_b64 v136, v[142:143], v[144:145] offset0:48 offset1:49
	v_mov_b32_e32 v142, v28
	v_mov_b32_e32 v143, v29
	v_mov_b32_e32 v144, v26
	v_mov_b32_e32 v145, v27
	ds_write2_b64 v136, v[142:143], v[144:145] offset0:50 offset1:51
	v_mov_b32_e32 v142, v24
	v_mov_b32_e32 v143, v25
	v_mov_b32_e32 v144, v22
	v_mov_b32_e32 v145, v23
	ds_write2_b64 v136, v[142:143], v[144:145] offset0:52 offset1:53
	v_mov_b32_e32 v142, v20
	v_mov_b32_e32 v143, v21
	v_mov_b32_e32 v144, v18
	v_mov_b32_e32 v145, v19
	ds_write2_b64 v136, v[142:143], v[144:145] offset0:54 offset1:55
	v_mov_b32_e32 v142, v16
	v_mov_b32_e32 v143, v17
	v_mov_b32_e32 v144, v14
	v_mov_b32_e32 v145, v15
	ds_write2_b64 v136, v[142:143], v[144:145] offset0:56 offset1:57
	v_mov_b32_e32 v142, v12
	v_mov_b32_e32 v143, v13
	v_mov_b32_e32 v144, v10
	v_mov_b32_e32 v145, v11
	ds_write2_b64 v136, v[142:143], v[144:145] offset0:58 offset1:59
	v_mov_b32_e32 v142, v8
	v_mov_b32_e32 v143, v9
	v_mov_b32_e32 v144, v6
	v_mov_b32_e32 v145, v7
	ds_write2_b64 v136, v[142:143], v[144:145] offset0:60 offset1:61
	v_mov_b32_e32 v142, v0
	v_mov_b32_e32 v143, v1
	;; [unrolled: 1-line block ×3, first 2 shown]
	ds_write2_b64 v136, v[142:143], v[130:131] offset0:62 offset1:63
.LBB126_401:
	s_or_b64 exec, exec, s[0:1]
	v_cmp_lt_i32_e32 vcc, 23, v137
	s_waitcnt lgkmcnt(0)
	s_barrier
	s_and_saveexec_b64 s[0:1], vcc
	s_cbranch_execz .LBB126_403
; %bb.402:
	ds_read2_b64 v[142:145], v136 offset0:24 offset1:25
	ds_read2_b64 v[146:149], v136 offset0:26 offset1:27
	v_mul_f64 v[82:83], v[132:133], v[82:83]
	ds_read2_b64 v[150:153], v136 offset0:28 offset1:29
	s_waitcnt lgkmcnt(0)
	v_fma_f64 v[80:81], -v[82:83], v[142:143], v[80:81]
	v_fma_f64 v[78:79], -v[82:83], v[144:145], v[78:79]
	ds_read2_b64 v[142:145], v136 offset0:30 offset1:31
	v_fma_f64 v[76:77], -v[82:83], v[146:147], v[76:77]
	v_fma_f64 v[74:75], -v[82:83], v[148:149], v[74:75]
	ds_read2_b64 v[146:149], v136 offset0:32 offset1:33
	;; [unrolled: 3-line block ×3, first 2 shown]
	s_waitcnt lgkmcnt(0)
	v_fma_f64 v[68:69], -v[82:83], v[142:143], v[68:69]
	v_fma_f64 v[66:67], -v[82:83], v[144:145], v[66:67]
	;; [unrolled: 1-line block ×3, first 2 shown]
	ds_read2_b64 v[142:145], v136 offset0:36 offset1:37
	v_fma_f64 v[62:63], -v[82:83], v[148:149], v[62:63]
	ds_read2_b64 v[146:149], v136 offset0:38 offset1:39
	v_fma_f64 v[60:61], -v[82:83], v[150:151], v[60:61]
	v_fma_f64 v[58:59], -v[82:83], v[152:153], v[58:59]
	s_waitcnt lgkmcnt(0)
	v_fma_f64 v[56:57], -v[82:83], v[142:143], v[56:57]
	ds_read2_b64 v[150:153], v136 offset0:40 offset1:41
	v_fma_f64 v[54:55], -v[82:83], v[144:145], v[54:55]
	ds_read2_b64 v[142:145], v136 offset0:42 offset1:43
	v_fma_f64 v[52:53], -v[82:83], v[146:147], v[52:53]
	v_fma_f64 v[50:51], -v[82:83], v[148:149], v[50:51]
	ds_read2_b64 v[146:149], v136 offset0:44 offset1:45
	s_waitcnt lgkmcnt(0)
	v_fma_f64 v[48:49], -v[82:83], v[150:151], v[48:49]
	v_fma_f64 v[46:47], -v[82:83], v[152:153], v[46:47]
	ds_read2_b64 v[150:153], v136 offset0:46 offset1:47
	v_fma_f64 v[44:45], -v[82:83], v[142:143], v[44:45]
	v_fma_f64 v[42:43], -v[82:83], v[144:145], v[42:43]
	;; [unrolled: 1-line block ×3, first 2 shown]
	ds_read2_b64 v[142:145], v136 offset0:48 offset1:49
	v_fma_f64 v[38:39], -v[82:83], v[148:149], v[38:39]
	ds_read2_b64 v[146:149], v136 offset0:50 offset1:51
	s_waitcnt lgkmcnt(0)
	v_fma_f64 v[36:37], -v[82:83], v[150:151], v[36:37]
	v_fma_f64 v[34:35], -v[82:83], v[152:153], v[34:35]
	;; [unrolled: 1-line block ×3, first 2 shown]
	ds_read2_b64 v[150:153], v136 offset0:52 offset1:53
	v_fma_f64 v[30:31], -v[82:83], v[144:145], v[30:31]
	ds_read2_b64 v[142:145], v136 offset0:54 offset1:55
	v_fma_f64 v[28:29], -v[82:83], v[146:147], v[28:29]
	v_fma_f64 v[26:27], -v[82:83], v[148:149], v[26:27]
	ds_read2_b64 v[146:149], v136 offset0:56 offset1:57
	s_waitcnt lgkmcnt(0)
	v_fma_f64 v[24:25], -v[82:83], v[150:151], v[24:25]
	v_fma_f64 v[22:23], -v[82:83], v[152:153], v[22:23]
	;; [unrolled: 1-line block ×4, first 2 shown]
	ds_read2_b64 v[142:145], v136 offset0:58 offset1:59
	v_fma_f64 v[16:17], -v[82:83], v[146:147], v[16:17]
	ds_read2_b64 v[150:153], v136 offset0:60 offset1:61
	v_fma_f64 v[14:15], -v[82:83], v[148:149], v[14:15]
	ds_read2_b64 v[146:149], v136 offset0:62 offset1:63
	s_waitcnt lgkmcnt(0)
	v_fma_f64 v[12:13], -v[82:83], v[142:143], v[12:13]
	v_fma_f64 v[10:11], -v[82:83], v[144:145], v[10:11]
	;; [unrolled: 1-line block ×6, first 2 shown]
.LBB126_403:
	s_or_b64 exec, exec, s[0:1]
	v_lshl_add_u32 v132, v137, 3, v136
	s_barrier
	ds_write_b64 v132, v[80:81]
	s_waitcnt lgkmcnt(0)
	s_barrier
	ds_read_b64 v[132:133], v136 offset:192
	s_cmp_lt_i32 s18, 26
	v_mov_b32_e32 v134, 24
	s_cbranch_scc1 .LBB126_406
; %bb.404:
	v_add_u32_e32 v141, 0xc8, v136
	s_mov_b32 s0, 25
	v_mov_b32_e32 v134, 24
.LBB126_405:                            ; =>This Inner Loop Header: Depth=1
	ds_read_b64 v[142:143], v141
	v_mov_b32_e32 v144, s0
	s_add_i32 s0, s0, 1
	v_add_u32_e32 v141, 8, v141
	s_cmp_lg_u32 s18, s0
	s_waitcnt lgkmcnt(0)
	v_cmp_lt_f64_e64 vcc, |v[132:133]|, |v[142:143]|
	v_cndmask_b32_e32 v133, v133, v143, vcc
	v_cndmask_b32_e32 v132, v132, v142, vcc
	v_cndmask_b32_e32 v134, v134, v144, vcc
	s_cbranch_scc1 .LBB126_405
.LBB126_406:
	s_waitcnt lgkmcnt(0)
	v_cmp_eq_f64_e32 vcc, 0, v[132:133]
	s_and_saveexec_b64 s[0:1], vcc
	s_xor_b64 s[0:1], exec, s[0:1]
; %bb.407:
	v_cmp_ne_u32_e32 vcc, 0, v140
	v_cndmask_b32_e32 v140, 25, v140, vcc
; %bb.408:
	s_andn2_saveexec_b64 s[0:1], s[0:1]
; %bb.409:
	v_div_scale_f64 v[142:143], s[2:3], v[132:133], v[132:133], 1.0
	v_rcp_f64_e32 v[144:145], v[142:143]
	v_div_scale_f64 v[146:147], vcc, 1.0, v[132:133], 1.0
	v_fma_f64 v[148:149], -v[142:143], v[144:145], 1.0
	v_fmac_f64_e32 v[144:145], v[144:145], v[148:149]
	v_fma_f64 v[148:149], -v[142:143], v[144:145], 1.0
	v_fmac_f64_e32 v[144:145], v[144:145], v[148:149]
	v_mul_f64 v[148:149], v[146:147], v[144:145]
	v_fma_f64 v[142:143], -v[142:143], v[148:149], v[146:147]
	v_div_fmas_f64 v[142:143], v[142:143], v[144:145], v[148:149]
	v_div_fixup_f64 v[132:133], v[142:143], v[132:133], 1.0
; %bb.410:
	s_or_b64 exec, exec, s[0:1]
	v_cmp_ne_u32_e32 vcc, v137, v134
	s_and_saveexec_b64 s[0:1], vcc
	s_xor_b64 s[0:1], exec, s[0:1]
	s_cbranch_execz .LBB126_416
; %bb.411:
	v_cmp_eq_u32_e32 vcc, 24, v137
	s_and_saveexec_b64 s[2:3], vcc
	s_cbranch_execz .LBB126_415
; %bb.412:
	v_cmp_ne_u32_e32 vcc, 24, v134
	s_xor_b64 s[14:15], s[6:7], -1
	s_and_b64 s[16:17], s[14:15], vcc
	s_and_saveexec_b64 s[14:15], s[16:17]
	s_cbranch_execz .LBB126_414
; %bb.413:
	v_ashrrev_i32_e32 v135, 31, v134
	v_lshlrev_b64 v[142:143], 2, v[134:135]
	v_add_co_u32_e32 v142, vcc, v4, v142
	v_addc_co_u32_e32 v143, vcc, v5, v143, vcc
	flat_load_dword v135, v[142:143]
	flat_load_dword v137, v[4:5] offset:96
	s_waitcnt vmcnt(0) lgkmcnt(0)
	flat_store_dword v[4:5], v135 offset:96
	flat_store_dword v[142:143], v137
.LBB126_414:
	s_or_b64 exec, exec, s[14:15]
	v_mov_b32_e32 v135, v134
	v_mov_b32_e32 v137, v134
.LBB126_415:
	s_or_b64 exec, exec, s[2:3]
.LBB126_416:
	s_andn2_saveexec_b64 s[0:1], s[0:1]
	s_cbranch_execz .LBB126_418
; %bb.417:
	v_mov_b32_e32 v137, 24
	ds_write2_b64 v136, v[78:79], v[76:77] offset0:25 offset1:26
	ds_write2_b64 v136, v[74:75], v[72:73] offset0:27 offset1:28
	;; [unrolled: 1-line block ×19, first 2 shown]
	ds_write_b64 v136, v[130:131] offset:504
.LBB126_418:
	s_or_b64 exec, exec, s[0:1]
	v_cmp_lt_i32_e32 vcc, 24, v137
	s_waitcnt lgkmcnt(0)
	s_barrier
	s_and_saveexec_b64 s[0:1], vcc
	s_cbranch_execz .LBB126_420
; %bb.419:
	ds_read2_b64 v[142:145], v136 offset0:25 offset1:26
	ds_read2_b64 v[146:149], v136 offset0:27 offset1:28
	v_mul_f64 v[80:81], v[132:133], v[80:81]
	ds_read2_b64 v[150:153], v136 offset0:29 offset1:30
	ds_read_b64 v[132:133], v136 offset:504
	s_waitcnt lgkmcnt(0)
	v_fma_f64 v[78:79], -v[80:81], v[142:143], v[78:79]
	v_fma_f64 v[76:77], -v[80:81], v[144:145], v[76:77]
	ds_read2_b64 v[142:145], v136 offset0:31 offset1:32
	v_fma_f64 v[74:75], -v[80:81], v[146:147], v[74:75]
	v_fma_f64 v[72:73], -v[80:81], v[148:149], v[72:73]
	;; [unrolled: 1-line block ×3, first 2 shown]
	ds_read2_b64 v[146:149], v136 offset0:33 offset1:34
	v_fma_f64 v[68:69], -v[80:81], v[152:153], v[68:69]
	ds_read2_b64 v[150:153], v136 offset0:35 offset1:36
	s_waitcnt lgkmcnt(0)
	v_fma_f64 v[66:67], -v[80:81], v[142:143], v[66:67]
	v_fma_f64 v[64:65], -v[80:81], v[144:145], v[64:65]
	ds_read2_b64 v[142:145], v136 offset0:37 offset1:38
	v_fma_f64 v[62:63], -v[80:81], v[146:147], v[62:63]
	v_fma_f64 v[60:61], -v[80:81], v[148:149], v[60:61]
	ds_read2_b64 v[146:149], v136 offset0:39 offset1:40
	v_fma_f64 v[58:59], -v[80:81], v[150:151], v[58:59]
	v_fma_f64 v[56:57], -v[80:81], v[152:153], v[56:57]
	s_waitcnt lgkmcnt(0)
	v_fma_f64 v[54:55], -v[80:81], v[142:143], v[54:55]
	ds_read2_b64 v[150:153], v136 offset0:41 offset1:42
	v_fma_f64 v[52:53], -v[80:81], v[144:145], v[52:53]
	ds_read2_b64 v[142:145], v136 offset0:43 offset1:44
	v_fma_f64 v[50:51], -v[80:81], v[146:147], v[50:51]
	v_fma_f64 v[48:49], -v[80:81], v[148:149], v[48:49]
	s_waitcnt lgkmcnt(0)
	v_fma_f64 v[46:47], -v[80:81], v[150:151], v[46:47]
	ds_read2_b64 v[146:149], v136 offset0:45 offset1:46
	v_fma_f64 v[44:45], -v[80:81], v[152:153], v[44:45]
	ds_read2_b64 v[150:153], v136 offset0:47 offset1:48
	v_fma_f64 v[42:43], -v[80:81], v[142:143], v[42:43]
	v_fma_f64 v[40:41], -v[80:81], v[144:145], v[40:41]
	ds_read2_b64 v[142:145], v136 offset0:49 offset1:50
	s_waitcnt lgkmcnt(0)
	v_fma_f64 v[38:39], -v[80:81], v[146:147], v[38:39]
	v_fma_f64 v[36:37], -v[80:81], v[148:149], v[36:37]
	ds_read2_b64 v[146:149], v136 offset0:51 offset1:52
	v_fma_f64 v[34:35], -v[80:81], v[150:151], v[34:35]
	v_fma_f64 v[32:33], -v[80:81], v[152:153], v[32:33]
	;; [unrolled: 1-line block ×3, first 2 shown]
	ds_read2_b64 v[150:153], v136 offset0:53 offset1:54
	v_fma_f64 v[28:29], -v[80:81], v[144:145], v[28:29]
	ds_read2_b64 v[142:145], v136 offset0:55 offset1:56
	s_waitcnt lgkmcnt(0)
	v_fma_f64 v[26:27], -v[80:81], v[146:147], v[26:27]
	v_fma_f64 v[24:25], -v[80:81], v[148:149], v[24:25]
	;; [unrolled: 1-line block ×3, first 2 shown]
	ds_read2_b64 v[146:149], v136 offset0:57 offset1:58
	v_fma_f64 v[20:21], -v[80:81], v[152:153], v[20:21]
	v_fma_f64 v[18:19], -v[80:81], v[142:143], v[18:19]
	;; [unrolled: 1-line block ×3, first 2 shown]
	ds_read2_b64 v[142:145], v136 offset0:59 offset1:60
	ds_read2_b64 v[150:153], v136 offset0:61 offset1:62
	s_waitcnt lgkmcnt(0)
	v_fma_f64 v[14:15], -v[80:81], v[146:147], v[14:15]
	v_fma_f64 v[12:13], -v[80:81], v[148:149], v[12:13]
	;; [unrolled: 1-line block ×7, first 2 shown]
.LBB126_420:
	s_or_b64 exec, exec, s[0:1]
	v_lshl_add_u32 v132, v137, 3, v136
	s_barrier
	ds_write_b64 v132, v[78:79]
	s_waitcnt lgkmcnt(0)
	s_barrier
	ds_read_b64 v[132:133], v136 offset:200
	s_cmp_lt_i32 s18, 27
	v_mov_b32_e32 v134, 25
	s_cbranch_scc1 .LBB126_423
; %bb.421:
	v_add_u32_e32 v141, 0xd0, v136
	s_mov_b32 s0, 26
	v_mov_b32_e32 v134, 25
.LBB126_422:                            ; =>This Inner Loop Header: Depth=1
	ds_read_b64 v[142:143], v141
	v_mov_b32_e32 v144, s0
	s_add_i32 s0, s0, 1
	v_add_u32_e32 v141, 8, v141
	s_cmp_lg_u32 s18, s0
	s_waitcnt lgkmcnt(0)
	v_cmp_lt_f64_e64 vcc, |v[132:133]|, |v[142:143]|
	v_cndmask_b32_e32 v133, v133, v143, vcc
	v_cndmask_b32_e32 v132, v132, v142, vcc
	;; [unrolled: 1-line block ×3, first 2 shown]
	s_cbranch_scc1 .LBB126_422
.LBB126_423:
	s_waitcnt lgkmcnt(0)
	v_cmp_eq_f64_e32 vcc, 0, v[132:133]
	s_and_saveexec_b64 s[0:1], vcc
	s_xor_b64 s[0:1], exec, s[0:1]
; %bb.424:
	v_cmp_ne_u32_e32 vcc, 0, v140
	v_cndmask_b32_e32 v140, 26, v140, vcc
; %bb.425:
	s_andn2_saveexec_b64 s[0:1], s[0:1]
; %bb.426:
	v_div_scale_f64 v[142:143], s[2:3], v[132:133], v[132:133], 1.0
	v_rcp_f64_e32 v[144:145], v[142:143]
	v_div_scale_f64 v[146:147], vcc, 1.0, v[132:133], 1.0
	v_fma_f64 v[148:149], -v[142:143], v[144:145], 1.0
	v_fmac_f64_e32 v[144:145], v[144:145], v[148:149]
	v_fma_f64 v[148:149], -v[142:143], v[144:145], 1.0
	v_fmac_f64_e32 v[144:145], v[144:145], v[148:149]
	v_mul_f64 v[148:149], v[146:147], v[144:145]
	v_fma_f64 v[142:143], -v[142:143], v[148:149], v[146:147]
	v_div_fmas_f64 v[142:143], v[142:143], v[144:145], v[148:149]
	v_div_fixup_f64 v[132:133], v[142:143], v[132:133], 1.0
; %bb.427:
	s_or_b64 exec, exec, s[0:1]
	v_cmp_ne_u32_e32 vcc, v137, v134
	s_and_saveexec_b64 s[0:1], vcc
	s_xor_b64 s[0:1], exec, s[0:1]
	s_cbranch_execz .LBB126_433
; %bb.428:
	v_cmp_eq_u32_e32 vcc, 25, v137
	s_and_saveexec_b64 s[2:3], vcc
	s_cbranch_execz .LBB126_432
; %bb.429:
	v_cmp_ne_u32_e32 vcc, 25, v134
	s_xor_b64 s[14:15], s[6:7], -1
	s_and_b64 s[16:17], s[14:15], vcc
	s_and_saveexec_b64 s[14:15], s[16:17]
	s_cbranch_execz .LBB126_431
; %bb.430:
	v_ashrrev_i32_e32 v135, 31, v134
	v_lshlrev_b64 v[142:143], 2, v[134:135]
	v_add_co_u32_e32 v142, vcc, v4, v142
	v_addc_co_u32_e32 v143, vcc, v5, v143, vcc
	flat_load_dword v135, v[142:143]
	flat_load_dword v137, v[4:5] offset:100
	s_waitcnt vmcnt(0) lgkmcnt(0)
	flat_store_dword v[4:5], v135 offset:100
	flat_store_dword v[142:143], v137
.LBB126_431:
	s_or_b64 exec, exec, s[14:15]
	v_mov_b32_e32 v135, v134
	v_mov_b32_e32 v137, v134
.LBB126_432:
	s_or_b64 exec, exec, s[2:3]
.LBB126_433:
	s_andn2_saveexec_b64 s[0:1], s[0:1]
	s_cbranch_execz .LBB126_435
; %bb.434:
	v_mov_b32_e32 v142, v76
	v_mov_b32_e32 v143, v77
	v_mov_b32_e32 v144, v74
	v_mov_b32_e32 v145, v75
	ds_write2_b64 v136, v[142:143], v[144:145] offset0:26 offset1:27
	v_mov_b32_e32 v142, v72
	v_mov_b32_e32 v143, v73
	v_mov_b32_e32 v144, v70
	v_mov_b32_e32 v145, v71
	ds_write2_b64 v136, v[142:143], v[144:145] offset0:28 offset1:29
	;; [unrolled: 5-line block ×18, first 2 shown]
	v_mov_b32_e32 v142, v0
	v_mov_b32_e32 v143, v1
	v_mov_b32_e32 v137, 25
	ds_write2_b64 v136, v[142:143], v[130:131] offset0:62 offset1:63
.LBB126_435:
	s_or_b64 exec, exec, s[0:1]
	v_cmp_lt_i32_e32 vcc, 25, v137
	s_waitcnt lgkmcnt(0)
	s_barrier
	s_and_saveexec_b64 s[0:1], vcc
	s_cbranch_execz .LBB126_437
; %bb.436:
	ds_read2_b64 v[142:145], v136 offset0:26 offset1:27
	ds_read2_b64 v[146:149], v136 offset0:28 offset1:29
	v_mul_f64 v[78:79], v[132:133], v[78:79]
	ds_read2_b64 v[150:153], v136 offset0:30 offset1:31
	s_waitcnt lgkmcnt(0)
	v_fma_f64 v[76:77], -v[78:79], v[142:143], v[76:77]
	v_fma_f64 v[74:75], -v[78:79], v[144:145], v[74:75]
	ds_read2_b64 v[142:145], v136 offset0:32 offset1:33
	v_fma_f64 v[72:73], -v[78:79], v[146:147], v[72:73]
	v_fma_f64 v[70:71], -v[78:79], v[148:149], v[70:71]
	;; [unrolled: 1-line block ×3, first 2 shown]
	ds_read2_b64 v[146:149], v136 offset0:34 offset1:35
	v_fma_f64 v[66:67], -v[78:79], v[152:153], v[66:67]
	ds_read2_b64 v[150:153], v136 offset0:36 offset1:37
	s_waitcnt lgkmcnt(0)
	v_fma_f64 v[64:65], -v[78:79], v[142:143], v[64:65]
	v_fma_f64 v[62:63], -v[78:79], v[144:145], v[62:63]
	ds_read2_b64 v[142:145], v136 offset0:38 offset1:39
	v_fma_f64 v[60:61], -v[78:79], v[146:147], v[60:61]
	v_fma_f64 v[58:59], -v[78:79], v[148:149], v[58:59]
	ds_read2_b64 v[146:149], v136 offset0:40 offset1:41
	v_fma_f64 v[56:57], -v[78:79], v[150:151], v[56:57]
	v_fma_f64 v[54:55], -v[78:79], v[152:153], v[54:55]
	s_waitcnt lgkmcnt(0)
	v_fma_f64 v[52:53], -v[78:79], v[142:143], v[52:53]
	ds_read2_b64 v[150:153], v136 offset0:42 offset1:43
	v_fma_f64 v[50:51], -v[78:79], v[144:145], v[50:51]
	ds_read2_b64 v[142:145], v136 offset0:44 offset1:45
	v_fma_f64 v[48:49], -v[78:79], v[146:147], v[48:49]
	v_fma_f64 v[46:47], -v[78:79], v[148:149], v[46:47]
	s_waitcnt lgkmcnt(0)
	v_fma_f64 v[44:45], -v[78:79], v[150:151], v[44:45]
	ds_read2_b64 v[146:149], v136 offset0:46 offset1:47
	v_fma_f64 v[42:43], -v[78:79], v[152:153], v[42:43]
	ds_read2_b64 v[150:153], v136 offset0:48 offset1:49
	v_fma_f64 v[40:41], -v[78:79], v[142:143], v[40:41]
	v_fma_f64 v[38:39], -v[78:79], v[144:145], v[38:39]
	ds_read2_b64 v[142:145], v136 offset0:50 offset1:51
	s_waitcnt lgkmcnt(0)
	v_fma_f64 v[36:37], -v[78:79], v[146:147], v[36:37]
	v_fma_f64 v[34:35], -v[78:79], v[148:149], v[34:35]
	ds_read2_b64 v[146:149], v136 offset0:52 offset1:53
	v_fma_f64 v[32:33], -v[78:79], v[150:151], v[32:33]
	v_fma_f64 v[30:31], -v[78:79], v[152:153], v[30:31]
	v_fma_f64 v[28:29], -v[78:79], v[142:143], v[28:29]
	ds_read2_b64 v[150:153], v136 offset0:54 offset1:55
	v_fma_f64 v[26:27], -v[78:79], v[144:145], v[26:27]
	ds_read2_b64 v[142:145], v136 offset0:56 offset1:57
	s_waitcnt lgkmcnt(0)
	v_fma_f64 v[24:25], -v[78:79], v[146:147], v[24:25]
	v_fma_f64 v[22:23], -v[78:79], v[148:149], v[22:23]
	;; [unrolled: 1-line block ×4, first 2 shown]
	ds_read2_b64 v[146:149], v136 offset0:58 offset1:59
	ds_read2_b64 v[150:153], v136 offset0:60 offset1:61
	v_fma_f64 v[16:17], -v[78:79], v[142:143], v[16:17]
	v_fma_f64 v[14:15], -v[78:79], v[144:145], v[14:15]
	ds_read2_b64 v[142:145], v136 offset0:62 offset1:63
	s_waitcnt lgkmcnt(0)
	v_fma_f64 v[12:13], -v[78:79], v[146:147], v[12:13]
	v_fma_f64 v[10:11], -v[78:79], v[148:149], v[10:11]
	;; [unrolled: 1-line block ×6, first 2 shown]
.LBB126_437:
	s_or_b64 exec, exec, s[0:1]
	v_lshl_add_u32 v132, v137, 3, v136
	s_barrier
	ds_write_b64 v132, v[76:77]
	s_waitcnt lgkmcnt(0)
	s_barrier
	ds_read_b64 v[132:133], v136 offset:208
	s_cmp_lt_i32 s18, 28
	v_mov_b32_e32 v134, 26
	s_cbranch_scc1 .LBB126_440
; %bb.438:
	v_add_u32_e32 v141, 0xd8, v136
	s_mov_b32 s0, 27
	v_mov_b32_e32 v134, 26
.LBB126_439:                            ; =>This Inner Loop Header: Depth=1
	ds_read_b64 v[142:143], v141
	v_mov_b32_e32 v144, s0
	s_add_i32 s0, s0, 1
	v_add_u32_e32 v141, 8, v141
	s_cmp_lg_u32 s18, s0
	s_waitcnt lgkmcnt(0)
	v_cmp_lt_f64_e64 vcc, |v[132:133]|, |v[142:143]|
	v_cndmask_b32_e32 v133, v133, v143, vcc
	v_cndmask_b32_e32 v132, v132, v142, vcc
	;; [unrolled: 1-line block ×3, first 2 shown]
	s_cbranch_scc1 .LBB126_439
.LBB126_440:
	s_waitcnt lgkmcnt(0)
	v_cmp_eq_f64_e32 vcc, 0, v[132:133]
	s_and_saveexec_b64 s[0:1], vcc
	s_xor_b64 s[0:1], exec, s[0:1]
; %bb.441:
	v_cmp_ne_u32_e32 vcc, 0, v140
	v_cndmask_b32_e32 v140, 27, v140, vcc
; %bb.442:
	s_andn2_saveexec_b64 s[0:1], s[0:1]
; %bb.443:
	v_div_scale_f64 v[142:143], s[2:3], v[132:133], v[132:133], 1.0
	v_rcp_f64_e32 v[144:145], v[142:143]
	v_div_scale_f64 v[146:147], vcc, 1.0, v[132:133], 1.0
	v_fma_f64 v[148:149], -v[142:143], v[144:145], 1.0
	v_fmac_f64_e32 v[144:145], v[144:145], v[148:149]
	v_fma_f64 v[148:149], -v[142:143], v[144:145], 1.0
	v_fmac_f64_e32 v[144:145], v[144:145], v[148:149]
	v_mul_f64 v[148:149], v[146:147], v[144:145]
	v_fma_f64 v[142:143], -v[142:143], v[148:149], v[146:147]
	v_div_fmas_f64 v[142:143], v[142:143], v[144:145], v[148:149]
	v_div_fixup_f64 v[132:133], v[142:143], v[132:133], 1.0
; %bb.444:
	s_or_b64 exec, exec, s[0:1]
	v_cmp_ne_u32_e32 vcc, v137, v134
	s_and_saveexec_b64 s[0:1], vcc
	s_xor_b64 s[0:1], exec, s[0:1]
	s_cbranch_execz .LBB126_450
; %bb.445:
	v_cmp_eq_u32_e32 vcc, 26, v137
	s_and_saveexec_b64 s[2:3], vcc
	s_cbranch_execz .LBB126_449
; %bb.446:
	v_cmp_ne_u32_e32 vcc, 26, v134
	s_xor_b64 s[14:15], s[6:7], -1
	s_and_b64 s[16:17], s[14:15], vcc
	s_and_saveexec_b64 s[14:15], s[16:17]
	s_cbranch_execz .LBB126_448
; %bb.447:
	v_ashrrev_i32_e32 v135, 31, v134
	v_lshlrev_b64 v[142:143], 2, v[134:135]
	v_add_co_u32_e32 v142, vcc, v4, v142
	v_addc_co_u32_e32 v143, vcc, v5, v143, vcc
	flat_load_dword v135, v[142:143]
	flat_load_dword v137, v[4:5] offset:104
	s_waitcnt vmcnt(0) lgkmcnt(0)
	flat_store_dword v[4:5], v135 offset:104
	flat_store_dword v[142:143], v137
.LBB126_448:
	s_or_b64 exec, exec, s[14:15]
	v_mov_b32_e32 v135, v134
	v_mov_b32_e32 v137, v134
.LBB126_449:
	s_or_b64 exec, exec, s[2:3]
.LBB126_450:
	s_andn2_saveexec_b64 s[0:1], s[0:1]
	s_cbranch_execz .LBB126_452
; %bb.451:
	v_mov_b32_e32 v137, 26
	ds_write2_b64 v136, v[74:75], v[72:73] offset0:27 offset1:28
	ds_write2_b64 v136, v[70:71], v[68:69] offset0:29 offset1:30
	;; [unrolled: 1-line block ×18, first 2 shown]
	ds_write_b64 v136, v[130:131] offset:504
.LBB126_452:
	s_or_b64 exec, exec, s[0:1]
	v_cmp_lt_i32_e32 vcc, 26, v137
	s_waitcnt lgkmcnt(0)
	s_barrier
	s_and_saveexec_b64 s[0:1], vcc
	s_cbranch_execz .LBB126_454
; %bb.453:
	ds_read2_b64 v[142:145], v136 offset0:27 offset1:28
	ds_read2_b64 v[146:149], v136 offset0:29 offset1:30
	;; [unrolled: 1-line block ×3, first 2 shown]
	v_mul_f64 v[76:77], v[132:133], v[76:77]
	ds_read_b64 v[132:133], v136 offset:504
	s_waitcnt lgkmcnt(0)
	v_fma_f64 v[74:75], -v[76:77], v[142:143], v[74:75]
	v_fma_f64 v[72:73], -v[76:77], v[144:145], v[72:73]
	ds_read2_b64 v[142:145], v136 offset0:33 offset1:34
	v_fma_f64 v[70:71], -v[76:77], v[146:147], v[70:71]
	v_fma_f64 v[68:69], -v[76:77], v[148:149], v[68:69]
	;; [unrolled: 1-line block ×3, first 2 shown]
	ds_read2_b64 v[146:149], v136 offset0:35 offset1:36
	v_fma_f64 v[64:65], -v[76:77], v[152:153], v[64:65]
	ds_read2_b64 v[150:153], v136 offset0:37 offset1:38
	s_waitcnt lgkmcnt(0)
	v_fma_f64 v[62:63], -v[76:77], v[142:143], v[62:63]
	v_fma_f64 v[60:61], -v[76:77], v[144:145], v[60:61]
	;; [unrolled: 1-line block ×3, first 2 shown]
	ds_read2_b64 v[142:145], v136 offset0:39 offset1:40
	v_fma_f64 v[56:57], -v[76:77], v[148:149], v[56:57]
	ds_read2_b64 v[146:149], v136 offset0:41 offset1:42
	v_fma_f64 v[54:55], -v[76:77], v[150:151], v[54:55]
	v_fma_f64 v[52:53], -v[76:77], v[152:153], v[52:53]
	ds_read2_b64 v[150:153], v136 offset0:43 offset1:44
	s_waitcnt lgkmcnt(0)
	v_fma_f64 v[50:51], -v[76:77], v[142:143], v[50:51]
	v_fma_f64 v[48:49], -v[76:77], v[144:145], v[48:49]
	ds_read2_b64 v[142:145], v136 offset0:45 offset1:46
	v_fma_f64 v[46:47], -v[76:77], v[146:147], v[46:47]
	v_fma_f64 v[44:45], -v[76:77], v[148:149], v[44:45]
	;; [unrolled: 1-line block ×3, first 2 shown]
	ds_read2_b64 v[146:149], v136 offset0:47 offset1:48
	v_fma_f64 v[40:41], -v[76:77], v[152:153], v[40:41]
	ds_read2_b64 v[150:153], v136 offset0:49 offset1:50
	s_waitcnt lgkmcnt(0)
	v_fma_f64 v[38:39], -v[76:77], v[142:143], v[38:39]
	v_fma_f64 v[36:37], -v[76:77], v[144:145], v[36:37]
	;; [unrolled: 1-line block ×3, first 2 shown]
	ds_read2_b64 v[142:145], v136 offset0:51 offset1:52
	v_fma_f64 v[32:33], -v[76:77], v[148:149], v[32:33]
	ds_read2_b64 v[146:149], v136 offset0:53 offset1:54
	v_fma_f64 v[30:31], -v[76:77], v[150:151], v[30:31]
	v_fma_f64 v[28:29], -v[76:77], v[152:153], v[28:29]
	ds_read2_b64 v[150:153], v136 offset0:55 offset1:56
	s_waitcnt lgkmcnt(0)
	v_fma_f64 v[26:27], -v[76:77], v[142:143], v[26:27]
	v_fma_f64 v[24:25], -v[76:77], v[144:145], v[24:25]
	ds_read2_b64 v[142:145], v136 offset0:57 offset1:58
	v_fma_f64 v[22:23], -v[76:77], v[146:147], v[22:23]
	v_fma_f64 v[20:21], -v[76:77], v[148:149], v[20:21]
	;; [unrolled: 1-line block ×4, first 2 shown]
	ds_read2_b64 v[146:149], v136 offset0:59 offset1:60
	ds_read2_b64 v[150:153], v136 offset0:61 offset1:62
	s_waitcnt lgkmcnt(0)
	v_fma_f64 v[14:15], -v[76:77], v[142:143], v[14:15]
	v_fma_f64 v[12:13], -v[76:77], v[144:145], v[12:13]
	;; [unrolled: 1-line block ×7, first 2 shown]
.LBB126_454:
	s_or_b64 exec, exec, s[0:1]
	v_lshl_add_u32 v132, v137, 3, v136
	s_barrier
	ds_write_b64 v132, v[74:75]
	s_waitcnt lgkmcnt(0)
	s_barrier
	ds_read_b64 v[132:133], v136 offset:216
	s_cmp_lt_i32 s18, 29
	v_mov_b32_e32 v134, 27
	s_cbranch_scc1 .LBB126_457
; %bb.455:
	v_add_u32_e32 v141, 0xe0, v136
	s_mov_b32 s0, 28
	v_mov_b32_e32 v134, 27
.LBB126_456:                            ; =>This Inner Loop Header: Depth=1
	ds_read_b64 v[142:143], v141
	v_mov_b32_e32 v144, s0
	s_add_i32 s0, s0, 1
	v_add_u32_e32 v141, 8, v141
	s_cmp_lg_u32 s18, s0
	s_waitcnt lgkmcnt(0)
	v_cmp_lt_f64_e64 vcc, |v[132:133]|, |v[142:143]|
	v_cndmask_b32_e32 v133, v133, v143, vcc
	v_cndmask_b32_e32 v132, v132, v142, vcc
	;; [unrolled: 1-line block ×3, first 2 shown]
	s_cbranch_scc1 .LBB126_456
.LBB126_457:
	s_waitcnt lgkmcnt(0)
	v_cmp_eq_f64_e32 vcc, 0, v[132:133]
	s_and_saveexec_b64 s[0:1], vcc
	s_xor_b64 s[0:1], exec, s[0:1]
; %bb.458:
	v_cmp_ne_u32_e32 vcc, 0, v140
	v_cndmask_b32_e32 v140, 28, v140, vcc
; %bb.459:
	s_andn2_saveexec_b64 s[0:1], s[0:1]
; %bb.460:
	v_div_scale_f64 v[142:143], s[2:3], v[132:133], v[132:133], 1.0
	v_rcp_f64_e32 v[144:145], v[142:143]
	v_div_scale_f64 v[146:147], vcc, 1.0, v[132:133], 1.0
	v_fma_f64 v[148:149], -v[142:143], v[144:145], 1.0
	v_fmac_f64_e32 v[144:145], v[144:145], v[148:149]
	v_fma_f64 v[148:149], -v[142:143], v[144:145], 1.0
	v_fmac_f64_e32 v[144:145], v[144:145], v[148:149]
	v_mul_f64 v[148:149], v[146:147], v[144:145]
	v_fma_f64 v[142:143], -v[142:143], v[148:149], v[146:147]
	v_div_fmas_f64 v[142:143], v[142:143], v[144:145], v[148:149]
	v_div_fixup_f64 v[132:133], v[142:143], v[132:133], 1.0
; %bb.461:
	s_or_b64 exec, exec, s[0:1]
	v_cmp_ne_u32_e32 vcc, v137, v134
	s_and_saveexec_b64 s[0:1], vcc
	s_xor_b64 s[0:1], exec, s[0:1]
	s_cbranch_execz .LBB126_467
; %bb.462:
	v_cmp_eq_u32_e32 vcc, 27, v137
	s_and_saveexec_b64 s[2:3], vcc
	s_cbranch_execz .LBB126_466
; %bb.463:
	v_cmp_ne_u32_e32 vcc, 27, v134
	s_xor_b64 s[14:15], s[6:7], -1
	s_and_b64 s[16:17], s[14:15], vcc
	s_and_saveexec_b64 s[14:15], s[16:17]
	s_cbranch_execz .LBB126_465
; %bb.464:
	v_ashrrev_i32_e32 v135, 31, v134
	v_lshlrev_b64 v[142:143], 2, v[134:135]
	v_add_co_u32_e32 v142, vcc, v4, v142
	v_addc_co_u32_e32 v143, vcc, v5, v143, vcc
	flat_load_dword v135, v[142:143]
	flat_load_dword v137, v[4:5] offset:108
	s_waitcnt vmcnt(0) lgkmcnt(0)
	flat_store_dword v[4:5], v135 offset:108
	flat_store_dword v[142:143], v137
.LBB126_465:
	s_or_b64 exec, exec, s[14:15]
	v_mov_b32_e32 v135, v134
	v_mov_b32_e32 v137, v134
.LBB126_466:
	s_or_b64 exec, exec, s[2:3]
.LBB126_467:
	s_andn2_saveexec_b64 s[0:1], s[0:1]
	s_cbranch_execz .LBB126_469
; %bb.468:
	v_mov_b32_e32 v142, v72
	v_mov_b32_e32 v143, v73
	v_mov_b32_e32 v144, v70
	v_mov_b32_e32 v145, v71
	ds_write2_b64 v136, v[142:143], v[144:145] offset0:28 offset1:29
	v_mov_b32_e32 v142, v68
	v_mov_b32_e32 v143, v69
	v_mov_b32_e32 v144, v66
	v_mov_b32_e32 v145, v67
	ds_write2_b64 v136, v[142:143], v[144:145] offset0:30 offset1:31
	v_mov_b32_e32 v142, v64
	v_mov_b32_e32 v143, v65
	v_mov_b32_e32 v144, v62
	v_mov_b32_e32 v145, v63
	ds_write2_b64 v136, v[142:143], v[144:145] offset0:32 offset1:33
	v_mov_b32_e32 v142, v60
	v_mov_b32_e32 v143, v61
	v_mov_b32_e32 v144, v58
	v_mov_b32_e32 v145, v59
	ds_write2_b64 v136, v[142:143], v[144:145] offset0:34 offset1:35
	v_mov_b32_e32 v142, v56
	v_mov_b32_e32 v143, v57
	v_mov_b32_e32 v144, v54
	v_mov_b32_e32 v145, v55
	ds_write2_b64 v136, v[142:143], v[144:145] offset0:36 offset1:37
	v_mov_b32_e32 v142, v52
	v_mov_b32_e32 v143, v53
	v_mov_b32_e32 v144, v50
	v_mov_b32_e32 v145, v51
	ds_write2_b64 v136, v[142:143], v[144:145] offset0:38 offset1:39
	v_mov_b32_e32 v142, v48
	v_mov_b32_e32 v143, v49
	v_mov_b32_e32 v144, v46
	v_mov_b32_e32 v145, v47
	ds_write2_b64 v136, v[142:143], v[144:145] offset0:40 offset1:41
	v_mov_b32_e32 v142, v44
	v_mov_b32_e32 v143, v45
	v_mov_b32_e32 v144, v42
	v_mov_b32_e32 v145, v43
	ds_write2_b64 v136, v[142:143], v[144:145] offset0:42 offset1:43
	v_mov_b32_e32 v142, v40
	v_mov_b32_e32 v143, v41
	v_mov_b32_e32 v144, v38
	v_mov_b32_e32 v145, v39
	ds_write2_b64 v136, v[142:143], v[144:145] offset0:44 offset1:45
	v_mov_b32_e32 v142, v36
	v_mov_b32_e32 v143, v37
	v_mov_b32_e32 v144, v34
	v_mov_b32_e32 v145, v35
	ds_write2_b64 v136, v[142:143], v[144:145] offset0:46 offset1:47
	v_mov_b32_e32 v142, v32
	v_mov_b32_e32 v143, v33
	v_mov_b32_e32 v144, v30
	v_mov_b32_e32 v145, v31
	ds_write2_b64 v136, v[142:143], v[144:145] offset0:48 offset1:49
	v_mov_b32_e32 v142, v28
	v_mov_b32_e32 v143, v29
	v_mov_b32_e32 v144, v26
	v_mov_b32_e32 v145, v27
	ds_write2_b64 v136, v[142:143], v[144:145] offset0:50 offset1:51
	v_mov_b32_e32 v142, v24
	v_mov_b32_e32 v143, v25
	v_mov_b32_e32 v144, v22
	v_mov_b32_e32 v145, v23
	ds_write2_b64 v136, v[142:143], v[144:145] offset0:52 offset1:53
	v_mov_b32_e32 v142, v20
	v_mov_b32_e32 v143, v21
	v_mov_b32_e32 v144, v18
	v_mov_b32_e32 v145, v19
	ds_write2_b64 v136, v[142:143], v[144:145] offset0:54 offset1:55
	v_mov_b32_e32 v142, v16
	v_mov_b32_e32 v143, v17
	v_mov_b32_e32 v144, v14
	v_mov_b32_e32 v145, v15
	ds_write2_b64 v136, v[142:143], v[144:145] offset0:56 offset1:57
	v_mov_b32_e32 v142, v12
	v_mov_b32_e32 v143, v13
	v_mov_b32_e32 v144, v10
	v_mov_b32_e32 v145, v11
	ds_write2_b64 v136, v[142:143], v[144:145] offset0:58 offset1:59
	v_mov_b32_e32 v142, v8
	v_mov_b32_e32 v143, v9
	v_mov_b32_e32 v144, v6
	v_mov_b32_e32 v145, v7
	ds_write2_b64 v136, v[142:143], v[144:145] offset0:60 offset1:61
	v_mov_b32_e32 v142, v0
	v_mov_b32_e32 v143, v1
	;; [unrolled: 1-line block ×3, first 2 shown]
	ds_write2_b64 v136, v[142:143], v[130:131] offset0:62 offset1:63
.LBB126_469:
	s_or_b64 exec, exec, s[0:1]
	v_cmp_lt_i32_e32 vcc, 27, v137
	s_waitcnt lgkmcnt(0)
	s_barrier
	s_and_saveexec_b64 s[0:1], vcc
	s_cbranch_execz .LBB126_471
; %bb.470:
	ds_read2_b64 v[142:145], v136 offset0:28 offset1:29
	ds_read2_b64 v[146:149], v136 offset0:30 offset1:31
	ds_read2_b64 v[150:153], v136 offset0:32 offset1:33
	v_mul_f64 v[74:75], v[132:133], v[74:75]
	s_waitcnt lgkmcnt(0)
	v_fma_f64 v[72:73], -v[74:75], v[142:143], v[72:73]
	v_fma_f64 v[70:71], -v[74:75], v[144:145], v[70:71]
	ds_read2_b64 v[142:145], v136 offset0:34 offset1:35
	v_fma_f64 v[68:69], -v[74:75], v[146:147], v[68:69]
	v_fma_f64 v[66:67], -v[74:75], v[148:149], v[66:67]
	;; [unrolled: 1-line block ×3, first 2 shown]
	ds_read2_b64 v[146:149], v136 offset0:36 offset1:37
	v_fma_f64 v[62:63], -v[74:75], v[152:153], v[62:63]
	ds_read2_b64 v[150:153], v136 offset0:38 offset1:39
	s_waitcnt lgkmcnt(0)
	v_fma_f64 v[60:61], -v[74:75], v[142:143], v[60:61]
	v_fma_f64 v[58:59], -v[74:75], v[144:145], v[58:59]
	;; [unrolled: 1-line block ×3, first 2 shown]
	ds_read2_b64 v[142:145], v136 offset0:40 offset1:41
	v_fma_f64 v[54:55], -v[74:75], v[148:149], v[54:55]
	ds_read2_b64 v[146:149], v136 offset0:42 offset1:43
	v_fma_f64 v[52:53], -v[74:75], v[150:151], v[52:53]
	v_fma_f64 v[50:51], -v[74:75], v[152:153], v[50:51]
	ds_read2_b64 v[150:153], v136 offset0:44 offset1:45
	s_waitcnt lgkmcnt(0)
	v_fma_f64 v[48:49], -v[74:75], v[142:143], v[48:49]
	v_fma_f64 v[46:47], -v[74:75], v[144:145], v[46:47]
	ds_read2_b64 v[142:145], v136 offset0:46 offset1:47
	v_fma_f64 v[44:45], -v[74:75], v[146:147], v[44:45]
	v_fma_f64 v[42:43], -v[74:75], v[148:149], v[42:43]
	v_fma_f64 v[40:41], -v[74:75], v[150:151], v[40:41]
	ds_read2_b64 v[146:149], v136 offset0:48 offset1:49
	v_fma_f64 v[38:39], -v[74:75], v[152:153], v[38:39]
	ds_read2_b64 v[150:153], v136 offset0:50 offset1:51
	s_waitcnt lgkmcnt(0)
	v_fma_f64 v[36:37], -v[74:75], v[142:143], v[36:37]
	v_fma_f64 v[34:35], -v[74:75], v[144:145], v[34:35]
	;; [unrolled: 1-line block ×3, first 2 shown]
	ds_read2_b64 v[142:145], v136 offset0:52 offset1:53
	v_fma_f64 v[30:31], -v[74:75], v[148:149], v[30:31]
	ds_read2_b64 v[146:149], v136 offset0:54 offset1:55
	v_fma_f64 v[28:29], -v[74:75], v[150:151], v[28:29]
	v_fma_f64 v[26:27], -v[74:75], v[152:153], v[26:27]
	ds_read2_b64 v[150:153], v136 offset0:56 offset1:57
	s_waitcnt lgkmcnt(0)
	v_fma_f64 v[24:25], -v[74:75], v[142:143], v[24:25]
	v_fma_f64 v[22:23], -v[74:75], v[144:145], v[22:23]
	ds_read2_b64 v[142:145], v136 offset0:58 offset1:59
	v_fma_f64 v[20:21], -v[74:75], v[146:147], v[20:21]
	v_fma_f64 v[18:19], -v[74:75], v[148:149], v[18:19]
	;; [unrolled: 1-line block ×3, first 2 shown]
	ds_read2_b64 v[146:149], v136 offset0:60 offset1:61
	v_fma_f64 v[14:15], -v[74:75], v[152:153], v[14:15]
	ds_read2_b64 v[150:153], v136 offset0:62 offset1:63
	s_waitcnt lgkmcnt(0)
	v_fma_f64 v[12:13], -v[74:75], v[142:143], v[12:13]
	v_fma_f64 v[10:11], -v[74:75], v[144:145], v[10:11]
	;; [unrolled: 1-line block ×6, first 2 shown]
.LBB126_471:
	s_or_b64 exec, exec, s[0:1]
	v_lshl_add_u32 v132, v137, 3, v136
	s_barrier
	ds_write_b64 v132, v[72:73]
	s_waitcnt lgkmcnt(0)
	s_barrier
	ds_read_b64 v[132:133], v136 offset:224
	s_cmp_lt_i32 s18, 30
	v_mov_b32_e32 v134, 28
	s_cbranch_scc1 .LBB126_474
; %bb.472:
	v_add_u32_e32 v141, 0xe8, v136
	s_mov_b32 s0, 29
	v_mov_b32_e32 v134, 28
.LBB126_473:                            ; =>This Inner Loop Header: Depth=1
	ds_read_b64 v[142:143], v141
	v_mov_b32_e32 v144, s0
	s_add_i32 s0, s0, 1
	v_add_u32_e32 v141, 8, v141
	s_cmp_lg_u32 s18, s0
	s_waitcnt lgkmcnt(0)
	v_cmp_lt_f64_e64 vcc, |v[132:133]|, |v[142:143]|
	v_cndmask_b32_e32 v133, v133, v143, vcc
	v_cndmask_b32_e32 v132, v132, v142, vcc
	;; [unrolled: 1-line block ×3, first 2 shown]
	s_cbranch_scc1 .LBB126_473
.LBB126_474:
	s_waitcnt lgkmcnt(0)
	v_cmp_eq_f64_e32 vcc, 0, v[132:133]
	s_and_saveexec_b64 s[0:1], vcc
	s_xor_b64 s[0:1], exec, s[0:1]
; %bb.475:
	v_cmp_ne_u32_e32 vcc, 0, v140
	v_cndmask_b32_e32 v140, 29, v140, vcc
; %bb.476:
	s_andn2_saveexec_b64 s[0:1], s[0:1]
; %bb.477:
	v_div_scale_f64 v[142:143], s[2:3], v[132:133], v[132:133], 1.0
	v_rcp_f64_e32 v[144:145], v[142:143]
	v_div_scale_f64 v[146:147], vcc, 1.0, v[132:133], 1.0
	v_fma_f64 v[148:149], -v[142:143], v[144:145], 1.0
	v_fmac_f64_e32 v[144:145], v[144:145], v[148:149]
	v_fma_f64 v[148:149], -v[142:143], v[144:145], 1.0
	v_fmac_f64_e32 v[144:145], v[144:145], v[148:149]
	v_mul_f64 v[148:149], v[146:147], v[144:145]
	v_fma_f64 v[142:143], -v[142:143], v[148:149], v[146:147]
	v_div_fmas_f64 v[142:143], v[142:143], v[144:145], v[148:149]
	v_div_fixup_f64 v[132:133], v[142:143], v[132:133], 1.0
; %bb.478:
	s_or_b64 exec, exec, s[0:1]
	v_cmp_ne_u32_e32 vcc, v137, v134
	s_and_saveexec_b64 s[0:1], vcc
	s_xor_b64 s[0:1], exec, s[0:1]
	s_cbranch_execz .LBB126_484
; %bb.479:
	v_cmp_eq_u32_e32 vcc, 28, v137
	s_and_saveexec_b64 s[2:3], vcc
	s_cbranch_execz .LBB126_483
; %bb.480:
	v_cmp_ne_u32_e32 vcc, 28, v134
	s_xor_b64 s[14:15], s[6:7], -1
	s_and_b64 s[16:17], s[14:15], vcc
	s_and_saveexec_b64 s[14:15], s[16:17]
	s_cbranch_execz .LBB126_482
; %bb.481:
	v_ashrrev_i32_e32 v135, 31, v134
	v_lshlrev_b64 v[142:143], 2, v[134:135]
	v_add_co_u32_e32 v142, vcc, v4, v142
	v_addc_co_u32_e32 v143, vcc, v5, v143, vcc
	flat_load_dword v135, v[142:143]
	flat_load_dword v137, v[4:5] offset:112
	s_waitcnt vmcnt(0) lgkmcnt(0)
	flat_store_dword v[4:5], v135 offset:112
	flat_store_dword v[142:143], v137
.LBB126_482:
	s_or_b64 exec, exec, s[14:15]
	v_mov_b32_e32 v135, v134
	v_mov_b32_e32 v137, v134
.LBB126_483:
	s_or_b64 exec, exec, s[2:3]
.LBB126_484:
	s_andn2_saveexec_b64 s[0:1], s[0:1]
	s_cbranch_execz .LBB126_486
; %bb.485:
	v_mov_b32_e32 v137, 28
	ds_write2_b64 v136, v[70:71], v[68:69] offset0:29 offset1:30
	ds_write2_b64 v136, v[66:67], v[64:65] offset0:31 offset1:32
	;; [unrolled: 1-line block ×17, first 2 shown]
	ds_write_b64 v136, v[130:131] offset:504
.LBB126_486:
	s_or_b64 exec, exec, s[0:1]
	v_cmp_lt_i32_e32 vcc, 28, v137
	s_waitcnt lgkmcnt(0)
	s_barrier
	s_and_saveexec_b64 s[0:1], vcc
	s_cbranch_execz .LBB126_488
; %bb.487:
	ds_read2_b64 v[142:145], v136 offset0:29 offset1:30
	ds_read2_b64 v[146:149], v136 offset0:31 offset1:32
	v_mul_f64 v[72:73], v[132:133], v[72:73]
	ds_read2_b64 v[150:153], v136 offset0:33 offset1:34
	ds_read_b64 v[132:133], v136 offset:504
	s_waitcnt lgkmcnt(0)
	v_fma_f64 v[70:71], -v[72:73], v[142:143], v[70:71]
	v_fma_f64 v[68:69], -v[72:73], v[144:145], v[68:69]
	ds_read2_b64 v[142:145], v136 offset0:35 offset1:36
	v_fma_f64 v[66:67], -v[72:73], v[146:147], v[66:67]
	v_fma_f64 v[64:65], -v[72:73], v[148:149], v[64:65]
	ds_read2_b64 v[146:149], v136 offset0:37 offset1:38
	v_fma_f64 v[62:63], -v[72:73], v[150:151], v[62:63]
	v_fma_f64 v[60:61], -v[72:73], v[152:153], v[60:61]
	ds_read2_b64 v[150:153], v136 offset0:39 offset1:40
	s_waitcnt lgkmcnt(0)
	v_fma_f64 v[58:59], -v[72:73], v[142:143], v[58:59]
	v_fma_f64 v[56:57], -v[72:73], v[144:145], v[56:57]
	;; [unrolled: 1-line block ×3, first 2 shown]
	ds_read2_b64 v[142:145], v136 offset0:41 offset1:42
	v_fma_f64 v[52:53], -v[72:73], v[148:149], v[52:53]
	ds_read2_b64 v[146:149], v136 offset0:43 offset1:44
	v_fma_f64 v[50:51], -v[72:73], v[150:151], v[50:51]
	v_fma_f64 v[48:49], -v[72:73], v[152:153], v[48:49]
	s_waitcnt lgkmcnt(0)
	v_fma_f64 v[46:47], -v[72:73], v[142:143], v[46:47]
	ds_read2_b64 v[150:153], v136 offset0:45 offset1:46
	v_fma_f64 v[44:45], -v[72:73], v[144:145], v[44:45]
	ds_read2_b64 v[142:145], v136 offset0:47 offset1:48
	v_fma_f64 v[42:43], -v[72:73], v[146:147], v[42:43]
	v_fma_f64 v[40:41], -v[72:73], v[148:149], v[40:41]
	ds_read2_b64 v[146:149], v136 offset0:49 offset1:50
	s_waitcnt lgkmcnt(0)
	v_fma_f64 v[38:39], -v[72:73], v[150:151], v[38:39]
	v_fma_f64 v[36:37], -v[72:73], v[152:153], v[36:37]
	ds_read2_b64 v[150:153], v136 offset0:51 offset1:52
	v_fma_f64 v[34:35], -v[72:73], v[142:143], v[34:35]
	v_fma_f64 v[32:33], -v[72:73], v[144:145], v[32:33]
	v_fma_f64 v[30:31], -v[72:73], v[146:147], v[30:31]
	ds_read2_b64 v[142:145], v136 offset0:53 offset1:54
	v_fma_f64 v[28:29], -v[72:73], v[148:149], v[28:29]
	ds_read2_b64 v[146:149], v136 offset0:55 offset1:56
	s_waitcnt lgkmcnt(0)
	v_fma_f64 v[26:27], -v[72:73], v[150:151], v[26:27]
	v_fma_f64 v[24:25], -v[72:73], v[152:153], v[24:25]
	;; [unrolled: 1-line block ×3, first 2 shown]
	ds_read2_b64 v[150:153], v136 offset0:57 offset1:58
	v_fma_f64 v[20:21], -v[72:73], v[144:145], v[20:21]
	ds_read2_b64 v[142:145], v136 offset0:59 offset1:60
	v_fma_f64 v[18:19], -v[72:73], v[146:147], v[18:19]
	v_fma_f64 v[16:17], -v[72:73], v[148:149], v[16:17]
	ds_read2_b64 v[146:149], v136 offset0:61 offset1:62
	s_waitcnt lgkmcnt(0)
	v_fma_f64 v[14:15], -v[72:73], v[150:151], v[14:15]
	v_fma_f64 v[12:13], -v[72:73], v[152:153], v[12:13]
	;; [unrolled: 1-line block ×7, first 2 shown]
.LBB126_488:
	s_or_b64 exec, exec, s[0:1]
	v_lshl_add_u32 v132, v137, 3, v136
	s_barrier
	ds_write_b64 v132, v[70:71]
	s_waitcnt lgkmcnt(0)
	s_barrier
	ds_read_b64 v[132:133], v136 offset:232
	s_cmp_lt_i32 s18, 31
	v_mov_b32_e32 v134, 29
	s_cbranch_scc1 .LBB126_491
; %bb.489:
	v_add_u32_e32 v141, 0xf0, v136
	s_mov_b32 s0, 30
	v_mov_b32_e32 v134, 29
.LBB126_490:                            ; =>This Inner Loop Header: Depth=1
	ds_read_b64 v[142:143], v141
	v_mov_b32_e32 v144, s0
	s_add_i32 s0, s0, 1
	v_add_u32_e32 v141, 8, v141
	s_cmp_lg_u32 s18, s0
	s_waitcnt lgkmcnt(0)
	v_cmp_lt_f64_e64 vcc, |v[132:133]|, |v[142:143]|
	v_cndmask_b32_e32 v133, v133, v143, vcc
	v_cndmask_b32_e32 v132, v132, v142, vcc
	;; [unrolled: 1-line block ×3, first 2 shown]
	s_cbranch_scc1 .LBB126_490
.LBB126_491:
	s_waitcnt lgkmcnt(0)
	v_cmp_eq_f64_e32 vcc, 0, v[132:133]
	s_and_saveexec_b64 s[0:1], vcc
	s_xor_b64 s[0:1], exec, s[0:1]
; %bb.492:
	v_cmp_ne_u32_e32 vcc, 0, v140
	v_cndmask_b32_e32 v140, 30, v140, vcc
; %bb.493:
	s_andn2_saveexec_b64 s[0:1], s[0:1]
; %bb.494:
	v_div_scale_f64 v[142:143], s[2:3], v[132:133], v[132:133], 1.0
	v_rcp_f64_e32 v[144:145], v[142:143]
	v_div_scale_f64 v[146:147], vcc, 1.0, v[132:133], 1.0
	v_fma_f64 v[148:149], -v[142:143], v[144:145], 1.0
	v_fmac_f64_e32 v[144:145], v[144:145], v[148:149]
	v_fma_f64 v[148:149], -v[142:143], v[144:145], 1.0
	v_fmac_f64_e32 v[144:145], v[144:145], v[148:149]
	v_mul_f64 v[148:149], v[146:147], v[144:145]
	v_fma_f64 v[142:143], -v[142:143], v[148:149], v[146:147]
	v_div_fmas_f64 v[142:143], v[142:143], v[144:145], v[148:149]
	v_div_fixup_f64 v[132:133], v[142:143], v[132:133], 1.0
; %bb.495:
	s_or_b64 exec, exec, s[0:1]
	v_cmp_ne_u32_e32 vcc, v137, v134
	s_and_saveexec_b64 s[0:1], vcc
	s_xor_b64 s[0:1], exec, s[0:1]
	s_cbranch_execz .LBB126_501
; %bb.496:
	v_cmp_eq_u32_e32 vcc, 29, v137
	s_and_saveexec_b64 s[2:3], vcc
	s_cbranch_execz .LBB126_500
; %bb.497:
	v_cmp_ne_u32_e32 vcc, 29, v134
	s_xor_b64 s[14:15], s[6:7], -1
	s_and_b64 s[16:17], s[14:15], vcc
	s_and_saveexec_b64 s[14:15], s[16:17]
	s_cbranch_execz .LBB126_499
; %bb.498:
	v_ashrrev_i32_e32 v135, 31, v134
	v_lshlrev_b64 v[142:143], 2, v[134:135]
	v_add_co_u32_e32 v142, vcc, v4, v142
	v_addc_co_u32_e32 v143, vcc, v5, v143, vcc
	flat_load_dword v135, v[142:143]
	flat_load_dword v137, v[4:5] offset:116
	s_waitcnt vmcnt(0) lgkmcnt(0)
	flat_store_dword v[4:5], v135 offset:116
	flat_store_dword v[142:143], v137
.LBB126_499:
	s_or_b64 exec, exec, s[14:15]
	v_mov_b32_e32 v135, v134
	v_mov_b32_e32 v137, v134
.LBB126_500:
	s_or_b64 exec, exec, s[2:3]
.LBB126_501:
	s_andn2_saveexec_b64 s[0:1], s[0:1]
	s_cbranch_execz .LBB126_503
; %bb.502:
	v_mov_b32_e32 v142, v68
	v_mov_b32_e32 v143, v69
	v_mov_b32_e32 v144, v66
	v_mov_b32_e32 v145, v67
	ds_write2_b64 v136, v[142:143], v[144:145] offset0:30 offset1:31
	v_mov_b32_e32 v142, v64
	v_mov_b32_e32 v143, v65
	v_mov_b32_e32 v144, v62
	v_mov_b32_e32 v145, v63
	ds_write2_b64 v136, v[142:143], v[144:145] offset0:32 offset1:33
	;; [unrolled: 5-line block ×16, first 2 shown]
	v_mov_b32_e32 v142, v0
	v_mov_b32_e32 v143, v1
	;; [unrolled: 1-line block ×3, first 2 shown]
	ds_write2_b64 v136, v[142:143], v[130:131] offset0:62 offset1:63
.LBB126_503:
	s_or_b64 exec, exec, s[0:1]
	v_cmp_lt_i32_e32 vcc, 29, v137
	s_waitcnt lgkmcnt(0)
	s_barrier
	s_and_saveexec_b64 s[0:1], vcc
	s_cbranch_execz .LBB126_505
; %bb.504:
	ds_read2_b64 v[142:145], v136 offset0:30 offset1:31
	ds_read2_b64 v[146:149], v136 offset0:32 offset1:33
	v_mul_f64 v[70:71], v[132:133], v[70:71]
	ds_read2_b64 v[150:153], v136 offset0:34 offset1:35
	s_waitcnt lgkmcnt(0)
	v_fma_f64 v[68:69], -v[70:71], v[142:143], v[68:69]
	v_fma_f64 v[66:67], -v[70:71], v[144:145], v[66:67]
	ds_read2_b64 v[142:145], v136 offset0:36 offset1:37
	v_fma_f64 v[64:65], -v[70:71], v[146:147], v[64:65]
	v_fma_f64 v[62:63], -v[70:71], v[148:149], v[62:63]
	ds_read2_b64 v[146:149], v136 offset0:38 offset1:39
	;; [unrolled: 3-line block ×3, first 2 shown]
	s_waitcnt lgkmcnt(0)
	v_fma_f64 v[56:57], -v[70:71], v[142:143], v[56:57]
	v_fma_f64 v[54:55], -v[70:71], v[144:145], v[54:55]
	;; [unrolled: 1-line block ×3, first 2 shown]
	ds_read2_b64 v[142:145], v136 offset0:42 offset1:43
	v_fma_f64 v[50:51], -v[70:71], v[148:149], v[50:51]
	ds_read2_b64 v[146:149], v136 offset0:44 offset1:45
	v_fma_f64 v[48:49], -v[70:71], v[150:151], v[48:49]
	v_fma_f64 v[46:47], -v[70:71], v[152:153], v[46:47]
	s_waitcnt lgkmcnt(0)
	v_fma_f64 v[44:45], -v[70:71], v[142:143], v[44:45]
	ds_read2_b64 v[150:153], v136 offset0:46 offset1:47
	v_fma_f64 v[42:43], -v[70:71], v[144:145], v[42:43]
	ds_read2_b64 v[142:145], v136 offset0:48 offset1:49
	v_fma_f64 v[40:41], -v[70:71], v[146:147], v[40:41]
	v_fma_f64 v[38:39], -v[70:71], v[148:149], v[38:39]
	ds_read2_b64 v[146:149], v136 offset0:50 offset1:51
	s_waitcnt lgkmcnt(0)
	v_fma_f64 v[36:37], -v[70:71], v[150:151], v[36:37]
	v_fma_f64 v[34:35], -v[70:71], v[152:153], v[34:35]
	ds_read2_b64 v[150:153], v136 offset0:52 offset1:53
	v_fma_f64 v[32:33], -v[70:71], v[142:143], v[32:33]
	v_fma_f64 v[30:31], -v[70:71], v[144:145], v[30:31]
	;; [unrolled: 1-line block ×3, first 2 shown]
	ds_read2_b64 v[142:145], v136 offset0:54 offset1:55
	v_fma_f64 v[26:27], -v[70:71], v[148:149], v[26:27]
	ds_read2_b64 v[146:149], v136 offset0:56 offset1:57
	s_waitcnt lgkmcnt(0)
	v_fma_f64 v[24:25], -v[70:71], v[150:151], v[24:25]
	v_fma_f64 v[22:23], -v[70:71], v[152:153], v[22:23]
	;; [unrolled: 1-line block ×4, first 2 shown]
	ds_read2_b64 v[142:145], v136 offset0:58 offset1:59
	ds_read2_b64 v[150:153], v136 offset0:60 offset1:61
	v_fma_f64 v[16:17], -v[70:71], v[146:147], v[16:17]
	v_fma_f64 v[14:15], -v[70:71], v[148:149], v[14:15]
	ds_read2_b64 v[146:149], v136 offset0:62 offset1:63
	s_waitcnt lgkmcnt(0)
	v_fma_f64 v[12:13], -v[70:71], v[142:143], v[12:13]
	v_fma_f64 v[10:11], -v[70:71], v[144:145], v[10:11]
	;; [unrolled: 1-line block ×6, first 2 shown]
.LBB126_505:
	s_or_b64 exec, exec, s[0:1]
	v_lshl_add_u32 v132, v137, 3, v136
	s_barrier
	ds_write_b64 v132, v[68:69]
	s_waitcnt lgkmcnt(0)
	s_barrier
	ds_read_b64 v[132:133], v136 offset:240
	s_cmp_lt_i32 s18, 32
	v_mov_b32_e32 v134, 30
	s_cbranch_scc1 .LBB126_508
; %bb.506:
	v_add_u32_e32 v141, 0xf8, v136
	s_mov_b32 s0, 31
	v_mov_b32_e32 v134, 30
.LBB126_507:                            ; =>This Inner Loop Header: Depth=1
	ds_read_b64 v[142:143], v141
	v_mov_b32_e32 v144, s0
	s_add_i32 s0, s0, 1
	v_add_u32_e32 v141, 8, v141
	s_cmp_lg_u32 s18, s0
	s_waitcnt lgkmcnt(0)
	v_cmp_lt_f64_e64 vcc, |v[132:133]|, |v[142:143]|
	v_cndmask_b32_e32 v133, v133, v143, vcc
	v_cndmask_b32_e32 v132, v132, v142, vcc
	;; [unrolled: 1-line block ×3, first 2 shown]
	s_cbranch_scc1 .LBB126_507
.LBB126_508:
	s_waitcnt lgkmcnt(0)
	v_cmp_eq_f64_e32 vcc, 0, v[132:133]
	s_and_saveexec_b64 s[0:1], vcc
	s_xor_b64 s[0:1], exec, s[0:1]
; %bb.509:
	v_cmp_ne_u32_e32 vcc, 0, v140
	v_cndmask_b32_e32 v140, 31, v140, vcc
; %bb.510:
	s_andn2_saveexec_b64 s[0:1], s[0:1]
; %bb.511:
	v_div_scale_f64 v[142:143], s[2:3], v[132:133], v[132:133], 1.0
	v_rcp_f64_e32 v[144:145], v[142:143]
	v_div_scale_f64 v[146:147], vcc, 1.0, v[132:133], 1.0
	v_fma_f64 v[148:149], -v[142:143], v[144:145], 1.0
	v_fmac_f64_e32 v[144:145], v[144:145], v[148:149]
	v_fma_f64 v[148:149], -v[142:143], v[144:145], 1.0
	v_fmac_f64_e32 v[144:145], v[144:145], v[148:149]
	v_mul_f64 v[148:149], v[146:147], v[144:145]
	v_fma_f64 v[142:143], -v[142:143], v[148:149], v[146:147]
	v_div_fmas_f64 v[142:143], v[142:143], v[144:145], v[148:149]
	v_div_fixup_f64 v[132:133], v[142:143], v[132:133], 1.0
; %bb.512:
	s_or_b64 exec, exec, s[0:1]
	v_cmp_ne_u32_e32 vcc, v137, v134
	s_and_saveexec_b64 s[0:1], vcc
	s_xor_b64 s[0:1], exec, s[0:1]
	s_cbranch_execz .LBB126_518
; %bb.513:
	v_cmp_eq_u32_e32 vcc, 30, v137
	s_and_saveexec_b64 s[2:3], vcc
	s_cbranch_execz .LBB126_517
; %bb.514:
	v_cmp_ne_u32_e32 vcc, 30, v134
	s_xor_b64 s[14:15], s[6:7], -1
	s_and_b64 s[16:17], s[14:15], vcc
	s_and_saveexec_b64 s[14:15], s[16:17]
	s_cbranch_execz .LBB126_516
; %bb.515:
	v_ashrrev_i32_e32 v135, 31, v134
	v_lshlrev_b64 v[142:143], 2, v[134:135]
	v_add_co_u32_e32 v142, vcc, v4, v142
	v_addc_co_u32_e32 v143, vcc, v5, v143, vcc
	flat_load_dword v135, v[142:143]
	flat_load_dword v137, v[4:5] offset:120
	s_waitcnt vmcnt(0) lgkmcnt(0)
	flat_store_dword v[4:5], v135 offset:120
	flat_store_dword v[142:143], v137
.LBB126_516:
	s_or_b64 exec, exec, s[14:15]
	v_mov_b32_e32 v135, v134
	v_mov_b32_e32 v137, v134
.LBB126_517:
	s_or_b64 exec, exec, s[2:3]
.LBB126_518:
	s_andn2_saveexec_b64 s[0:1], s[0:1]
	s_cbranch_execz .LBB126_520
; %bb.519:
	v_mov_b32_e32 v137, 30
	ds_write2_b64 v136, v[66:67], v[64:65] offset0:31 offset1:32
	ds_write2_b64 v136, v[62:63], v[60:61] offset0:33 offset1:34
	;; [unrolled: 1-line block ×16, first 2 shown]
	ds_write_b64 v136, v[130:131] offset:504
.LBB126_520:
	s_or_b64 exec, exec, s[0:1]
	v_cmp_lt_i32_e32 vcc, 30, v137
	s_waitcnt lgkmcnt(0)
	s_barrier
	s_and_saveexec_b64 s[0:1], vcc
	s_cbranch_execz .LBB126_522
; %bb.521:
	ds_read2_b64 v[142:145], v136 offset0:31 offset1:32
	ds_read2_b64 v[146:149], v136 offset0:33 offset1:34
	v_mul_f64 v[68:69], v[132:133], v[68:69]
	ds_read2_b64 v[150:153], v136 offset0:35 offset1:36
	ds_read_b64 v[132:133], v136 offset:504
	s_waitcnt lgkmcnt(0)
	v_fma_f64 v[66:67], -v[68:69], v[142:143], v[66:67]
	v_fma_f64 v[64:65], -v[68:69], v[144:145], v[64:65]
	ds_read2_b64 v[142:145], v136 offset0:37 offset1:38
	v_fma_f64 v[62:63], -v[68:69], v[146:147], v[62:63]
	v_fma_f64 v[60:61], -v[68:69], v[148:149], v[60:61]
	;; [unrolled: 1-line block ×3, first 2 shown]
	ds_read2_b64 v[146:149], v136 offset0:39 offset1:40
	v_fma_f64 v[56:57], -v[68:69], v[152:153], v[56:57]
	ds_read2_b64 v[150:153], v136 offset0:41 offset1:42
	s_waitcnt lgkmcnt(0)
	v_fma_f64 v[54:55], -v[68:69], v[142:143], v[54:55]
	v_fma_f64 v[52:53], -v[68:69], v[144:145], v[52:53]
	ds_read2_b64 v[142:145], v136 offset0:43 offset1:44
	v_fma_f64 v[50:51], -v[68:69], v[146:147], v[50:51]
	v_fma_f64 v[48:49], -v[68:69], v[148:149], v[48:49]
	ds_read2_b64 v[146:149], v136 offset0:45 offset1:46
	v_fma_f64 v[46:47], -v[68:69], v[150:151], v[46:47]
	v_fma_f64 v[44:45], -v[68:69], v[152:153], v[44:45]
	s_waitcnt lgkmcnt(0)
	v_fma_f64 v[42:43], -v[68:69], v[142:143], v[42:43]
	ds_read2_b64 v[150:153], v136 offset0:47 offset1:48
	v_fma_f64 v[40:41], -v[68:69], v[144:145], v[40:41]
	ds_read2_b64 v[142:145], v136 offset0:49 offset1:50
	v_fma_f64 v[38:39], -v[68:69], v[146:147], v[38:39]
	v_fma_f64 v[36:37], -v[68:69], v[148:149], v[36:37]
	s_waitcnt lgkmcnt(0)
	v_fma_f64 v[34:35], -v[68:69], v[150:151], v[34:35]
	ds_read2_b64 v[146:149], v136 offset0:51 offset1:52
	v_fma_f64 v[32:33], -v[68:69], v[152:153], v[32:33]
	ds_read2_b64 v[150:153], v136 offset0:53 offset1:54
	v_fma_f64 v[30:31], -v[68:69], v[142:143], v[30:31]
	v_fma_f64 v[28:29], -v[68:69], v[144:145], v[28:29]
	ds_read2_b64 v[142:145], v136 offset0:55 offset1:56
	s_waitcnt lgkmcnt(0)
	v_fma_f64 v[26:27], -v[68:69], v[146:147], v[26:27]
	v_fma_f64 v[24:25], -v[68:69], v[148:149], v[24:25]
	ds_read2_b64 v[146:149], v136 offset0:57 offset1:58
	v_fma_f64 v[22:23], -v[68:69], v[150:151], v[22:23]
	v_fma_f64 v[20:21], -v[68:69], v[152:153], v[20:21]
	;; [unrolled: 1-line block ×4, first 2 shown]
	ds_read2_b64 v[142:145], v136 offset0:59 offset1:60
	ds_read2_b64 v[150:153], v136 offset0:61 offset1:62
	s_waitcnt lgkmcnt(0)
	v_fma_f64 v[14:15], -v[68:69], v[146:147], v[14:15]
	v_fma_f64 v[12:13], -v[68:69], v[148:149], v[12:13]
	;; [unrolled: 1-line block ×7, first 2 shown]
.LBB126_522:
	s_or_b64 exec, exec, s[0:1]
	v_lshl_add_u32 v132, v137, 3, v136
	s_barrier
	ds_write_b64 v132, v[66:67]
	s_waitcnt lgkmcnt(0)
	s_barrier
	ds_read_b64 v[132:133], v136 offset:248
	s_cmp_lt_i32 s18, 33
	v_mov_b32_e32 v134, 31
	s_cbranch_scc1 .LBB126_525
; %bb.523:
	v_add_u32_e32 v141, 0x100, v136
	s_mov_b32 s0, 32
	v_mov_b32_e32 v134, 31
.LBB126_524:                            ; =>This Inner Loop Header: Depth=1
	ds_read_b64 v[142:143], v141
	v_mov_b32_e32 v144, s0
	s_add_i32 s0, s0, 1
	v_add_u32_e32 v141, 8, v141
	s_cmp_lg_u32 s18, s0
	s_waitcnt lgkmcnt(0)
	v_cmp_lt_f64_e64 vcc, |v[132:133]|, |v[142:143]|
	v_cndmask_b32_e32 v133, v133, v143, vcc
	v_cndmask_b32_e32 v132, v132, v142, vcc
	;; [unrolled: 1-line block ×3, first 2 shown]
	s_cbranch_scc1 .LBB126_524
.LBB126_525:
	s_waitcnt lgkmcnt(0)
	v_cmp_eq_f64_e32 vcc, 0, v[132:133]
	s_and_saveexec_b64 s[0:1], vcc
	s_xor_b64 s[0:1], exec, s[0:1]
; %bb.526:
	v_cmp_ne_u32_e32 vcc, 0, v140
	v_cndmask_b32_e32 v140, 32, v140, vcc
; %bb.527:
	s_andn2_saveexec_b64 s[0:1], s[0:1]
; %bb.528:
	v_div_scale_f64 v[142:143], s[2:3], v[132:133], v[132:133], 1.0
	v_rcp_f64_e32 v[144:145], v[142:143]
	v_div_scale_f64 v[146:147], vcc, 1.0, v[132:133], 1.0
	v_fma_f64 v[148:149], -v[142:143], v[144:145], 1.0
	v_fmac_f64_e32 v[144:145], v[144:145], v[148:149]
	v_fma_f64 v[148:149], -v[142:143], v[144:145], 1.0
	v_fmac_f64_e32 v[144:145], v[144:145], v[148:149]
	v_mul_f64 v[148:149], v[146:147], v[144:145]
	v_fma_f64 v[142:143], -v[142:143], v[148:149], v[146:147]
	v_div_fmas_f64 v[142:143], v[142:143], v[144:145], v[148:149]
	v_div_fixup_f64 v[132:133], v[142:143], v[132:133], 1.0
; %bb.529:
	s_or_b64 exec, exec, s[0:1]
	v_cmp_ne_u32_e32 vcc, v137, v134
	s_and_saveexec_b64 s[0:1], vcc
	s_xor_b64 s[0:1], exec, s[0:1]
	s_cbranch_execz .LBB126_535
; %bb.530:
	v_cmp_eq_u32_e32 vcc, 31, v137
	s_and_saveexec_b64 s[2:3], vcc
	s_cbranch_execz .LBB126_534
; %bb.531:
	v_cmp_ne_u32_e32 vcc, 31, v134
	s_xor_b64 s[14:15], s[6:7], -1
	s_and_b64 s[16:17], s[14:15], vcc
	s_and_saveexec_b64 s[14:15], s[16:17]
	s_cbranch_execz .LBB126_533
; %bb.532:
	v_ashrrev_i32_e32 v135, 31, v134
	v_lshlrev_b64 v[142:143], 2, v[134:135]
	v_add_co_u32_e32 v142, vcc, v4, v142
	v_addc_co_u32_e32 v143, vcc, v5, v143, vcc
	flat_load_dword v135, v[142:143]
	flat_load_dword v137, v[4:5] offset:124
	s_waitcnt vmcnt(0) lgkmcnt(0)
	flat_store_dword v[4:5], v135 offset:124
	flat_store_dword v[142:143], v137
.LBB126_533:
	s_or_b64 exec, exec, s[14:15]
	v_mov_b32_e32 v135, v134
	v_mov_b32_e32 v137, v134
.LBB126_534:
	s_or_b64 exec, exec, s[2:3]
.LBB126_535:
	s_andn2_saveexec_b64 s[0:1], s[0:1]
	s_cbranch_execz .LBB126_537
; %bb.536:
	v_mov_b32_e32 v142, v64
	v_mov_b32_e32 v143, v65
	v_mov_b32_e32 v144, v62
	v_mov_b32_e32 v145, v63
	ds_write2_b64 v136, v[142:143], v[144:145] offset0:32 offset1:33
	v_mov_b32_e32 v142, v60
	v_mov_b32_e32 v143, v61
	v_mov_b32_e32 v144, v58
	v_mov_b32_e32 v145, v59
	ds_write2_b64 v136, v[142:143], v[144:145] offset0:34 offset1:35
	;; [unrolled: 5-line block ×15, first 2 shown]
	v_mov_b32_e32 v142, v0
	v_mov_b32_e32 v143, v1
	;; [unrolled: 1-line block ×3, first 2 shown]
	ds_write2_b64 v136, v[142:143], v[130:131] offset0:62 offset1:63
.LBB126_537:
	s_or_b64 exec, exec, s[0:1]
	v_cmp_lt_i32_e32 vcc, 31, v137
	s_waitcnt lgkmcnt(0)
	s_barrier
	s_and_saveexec_b64 s[0:1], vcc
	s_cbranch_execz .LBB126_539
; %bb.538:
	ds_read2_b64 v[142:145], v136 offset0:32 offset1:33
	ds_read2_b64 v[146:149], v136 offset0:34 offset1:35
	v_mul_f64 v[66:67], v[132:133], v[66:67]
	ds_read2_b64 v[150:153], v136 offset0:36 offset1:37
	s_waitcnt lgkmcnt(0)
	v_fma_f64 v[64:65], -v[66:67], v[142:143], v[64:65]
	v_fma_f64 v[62:63], -v[66:67], v[144:145], v[62:63]
	ds_read2_b64 v[142:145], v136 offset0:38 offset1:39
	v_fma_f64 v[60:61], -v[66:67], v[146:147], v[60:61]
	v_fma_f64 v[58:59], -v[66:67], v[148:149], v[58:59]
	;; [unrolled: 1-line block ×3, first 2 shown]
	ds_read2_b64 v[146:149], v136 offset0:40 offset1:41
	v_fma_f64 v[54:55], -v[66:67], v[152:153], v[54:55]
	ds_read2_b64 v[150:153], v136 offset0:42 offset1:43
	s_waitcnt lgkmcnt(0)
	v_fma_f64 v[52:53], -v[66:67], v[142:143], v[52:53]
	v_fma_f64 v[50:51], -v[66:67], v[144:145], v[50:51]
	ds_read2_b64 v[142:145], v136 offset0:44 offset1:45
	v_fma_f64 v[48:49], -v[66:67], v[146:147], v[48:49]
	v_fma_f64 v[46:47], -v[66:67], v[148:149], v[46:47]
	ds_read2_b64 v[146:149], v136 offset0:46 offset1:47
	v_fma_f64 v[44:45], -v[66:67], v[150:151], v[44:45]
	v_fma_f64 v[42:43], -v[66:67], v[152:153], v[42:43]
	s_waitcnt lgkmcnt(0)
	v_fma_f64 v[40:41], -v[66:67], v[142:143], v[40:41]
	ds_read2_b64 v[150:153], v136 offset0:48 offset1:49
	v_fma_f64 v[38:39], -v[66:67], v[144:145], v[38:39]
	ds_read2_b64 v[142:145], v136 offset0:50 offset1:51
	v_fma_f64 v[36:37], -v[66:67], v[146:147], v[36:37]
	v_fma_f64 v[34:35], -v[66:67], v[148:149], v[34:35]
	s_waitcnt lgkmcnt(0)
	v_fma_f64 v[32:33], -v[66:67], v[150:151], v[32:33]
	ds_read2_b64 v[146:149], v136 offset0:52 offset1:53
	v_fma_f64 v[30:31], -v[66:67], v[152:153], v[30:31]
	ds_read2_b64 v[150:153], v136 offset0:54 offset1:55
	v_fma_f64 v[28:29], -v[66:67], v[142:143], v[28:29]
	v_fma_f64 v[26:27], -v[66:67], v[144:145], v[26:27]
	ds_read2_b64 v[142:145], v136 offset0:56 offset1:57
	s_waitcnt lgkmcnt(0)
	v_fma_f64 v[24:25], -v[66:67], v[146:147], v[24:25]
	v_fma_f64 v[22:23], -v[66:67], v[148:149], v[22:23]
	ds_read2_b64 v[146:149], v136 offset0:58 offset1:59
	v_fma_f64 v[20:21], -v[66:67], v[150:151], v[20:21]
	v_fma_f64 v[18:19], -v[66:67], v[152:153], v[18:19]
	;; [unrolled: 1-line block ×3, first 2 shown]
	ds_read2_b64 v[150:153], v136 offset0:60 offset1:61
	v_fma_f64 v[14:15], -v[66:67], v[144:145], v[14:15]
	ds_read2_b64 v[142:145], v136 offset0:62 offset1:63
	s_waitcnt lgkmcnt(0)
	v_fma_f64 v[12:13], -v[66:67], v[146:147], v[12:13]
	v_fma_f64 v[10:11], -v[66:67], v[148:149], v[10:11]
	v_fma_f64 v[8:9], -v[66:67], v[150:151], v[8:9]
	v_fma_f64 v[6:7], -v[66:67], v[152:153], v[6:7]
	v_fma_f64 v[0:1], -v[66:67], v[142:143], v[0:1]
	v_fma_f64 v[130:131], -v[66:67], v[144:145], v[130:131]
.LBB126_539:
	s_or_b64 exec, exec, s[0:1]
	v_lshl_add_u32 v132, v137, 3, v136
	s_barrier
	ds_write_b64 v132, v[64:65]
	s_waitcnt lgkmcnt(0)
	s_barrier
	ds_read_b64 v[132:133], v136 offset:256
	s_cmp_lt_i32 s18, 34
	v_mov_b32_e32 v134, 32
	s_cbranch_scc1 .LBB126_542
; %bb.540:
	v_add_u32_e32 v141, 0x108, v136
	s_mov_b32 s0, 33
	v_mov_b32_e32 v134, 32
.LBB126_541:                            ; =>This Inner Loop Header: Depth=1
	ds_read_b64 v[142:143], v141
	v_mov_b32_e32 v144, s0
	s_add_i32 s0, s0, 1
	v_add_u32_e32 v141, 8, v141
	s_cmp_lg_u32 s18, s0
	s_waitcnt lgkmcnt(0)
	v_cmp_lt_f64_e64 vcc, |v[132:133]|, |v[142:143]|
	v_cndmask_b32_e32 v133, v133, v143, vcc
	v_cndmask_b32_e32 v132, v132, v142, vcc
	;; [unrolled: 1-line block ×3, first 2 shown]
	s_cbranch_scc1 .LBB126_541
.LBB126_542:
	s_waitcnt lgkmcnt(0)
	v_cmp_eq_f64_e32 vcc, 0, v[132:133]
	s_and_saveexec_b64 s[0:1], vcc
	s_xor_b64 s[0:1], exec, s[0:1]
; %bb.543:
	v_cmp_ne_u32_e32 vcc, 0, v140
	v_cndmask_b32_e32 v140, 33, v140, vcc
; %bb.544:
	s_andn2_saveexec_b64 s[0:1], s[0:1]
; %bb.545:
	v_div_scale_f64 v[142:143], s[2:3], v[132:133], v[132:133], 1.0
	v_rcp_f64_e32 v[144:145], v[142:143]
	v_div_scale_f64 v[146:147], vcc, 1.0, v[132:133], 1.0
	v_fma_f64 v[148:149], -v[142:143], v[144:145], 1.0
	v_fmac_f64_e32 v[144:145], v[144:145], v[148:149]
	v_fma_f64 v[148:149], -v[142:143], v[144:145], 1.0
	v_fmac_f64_e32 v[144:145], v[144:145], v[148:149]
	v_mul_f64 v[148:149], v[146:147], v[144:145]
	v_fma_f64 v[142:143], -v[142:143], v[148:149], v[146:147]
	v_div_fmas_f64 v[142:143], v[142:143], v[144:145], v[148:149]
	v_div_fixup_f64 v[132:133], v[142:143], v[132:133], 1.0
; %bb.546:
	s_or_b64 exec, exec, s[0:1]
	v_cmp_ne_u32_e32 vcc, v137, v134
	s_and_saveexec_b64 s[0:1], vcc
	s_xor_b64 s[0:1], exec, s[0:1]
	s_cbranch_execz .LBB126_552
; %bb.547:
	v_cmp_eq_u32_e32 vcc, 32, v137
	s_and_saveexec_b64 s[2:3], vcc
	s_cbranch_execz .LBB126_551
; %bb.548:
	v_cmp_ne_u32_e32 vcc, 32, v134
	s_xor_b64 s[14:15], s[6:7], -1
	s_and_b64 s[16:17], s[14:15], vcc
	s_and_saveexec_b64 s[14:15], s[16:17]
	s_cbranch_execz .LBB126_550
; %bb.549:
	v_ashrrev_i32_e32 v135, 31, v134
	v_lshlrev_b64 v[142:143], 2, v[134:135]
	v_add_co_u32_e32 v142, vcc, v4, v142
	v_addc_co_u32_e32 v143, vcc, v5, v143, vcc
	flat_load_dword v135, v[142:143]
	flat_load_dword v137, v[4:5] offset:128
	s_waitcnt vmcnt(0) lgkmcnt(0)
	flat_store_dword v[4:5], v135 offset:128
	flat_store_dword v[142:143], v137
.LBB126_550:
	s_or_b64 exec, exec, s[14:15]
	v_mov_b32_e32 v135, v134
	v_mov_b32_e32 v137, v134
.LBB126_551:
	s_or_b64 exec, exec, s[2:3]
.LBB126_552:
	s_andn2_saveexec_b64 s[0:1], s[0:1]
	s_cbranch_execz .LBB126_554
; %bb.553:
	v_mov_b32_e32 v137, 32
	ds_write2_b64 v136, v[62:63], v[60:61] offset0:33 offset1:34
	ds_write2_b64 v136, v[58:59], v[56:57] offset0:35 offset1:36
	;; [unrolled: 1-line block ×15, first 2 shown]
	ds_write_b64 v136, v[130:131] offset:504
.LBB126_554:
	s_or_b64 exec, exec, s[0:1]
	v_cmp_lt_i32_e32 vcc, 32, v137
	s_waitcnt lgkmcnt(0)
	s_barrier
	s_and_saveexec_b64 s[0:1], vcc
	s_cbranch_execz .LBB126_556
; %bb.555:
	ds_read2_b64 v[142:145], v136 offset0:33 offset1:34
	ds_read2_b64 v[146:149], v136 offset0:35 offset1:36
	;; [unrolled: 1-line block ×3, first 2 shown]
	v_mul_f64 v[64:65], v[132:133], v[64:65]
	ds_read_b64 v[132:133], v136 offset:504
	s_waitcnt lgkmcnt(0)
	v_fma_f64 v[62:63], -v[64:65], v[142:143], v[62:63]
	v_fma_f64 v[60:61], -v[64:65], v[144:145], v[60:61]
	ds_read2_b64 v[142:145], v136 offset0:39 offset1:40
	v_fma_f64 v[58:59], -v[64:65], v[146:147], v[58:59]
	v_fma_f64 v[56:57], -v[64:65], v[148:149], v[56:57]
	;; [unrolled: 1-line block ×3, first 2 shown]
	ds_read2_b64 v[146:149], v136 offset0:41 offset1:42
	v_fma_f64 v[52:53], -v[64:65], v[152:153], v[52:53]
	ds_read2_b64 v[150:153], v136 offset0:43 offset1:44
	s_waitcnt lgkmcnt(0)
	v_fma_f64 v[50:51], -v[64:65], v[142:143], v[50:51]
	v_fma_f64 v[48:49], -v[64:65], v[144:145], v[48:49]
	;; [unrolled: 1-line block ×3, first 2 shown]
	ds_read2_b64 v[142:145], v136 offset0:45 offset1:46
	v_fma_f64 v[44:45], -v[64:65], v[148:149], v[44:45]
	ds_read2_b64 v[146:149], v136 offset0:47 offset1:48
	v_fma_f64 v[42:43], -v[64:65], v[150:151], v[42:43]
	v_fma_f64 v[40:41], -v[64:65], v[152:153], v[40:41]
	ds_read2_b64 v[150:153], v136 offset0:49 offset1:50
	s_waitcnt lgkmcnt(0)
	v_fma_f64 v[38:39], -v[64:65], v[142:143], v[38:39]
	v_fma_f64 v[36:37], -v[64:65], v[144:145], v[36:37]
	ds_read2_b64 v[142:145], v136 offset0:51 offset1:52
	v_fma_f64 v[34:35], -v[64:65], v[146:147], v[34:35]
	v_fma_f64 v[32:33], -v[64:65], v[148:149], v[32:33]
	;; [unrolled: 1-line block ×3, first 2 shown]
	ds_read2_b64 v[146:149], v136 offset0:53 offset1:54
	v_fma_f64 v[28:29], -v[64:65], v[152:153], v[28:29]
	ds_read2_b64 v[150:153], v136 offset0:55 offset1:56
	s_waitcnt lgkmcnt(0)
	v_fma_f64 v[26:27], -v[64:65], v[142:143], v[26:27]
	v_fma_f64 v[24:25], -v[64:65], v[144:145], v[24:25]
	;; [unrolled: 1-line block ×3, first 2 shown]
	ds_read2_b64 v[142:145], v136 offset0:57 offset1:58
	v_fma_f64 v[20:21], -v[64:65], v[148:149], v[20:21]
	ds_read2_b64 v[146:149], v136 offset0:59 offset1:60
	v_fma_f64 v[18:19], -v[64:65], v[150:151], v[18:19]
	v_fma_f64 v[16:17], -v[64:65], v[152:153], v[16:17]
	ds_read2_b64 v[150:153], v136 offset0:61 offset1:62
	s_waitcnt lgkmcnt(0)
	v_fma_f64 v[14:15], -v[64:65], v[142:143], v[14:15]
	v_fma_f64 v[12:13], -v[64:65], v[144:145], v[12:13]
	;; [unrolled: 1-line block ×7, first 2 shown]
.LBB126_556:
	s_or_b64 exec, exec, s[0:1]
	v_lshl_add_u32 v132, v137, 3, v136
	s_barrier
	ds_write_b64 v132, v[62:63]
	s_waitcnt lgkmcnt(0)
	s_barrier
	ds_read_b64 v[132:133], v136 offset:264
	s_cmp_lt_i32 s18, 35
	v_mov_b32_e32 v134, 33
	s_cbranch_scc1 .LBB126_559
; %bb.557:
	v_add_u32_e32 v141, 0x110, v136
	s_mov_b32 s0, 34
	v_mov_b32_e32 v134, 33
.LBB126_558:                            ; =>This Inner Loop Header: Depth=1
	ds_read_b64 v[142:143], v141
	v_mov_b32_e32 v144, s0
	s_add_i32 s0, s0, 1
	v_add_u32_e32 v141, 8, v141
	s_cmp_lg_u32 s18, s0
	s_waitcnt lgkmcnt(0)
	v_cmp_lt_f64_e64 vcc, |v[132:133]|, |v[142:143]|
	v_cndmask_b32_e32 v133, v133, v143, vcc
	v_cndmask_b32_e32 v132, v132, v142, vcc
	;; [unrolled: 1-line block ×3, first 2 shown]
	s_cbranch_scc1 .LBB126_558
.LBB126_559:
	s_waitcnt lgkmcnt(0)
	v_cmp_eq_f64_e32 vcc, 0, v[132:133]
	s_and_saveexec_b64 s[0:1], vcc
	s_xor_b64 s[0:1], exec, s[0:1]
; %bb.560:
	v_cmp_ne_u32_e32 vcc, 0, v140
	v_cndmask_b32_e32 v140, 34, v140, vcc
; %bb.561:
	s_andn2_saveexec_b64 s[0:1], s[0:1]
; %bb.562:
	v_div_scale_f64 v[142:143], s[2:3], v[132:133], v[132:133], 1.0
	v_rcp_f64_e32 v[144:145], v[142:143]
	v_div_scale_f64 v[146:147], vcc, 1.0, v[132:133], 1.0
	v_fma_f64 v[148:149], -v[142:143], v[144:145], 1.0
	v_fmac_f64_e32 v[144:145], v[144:145], v[148:149]
	v_fma_f64 v[148:149], -v[142:143], v[144:145], 1.0
	v_fmac_f64_e32 v[144:145], v[144:145], v[148:149]
	v_mul_f64 v[148:149], v[146:147], v[144:145]
	v_fma_f64 v[142:143], -v[142:143], v[148:149], v[146:147]
	v_div_fmas_f64 v[142:143], v[142:143], v[144:145], v[148:149]
	v_div_fixup_f64 v[132:133], v[142:143], v[132:133], 1.0
; %bb.563:
	s_or_b64 exec, exec, s[0:1]
	v_cmp_ne_u32_e32 vcc, v137, v134
	s_and_saveexec_b64 s[0:1], vcc
	s_xor_b64 s[0:1], exec, s[0:1]
	s_cbranch_execz .LBB126_569
; %bb.564:
	v_cmp_eq_u32_e32 vcc, 33, v137
	s_and_saveexec_b64 s[2:3], vcc
	s_cbranch_execz .LBB126_568
; %bb.565:
	v_cmp_ne_u32_e32 vcc, 33, v134
	s_xor_b64 s[14:15], s[6:7], -1
	s_and_b64 s[16:17], s[14:15], vcc
	s_and_saveexec_b64 s[14:15], s[16:17]
	s_cbranch_execz .LBB126_567
; %bb.566:
	v_ashrrev_i32_e32 v135, 31, v134
	v_lshlrev_b64 v[142:143], 2, v[134:135]
	v_add_co_u32_e32 v142, vcc, v4, v142
	v_addc_co_u32_e32 v143, vcc, v5, v143, vcc
	flat_load_dword v135, v[142:143]
	flat_load_dword v137, v[4:5] offset:132
	s_waitcnt vmcnt(0) lgkmcnt(0)
	flat_store_dword v[4:5], v135 offset:132
	flat_store_dword v[142:143], v137
.LBB126_567:
	s_or_b64 exec, exec, s[14:15]
	v_mov_b32_e32 v135, v134
	v_mov_b32_e32 v137, v134
.LBB126_568:
	s_or_b64 exec, exec, s[2:3]
.LBB126_569:
	s_andn2_saveexec_b64 s[0:1], s[0:1]
	s_cbranch_execz .LBB126_571
; %bb.570:
	v_mov_b32_e32 v142, v60
	v_mov_b32_e32 v143, v61
	v_mov_b32_e32 v144, v58
	v_mov_b32_e32 v145, v59
	ds_write2_b64 v136, v[142:143], v[144:145] offset0:34 offset1:35
	v_mov_b32_e32 v142, v56
	v_mov_b32_e32 v143, v57
	v_mov_b32_e32 v144, v54
	v_mov_b32_e32 v145, v55
	ds_write2_b64 v136, v[142:143], v[144:145] offset0:36 offset1:37
	;; [unrolled: 5-line block ×14, first 2 shown]
	v_mov_b32_e32 v142, v0
	v_mov_b32_e32 v143, v1
	;; [unrolled: 1-line block ×3, first 2 shown]
	ds_write2_b64 v136, v[142:143], v[130:131] offset0:62 offset1:63
.LBB126_571:
	s_or_b64 exec, exec, s[0:1]
	v_cmp_lt_i32_e32 vcc, 33, v137
	s_waitcnt lgkmcnt(0)
	s_barrier
	s_and_saveexec_b64 s[0:1], vcc
	s_cbranch_execz .LBB126_573
; %bb.572:
	ds_read2_b64 v[142:145], v136 offset0:34 offset1:35
	ds_read2_b64 v[146:149], v136 offset0:36 offset1:37
	;; [unrolled: 1-line block ×3, first 2 shown]
	v_mul_f64 v[62:63], v[132:133], v[62:63]
	s_waitcnt lgkmcnt(0)
	v_fma_f64 v[60:61], -v[62:63], v[142:143], v[60:61]
	v_fma_f64 v[58:59], -v[62:63], v[144:145], v[58:59]
	ds_read2_b64 v[142:145], v136 offset0:40 offset1:41
	v_fma_f64 v[56:57], -v[62:63], v[146:147], v[56:57]
	v_fma_f64 v[54:55], -v[62:63], v[148:149], v[54:55]
	v_fma_f64 v[52:53], -v[62:63], v[150:151], v[52:53]
	ds_read2_b64 v[146:149], v136 offset0:42 offset1:43
	v_fma_f64 v[50:51], -v[62:63], v[152:153], v[50:51]
	ds_read2_b64 v[150:153], v136 offset0:44 offset1:45
	s_waitcnt lgkmcnt(0)
	v_fma_f64 v[48:49], -v[62:63], v[142:143], v[48:49]
	v_fma_f64 v[46:47], -v[62:63], v[144:145], v[46:47]
	;; [unrolled: 1-line block ×3, first 2 shown]
	ds_read2_b64 v[142:145], v136 offset0:46 offset1:47
	v_fma_f64 v[42:43], -v[62:63], v[148:149], v[42:43]
	ds_read2_b64 v[146:149], v136 offset0:48 offset1:49
	v_fma_f64 v[40:41], -v[62:63], v[150:151], v[40:41]
	v_fma_f64 v[38:39], -v[62:63], v[152:153], v[38:39]
	ds_read2_b64 v[150:153], v136 offset0:50 offset1:51
	s_waitcnt lgkmcnt(0)
	v_fma_f64 v[36:37], -v[62:63], v[142:143], v[36:37]
	v_fma_f64 v[34:35], -v[62:63], v[144:145], v[34:35]
	ds_read2_b64 v[142:145], v136 offset0:52 offset1:53
	v_fma_f64 v[32:33], -v[62:63], v[146:147], v[32:33]
	v_fma_f64 v[30:31], -v[62:63], v[148:149], v[30:31]
	;; [unrolled: 1-line block ×3, first 2 shown]
	ds_read2_b64 v[146:149], v136 offset0:54 offset1:55
	v_fma_f64 v[26:27], -v[62:63], v[152:153], v[26:27]
	ds_read2_b64 v[150:153], v136 offset0:56 offset1:57
	s_waitcnt lgkmcnt(0)
	v_fma_f64 v[24:25], -v[62:63], v[142:143], v[24:25]
	v_fma_f64 v[22:23], -v[62:63], v[144:145], v[22:23]
	;; [unrolled: 1-line block ×4, first 2 shown]
	ds_read2_b64 v[142:145], v136 offset0:58 offset1:59
	ds_read2_b64 v[146:149], v136 offset0:60 offset1:61
	v_fma_f64 v[16:17], -v[62:63], v[150:151], v[16:17]
	v_fma_f64 v[14:15], -v[62:63], v[152:153], v[14:15]
	ds_read2_b64 v[150:153], v136 offset0:62 offset1:63
	s_waitcnt lgkmcnt(0)
	v_fma_f64 v[12:13], -v[62:63], v[142:143], v[12:13]
	v_fma_f64 v[10:11], -v[62:63], v[144:145], v[10:11]
	;; [unrolled: 1-line block ×6, first 2 shown]
.LBB126_573:
	s_or_b64 exec, exec, s[0:1]
	v_lshl_add_u32 v132, v137, 3, v136
	s_barrier
	ds_write_b64 v132, v[60:61]
	s_waitcnt lgkmcnt(0)
	s_barrier
	ds_read_b64 v[132:133], v136 offset:272
	s_cmp_lt_i32 s18, 36
	v_mov_b32_e32 v134, 34
	s_cbranch_scc1 .LBB126_576
; %bb.574:
	v_add_u32_e32 v141, 0x118, v136
	s_mov_b32 s0, 35
	v_mov_b32_e32 v134, 34
.LBB126_575:                            ; =>This Inner Loop Header: Depth=1
	ds_read_b64 v[142:143], v141
	v_mov_b32_e32 v144, s0
	s_add_i32 s0, s0, 1
	v_add_u32_e32 v141, 8, v141
	s_cmp_lg_u32 s18, s0
	s_waitcnt lgkmcnt(0)
	v_cmp_lt_f64_e64 vcc, |v[132:133]|, |v[142:143]|
	v_cndmask_b32_e32 v133, v133, v143, vcc
	v_cndmask_b32_e32 v132, v132, v142, vcc
	;; [unrolled: 1-line block ×3, first 2 shown]
	s_cbranch_scc1 .LBB126_575
.LBB126_576:
	s_waitcnt lgkmcnt(0)
	v_cmp_eq_f64_e32 vcc, 0, v[132:133]
	s_and_saveexec_b64 s[0:1], vcc
	s_xor_b64 s[0:1], exec, s[0:1]
; %bb.577:
	v_cmp_ne_u32_e32 vcc, 0, v140
	v_cndmask_b32_e32 v140, 35, v140, vcc
; %bb.578:
	s_andn2_saveexec_b64 s[0:1], s[0:1]
; %bb.579:
	v_div_scale_f64 v[142:143], s[2:3], v[132:133], v[132:133], 1.0
	v_rcp_f64_e32 v[144:145], v[142:143]
	v_div_scale_f64 v[146:147], vcc, 1.0, v[132:133], 1.0
	v_fma_f64 v[148:149], -v[142:143], v[144:145], 1.0
	v_fmac_f64_e32 v[144:145], v[144:145], v[148:149]
	v_fma_f64 v[148:149], -v[142:143], v[144:145], 1.0
	v_fmac_f64_e32 v[144:145], v[144:145], v[148:149]
	v_mul_f64 v[148:149], v[146:147], v[144:145]
	v_fma_f64 v[142:143], -v[142:143], v[148:149], v[146:147]
	v_div_fmas_f64 v[142:143], v[142:143], v[144:145], v[148:149]
	v_div_fixup_f64 v[132:133], v[142:143], v[132:133], 1.0
; %bb.580:
	s_or_b64 exec, exec, s[0:1]
	v_cmp_ne_u32_e32 vcc, v137, v134
	s_and_saveexec_b64 s[0:1], vcc
	s_xor_b64 s[0:1], exec, s[0:1]
	s_cbranch_execz .LBB126_586
; %bb.581:
	v_cmp_eq_u32_e32 vcc, 34, v137
	s_and_saveexec_b64 s[2:3], vcc
	s_cbranch_execz .LBB126_585
; %bb.582:
	v_cmp_ne_u32_e32 vcc, 34, v134
	s_xor_b64 s[14:15], s[6:7], -1
	s_and_b64 s[16:17], s[14:15], vcc
	s_and_saveexec_b64 s[14:15], s[16:17]
	s_cbranch_execz .LBB126_584
; %bb.583:
	v_ashrrev_i32_e32 v135, 31, v134
	v_lshlrev_b64 v[142:143], 2, v[134:135]
	v_add_co_u32_e32 v142, vcc, v4, v142
	v_addc_co_u32_e32 v143, vcc, v5, v143, vcc
	flat_load_dword v135, v[142:143]
	flat_load_dword v137, v[4:5] offset:136
	s_waitcnt vmcnt(0) lgkmcnt(0)
	flat_store_dword v[4:5], v135 offset:136
	flat_store_dword v[142:143], v137
.LBB126_584:
	s_or_b64 exec, exec, s[14:15]
	v_mov_b32_e32 v135, v134
	v_mov_b32_e32 v137, v134
.LBB126_585:
	s_or_b64 exec, exec, s[2:3]
.LBB126_586:
	s_andn2_saveexec_b64 s[0:1], s[0:1]
	s_cbranch_execz .LBB126_588
; %bb.587:
	v_mov_b32_e32 v137, 34
	ds_write2_b64 v136, v[58:59], v[56:57] offset0:35 offset1:36
	ds_write2_b64 v136, v[54:55], v[52:53] offset0:37 offset1:38
	;; [unrolled: 1-line block ×14, first 2 shown]
	ds_write_b64 v136, v[130:131] offset:504
.LBB126_588:
	s_or_b64 exec, exec, s[0:1]
	v_cmp_lt_i32_e32 vcc, 34, v137
	s_waitcnt lgkmcnt(0)
	s_barrier
	s_and_saveexec_b64 s[0:1], vcc
	s_cbranch_execz .LBB126_590
; %bb.589:
	ds_read2_b64 v[142:145], v136 offset0:35 offset1:36
	ds_read2_b64 v[146:149], v136 offset0:37 offset1:38
	v_mul_f64 v[60:61], v[132:133], v[60:61]
	ds_read2_b64 v[150:153], v136 offset0:39 offset1:40
	ds_read_b64 v[132:133], v136 offset:504
	s_waitcnt lgkmcnt(0)
	v_fma_f64 v[58:59], -v[60:61], v[142:143], v[58:59]
	v_fma_f64 v[56:57], -v[60:61], v[144:145], v[56:57]
	ds_read2_b64 v[142:145], v136 offset0:41 offset1:42
	v_fma_f64 v[54:55], -v[60:61], v[146:147], v[54:55]
	v_fma_f64 v[52:53], -v[60:61], v[148:149], v[52:53]
	ds_read2_b64 v[146:149], v136 offset0:43 offset1:44
	v_fma_f64 v[50:51], -v[60:61], v[150:151], v[50:51]
	v_fma_f64 v[48:49], -v[60:61], v[152:153], v[48:49]
	ds_read2_b64 v[150:153], v136 offset0:45 offset1:46
	s_waitcnt lgkmcnt(0)
	v_fma_f64 v[46:47], -v[60:61], v[142:143], v[46:47]
	v_fma_f64 v[44:45], -v[60:61], v[144:145], v[44:45]
	;; [unrolled: 1-line block ×3, first 2 shown]
	ds_read2_b64 v[142:145], v136 offset0:47 offset1:48
	v_fma_f64 v[40:41], -v[60:61], v[148:149], v[40:41]
	ds_read2_b64 v[146:149], v136 offset0:49 offset1:50
	v_fma_f64 v[38:39], -v[60:61], v[150:151], v[38:39]
	v_fma_f64 v[36:37], -v[60:61], v[152:153], v[36:37]
	s_waitcnt lgkmcnt(0)
	v_fma_f64 v[34:35], -v[60:61], v[142:143], v[34:35]
	ds_read2_b64 v[150:153], v136 offset0:51 offset1:52
	v_fma_f64 v[32:33], -v[60:61], v[144:145], v[32:33]
	ds_read2_b64 v[142:145], v136 offset0:53 offset1:54
	v_fma_f64 v[30:31], -v[60:61], v[146:147], v[30:31]
	v_fma_f64 v[28:29], -v[60:61], v[148:149], v[28:29]
	ds_read2_b64 v[146:149], v136 offset0:55 offset1:56
	s_waitcnt lgkmcnt(0)
	v_fma_f64 v[26:27], -v[60:61], v[150:151], v[26:27]
	v_fma_f64 v[24:25], -v[60:61], v[152:153], v[24:25]
	ds_read2_b64 v[150:153], v136 offset0:57 offset1:58
	v_fma_f64 v[22:23], -v[60:61], v[142:143], v[22:23]
	v_fma_f64 v[20:21], -v[60:61], v[144:145], v[20:21]
	;; [unrolled: 1-line block ×4, first 2 shown]
	ds_read2_b64 v[142:145], v136 offset0:59 offset1:60
	ds_read2_b64 v[146:149], v136 offset0:61 offset1:62
	s_waitcnt lgkmcnt(0)
	v_fma_f64 v[14:15], -v[60:61], v[150:151], v[14:15]
	v_fma_f64 v[12:13], -v[60:61], v[152:153], v[12:13]
	;; [unrolled: 1-line block ×7, first 2 shown]
.LBB126_590:
	s_or_b64 exec, exec, s[0:1]
	v_lshl_add_u32 v132, v137, 3, v136
	s_barrier
	ds_write_b64 v132, v[58:59]
	s_waitcnt lgkmcnt(0)
	s_barrier
	ds_read_b64 v[132:133], v136 offset:280
	s_cmp_lt_i32 s18, 37
	v_mov_b32_e32 v134, 35
	s_cbranch_scc1 .LBB126_593
; %bb.591:
	v_add_u32_e32 v141, 0x120, v136
	s_mov_b32 s0, 36
	v_mov_b32_e32 v134, 35
.LBB126_592:                            ; =>This Inner Loop Header: Depth=1
	ds_read_b64 v[142:143], v141
	v_mov_b32_e32 v144, s0
	s_add_i32 s0, s0, 1
	v_add_u32_e32 v141, 8, v141
	s_cmp_lg_u32 s18, s0
	s_waitcnt lgkmcnt(0)
	v_cmp_lt_f64_e64 vcc, |v[132:133]|, |v[142:143]|
	v_cndmask_b32_e32 v133, v133, v143, vcc
	v_cndmask_b32_e32 v132, v132, v142, vcc
	;; [unrolled: 1-line block ×3, first 2 shown]
	s_cbranch_scc1 .LBB126_592
.LBB126_593:
	s_waitcnt lgkmcnt(0)
	v_cmp_eq_f64_e32 vcc, 0, v[132:133]
	s_and_saveexec_b64 s[0:1], vcc
	s_xor_b64 s[0:1], exec, s[0:1]
; %bb.594:
	v_cmp_ne_u32_e32 vcc, 0, v140
	v_cndmask_b32_e32 v140, 36, v140, vcc
; %bb.595:
	s_andn2_saveexec_b64 s[0:1], s[0:1]
; %bb.596:
	v_div_scale_f64 v[142:143], s[2:3], v[132:133], v[132:133], 1.0
	v_rcp_f64_e32 v[144:145], v[142:143]
	v_div_scale_f64 v[146:147], vcc, 1.0, v[132:133], 1.0
	v_fma_f64 v[148:149], -v[142:143], v[144:145], 1.0
	v_fmac_f64_e32 v[144:145], v[144:145], v[148:149]
	v_fma_f64 v[148:149], -v[142:143], v[144:145], 1.0
	v_fmac_f64_e32 v[144:145], v[144:145], v[148:149]
	v_mul_f64 v[148:149], v[146:147], v[144:145]
	v_fma_f64 v[142:143], -v[142:143], v[148:149], v[146:147]
	v_div_fmas_f64 v[142:143], v[142:143], v[144:145], v[148:149]
	v_div_fixup_f64 v[132:133], v[142:143], v[132:133], 1.0
; %bb.597:
	s_or_b64 exec, exec, s[0:1]
	v_cmp_ne_u32_e32 vcc, v137, v134
	s_and_saveexec_b64 s[0:1], vcc
	s_xor_b64 s[0:1], exec, s[0:1]
	s_cbranch_execz .LBB126_603
; %bb.598:
	v_cmp_eq_u32_e32 vcc, 35, v137
	s_and_saveexec_b64 s[2:3], vcc
	s_cbranch_execz .LBB126_602
; %bb.599:
	v_cmp_ne_u32_e32 vcc, 35, v134
	s_xor_b64 s[14:15], s[6:7], -1
	s_and_b64 s[16:17], s[14:15], vcc
	s_and_saveexec_b64 s[14:15], s[16:17]
	s_cbranch_execz .LBB126_601
; %bb.600:
	v_ashrrev_i32_e32 v135, 31, v134
	v_lshlrev_b64 v[142:143], 2, v[134:135]
	v_add_co_u32_e32 v142, vcc, v4, v142
	v_addc_co_u32_e32 v143, vcc, v5, v143, vcc
	flat_load_dword v135, v[142:143]
	flat_load_dword v137, v[4:5] offset:140
	s_waitcnt vmcnt(0) lgkmcnt(0)
	flat_store_dword v[4:5], v135 offset:140
	flat_store_dword v[142:143], v137
.LBB126_601:
	s_or_b64 exec, exec, s[14:15]
	v_mov_b32_e32 v135, v134
	v_mov_b32_e32 v137, v134
.LBB126_602:
	s_or_b64 exec, exec, s[2:3]
.LBB126_603:
	s_andn2_saveexec_b64 s[0:1], s[0:1]
	s_cbranch_execz .LBB126_605
; %bb.604:
	v_mov_b32_e32 v142, v56
	v_mov_b32_e32 v143, v57
	v_mov_b32_e32 v144, v54
	v_mov_b32_e32 v145, v55
	ds_write2_b64 v136, v[142:143], v[144:145] offset0:36 offset1:37
	v_mov_b32_e32 v142, v52
	v_mov_b32_e32 v143, v53
	v_mov_b32_e32 v144, v50
	v_mov_b32_e32 v145, v51
	ds_write2_b64 v136, v[142:143], v[144:145] offset0:38 offset1:39
	;; [unrolled: 5-line block ×13, first 2 shown]
	v_mov_b32_e32 v142, v0
	v_mov_b32_e32 v143, v1
	;; [unrolled: 1-line block ×3, first 2 shown]
	ds_write2_b64 v136, v[142:143], v[130:131] offset0:62 offset1:63
.LBB126_605:
	s_or_b64 exec, exec, s[0:1]
	v_cmp_lt_i32_e32 vcc, 35, v137
	s_waitcnt lgkmcnt(0)
	s_barrier
	s_and_saveexec_b64 s[0:1], vcc
	s_cbranch_execz .LBB126_607
; %bb.606:
	ds_read2_b64 v[142:145], v136 offset0:36 offset1:37
	ds_read2_b64 v[146:149], v136 offset0:38 offset1:39
	v_mul_f64 v[58:59], v[132:133], v[58:59]
	ds_read2_b64 v[150:153], v136 offset0:40 offset1:41
	s_waitcnt lgkmcnt(0)
	v_fma_f64 v[56:57], -v[58:59], v[142:143], v[56:57]
	v_fma_f64 v[54:55], -v[58:59], v[144:145], v[54:55]
	ds_read2_b64 v[142:145], v136 offset0:42 offset1:43
	v_fma_f64 v[52:53], -v[58:59], v[146:147], v[52:53]
	v_fma_f64 v[50:51], -v[58:59], v[148:149], v[50:51]
	ds_read2_b64 v[146:149], v136 offset0:44 offset1:45
	v_fma_f64 v[48:49], -v[58:59], v[150:151], v[48:49]
	v_fma_f64 v[46:47], -v[58:59], v[152:153], v[46:47]
	ds_read2_b64 v[150:153], v136 offset0:46 offset1:47
	s_waitcnt lgkmcnt(0)
	v_fma_f64 v[44:45], -v[58:59], v[142:143], v[44:45]
	v_fma_f64 v[42:43], -v[58:59], v[144:145], v[42:43]
	;; [unrolled: 1-line block ×3, first 2 shown]
	ds_read2_b64 v[142:145], v136 offset0:48 offset1:49
	v_fma_f64 v[38:39], -v[58:59], v[148:149], v[38:39]
	ds_read2_b64 v[146:149], v136 offset0:50 offset1:51
	v_fma_f64 v[36:37], -v[58:59], v[150:151], v[36:37]
	v_fma_f64 v[34:35], -v[58:59], v[152:153], v[34:35]
	s_waitcnt lgkmcnt(0)
	v_fma_f64 v[32:33], -v[58:59], v[142:143], v[32:33]
	ds_read2_b64 v[150:153], v136 offset0:52 offset1:53
	v_fma_f64 v[30:31], -v[58:59], v[144:145], v[30:31]
	ds_read2_b64 v[142:145], v136 offset0:54 offset1:55
	v_fma_f64 v[28:29], -v[58:59], v[146:147], v[28:29]
	v_fma_f64 v[26:27], -v[58:59], v[148:149], v[26:27]
	ds_read2_b64 v[146:149], v136 offset0:56 offset1:57
	s_waitcnt lgkmcnt(0)
	v_fma_f64 v[24:25], -v[58:59], v[150:151], v[24:25]
	v_fma_f64 v[22:23], -v[58:59], v[152:153], v[22:23]
	;; [unrolled: 1-line block ×4, first 2 shown]
	ds_read2_b64 v[142:145], v136 offset0:58 offset1:59
	v_fma_f64 v[16:17], -v[58:59], v[146:147], v[16:17]
	ds_read2_b64 v[150:153], v136 offset0:60 offset1:61
	v_fma_f64 v[14:15], -v[58:59], v[148:149], v[14:15]
	ds_read2_b64 v[146:149], v136 offset0:62 offset1:63
	s_waitcnt lgkmcnt(0)
	v_fma_f64 v[12:13], -v[58:59], v[142:143], v[12:13]
	v_fma_f64 v[10:11], -v[58:59], v[144:145], v[10:11]
	;; [unrolled: 1-line block ×6, first 2 shown]
.LBB126_607:
	s_or_b64 exec, exec, s[0:1]
	v_lshl_add_u32 v132, v137, 3, v136
	s_barrier
	ds_write_b64 v132, v[56:57]
	s_waitcnt lgkmcnt(0)
	s_barrier
	ds_read_b64 v[132:133], v136 offset:288
	s_cmp_lt_i32 s18, 38
	v_mov_b32_e32 v134, 36
	s_cbranch_scc1 .LBB126_610
; %bb.608:
	v_add_u32_e32 v141, 0x128, v136
	s_mov_b32 s0, 37
	v_mov_b32_e32 v134, 36
.LBB126_609:                            ; =>This Inner Loop Header: Depth=1
	ds_read_b64 v[142:143], v141
	v_mov_b32_e32 v144, s0
	s_add_i32 s0, s0, 1
	v_add_u32_e32 v141, 8, v141
	s_cmp_lg_u32 s18, s0
	s_waitcnt lgkmcnt(0)
	v_cmp_lt_f64_e64 vcc, |v[132:133]|, |v[142:143]|
	v_cndmask_b32_e32 v133, v133, v143, vcc
	v_cndmask_b32_e32 v132, v132, v142, vcc
	v_cndmask_b32_e32 v134, v134, v144, vcc
	s_cbranch_scc1 .LBB126_609
.LBB126_610:
	s_waitcnt lgkmcnt(0)
	v_cmp_eq_f64_e32 vcc, 0, v[132:133]
	s_and_saveexec_b64 s[0:1], vcc
	s_xor_b64 s[0:1], exec, s[0:1]
; %bb.611:
	v_cmp_ne_u32_e32 vcc, 0, v140
	v_cndmask_b32_e32 v140, 37, v140, vcc
; %bb.612:
	s_andn2_saveexec_b64 s[0:1], s[0:1]
; %bb.613:
	v_div_scale_f64 v[142:143], s[2:3], v[132:133], v[132:133], 1.0
	v_rcp_f64_e32 v[144:145], v[142:143]
	v_div_scale_f64 v[146:147], vcc, 1.0, v[132:133], 1.0
	v_fma_f64 v[148:149], -v[142:143], v[144:145], 1.0
	v_fmac_f64_e32 v[144:145], v[144:145], v[148:149]
	v_fma_f64 v[148:149], -v[142:143], v[144:145], 1.0
	v_fmac_f64_e32 v[144:145], v[144:145], v[148:149]
	v_mul_f64 v[148:149], v[146:147], v[144:145]
	v_fma_f64 v[142:143], -v[142:143], v[148:149], v[146:147]
	v_div_fmas_f64 v[142:143], v[142:143], v[144:145], v[148:149]
	v_div_fixup_f64 v[132:133], v[142:143], v[132:133], 1.0
; %bb.614:
	s_or_b64 exec, exec, s[0:1]
	v_cmp_ne_u32_e32 vcc, v137, v134
	s_and_saveexec_b64 s[0:1], vcc
	s_xor_b64 s[0:1], exec, s[0:1]
	s_cbranch_execz .LBB126_620
; %bb.615:
	v_cmp_eq_u32_e32 vcc, 36, v137
	s_and_saveexec_b64 s[2:3], vcc
	s_cbranch_execz .LBB126_619
; %bb.616:
	v_cmp_ne_u32_e32 vcc, 36, v134
	s_xor_b64 s[14:15], s[6:7], -1
	s_and_b64 s[16:17], s[14:15], vcc
	s_and_saveexec_b64 s[14:15], s[16:17]
	s_cbranch_execz .LBB126_618
; %bb.617:
	v_ashrrev_i32_e32 v135, 31, v134
	v_lshlrev_b64 v[142:143], 2, v[134:135]
	v_add_co_u32_e32 v142, vcc, v4, v142
	v_addc_co_u32_e32 v143, vcc, v5, v143, vcc
	flat_load_dword v135, v[142:143]
	flat_load_dword v137, v[4:5] offset:144
	s_waitcnt vmcnt(0) lgkmcnt(0)
	flat_store_dword v[4:5], v135 offset:144
	flat_store_dword v[142:143], v137
.LBB126_618:
	s_or_b64 exec, exec, s[14:15]
	v_mov_b32_e32 v135, v134
	v_mov_b32_e32 v137, v134
.LBB126_619:
	s_or_b64 exec, exec, s[2:3]
.LBB126_620:
	s_andn2_saveexec_b64 s[0:1], s[0:1]
	s_cbranch_execz .LBB126_622
; %bb.621:
	v_mov_b32_e32 v137, 36
	ds_write2_b64 v136, v[54:55], v[52:53] offset0:37 offset1:38
	ds_write2_b64 v136, v[50:51], v[48:49] offset0:39 offset1:40
	;; [unrolled: 1-line block ×13, first 2 shown]
	ds_write_b64 v136, v[130:131] offset:504
.LBB126_622:
	s_or_b64 exec, exec, s[0:1]
	v_cmp_lt_i32_e32 vcc, 36, v137
	s_waitcnt lgkmcnt(0)
	s_barrier
	s_and_saveexec_b64 s[0:1], vcc
	s_cbranch_execz .LBB126_624
; %bb.623:
	ds_read2_b64 v[142:145], v136 offset0:37 offset1:38
	ds_read2_b64 v[146:149], v136 offset0:39 offset1:40
	v_mul_f64 v[56:57], v[132:133], v[56:57]
	ds_read2_b64 v[150:153], v136 offset0:41 offset1:42
	ds_read_b64 v[132:133], v136 offset:504
	s_waitcnt lgkmcnt(0)
	v_fma_f64 v[54:55], -v[56:57], v[142:143], v[54:55]
	v_fma_f64 v[52:53], -v[56:57], v[144:145], v[52:53]
	ds_read2_b64 v[142:145], v136 offset0:43 offset1:44
	v_fma_f64 v[50:51], -v[56:57], v[146:147], v[50:51]
	v_fma_f64 v[48:49], -v[56:57], v[148:149], v[48:49]
	;; [unrolled: 1-line block ×3, first 2 shown]
	ds_read2_b64 v[146:149], v136 offset0:45 offset1:46
	v_fma_f64 v[44:45], -v[56:57], v[152:153], v[44:45]
	ds_read2_b64 v[150:153], v136 offset0:47 offset1:48
	s_waitcnt lgkmcnt(0)
	v_fma_f64 v[42:43], -v[56:57], v[142:143], v[42:43]
	v_fma_f64 v[40:41], -v[56:57], v[144:145], v[40:41]
	ds_read2_b64 v[142:145], v136 offset0:49 offset1:50
	v_fma_f64 v[38:39], -v[56:57], v[146:147], v[38:39]
	v_fma_f64 v[36:37], -v[56:57], v[148:149], v[36:37]
	ds_read2_b64 v[146:149], v136 offset0:51 offset1:52
	v_fma_f64 v[34:35], -v[56:57], v[150:151], v[34:35]
	v_fma_f64 v[32:33], -v[56:57], v[152:153], v[32:33]
	s_waitcnt lgkmcnt(0)
	v_fma_f64 v[30:31], -v[56:57], v[142:143], v[30:31]
	ds_read2_b64 v[150:153], v136 offset0:53 offset1:54
	v_fma_f64 v[28:29], -v[56:57], v[144:145], v[28:29]
	ds_read2_b64 v[142:145], v136 offset0:55 offset1:56
	v_fma_f64 v[26:27], -v[56:57], v[146:147], v[26:27]
	v_fma_f64 v[24:25], -v[56:57], v[148:149], v[24:25]
	s_waitcnt lgkmcnt(0)
	v_fma_f64 v[22:23], -v[56:57], v[150:151], v[22:23]
	ds_read2_b64 v[146:149], v136 offset0:57 offset1:58
	v_fma_f64 v[20:21], -v[56:57], v[152:153], v[20:21]
	v_fma_f64 v[18:19], -v[56:57], v[142:143], v[18:19]
	;; [unrolled: 1-line block ×3, first 2 shown]
	ds_read2_b64 v[142:145], v136 offset0:59 offset1:60
	ds_read2_b64 v[150:153], v136 offset0:61 offset1:62
	s_waitcnt lgkmcnt(0)
	v_fma_f64 v[14:15], -v[56:57], v[146:147], v[14:15]
	v_fma_f64 v[12:13], -v[56:57], v[148:149], v[12:13]
	;; [unrolled: 1-line block ×7, first 2 shown]
.LBB126_624:
	s_or_b64 exec, exec, s[0:1]
	v_lshl_add_u32 v132, v137, 3, v136
	s_barrier
	ds_write_b64 v132, v[54:55]
	s_waitcnt lgkmcnt(0)
	s_barrier
	ds_read_b64 v[132:133], v136 offset:296
	s_cmp_lt_i32 s18, 39
	v_mov_b32_e32 v134, 37
	s_cbranch_scc1 .LBB126_627
; %bb.625:
	v_add_u32_e32 v141, 0x130, v136
	s_mov_b32 s0, 38
	v_mov_b32_e32 v134, 37
.LBB126_626:                            ; =>This Inner Loop Header: Depth=1
	ds_read_b64 v[142:143], v141
	v_mov_b32_e32 v144, s0
	s_add_i32 s0, s0, 1
	v_add_u32_e32 v141, 8, v141
	s_cmp_lg_u32 s18, s0
	s_waitcnt lgkmcnt(0)
	v_cmp_lt_f64_e64 vcc, |v[132:133]|, |v[142:143]|
	v_cndmask_b32_e32 v133, v133, v143, vcc
	v_cndmask_b32_e32 v132, v132, v142, vcc
	;; [unrolled: 1-line block ×3, first 2 shown]
	s_cbranch_scc1 .LBB126_626
.LBB126_627:
	s_waitcnt lgkmcnt(0)
	v_cmp_eq_f64_e32 vcc, 0, v[132:133]
	s_and_saveexec_b64 s[0:1], vcc
	s_xor_b64 s[0:1], exec, s[0:1]
; %bb.628:
	v_cmp_ne_u32_e32 vcc, 0, v140
	v_cndmask_b32_e32 v140, 38, v140, vcc
; %bb.629:
	s_andn2_saveexec_b64 s[0:1], s[0:1]
; %bb.630:
	v_div_scale_f64 v[142:143], s[2:3], v[132:133], v[132:133], 1.0
	v_rcp_f64_e32 v[144:145], v[142:143]
	v_div_scale_f64 v[146:147], vcc, 1.0, v[132:133], 1.0
	v_fma_f64 v[148:149], -v[142:143], v[144:145], 1.0
	v_fmac_f64_e32 v[144:145], v[144:145], v[148:149]
	v_fma_f64 v[148:149], -v[142:143], v[144:145], 1.0
	v_fmac_f64_e32 v[144:145], v[144:145], v[148:149]
	v_mul_f64 v[148:149], v[146:147], v[144:145]
	v_fma_f64 v[142:143], -v[142:143], v[148:149], v[146:147]
	v_div_fmas_f64 v[142:143], v[142:143], v[144:145], v[148:149]
	v_div_fixup_f64 v[132:133], v[142:143], v[132:133], 1.0
; %bb.631:
	s_or_b64 exec, exec, s[0:1]
	v_cmp_ne_u32_e32 vcc, v137, v134
	s_and_saveexec_b64 s[0:1], vcc
	s_xor_b64 s[0:1], exec, s[0:1]
	s_cbranch_execz .LBB126_637
; %bb.632:
	v_cmp_eq_u32_e32 vcc, 37, v137
	s_and_saveexec_b64 s[2:3], vcc
	s_cbranch_execz .LBB126_636
; %bb.633:
	v_cmp_ne_u32_e32 vcc, 37, v134
	s_xor_b64 s[14:15], s[6:7], -1
	s_and_b64 s[16:17], s[14:15], vcc
	s_and_saveexec_b64 s[14:15], s[16:17]
	s_cbranch_execz .LBB126_635
; %bb.634:
	v_ashrrev_i32_e32 v135, 31, v134
	v_lshlrev_b64 v[142:143], 2, v[134:135]
	v_add_co_u32_e32 v142, vcc, v4, v142
	v_addc_co_u32_e32 v143, vcc, v5, v143, vcc
	flat_load_dword v135, v[142:143]
	flat_load_dword v137, v[4:5] offset:148
	s_waitcnt vmcnt(0) lgkmcnt(0)
	flat_store_dword v[4:5], v135 offset:148
	flat_store_dword v[142:143], v137
.LBB126_635:
	s_or_b64 exec, exec, s[14:15]
	v_mov_b32_e32 v135, v134
	v_mov_b32_e32 v137, v134
.LBB126_636:
	s_or_b64 exec, exec, s[2:3]
.LBB126_637:
	s_andn2_saveexec_b64 s[0:1], s[0:1]
	s_cbranch_execz .LBB126_639
; %bb.638:
	v_mov_b32_e32 v142, v52
	v_mov_b32_e32 v143, v53
	v_mov_b32_e32 v144, v50
	v_mov_b32_e32 v145, v51
	ds_write2_b64 v136, v[142:143], v[144:145] offset0:38 offset1:39
	v_mov_b32_e32 v142, v48
	v_mov_b32_e32 v143, v49
	v_mov_b32_e32 v144, v46
	v_mov_b32_e32 v145, v47
	ds_write2_b64 v136, v[142:143], v[144:145] offset0:40 offset1:41
	;; [unrolled: 5-line block ×12, first 2 shown]
	v_mov_b32_e32 v142, v0
	v_mov_b32_e32 v143, v1
	;; [unrolled: 1-line block ×3, first 2 shown]
	ds_write2_b64 v136, v[142:143], v[130:131] offset0:62 offset1:63
.LBB126_639:
	s_or_b64 exec, exec, s[0:1]
	v_cmp_lt_i32_e32 vcc, 37, v137
	s_waitcnt lgkmcnt(0)
	s_barrier
	s_and_saveexec_b64 s[0:1], vcc
	s_cbranch_execz .LBB126_641
; %bb.640:
	ds_read2_b64 v[142:145], v136 offset0:38 offset1:39
	ds_read2_b64 v[146:149], v136 offset0:40 offset1:41
	v_mul_f64 v[54:55], v[132:133], v[54:55]
	ds_read2_b64 v[150:153], v136 offset0:42 offset1:43
	s_waitcnt lgkmcnt(0)
	v_fma_f64 v[52:53], -v[54:55], v[142:143], v[52:53]
	v_fma_f64 v[50:51], -v[54:55], v[144:145], v[50:51]
	ds_read2_b64 v[142:145], v136 offset0:44 offset1:45
	v_fma_f64 v[48:49], -v[54:55], v[146:147], v[48:49]
	v_fma_f64 v[46:47], -v[54:55], v[148:149], v[46:47]
	;; [unrolled: 1-line block ×3, first 2 shown]
	ds_read2_b64 v[146:149], v136 offset0:46 offset1:47
	v_fma_f64 v[42:43], -v[54:55], v[152:153], v[42:43]
	ds_read2_b64 v[150:153], v136 offset0:48 offset1:49
	s_waitcnt lgkmcnt(0)
	v_fma_f64 v[40:41], -v[54:55], v[142:143], v[40:41]
	v_fma_f64 v[38:39], -v[54:55], v[144:145], v[38:39]
	ds_read2_b64 v[142:145], v136 offset0:50 offset1:51
	v_fma_f64 v[36:37], -v[54:55], v[146:147], v[36:37]
	v_fma_f64 v[34:35], -v[54:55], v[148:149], v[34:35]
	ds_read2_b64 v[146:149], v136 offset0:52 offset1:53
	v_fma_f64 v[32:33], -v[54:55], v[150:151], v[32:33]
	v_fma_f64 v[30:31], -v[54:55], v[152:153], v[30:31]
	s_waitcnt lgkmcnt(0)
	v_fma_f64 v[28:29], -v[54:55], v[142:143], v[28:29]
	ds_read2_b64 v[150:153], v136 offset0:54 offset1:55
	v_fma_f64 v[26:27], -v[54:55], v[144:145], v[26:27]
	ds_read2_b64 v[142:145], v136 offset0:56 offset1:57
	v_fma_f64 v[24:25], -v[54:55], v[146:147], v[24:25]
	v_fma_f64 v[22:23], -v[54:55], v[148:149], v[22:23]
	s_waitcnt lgkmcnt(0)
	v_fma_f64 v[20:21], -v[54:55], v[150:151], v[20:21]
	v_fma_f64 v[18:19], -v[54:55], v[152:153], v[18:19]
	ds_read2_b64 v[146:149], v136 offset0:58 offset1:59
	ds_read2_b64 v[150:153], v136 offset0:60 offset1:61
	v_fma_f64 v[16:17], -v[54:55], v[142:143], v[16:17]
	v_fma_f64 v[14:15], -v[54:55], v[144:145], v[14:15]
	ds_read2_b64 v[142:145], v136 offset0:62 offset1:63
	s_waitcnt lgkmcnt(0)
	v_fma_f64 v[12:13], -v[54:55], v[146:147], v[12:13]
	v_fma_f64 v[10:11], -v[54:55], v[148:149], v[10:11]
	;; [unrolled: 1-line block ×6, first 2 shown]
.LBB126_641:
	s_or_b64 exec, exec, s[0:1]
	v_lshl_add_u32 v132, v137, 3, v136
	s_barrier
	ds_write_b64 v132, v[52:53]
	s_waitcnt lgkmcnt(0)
	s_barrier
	ds_read_b64 v[132:133], v136 offset:304
	s_cmp_lt_i32 s18, 40
	v_mov_b32_e32 v134, 38
	s_cbranch_scc1 .LBB126_644
; %bb.642:
	v_add_u32_e32 v141, 0x138, v136
	s_mov_b32 s0, 39
	v_mov_b32_e32 v134, 38
.LBB126_643:                            ; =>This Inner Loop Header: Depth=1
	ds_read_b64 v[142:143], v141
	v_mov_b32_e32 v144, s0
	s_add_i32 s0, s0, 1
	v_add_u32_e32 v141, 8, v141
	s_cmp_lg_u32 s18, s0
	s_waitcnt lgkmcnt(0)
	v_cmp_lt_f64_e64 vcc, |v[132:133]|, |v[142:143]|
	v_cndmask_b32_e32 v133, v133, v143, vcc
	v_cndmask_b32_e32 v132, v132, v142, vcc
	;; [unrolled: 1-line block ×3, first 2 shown]
	s_cbranch_scc1 .LBB126_643
.LBB126_644:
	s_waitcnt lgkmcnt(0)
	v_cmp_eq_f64_e32 vcc, 0, v[132:133]
	s_and_saveexec_b64 s[0:1], vcc
	s_xor_b64 s[0:1], exec, s[0:1]
; %bb.645:
	v_cmp_ne_u32_e32 vcc, 0, v140
	v_cndmask_b32_e32 v140, 39, v140, vcc
; %bb.646:
	s_andn2_saveexec_b64 s[0:1], s[0:1]
; %bb.647:
	v_div_scale_f64 v[142:143], s[2:3], v[132:133], v[132:133], 1.0
	v_rcp_f64_e32 v[144:145], v[142:143]
	v_div_scale_f64 v[146:147], vcc, 1.0, v[132:133], 1.0
	v_fma_f64 v[148:149], -v[142:143], v[144:145], 1.0
	v_fmac_f64_e32 v[144:145], v[144:145], v[148:149]
	v_fma_f64 v[148:149], -v[142:143], v[144:145], 1.0
	v_fmac_f64_e32 v[144:145], v[144:145], v[148:149]
	v_mul_f64 v[148:149], v[146:147], v[144:145]
	v_fma_f64 v[142:143], -v[142:143], v[148:149], v[146:147]
	v_div_fmas_f64 v[142:143], v[142:143], v[144:145], v[148:149]
	v_div_fixup_f64 v[132:133], v[142:143], v[132:133], 1.0
; %bb.648:
	s_or_b64 exec, exec, s[0:1]
	v_cmp_ne_u32_e32 vcc, v137, v134
	s_and_saveexec_b64 s[0:1], vcc
	s_xor_b64 s[0:1], exec, s[0:1]
	s_cbranch_execz .LBB126_654
; %bb.649:
	v_cmp_eq_u32_e32 vcc, 38, v137
	s_and_saveexec_b64 s[2:3], vcc
	s_cbranch_execz .LBB126_653
; %bb.650:
	v_cmp_ne_u32_e32 vcc, 38, v134
	s_xor_b64 s[14:15], s[6:7], -1
	s_and_b64 s[16:17], s[14:15], vcc
	s_and_saveexec_b64 s[14:15], s[16:17]
	s_cbranch_execz .LBB126_652
; %bb.651:
	v_ashrrev_i32_e32 v135, 31, v134
	v_lshlrev_b64 v[142:143], 2, v[134:135]
	v_add_co_u32_e32 v142, vcc, v4, v142
	v_addc_co_u32_e32 v143, vcc, v5, v143, vcc
	flat_load_dword v135, v[142:143]
	flat_load_dword v137, v[4:5] offset:152
	s_waitcnt vmcnt(0) lgkmcnt(0)
	flat_store_dword v[4:5], v135 offset:152
	flat_store_dword v[142:143], v137
.LBB126_652:
	s_or_b64 exec, exec, s[14:15]
	v_mov_b32_e32 v135, v134
	v_mov_b32_e32 v137, v134
.LBB126_653:
	s_or_b64 exec, exec, s[2:3]
.LBB126_654:
	s_andn2_saveexec_b64 s[0:1], s[0:1]
	s_cbranch_execz .LBB126_656
; %bb.655:
	v_mov_b32_e32 v137, 38
	ds_write2_b64 v136, v[50:51], v[48:49] offset0:39 offset1:40
	ds_write2_b64 v136, v[46:47], v[44:45] offset0:41 offset1:42
	;; [unrolled: 1-line block ×12, first 2 shown]
	ds_write_b64 v136, v[130:131] offset:504
.LBB126_656:
	s_or_b64 exec, exec, s[0:1]
	v_cmp_lt_i32_e32 vcc, 38, v137
	s_waitcnt lgkmcnt(0)
	s_barrier
	s_and_saveexec_b64 s[0:1], vcc
	s_cbranch_execz .LBB126_658
; %bb.657:
	ds_read2_b64 v[142:145], v136 offset0:39 offset1:40
	ds_read2_b64 v[146:149], v136 offset0:41 offset1:42
	;; [unrolled: 1-line block ×3, first 2 shown]
	v_mul_f64 v[52:53], v[132:133], v[52:53]
	ds_read_b64 v[132:133], v136 offset:504
	s_waitcnt lgkmcnt(0)
	v_fma_f64 v[50:51], -v[52:53], v[142:143], v[50:51]
	v_fma_f64 v[48:49], -v[52:53], v[144:145], v[48:49]
	ds_read2_b64 v[142:145], v136 offset0:45 offset1:46
	v_fma_f64 v[46:47], -v[52:53], v[146:147], v[46:47]
	v_fma_f64 v[44:45], -v[52:53], v[148:149], v[44:45]
	;; [unrolled: 1-line block ×3, first 2 shown]
	ds_read2_b64 v[146:149], v136 offset0:47 offset1:48
	v_fma_f64 v[40:41], -v[52:53], v[152:153], v[40:41]
	ds_read2_b64 v[150:153], v136 offset0:49 offset1:50
	s_waitcnt lgkmcnt(0)
	v_fma_f64 v[38:39], -v[52:53], v[142:143], v[38:39]
	v_fma_f64 v[36:37], -v[52:53], v[144:145], v[36:37]
	;; [unrolled: 1-line block ×3, first 2 shown]
	ds_read2_b64 v[142:145], v136 offset0:51 offset1:52
	v_fma_f64 v[32:33], -v[52:53], v[148:149], v[32:33]
	ds_read2_b64 v[146:149], v136 offset0:53 offset1:54
	v_fma_f64 v[30:31], -v[52:53], v[150:151], v[30:31]
	v_fma_f64 v[28:29], -v[52:53], v[152:153], v[28:29]
	ds_read2_b64 v[150:153], v136 offset0:55 offset1:56
	s_waitcnt lgkmcnt(0)
	v_fma_f64 v[26:27], -v[52:53], v[142:143], v[26:27]
	v_fma_f64 v[24:25], -v[52:53], v[144:145], v[24:25]
	ds_read2_b64 v[142:145], v136 offset0:57 offset1:58
	v_fma_f64 v[22:23], -v[52:53], v[146:147], v[22:23]
	v_fma_f64 v[20:21], -v[52:53], v[148:149], v[20:21]
	v_fma_f64 v[18:19], -v[52:53], v[150:151], v[18:19]
	v_fma_f64 v[16:17], -v[52:53], v[152:153], v[16:17]
	ds_read2_b64 v[146:149], v136 offset0:59 offset1:60
	ds_read2_b64 v[150:153], v136 offset0:61 offset1:62
	s_waitcnt lgkmcnt(0)
	v_fma_f64 v[14:15], -v[52:53], v[142:143], v[14:15]
	v_fma_f64 v[12:13], -v[52:53], v[144:145], v[12:13]
	;; [unrolled: 1-line block ×7, first 2 shown]
.LBB126_658:
	s_or_b64 exec, exec, s[0:1]
	v_lshl_add_u32 v132, v137, 3, v136
	s_barrier
	ds_write_b64 v132, v[50:51]
	s_waitcnt lgkmcnt(0)
	s_barrier
	ds_read_b64 v[132:133], v136 offset:312
	s_cmp_lt_i32 s18, 41
	v_mov_b32_e32 v134, 39
	s_cbranch_scc1 .LBB126_661
; %bb.659:
	v_add_u32_e32 v141, 0x140, v136
	s_mov_b32 s0, 40
	v_mov_b32_e32 v134, 39
.LBB126_660:                            ; =>This Inner Loop Header: Depth=1
	ds_read_b64 v[142:143], v141
	v_mov_b32_e32 v144, s0
	s_add_i32 s0, s0, 1
	v_add_u32_e32 v141, 8, v141
	s_cmp_lg_u32 s18, s0
	s_waitcnt lgkmcnt(0)
	v_cmp_lt_f64_e64 vcc, |v[132:133]|, |v[142:143]|
	v_cndmask_b32_e32 v133, v133, v143, vcc
	v_cndmask_b32_e32 v132, v132, v142, vcc
	;; [unrolled: 1-line block ×3, first 2 shown]
	s_cbranch_scc1 .LBB126_660
.LBB126_661:
	s_waitcnt lgkmcnt(0)
	v_cmp_eq_f64_e32 vcc, 0, v[132:133]
	s_and_saveexec_b64 s[0:1], vcc
	s_xor_b64 s[0:1], exec, s[0:1]
; %bb.662:
	v_cmp_ne_u32_e32 vcc, 0, v140
	v_cndmask_b32_e32 v140, 40, v140, vcc
; %bb.663:
	s_andn2_saveexec_b64 s[0:1], s[0:1]
; %bb.664:
	v_div_scale_f64 v[142:143], s[2:3], v[132:133], v[132:133], 1.0
	v_rcp_f64_e32 v[144:145], v[142:143]
	v_div_scale_f64 v[146:147], vcc, 1.0, v[132:133], 1.0
	v_fma_f64 v[148:149], -v[142:143], v[144:145], 1.0
	v_fmac_f64_e32 v[144:145], v[144:145], v[148:149]
	v_fma_f64 v[148:149], -v[142:143], v[144:145], 1.0
	v_fmac_f64_e32 v[144:145], v[144:145], v[148:149]
	v_mul_f64 v[148:149], v[146:147], v[144:145]
	v_fma_f64 v[142:143], -v[142:143], v[148:149], v[146:147]
	v_div_fmas_f64 v[142:143], v[142:143], v[144:145], v[148:149]
	v_div_fixup_f64 v[132:133], v[142:143], v[132:133], 1.0
; %bb.665:
	s_or_b64 exec, exec, s[0:1]
	v_cmp_ne_u32_e32 vcc, v137, v134
	s_and_saveexec_b64 s[0:1], vcc
	s_xor_b64 s[0:1], exec, s[0:1]
	s_cbranch_execz .LBB126_671
; %bb.666:
	v_cmp_eq_u32_e32 vcc, 39, v137
	s_and_saveexec_b64 s[2:3], vcc
	s_cbranch_execz .LBB126_670
; %bb.667:
	v_cmp_ne_u32_e32 vcc, 39, v134
	s_xor_b64 s[14:15], s[6:7], -1
	s_and_b64 s[16:17], s[14:15], vcc
	s_and_saveexec_b64 s[14:15], s[16:17]
	s_cbranch_execz .LBB126_669
; %bb.668:
	v_ashrrev_i32_e32 v135, 31, v134
	v_lshlrev_b64 v[142:143], 2, v[134:135]
	v_add_co_u32_e32 v142, vcc, v4, v142
	v_addc_co_u32_e32 v143, vcc, v5, v143, vcc
	flat_load_dword v135, v[142:143]
	flat_load_dword v137, v[4:5] offset:156
	s_waitcnt vmcnt(0) lgkmcnt(0)
	flat_store_dword v[4:5], v135 offset:156
	flat_store_dword v[142:143], v137
.LBB126_669:
	s_or_b64 exec, exec, s[14:15]
	v_mov_b32_e32 v135, v134
	v_mov_b32_e32 v137, v134
.LBB126_670:
	s_or_b64 exec, exec, s[2:3]
.LBB126_671:
	s_andn2_saveexec_b64 s[0:1], s[0:1]
	s_cbranch_execz .LBB126_673
; %bb.672:
	v_mov_b32_e32 v142, v48
	v_mov_b32_e32 v143, v49
	v_mov_b32_e32 v144, v46
	v_mov_b32_e32 v145, v47
	ds_write2_b64 v136, v[142:143], v[144:145] offset0:40 offset1:41
	v_mov_b32_e32 v142, v44
	v_mov_b32_e32 v143, v45
	v_mov_b32_e32 v144, v42
	v_mov_b32_e32 v145, v43
	ds_write2_b64 v136, v[142:143], v[144:145] offset0:42 offset1:43
	;; [unrolled: 5-line block ×11, first 2 shown]
	v_mov_b32_e32 v142, v0
	v_mov_b32_e32 v143, v1
	;; [unrolled: 1-line block ×3, first 2 shown]
	ds_write2_b64 v136, v[142:143], v[130:131] offset0:62 offset1:63
.LBB126_673:
	s_or_b64 exec, exec, s[0:1]
	v_cmp_lt_i32_e32 vcc, 39, v137
	s_waitcnt lgkmcnt(0)
	s_barrier
	s_and_saveexec_b64 s[0:1], vcc
	s_cbranch_execz .LBB126_675
; %bb.674:
	ds_read2_b64 v[142:145], v136 offset0:40 offset1:41
	ds_read2_b64 v[146:149], v136 offset0:42 offset1:43
	;; [unrolled: 1-line block ×3, first 2 shown]
	v_mul_f64 v[50:51], v[132:133], v[50:51]
	s_waitcnt lgkmcnt(0)
	v_fma_f64 v[48:49], -v[50:51], v[142:143], v[48:49]
	v_fma_f64 v[46:47], -v[50:51], v[144:145], v[46:47]
	ds_read2_b64 v[142:145], v136 offset0:46 offset1:47
	v_fma_f64 v[44:45], -v[50:51], v[146:147], v[44:45]
	v_fma_f64 v[42:43], -v[50:51], v[148:149], v[42:43]
	v_fma_f64 v[40:41], -v[50:51], v[150:151], v[40:41]
	ds_read2_b64 v[146:149], v136 offset0:48 offset1:49
	v_fma_f64 v[38:39], -v[50:51], v[152:153], v[38:39]
	ds_read2_b64 v[150:153], v136 offset0:50 offset1:51
	s_waitcnt lgkmcnt(0)
	v_fma_f64 v[36:37], -v[50:51], v[142:143], v[36:37]
	v_fma_f64 v[34:35], -v[50:51], v[144:145], v[34:35]
	;; [unrolled: 1-line block ×3, first 2 shown]
	ds_read2_b64 v[142:145], v136 offset0:52 offset1:53
	v_fma_f64 v[30:31], -v[50:51], v[148:149], v[30:31]
	ds_read2_b64 v[146:149], v136 offset0:54 offset1:55
	v_fma_f64 v[28:29], -v[50:51], v[150:151], v[28:29]
	v_fma_f64 v[26:27], -v[50:51], v[152:153], v[26:27]
	ds_read2_b64 v[150:153], v136 offset0:56 offset1:57
	s_waitcnt lgkmcnt(0)
	v_fma_f64 v[24:25], -v[50:51], v[142:143], v[24:25]
	v_fma_f64 v[22:23], -v[50:51], v[144:145], v[22:23]
	ds_read2_b64 v[142:145], v136 offset0:58 offset1:59
	v_fma_f64 v[20:21], -v[50:51], v[146:147], v[20:21]
	v_fma_f64 v[18:19], -v[50:51], v[148:149], v[18:19]
	;; [unrolled: 1-line block ×3, first 2 shown]
	ds_read2_b64 v[146:149], v136 offset0:60 offset1:61
	v_fma_f64 v[14:15], -v[50:51], v[152:153], v[14:15]
	ds_read2_b64 v[150:153], v136 offset0:62 offset1:63
	s_waitcnt lgkmcnt(0)
	v_fma_f64 v[12:13], -v[50:51], v[142:143], v[12:13]
	v_fma_f64 v[10:11], -v[50:51], v[144:145], v[10:11]
	;; [unrolled: 1-line block ×6, first 2 shown]
.LBB126_675:
	s_or_b64 exec, exec, s[0:1]
	v_lshl_add_u32 v132, v137, 3, v136
	s_barrier
	ds_write_b64 v132, v[48:49]
	s_waitcnt lgkmcnt(0)
	s_barrier
	ds_read_b64 v[132:133], v136 offset:320
	s_cmp_lt_i32 s18, 42
	v_mov_b32_e32 v134, 40
	s_cbranch_scc1 .LBB126_678
; %bb.676:
	v_add_u32_e32 v141, 0x148, v136
	s_mov_b32 s0, 41
	v_mov_b32_e32 v134, 40
.LBB126_677:                            ; =>This Inner Loop Header: Depth=1
	ds_read_b64 v[142:143], v141
	v_mov_b32_e32 v144, s0
	s_add_i32 s0, s0, 1
	v_add_u32_e32 v141, 8, v141
	s_cmp_lg_u32 s18, s0
	s_waitcnt lgkmcnt(0)
	v_cmp_lt_f64_e64 vcc, |v[132:133]|, |v[142:143]|
	v_cndmask_b32_e32 v133, v133, v143, vcc
	v_cndmask_b32_e32 v132, v132, v142, vcc
	;; [unrolled: 1-line block ×3, first 2 shown]
	s_cbranch_scc1 .LBB126_677
.LBB126_678:
	s_waitcnt lgkmcnt(0)
	v_cmp_eq_f64_e32 vcc, 0, v[132:133]
	s_and_saveexec_b64 s[0:1], vcc
	s_xor_b64 s[0:1], exec, s[0:1]
; %bb.679:
	v_cmp_ne_u32_e32 vcc, 0, v140
	v_cndmask_b32_e32 v140, 41, v140, vcc
; %bb.680:
	s_andn2_saveexec_b64 s[0:1], s[0:1]
; %bb.681:
	v_div_scale_f64 v[142:143], s[2:3], v[132:133], v[132:133], 1.0
	v_rcp_f64_e32 v[144:145], v[142:143]
	v_div_scale_f64 v[146:147], vcc, 1.0, v[132:133], 1.0
	v_fma_f64 v[148:149], -v[142:143], v[144:145], 1.0
	v_fmac_f64_e32 v[144:145], v[144:145], v[148:149]
	v_fma_f64 v[148:149], -v[142:143], v[144:145], 1.0
	v_fmac_f64_e32 v[144:145], v[144:145], v[148:149]
	v_mul_f64 v[148:149], v[146:147], v[144:145]
	v_fma_f64 v[142:143], -v[142:143], v[148:149], v[146:147]
	v_div_fmas_f64 v[142:143], v[142:143], v[144:145], v[148:149]
	v_div_fixup_f64 v[132:133], v[142:143], v[132:133], 1.0
; %bb.682:
	s_or_b64 exec, exec, s[0:1]
	v_cmp_ne_u32_e32 vcc, v137, v134
	s_and_saveexec_b64 s[0:1], vcc
	s_xor_b64 s[0:1], exec, s[0:1]
	s_cbranch_execz .LBB126_688
; %bb.683:
	v_cmp_eq_u32_e32 vcc, 40, v137
	s_and_saveexec_b64 s[2:3], vcc
	s_cbranch_execz .LBB126_687
; %bb.684:
	v_cmp_ne_u32_e32 vcc, 40, v134
	s_xor_b64 s[14:15], s[6:7], -1
	s_and_b64 s[16:17], s[14:15], vcc
	s_and_saveexec_b64 s[14:15], s[16:17]
	s_cbranch_execz .LBB126_686
; %bb.685:
	v_ashrrev_i32_e32 v135, 31, v134
	v_lshlrev_b64 v[142:143], 2, v[134:135]
	v_add_co_u32_e32 v142, vcc, v4, v142
	v_addc_co_u32_e32 v143, vcc, v5, v143, vcc
	flat_load_dword v135, v[142:143]
	flat_load_dword v137, v[4:5] offset:160
	s_waitcnt vmcnt(0) lgkmcnt(0)
	flat_store_dword v[4:5], v135 offset:160
	flat_store_dword v[142:143], v137
.LBB126_686:
	s_or_b64 exec, exec, s[14:15]
	v_mov_b32_e32 v135, v134
	v_mov_b32_e32 v137, v134
.LBB126_687:
	s_or_b64 exec, exec, s[2:3]
.LBB126_688:
	s_andn2_saveexec_b64 s[0:1], s[0:1]
	s_cbranch_execz .LBB126_690
; %bb.689:
	v_mov_b32_e32 v137, 40
	ds_write2_b64 v136, v[46:47], v[44:45] offset0:41 offset1:42
	ds_write2_b64 v136, v[42:43], v[40:41] offset0:43 offset1:44
	ds_write2_b64 v136, v[38:39], v[36:37] offset0:45 offset1:46
	ds_write2_b64 v136, v[34:35], v[32:33] offset0:47 offset1:48
	ds_write2_b64 v136, v[30:31], v[28:29] offset0:49 offset1:50
	ds_write2_b64 v136, v[26:27], v[24:25] offset0:51 offset1:52
	ds_write2_b64 v136, v[22:23], v[20:21] offset0:53 offset1:54
	ds_write2_b64 v136, v[18:19], v[16:17] offset0:55 offset1:56
	ds_write2_b64 v136, v[14:15], v[12:13] offset0:57 offset1:58
	ds_write2_b64 v136, v[10:11], v[8:9] offset0:59 offset1:60
	ds_write2_b64 v136, v[6:7], v[0:1] offset0:61 offset1:62
	ds_write_b64 v136, v[130:131] offset:504
.LBB126_690:
	s_or_b64 exec, exec, s[0:1]
	v_cmp_lt_i32_e32 vcc, 40, v137
	s_waitcnt lgkmcnt(0)
	s_barrier
	s_and_saveexec_b64 s[0:1], vcc
	s_cbranch_execz .LBB126_692
; %bb.691:
	ds_read2_b64 v[142:145], v136 offset0:41 offset1:42
	ds_read2_b64 v[146:149], v136 offset0:43 offset1:44
	v_mul_f64 v[48:49], v[132:133], v[48:49]
	ds_read2_b64 v[150:153], v136 offset0:45 offset1:46
	ds_read_b64 v[132:133], v136 offset:504
	s_waitcnt lgkmcnt(0)
	v_fma_f64 v[46:47], -v[48:49], v[142:143], v[46:47]
	v_fma_f64 v[44:45], -v[48:49], v[144:145], v[44:45]
	ds_read2_b64 v[142:145], v136 offset0:47 offset1:48
	v_fma_f64 v[42:43], -v[48:49], v[146:147], v[42:43]
	v_fma_f64 v[40:41], -v[48:49], v[148:149], v[40:41]
	ds_read2_b64 v[146:149], v136 offset0:49 offset1:50
	;; [unrolled: 3-line block ×3, first 2 shown]
	s_waitcnt lgkmcnt(0)
	v_fma_f64 v[34:35], -v[48:49], v[142:143], v[34:35]
	v_fma_f64 v[32:33], -v[48:49], v[144:145], v[32:33]
	;; [unrolled: 1-line block ×3, first 2 shown]
	ds_read2_b64 v[142:145], v136 offset0:53 offset1:54
	v_fma_f64 v[28:29], -v[48:49], v[148:149], v[28:29]
	ds_read2_b64 v[146:149], v136 offset0:55 offset1:56
	v_fma_f64 v[26:27], -v[48:49], v[150:151], v[26:27]
	v_fma_f64 v[24:25], -v[48:49], v[152:153], v[24:25]
	s_waitcnt lgkmcnt(0)
	v_fma_f64 v[22:23], -v[48:49], v[142:143], v[22:23]
	ds_read2_b64 v[150:153], v136 offset0:57 offset1:58
	v_fma_f64 v[20:21], -v[48:49], v[144:145], v[20:21]
	ds_read2_b64 v[142:145], v136 offset0:59 offset1:60
	v_fma_f64 v[18:19], -v[48:49], v[146:147], v[18:19]
	v_fma_f64 v[16:17], -v[48:49], v[148:149], v[16:17]
	ds_read2_b64 v[146:149], v136 offset0:61 offset1:62
	s_waitcnt lgkmcnt(0)
	v_fma_f64 v[14:15], -v[48:49], v[150:151], v[14:15]
	v_fma_f64 v[12:13], -v[48:49], v[152:153], v[12:13]
	;; [unrolled: 1-line block ×7, first 2 shown]
.LBB126_692:
	s_or_b64 exec, exec, s[0:1]
	v_lshl_add_u32 v132, v137, 3, v136
	s_barrier
	ds_write_b64 v132, v[46:47]
	s_waitcnt lgkmcnt(0)
	s_barrier
	ds_read_b64 v[132:133], v136 offset:328
	s_cmp_lt_i32 s18, 43
	v_mov_b32_e32 v134, 41
	s_cbranch_scc1 .LBB126_695
; %bb.693:
	v_add_u32_e32 v141, 0x150, v136
	s_mov_b32 s0, 42
	v_mov_b32_e32 v134, 41
.LBB126_694:                            ; =>This Inner Loop Header: Depth=1
	ds_read_b64 v[142:143], v141
	v_mov_b32_e32 v144, s0
	s_add_i32 s0, s0, 1
	v_add_u32_e32 v141, 8, v141
	s_cmp_lg_u32 s18, s0
	s_waitcnt lgkmcnt(0)
	v_cmp_lt_f64_e64 vcc, |v[132:133]|, |v[142:143]|
	v_cndmask_b32_e32 v133, v133, v143, vcc
	v_cndmask_b32_e32 v132, v132, v142, vcc
	;; [unrolled: 1-line block ×3, first 2 shown]
	s_cbranch_scc1 .LBB126_694
.LBB126_695:
	s_waitcnt lgkmcnt(0)
	v_cmp_eq_f64_e32 vcc, 0, v[132:133]
	s_and_saveexec_b64 s[0:1], vcc
	s_xor_b64 s[0:1], exec, s[0:1]
; %bb.696:
	v_cmp_ne_u32_e32 vcc, 0, v140
	v_cndmask_b32_e32 v140, 42, v140, vcc
; %bb.697:
	s_andn2_saveexec_b64 s[0:1], s[0:1]
; %bb.698:
	v_div_scale_f64 v[142:143], s[2:3], v[132:133], v[132:133], 1.0
	v_rcp_f64_e32 v[144:145], v[142:143]
	v_div_scale_f64 v[146:147], vcc, 1.0, v[132:133], 1.0
	v_fma_f64 v[148:149], -v[142:143], v[144:145], 1.0
	v_fmac_f64_e32 v[144:145], v[144:145], v[148:149]
	v_fma_f64 v[148:149], -v[142:143], v[144:145], 1.0
	v_fmac_f64_e32 v[144:145], v[144:145], v[148:149]
	v_mul_f64 v[148:149], v[146:147], v[144:145]
	v_fma_f64 v[142:143], -v[142:143], v[148:149], v[146:147]
	v_div_fmas_f64 v[142:143], v[142:143], v[144:145], v[148:149]
	v_div_fixup_f64 v[132:133], v[142:143], v[132:133], 1.0
; %bb.699:
	s_or_b64 exec, exec, s[0:1]
	v_cmp_ne_u32_e32 vcc, v137, v134
	s_and_saveexec_b64 s[0:1], vcc
	s_xor_b64 s[0:1], exec, s[0:1]
	s_cbranch_execz .LBB126_705
; %bb.700:
	v_cmp_eq_u32_e32 vcc, 41, v137
	s_and_saveexec_b64 s[2:3], vcc
	s_cbranch_execz .LBB126_704
; %bb.701:
	v_cmp_ne_u32_e32 vcc, 41, v134
	s_xor_b64 s[14:15], s[6:7], -1
	s_and_b64 s[16:17], s[14:15], vcc
	s_and_saveexec_b64 s[14:15], s[16:17]
	s_cbranch_execz .LBB126_703
; %bb.702:
	v_ashrrev_i32_e32 v135, 31, v134
	v_lshlrev_b64 v[142:143], 2, v[134:135]
	v_add_co_u32_e32 v142, vcc, v4, v142
	v_addc_co_u32_e32 v143, vcc, v5, v143, vcc
	flat_load_dword v135, v[142:143]
	flat_load_dword v137, v[4:5] offset:164
	s_waitcnt vmcnt(0) lgkmcnt(0)
	flat_store_dword v[4:5], v135 offset:164
	flat_store_dword v[142:143], v137
.LBB126_703:
	s_or_b64 exec, exec, s[14:15]
	v_mov_b32_e32 v135, v134
	v_mov_b32_e32 v137, v134
.LBB126_704:
	s_or_b64 exec, exec, s[2:3]
.LBB126_705:
	s_andn2_saveexec_b64 s[0:1], s[0:1]
	s_cbranch_execz .LBB126_707
; %bb.706:
	v_mov_b32_e32 v142, v44
	v_mov_b32_e32 v143, v45
	v_mov_b32_e32 v144, v42
	v_mov_b32_e32 v145, v43
	ds_write2_b64 v136, v[142:143], v[144:145] offset0:42 offset1:43
	v_mov_b32_e32 v142, v40
	v_mov_b32_e32 v143, v41
	v_mov_b32_e32 v144, v38
	v_mov_b32_e32 v145, v39
	ds_write2_b64 v136, v[142:143], v[144:145] offset0:44 offset1:45
	;; [unrolled: 5-line block ×10, first 2 shown]
	v_mov_b32_e32 v142, v0
	v_mov_b32_e32 v143, v1
	;; [unrolled: 1-line block ×3, first 2 shown]
	ds_write2_b64 v136, v[142:143], v[130:131] offset0:62 offset1:63
.LBB126_707:
	s_or_b64 exec, exec, s[0:1]
	v_cmp_lt_i32_e32 vcc, 41, v137
	s_waitcnt lgkmcnt(0)
	s_barrier
	s_and_saveexec_b64 s[0:1], vcc
	s_cbranch_execz .LBB126_709
; %bb.708:
	ds_read2_b64 v[142:145], v136 offset0:42 offset1:43
	ds_read2_b64 v[146:149], v136 offset0:44 offset1:45
	v_mul_f64 v[46:47], v[132:133], v[46:47]
	ds_read2_b64 v[150:153], v136 offset0:46 offset1:47
	s_waitcnt lgkmcnt(0)
	v_fma_f64 v[44:45], -v[46:47], v[142:143], v[44:45]
	v_fma_f64 v[42:43], -v[46:47], v[144:145], v[42:43]
	ds_read2_b64 v[142:145], v136 offset0:48 offset1:49
	v_fma_f64 v[40:41], -v[46:47], v[146:147], v[40:41]
	v_fma_f64 v[38:39], -v[46:47], v[148:149], v[38:39]
	ds_read2_b64 v[146:149], v136 offset0:50 offset1:51
	;; [unrolled: 3-line block ×3, first 2 shown]
	s_waitcnt lgkmcnt(0)
	v_fma_f64 v[32:33], -v[46:47], v[142:143], v[32:33]
	v_fma_f64 v[30:31], -v[46:47], v[144:145], v[30:31]
	;; [unrolled: 1-line block ×3, first 2 shown]
	ds_read2_b64 v[142:145], v136 offset0:54 offset1:55
	v_fma_f64 v[26:27], -v[46:47], v[148:149], v[26:27]
	ds_read2_b64 v[146:149], v136 offset0:56 offset1:57
	v_fma_f64 v[24:25], -v[46:47], v[150:151], v[24:25]
	v_fma_f64 v[22:23], -v[46:47], v[152:153], v[22:23]
	s_waitcnt lgkmcnt(0)
	v_fma_f64 v[20:21], -v[46:47], v[142:143], v[20:21]
	v_fma_f64 v[18:19], -v[46:47], v[144:145], v[18:19]
	ds_read2_b64 v[142:145], v136 offset0:58 offset1:59
	ds_read2_b64 v[150:153], v136 offset0:60 offset1:61
	v_fma_f64 v[16:17], -v[46:47], v[146:147], v[16:17]
	v_fma_f64 v[14:15], -v[46:47], v[148:149], v[14:15]
	ds_read2_b64 v[146:149], v136 offset0:62 offset1:63
	s_waitcnt lgkmcnt(0)
	v_fma_f64 v[12:13], -v[46:47], v[142:143], v[12:13]
	v_fma_f64 v[10:11], -v[46:47], v[144:145], v[10:11]
	;; [unrolled: 1-line block ×6, first 2 shown]
.LBB126_709:
	s_or_b64 exec, exec, s[0:1]
	v_lshl_add_u32 v132, v137, 3, v136
	s_barrier
	ds_write_b64 v132, v[44:45]
	s_waitcnt lgkmcnt(0)
	s_barrier
	ds_read_b64 v[132:133], v136 offset:336
	s_cmp_lt_i32 s18, 44
	v_mov_b32_e32 v134, 42
	s_cbranch_scc1 .LBB126_712
; %bb.710:
	v_add_u32_e32 v141, 0x158, v136
	s_mov_b32 s0, 43
	v_mov_b32_e32 v134, 42
.LBB126_711:                            ; =>This Inner Loop Header: Depth=1
	ds_read_b64 v[142:143], v141
	v_mov_b32_e32 v144, s0
	s_add_i32 s0, s0, 1
	v_add_u32_e32 v141, 8, v141
	s_cmp_lg_u32 s18, s0
	s_waitcnt lgkmcnt(0)
	v_cmp_lt_f64_e64 vcc, |v[132:133]|, |v[142:143]|
	v_cndmask_b32_e32 v133, v133, v143, vcc
	v_cndmask_b32_e32 v132, v132, v142, vcc
	;; [unrolled: 1-line block ×3, first 2 shown]
	s_cbranch_scc1 .LBB126_711
.LBB126_712:
	s_waitcnt lgkmcnt(0)
	v_cmp_eq_f64_e32 vcc, 0, v[132:133]
	s_and_saveexec_b64 s[0:1], vcc
	s_xor_b64 s[0:1], exec, s[0:1]
; %bb.713:
	v_cmp_ne_u32_e32 vcc, 0, v140
	v_cndmask_b32_e32 v140, 43, v140, vcc
; %bb.714:
	s_andn2_saveexec_b64 s[0:1], s[0:1]
; %bb.715:
	v_div_scale_f64 v[142:143], s[2:3], v[132:133], v[132:133], 1.0
	v_rcp_f64_e32 v[144:145], v[142:143]
	v_div_scale_f64 v[146:147], vcc, 1.0, v[132:133], 1.0
	v_fma_f64 v[148:149], -v[142:143], v[144:145], 1.0
	v_fmac_f64_e32 v[144:145], v[144:145], v[148:149]
	v_fma_f64 v[148:149], -v[142:143], v[144:145], 1.0
	v_fmac_f64_e32 v[144:145], v[144:145], v[148:149]
	v_mul_f64 v[148:149], v[146:147], v[144:145]
	v_fma_f64 v[142:143], -v[142:143], v[148:149], v[146:147]
	v_div_fmas_f64 v[142:143], v[142:143], v[144:145], v[148:149]
	v_div_fixup_f64 v[132:133], v[142:143], v[132:133], 1.0
; %bb.716:
	s_or_b64 exec, exec, s[0:1]
	v_cmp_ne_u32_e32 vcc, v137, v134
	s_and_saveexec_b64 s[0:1], vcc
	s_xor_b64 s[0:1], exec, s[0:1]
	s_cbranch_execz .LBB126_722
; %bb.717:
	v_cmp_eq_u32_e32 vcc, 42, v137
	s_and_saveexec_b64 s[2:3], vcc
	s_cbranch_execz .LBB126_721
; %bb.718:
	v_cmp_ne_u32_e32 vcc, 42, v134
	s_xor_b64 s[14:15], s[6:7], -1
	s_and_b64 s[16:17], s[14:15], vcc
	s_and_saveexec_b64 s[14:15], s[16:17]
	s_cbranch_execz .LBB126_720
; %bb.719:
	v_ashrrev_i32_e32 v135, 31, v134
	v_lshlrev_b64 v[142:143], 2, v[134:135]
	v_add_co_u32_e32 v142, vcc, v4, v142
	v_addc_co_u32_e32 v143, vcc, v5, v143, vcc
	flat_load_dword v135, v[142:143]
	flat_load_dword v137, v[4:5] offset:168
	s_waitcnt vmcnt(0) lgkmcnt(0)
	flat_store_dword v[4:5], v135 offset:168
	flat_store_dword v[142:143], v137
.LBB126_720:
	s_or_b64 exec, exec, s[14:15]
	v_mov_b32_e32 v135, v134
	v_mov_b32_e32 v137, v134
.LBB126_721:
	s_or_b64 exec, exec, s[2:3]
.LBB126_722:
	s_andn2_saveexec_b64 s[0:1], s[0:1]
	s_cbranch_execz .LBB126_724
; %bb.723:
	v_mov_b32_e32 v137, 42
	ds_write2_b64 v136, v[42:43], v[40:41] offset0:43 offset1:44
	ds_write2_b64 v136, v[38:39], v[36:37] offset0:45 offset1:46
	;; [unrolled: 1-line block ×10, first 2 shown]
	ds_write_b64 v136, v[130:131] offset:504
.LBB126_724:
	s_or_b64 exec, exec, s[0:1]
	v_cmp_lt_i32_e32 vcc, 42, v137
	s_waitcnt lgkmcnt(0)
	s_barrier
	s_and_saveexec_b64 s[0:1], vcc
	s_cbranch_execz .LBB126_726
; %bb.725:
	ds_read2_b64 v[142:145], v136 offset0:43 offset1:44
	ds_read2_b64 v[146:149], v136 offset0:45 offset1:46
	v_mul_f64 v[44:45], v[132:133], v[44:45]
	ds_read2_b64 v[150:153], v136 offset0:47 offset1:48
	ds_read_b64 v[132:133], v136 offset:504
	s_waitcnt lgkmcnt(0)
	v_fma_f64 v[42:43], -v[44:45], v[142:143], v[42:43]
	v_fma_f64 v[40:41], -v[44:45], v[144:145], v[40:41]
	ds_read2_b64 v[142:145], v136 offset0:49 offset1:50
	v_fma_f64 v[38:39], -v[44:45], v[146:147], v[38:39]
	v_fma_f64 v[36:37], -v[44:45], v[148:149], v[36:37]
	;; [unrolled: 1-line block ×3, first 2 shown]
	ds_read2_b64 v[146:149], v136 offset0:51 offset1:52
	v_fma_f64 v[32:33], -v[44:45], v[152:153], v[32:33]
	ds_read2_b64 v[150:153], v136 offset0:53 offset1:54
	s_waitcnt lgkmcnt(0)
	v_fma_f64 v[30:31], -v[44:45], v[142:143], v[30:31]
	v_fma_f64 v[28:29], -v[44:45], v[144:145], v[28:29]
	ds_read2_b64 v[142:145], v136 offset0:55 offset1:56
	v_fma_f64 v[26:27], -v[44:45], v[146:147], v[26:27]
	v_fma_f64 v[24:25], -v[44:45], v[148:149], v[24:25]
	ds_read2_b64 v[146:149], v136 offset0:57 offset1:58
	v_fma_f64 v[22:23], -v[44:45], v[150:151], v[22:23]
	v_fma_f64 v[20:21], -v[44:45], v[152:153], v[20:21]
	s_waitcnt lgkmcnt(0)
	v_fma_f64 v[18:19], -v[44:45], v[142:143], v[18:19]
	v_fma_f64 v[16:17], -v[44:45], v[144:145], v[16:17]
	ds_read2_b64 v[142:145], v136 offset0:59 offset1:60
	ds_read2_b64 v[150:153], v136 offset0:61 offset1:62
	v_fma_f64 v[14:15], -v[44:45], v[146:147], v[14:15]
	v_fma_f64 v[12:13], -v[44:45], v[148:149], v[12:13]
	;; [unrolled: 1-line block ×3, first 2 shown]
	s_waitcnt lgkmcnt(0)
	v_fma_f64 v[10:11], -v[44:45], v[142:143], v[10:11]
	v_fma_f64 v[8:9], -v[44:45], v[144:145], v[8:9]
	;; [unrolled: 1-line block ×4, first 2 shown]
.LBB126_726:
	s_or_b64 exec, exec, s[0:1]
	v_lshl_add_u32 v132, v137, 3, v136
	s_barrier
	ds_write_b64 v132, v[42:43]
	s_waitcnt lgkmcnt(0)
	s_barrier
	ds_read_b64 v[132:133], v136 offset:344
	s_cmp_lt_i32 s18, 45
	v_mov_b32_e32 v134, 43
	s_cbranch_scc1 .LBB126_729
; %bb.727:
	v_add_u32_e32 v141, 0x160, v136
	s_mov_b32 s0, 44
	v_mov_b32_e32 v134, 43
.LBB126_728:                            ; =>This Inner Loop Header: Depth=1
	ds_read_b64 v[142:143], v141
	v_mov_b32_e32 v144, s0
	s_add_i32 s0, s0, 1
	v_add_u32_e32 v141, 8, v141
	s_cmp_lg_u32 s18, s0
	s_waitcnt lgkmcnt(0)
	v_cmp_lt_f64_e64 vcc, |v[132:133]|, |v[142:143]|
	v_cndmask_b32_e32 v133, v133, v143, vcc
	v_cndmask_b32_e32 v132, v132, v142, vcc
	;; [unrolled: 1-line block ×3, first 2 shown]
	s_cbranch_scc1 .LBB126_728
.LBB126_729:
	s_waitcnt lgkmcnt(0)
	v_cmp_eq_f64_e32 vcc, 0, v[132:133]
	s_and_saveexec_b64 s[0:1], vcc
	s_xor_b64 s[0:1], exec, s[0:1]
; %bb.730:
	v_cmp_ne_u32_e32 vcc, 0, v140
	v_cndmask_b32_e32 v140, 44, v140, vcc
; %bb.731:
	s_andn2_saveexec_b64 s[0:1], s[0:1]
; %bb.732:
	v_div_scale_f64 v[142:143], s[2:3], v[132:133], v[132:133], 1.0
	v_rcp_f64_e32 v[144:145], v[142:143]
	v_div_scale_f64 v[146:147], vcc, 1.0, v[132:133], 1.0
	v_fma_f64 v[148:149], -v[142:143], v[144:145], 1.0
	v_fmac_f64_e32 v[144:145], v[144:145], v[148:149]
	v_fma_f64 v[148:149], -v[142:143], v[144:145], 1.0
	v_fmac_f64_e32 v[144:145], v[144:145], v[148:149]
	v_mul_f64 v[148:149], v[146:147], v[144:145]
	v_fma_f64 v[142:143], -v[142:143], v[148:149], v[146:147]
	v_div_fmas_f64 v[142:143], v[142:143], v[144:145], v[148:149]
	v_div_fixup_f64 v[132:133], v[142:143], v[132:133], 1.0
; %bb.733:
	s_or_b64 exec, exec, s[0:1]
	v_cmp_ne_u32_e32 vcc, v137, v134
	s_and_saveexec_b64 s[0:1], vcc
	s_xor_b64 s[0:1], exec, s[0:1]
	s_cbranch_execz .LBB126_739
; %bb.734:
	v_cmp_eq_u32_e32 vcc, 43, v137
	s_and_saveexec_b64 s[2:3], vcc
	s_cbranch_execz .LBB126_738
; %bb.735:
	v_cmp_ne_u32_e32 vcc, 43, v134
	s_xor_b64 s[14:15], s[6:7], -1
	s_and_b64 s[16:17], s[14:15], vcc
	s_and_saveexec_b64 s[14:15], s[16:17]
	s_cbranch_execz .LBB126_737
; %bb.736:
	v_ashrrev_i32_e32 v135, 31, v134
	v_lshlrev_b64 v[142:143], 2, v[134:135]
	v_add_co_u32_e32 v142, vcc, v4, v142
	v_addc_co_u32_e32 v143, vcc, v5, v143, vcc
	flat_load_dword v135, v[142:143]
	flat_load_dword v137, v[4:5] offset:172
	s_waitcnt vmcnt(0) lgkmcnt(0)
	flat_store_dword v[4:5], v135 offset:172
	flat_store_dword v[142:143], v137
.LBB126_737:
	s_or_b64 exec, exec, s[14:15]
	v_mov_b32_e32 v135, v134
	v_mov_b32_e32 v137, v134
.LBB126_738:
	s_or_b64 exec, exec, s[2:3]
.LBB126_739:
	s_andn2_saveexec_b64 s[0:1], s[0:1]
	s_cbranch_execz .LBB126_741
; %bb.740:
	v_mov_b32_e32 v142, v40
	v_mov_b32_e32 v143, v41
	v_mov_b32_e32 v144, v38
	v_mov_b32_e32 v145, v39
	ds_write2_b64 v136, v[142:143], v[144:145] offset0:44 offset1:45
	v_mov_b32_e32 v142, v36
	v_mov_b32_e32 v143, v37
	v_mov_b32_e32 v144, v34
	v_mov_b32_e32 v145, v35
	ds_write2_b64 v136, v[142:143], v[144:145] offset0:46 offset1:47
	;; [unrolled: 5-line block ×9, first 2 shown]
	v_mov_b32_e32 v142, v0
	v_mov_b32_e32 v143, v1
	;; [unrolled: 1-line block ×3, first 2 shown]
	ds_write2_b64 v136, v[142:143], v[130:131] offset0:62 offset1:63
.LBB126_741:
	s_or_b64 exec, exec, s[0:1]
	v_cmp_lt_i32_e32 vcc, 43, v137
	s_waitcnt lgkmcnt(0)
	s_barrier
	s_and_saveexec_b64 s[0:1], vcc
	s_cbranch_execz .LBB126_743
; %bb.742:
	ds_read2_b64 v[142:145], v136 offset0:44 offset1:45
	ds_read2_b64 v[146:149], v136 offset0:46 offset1:47
	v_mul_f64 v[42:43], v[132:133], v[42:43]
	ds_read2_b64 v[150:153], v136 offset0:48 offset1:49
	s_waitcnt lgkmcnt(0)
	v_fma_f64 v[40:41], -v[42:43], v[142:143], v[40:41]
	v_fma_f64 v[38:39], -v[42:43], v[144:145], v[38:39]
	ds_read2_b64 v[142:145], v136 offset0:50 offset1:51
	v_fma_f64 v[36:37], -v[42:43], v[146:147], v[36:37]
	v_fma_f64 v[34:35], -v[42:43], v[148:149], v[34:35]
	;; [unrolled: 1-line block ×3, first 2 shown]
	ds_read2_b64 v[146:149], v136 offset0:52 offset1:53
	v_fma_f64 v[30:31], -v[42:43], v[152:153], v[30:31]
	ds_read2_b64 v[150:153], v136 offset0:54 offset1:55
	s_waitcnt lgkmcnt(0)
	v_fma_f64 v[28:29], -v[42:43], v[142:143], v[28:29]
	v_fma_f64 v[26:27], -v[42:43], v[144:145], v[26:27]
	ds_read2_b64 v[142:145], v136 offset0:56 offset1:57
	v_fma_f64 v[24:25], -v[42:43], v[146:147], v[24:25]
	v_fma_f64 v[22:23], -v[42:43], v[148:149], v[22:23]
	ds_read2_b64 v[146:149], v136 offset0:58 offset1:59
	v_fma_f64 v[20:21], -v[42:43], v[150:151], v[20:21]
	v_fma_f64 v[18:19], -v[42:43], v[152:153], v[18:19]
	s_waitcnt lgkmcnt(0)
	v_fma_f64 v[16:17], -v[42:43], v[142:143], v[16:17]
	ds_read2_b64 v[150:153], v136 offset0:60 offset1:61
	v_fma_f64 v[14:15], -v[42:43], v[144:145], v[14:15]
	ds_read2_b64 v[142:145], v136 offset0:62 offset1:63
	v_fma_f64 v[12:13], -v[42:43], v[146:147], v[12:13]
	v_fma_f64 v[10:11], -v[42:43], v[148:149], v[10:11]
	s_waitcnt lgkmcnt(0)
	v_fma_f64 v[8:9], -v[42:43], v[150:151], v[8:9]
	v_fma_f64 v[6:7], -v[42:43], v[152:153], v[6:7]
	;; [unrolled: 1-line block ×4, first 2 shown]
.LBB126_743:
	s_or_b64 exec, exec, s[0:1]
	v_lshl_add_u32 v132, v137, 3, v136
	s_barrier
	ds_write_b64 v132, v[40:41]
	s_waitcnt lgkmcnt(0)
	s_barrier
	ds_read_b64 v[132:133], v136 offset:352
	s_cmp_lt_i32 s18, 46
	v_mov_b32_e32 v134, 44
	s_cbranch_scc1 .LBB126_746
; %bb.744:
	v_add_u32_e32 v141, 0x168, v136
	s_mov_b32 s0, 45
	v_mov_b32_e32 v134, 44
.LBB126_745:                            ; =>This Inner Loop Header: Depth=1
	ds_read_b64 v[142:143], v141
	v_mov_b32_e32 v144, s0
	s_add_i32 s0, s0, 1
	v_add_u32_e32 v141, 8, v141
	s_cmp_lg_u32 s18, s0
	s_waitcnt lgkmcnt(0)
	v_cmp_lt_f64_e64 vcc, |v[132:133]|, |v[142:143]|
	v_cndmask_b32_e32 v133, v133, v143, vcc
	v_cndmask_b32_e32 v132, v132, v142, vcc
	;; [unrolled: 1-line block ×3, first 2 shown]
	s_cbranch_scc1 .LBB126_745
.LBB126_746:
	s_waitcnt lgkmcnt(0)
	v_cmp_eq_f64_e32 vcc, 0, v[132:133]
	s_and_saveexec_b64 s[0:1], vcc
	s_xor_b64 s[0:1], exec, s[0:1]
; %bb.747:
	v_cmp_ne_u32_e32 vcc, 0, v140
	v_cndmask_b32_e32 v140, 45, v140, vcc
; %bb.748:
	s_andn2_saveexec_b64 s[0:1], s[0:1]
; %bb.749:
	v_div_scale_f64 v[142:143], s[2:3], v[132:133], v[132:133], 1.0
	v_rcp_f64_e32 v[144:145], v[142:143]
	v_div_scale_f64 v[146:147], vcc, 1.0, v[132:133], 1.0
	v_fma_f64 v[148:149], -v[142:143], v[144:145], 1.0
	v_fmac_f64_e32 v[144:145], v[144:145], v[148:149]
	v_fma_f64 v[148:149], -v[142:143], v[144:145], 1.0
	v_fmac_f64_e32 v[144:145], v[144:145], v[148:149]
	v_mul_f64 v[148:149], v[146:147], v[144:145]
	v_fma_f64 v[142:143], -v[142:143], v[148:149], v[146:147]
	v_div_fmas_f64 v[142:143], v[142:143], v[144:145], v[148:149]
	v_div_fixup_f64 v[132:133], v[142:143], v[132:133], 1.0
; %bb.750:
	s_or_b64 exec, exec, s[0:1]
	v_cmp_ne_u32_e32 vcc, v137, v134
	s_and_saveexec_b64 s[0:1], vcc
	s_xor_b64 s[0:1], exec, s[0:1]
	s_cbranch_execz .LBB126_756
; %bb.751:
	v_cmp_eq_u32_e32 vcc, 44, v137
	s_and_saveexec_b64 s[2:3], vcc
	s_cbranch_execz .LBB126_755
; %bb.752:
	v_cmp_ne_u32_e32 vcc, 44, v134
	s_xor_b64 s[14:15], s[6:7], -1
	s_and_b64 s[16:17], s[14:15], vcc
	s_and_saveexec_b64 s[14:15], s[16:17]
	s_cbranch_execz .LBB126_754
; %bb.753:
	v_ashrrev_i32_e32 v135, 31, v134
	v_lshlrev_b64 v[142:143], 2, v[134:135]
	v_add_co_u32_e32 v142, vcc, v4, v142
	v_addc_co_u32_e32 v143, vcc, v5, v143, vcc
	flat_load_dword v135, v[142:143]
	flat_load_dword v137, v[4:5] offset:176
	s_waitcnt vmcnt(0) lgkmcnt(0)
	flat_store_dword v[4:5], v135 offset:176
	flat_store_dword v[142:143], v137
.LBB126_754:
	s_or_b64 exec, exec, s[14:15]
	v_mov_b32_e32 v135, v134
	v_mov_b32_e32 v137, v134
.LBB126_755:
	s_or_b64 exec, exec, s[2:3]
.LBB126_756:
	s_andn2_saveexec_b64 s[0:1], s[0:1]
	s_cbranch_execz .LBB126_758
; %bb.757:
	v_mov_b32_e32 v137, 44
	ds_write2_b64 v136, v[38:39], v[36:37] offset0:45 offset1:46
	ds_write2_b64 v136, v[34:35], v[32:33] offset0:47 offset1:48
	;; [unrolled: 1-line block ×9, first 2 shown]
	ds_write_b64 v136, v[130:131] offset:504
.LBB126_758:
	s_or_b64 exec, exec, s[0:1]
	v_cmp_lt_i32_e32 vcc, 44, v137
	s_waitcnt lgkmcnt(0)
	s_barrier
	s_and_saveexec_b64 s[0:1], vcc
	s_cbranch_execz .LBB126_760
; %bb.759:
	ds_read2_b64 v[142:145], v136 offset0:45 offset1:46
	ds_read2_b64 v[146:149], v136 offset0:47 offset1:48
	;; [unrolled: 1-line block ×3, first 2 shown]
	v_mul_f64 v[40:41], v[132:133], v[40:41]
	ds_read_b64 v[132:133], v136 offset:504
	s_waitcnt lgkmcnt(0)
	v_fma_f64 v[38:39], -v[40:41], v[142:143], v[38:39]
	v_fma_f64 v[36:37], -v[40:41], v[144:145], v[36:37]
	ds_read2_b64 v[142:145], v136 offset0:51 offset1:52
	v_fma_f64 v[34:35], -v[40:41], v[146:147], v[34:35]
	v_fma_f64 v[32:33], -v[40:41], v[148:149], v[32:33]
	;; [unrolled: 1-line block ×3, first 2 shown]
	ds_read2_b64 v[146:149], v136 offset0:53 offset1:54
	v_fma_f64 v[28:29], -v[40:41], v[152:153], v[28:29]
	ds_read2_b64 v[150:153], v136 offset0:55 offset1:56
	s_waitcnt lgkmcnt(0)
	v_fma_f64 v[26:27], -v[40:41], v[142:143], v[26:27]
	v_fma_f64 v[24:25], -v[40:41], v[144:145], v[24:25]
	;; [unrolled: 1-line block ×3, first 2 shown]
	ds_read2_b64 v[142:145], v136 offset0:57 offset1:58
	v_fma_f64 v[20:21], -v[40:41], v[148:149], v[20:21]
	ds_read2_b64 v[146:149], v136 offset0:59 offset1:60
	v_fma_f64 v[18:19], -v[40:41], v[150:151], v[18:19]
	v_fma_f64 v[16:17], -v[40:41], v[152:153], v[16:17]
	ds_read2_b64 v[150:153], v136 offset0:61 offset1:62
	s_waitcnt lgkmcnt(0)
	v_fma_f64 v[14:15], -v[40:41], v[142:143], v[14:15]
	v_fma_f64 v[12:13], -v[40:41], v[144:145], v[12:13]
	;; [unrolled: 1-line block ×7, first 2 shown]
.LBB126_760:
	s_or_b64 exec, exec, s[0:1]
	v_lshl_add_u32 v132, v137, 3, v136
	s_barrier
	ds_write_b64 v132, v[38:39]
	s_waitcnt lgkmcnt(0)
	s_barrier
	ds_read_b64 v[132:133], v136 offset:360
	s_cmp_lt_i32 s18, 47
	v_mov_b32_e32 v134, 45
	s_cbranch_scc1 .LBB126_763
; %bb.761:
	v_add_u32_e32 v141, 0x170, v136
	s_mov_b32 s0, 46
	v_mov_b32_e32 v134, 45
.LBB126_762:                            ; =>This Inner Loop Header: Depth=1
	ds_read_b64 v[142:143], v141
	v_mov_b32_e32 v144, s0
	s_add_i32 s0, s0, 1
	v_add_u32_e32 v141, 8, v141
	s_cmp_lg_u32 s18, s0
	s_waitcnt lgkmcnt(0)
	v_cmp_lt_f64_e64 vcc, |v[132:133]|, |v[142:143]|
	v_cndmask_b32_e32 v133, v133, v143, vcc
	v_cndmask_b32_e32 v132, v132, v142, vcc
	;; [unrolled: 1-line block ×3, first 2 shown]
	s_cbranch_scc1 .LBB126_762
.LBB126_763:
	s_waitcnt lgkmcnt(0)
	v_cmp_eq_f64_e32 vcc, 0, v[132:133]
	s_and_saveexec_b64 s[0:1], vcc
	s_xor_b64 s[0:1], exec, s[0:1]
; %bb.764:
	v_cmp_ne_u32_e32 vcc, 0, v140
	v_cndmask_b32_e32 v140, 46, v140, vcc
; %bb.765:
	s_andn2_saveexec_b64 s[0:1], s[0:1]
; %bb.766:
	v_div_scale_f64 v[142:143], s[2:3], v[132:133], v[132:133], 1.0
	v_rcp_f64_e32 v[144:145], v[142:143]
	v_div_scale_f64 v[146:147], vcc, 1.0, v[132:133], 1.0
	v_fma_f64 v[148:149], -v[142:143], v[144:145], 1.0
	v_fmac_f64_e32 v[144:145], v[144:145], v[148:149]
	v_fma_f64 v[148:149], -v[142:143], v[144:145], 1.0
	v_fmac_f64_e32 v[144:145], v[144:145], v[148:149]
	v_mul_f64 v[148:149], v[146:147], v[144:145]
	v_fma_f64 v[142:143], -v[142:143], v[148:149], v[146:147]
	v_div_fmas_f64 v[142:143], v[142:143], v[144:145], v[148:149]
	v_div_fixup_f64 v[132:133], v[142:143], v[132:133], 1.0
; %bb.767:
	s_or_b64 exec, exec, s[0:1]
	v_cmp_ne_u32_e32 vcc, v137, v134
	s_and_saveexec_b64 s[0:1], vcc
	s_xor_b64 s[0:1], exec, s[0:1]
	s_cbranch_execz .LBB126_773
; %bb.768:
	v_cmp_eq_u32_e32 vcc, 45, v137
	s_and_saveexec_b64 s[2:3], vcc
	s_cbranch_execz .LBB126_772
; %bb.769:
	v_cmp_ne_u32_e32 vcc, 45, v134
	s_xor_b64 s[14:15], s[6:7], -1
	s_and_b64 s[16:17], s[14:15], vcc
	s_and_saveexec_b64 s[14:15], s[16:17]
	s_cbranch_execz .LBB126_771
; %bb.770:
	v_ashrrev_i32_e32 v135, 31, v134
	v_lshlrev_b64 v[142:143], 2, v[134:135]
	v_add_co_u32_e32 v142, vcc, v4, v142
	v_addc_co_u32_e32 v143, vcc, v5, v143, vcc
	flat_load_dword v135, v[142:143]
	flat_load_dword v137, v[4:5] offset:180
	s_waitcnt vmcnt(0) lgkmcnt(0)
	flat_store_dword v[4:5], v135 offset:180
	flat_store_dword v[142:143], v137
.LBB126_771:
	s_or_b64 exec, exec, s[14:15]
	v_mov_b32_e32 v135, v134
	v_mov_b32_e32 v137, v134
.LBB126_772:
	s_or_b64 exec, exec, s[2:3]
.LBB126_773:
	s_andn2_saveexec_b64 s[0:1], s[0:1]
	s_cbranch_execz .LBB126_775
; %bb.774:
	v_mov_b32_e32 v142, v36
	v_mov_b32_e32 v143, v37
	v_mov_b32_e32 v144, v34
	v_mov_b32_e32 v145, v35
	ds_write2_b64 v136, v[142:143], v[144:145] offset0:46 offset1:47
	v_mov_b32_e32 v142, v32
	v_mov_b32_e32 v143, v33
	v_mov_b32_e32 v144, v30
	v_mov_b32_e32 v145, v31
	ds_write2_b64 v136, v[142:143], v[144:145] offset0:48 offset1:49
	v_mov_b32_e32 v142, v28
	v_mov_b32_e32 v143, v29
	v_mov_b32_e32 v144, v26
	v_mov_b32_e32 v145, v27
	ds_write2_b64 v136, v[142:143], v[144:145] offset0:50 offset1:51
	v_mov_b32_e32 v142, v24
	v_mov_b32_e32 v143, v25
	v_mov_b32_e32 v144, v22
	v_mov_b32_e32 v145, v23
	ds_write2_b64 v136, v[142:143], v[144:145] offset0:52 offset1:53
	v_mov_b32_e32 v142, v20
	v_mov_b32_e32 v143, v21
	v_mov_b32_e32 v144, v18
	v_mov_b32_e32 v145, v19
	ds_write2_b64 v136, v[142:143], v[144:145] offset0:54 offset1:55
	v_mov_b32_e32 v142, v16
	v_mov_b32_e32 v143, v17
	v_mov_b32_e32 v144, v14
	v_mov_b32_e32 v145, v15
	ds_write2_b64 v136, v[142:143], v[144:145] offset0:56 offset1:57
	v_mov_b32_e32 v142, v12
	v_mov_b32_e32 v143, v13
	v_mov_b32_e32 v144, v10
	v_mov_b32_e32 v145, v11
	ds_write2_b64 v136, v[142:143], v[144:145] offset0:58 offset1:59
	v_mov_b32_e32 v142, v8
	v_mov_b32_e32 v143, v9
	v_mov_b32_e32 v144, v6
	v_mov_b32_e32 v145, v7
	ds_write2_b64 v136, v[142:143], v[144:145] offset0:60 offset1:61
	v_mov_b32_e32 v142, v0
	v_mov_b32_e32 v143, v1
	;; [unrolled: 1-line block ×3, first 2 shown]
	ds_write2_b64 v136, v[142:143], v[130:131] offset0:62 offset1:63
.LBB126_775:
	s_or_b64 exec, exec, s[0:1]
	v_cmp_lt_i32_e32 vcc, 45, v137
	s_waitcnt lgkmcnt(0)
	s_barrier
	s_and_saveexec_b64 s[0:1], vcc
	s_cbranch_execz .LBB126_777
; %bb.776:
	ds_read2_b64 v[142:145], v136 offset0:46 offset1:47
	ds_read2_b64 v[146:149], v136 offset0:48 offset1:49
	;; [unrolled: 1-line block ×3, first 2 shown]
	v_mul_f64 v[38:39], v[132:133], v[38:39]
	s_waitcnt lgkmcnt(0)
	v_fma_f64 v[36:37], -v[38:39], v[142:143], v[36:37]
	v_fma_f64 v[34:35], -v[38:39], v[144:145], v[34:35]
	ds_read2_b64 v[142:145], v136 offset0:52 offset1:53
	v_fma_f64 v[32:33], -v[38:39], v[146:147], v[32:33]
	v_fma_f64 v[30:31], -v[38:39], v[148:149], v[30:31]
	;; [unrolled: 1-line block ×3, first 2 shown]
	ds_read2_b64 v[146:149], v136 offset0:54 offset1:55
	v_fma_f64 v[26:27], -v[38:39], v[152:153], v[26:27]
	ds_read2_b64 v[150:153], v136 offset0:56 offset1:57
	s_waitcnt lgkmcnt(0)
	v_fma_f64 v[24:25], -v[38:39], v[142:143], v[24:25]
	v_fma_f64 v[22:23], -v[38:39], v[144:145], v[22:23]
	v_fma_f64 v[20:21], -v[38:39], v[146:147], v[20:21]
	v_fma_f64 v[18:19], -v[38:39], v[148:149], v[18:19]
	ds_read2_b64 v[142:145], v136 offset0:58 offset1:59
	ds_read2_b64 v[146:149], v136 offset0:60 offset1:61
	v_fma_f64 v[16:17], -v[38:39], v[150:151], v[16:17]
	v_fma_f64 v[14:15], -v[38:39], v[152:153], v[14:15]
	ds_read2_b64 v[150:153], v136 offset0:62 offset1:63
	s_waitcnt lgkmcnt(0)
	v_fma_f64 v[12:13], -v[38:39], v[142:143], v[12:13]
	v_fma_f64 v[10:11], -v[38:39], v[144:145], v[10:11]
	;; [unrolled: 1-line block ×6, first 2 shown]
.LBB126_777:
	s_or_b64 exec, exec, s[0:1]
	v_lshl_add_u32 v132, v137, 3, v136
	s_barrier
	ds_write_b64 v132, v[36:37]
	s_waitcnt lgkmcnt(0)
	s_barrier
	ds_read_b64 v[132:133], v136 offset:368
	s_cmp_lt_i32 s18, 48
	v_mov_b32_e32 v134, 46
	s_cbranch_scc1 .LBB126_780
; %bb.778:
	v_add_u32_e32 v141, 0x178, v136
	s_mov_b32 s0, 47
	v_mov_b32_e32 v134, 46
.LBB126_779:                            ; =>This Inner Loop Header: Depth=1
	ds_read_b64 v[142:143], v141
	v_mov_b32_e32 v144, s0
	s_add_i32 s0, s0, 1
	v_add_u32_e32 v141, 8, v141
	s_cmp_lg_u32 s18, s0
	s_waitcnt lgkmcnt(0)
	v_cmp_lt_f64_e64 vcc, |v[132:133]|, |v[142:143]|
	v_cndmask_b32_e32 v133, v133, v143, vcc
	v_cndmask_b32_e32 v132, v132, v142, vcc
	;; [unrolled: 1-line block ×3, first 2 shown]
	s_cbranch_scc1 .LBB126_779
.LBB126_780:
	s_waitcnt lgkmcnt(0)
	v_cmp_eq_f64_e32 vcc, 0, v[132:133]
	s_and_saveexec_b64 s[0:1], vcc
	s_xor_b64 s[0:1], exec, s[0:1]
; %bb.781:
	v_cmp_ne_u32_e32 vcc, 0, v140
	v_cndmask_b32_e32 v140, 47, v140, vcc
; %bb.782:
	s_andn2_saveexec_b64 s[0:1], s[0:1]
; %bb.783:
	v_div_scale_f64 v[142:143], s[2:3], v[132:133], v[132:133], 1.0
	v_rcp_f64_e32 v[144:145], v[142:143]
	v_div_scale_f64 v[146:147], vcc, 1.0, v[132:133], 1.0
	v_fma_f64 v[148:149], -v[142:143], v[144:145], 1.0
	v_fmac_f64_e32 v[144:145], v[144:145], v[148:149]
	v_fma_f64 v[148:149], -v[142:143], v[144:145], 1.0
	v_fmac_f64_e32 v[144:145], v[144:145], v[148:149]
	v_mul_f64 v[148:149], v[146:147], v[144:145]
	v_fma_f64 v[142:143], -v[142:143], v[148:149], v[146:147]
	v_div_fmas_f64 v[142:143], v[142:143], v[144:145], v[148:149]
	v_div_fixup_f64 v[132:133], v[142:143], v[132:133], 1.0
; %bb.784:
	s_or_b64 exec, exec, s[0:1]
	v_cmp_ne_u32_e32 vcc, v137, v134
	s_and_saveexec_b64 s[0:1], vcc
	s_xor_b64 s[0:1], exec, s[0:1]
	s_cbranch_execz .LBB126_790
; %bb.785:
	v_cmp_eq_u32_e32 vcc, 46, v137
	s_and_saveexec_b64 s[2:3], vcc
	s_cbranch_execz .LBB126_789
; %bb.786:
	v_cmp_ne_u32_e32 vcc, 46, v134
	s_xor_b64 s[14:15], s[6:7], -1
	s_and_b64 s[16:17], s[14:15], vcc
	s_and_saveexec_b64 s[14:15], s[16:17]
	s_cbranch_execz .LBB126_788
; %bb.787:
	v_ashrrev_i32_e32 v135, 31, v134
	v_lshlrev_b64 v[142:143], 2, v[134:135]
	v_add_co_u32_e32 v142, vcc, v4, v142
	v_addc_co_u32_e32 v143, vcc, v5, v143, vcc
	flat_load_dword v135, v[142:143]
	flat_load_dword v137, v[4:5] offset:184
	s_waitcnt vmcnt(0) lgkmcnt(0)
	flat_store_dword v[4:5], v135 offset:184
	flat_store_dword v[142:143], v137
.LBB126_788:
	s_or_b64 exec, exec, s[14:15]
	v_mov_b32_e32 v135, v134
	v_mov_b32_e32 v137, v134
.LBB126_789:
	s_or_b64 exec, exec, s[2:3]
.LBB126_790:
	s_andn2_saveexec_b64 s[0:1], s[0:1]
	s_cbranch_execz .LBB126_792
; %bb.791:
	v_mov_b32_e32 v137, 46
	ds_write2_b64 v136, v[34:35], v[32:33] offset0:47 offset1:48
	ds_write2_b64 v136, v[30:31], v[28:29] offset0:49 offset1:50
	;; [unrolled: 1-line block ×8, first 2 shown]
	ds_write_b64 v136, v[130:131] offset:504
.LBB126_792:
	s_or_b64 exec, exec, s[0:1]
	v_cmp_lt_i32_e32 vcc, 46, v137
	s_waitcnt lgkmcnt(0)
	s_barrier
	s_and_saveexec_b64 s[0:1], vcc
	s_cbranch_execz .LBB126_794
; %bb.793:
	ds_read2_b64 v[142:145], v136 offset0:47 offset1:48
	ds_read2_b64 v[146:149], v136 offset0:49 offset1:50
	v_mul_f64 v[36:37], v[132:133], v[36:37]
	ds_read2_b64 v[150:153], v136 offset0:51 offset1:52
	ds_read_b64 v[132:133], v136 offset:504
	s_waitcnt lgkmcnt(0)
	v_fma_f64 v[34:35], -v[36:37], v[142:143], v[34:35]
	v_fma_f64 v[32:33], -v[36:37], v[144:145], v[32:33]
	ds_read2_b64 v[142:145], v136 offset0:53 offset1:54
	v_fma_f64 v[30:31], -v[36:37], v[146:147], v[30:31]
	v_fma_f64 v[28:29], -v[36:37], v[148:149], v[28:29]
	ds_read2_b64 v[146:149], v136 offset0:55 offset1:56
	;; [unrolled: 3-line block ×3, first 2 shown]
	s_waitcnt lgkmcnt(0)
	v_fma_f64 v[22:23], -v[36:37], v[142:143], v[22:23]
	v_fma_f64 v[20:21], -v[36:37], v[144:145], v[20:21]
	;; [unrolled: 1-line block ×4, first 2 shown]
	ds_read2_b64 v[142:145], v136 offset0:59 offset1:60
	ds_read2_b64 v[146:149], v136 offset0:61 offset1:62
	v_fma_f64 v[14:15], -v[36:37], v[150:151], v[14:15]
	v_fma_f64 v[12:13], -v[36:37], v[152:153], v[12:13]
	;; [unrolled: 1-line block ×3, first 2 shown]
	s_waitcnt lgkmcnt(0)
	v_fma_f64 v[10:11], -v[36:37], v[142:143], v[10:11]
	v_fma_f64 v[8:9], -v[36:37], v[144:145], v[8:9]
	;; [unrolled: 1-line block ×4, first 2 shown]
.LBB126_794:
	s_or_b64 exec, exec, s[0:1]
	v_lshl_add_u32 v132, v137, 3, v136
	s_barrier
	ds_write_b64 v132, v[34:35]
	s_waitcnt lgkmcnt(0)
	s_barrier
	ds_read_b64 v[132:133], v136 offset:376
	s_cmp_lt_i32 s18, 49
	v_mov_b32_e32 v134, 47
	s_cbranch_scc1 .LBB126_797
; %bb.795:
	v_add_u32_e32 v141, 0x180, v136
	s_mov_b32 s0, 48
	v_mov_b32_e32 v134, 47
.LBB126_796:                            ; =>This Inner Loop Header: Depth=1
	ds_read_b64 v[142:143], v141
	v_mov_b32_e32 v144, s0
	s_add_i32 s0, s0, 1
	v_add_u32_e32 v141, 8, v141
	s_cmp_lg_u32 s18, s0
	s_waitcnt lgkmcnt(0)
	v_cmp_lt_f64_e64 vcc, |v[132:133]|, |v[142:143]|
	v_cndmask_b32_e32 v133, v133, v143, vcc
	v_cndmask_b32_e32 v132, v132, v142, vcc
	;; [unrolled: 1-line block ×3, first 2 shown]
	s_cbranch_scc1 .LBB126_796
.LBB126_797:
	s_waitcnt lgkmcnt(0)
	v_cmp_eq_f64_e32 vcc, 0, v[132:133]
	s_and_saveexec_b64 s[0:1], vcc
	s_xor_b64 s[0:1], exec, s[0:1]
; %bb.798:
	v_cmp_ne_u32_e32 vcc, 0, v140
	v_cndmask_b32_e32 v140, 48, v140, vcc
; %bb.799:
	s_andn2_saveexec_b64 s[0:1], s[0:1]
; %bb.800:
	v_div_scale_f64 v[142:143], s[2:3], v[132:133], v[132:133], 1.0
	v_rcp_f64_e32 v[144:145], v[142:143]
	v_div_scale_f64 v[146:147], vcc, 1.0, v[132:133], 1.0
	v_fma_f64 v[148:149], -v[142:143], v[144:145], 1.0
	v_fmac_f64_e32 v[144:145], v[144:145], v[148:149]
	v_fma_f64 v[148:149], -v[142:143], v[144:145], 1.0
	v_fmac_f64_e32 v[144:145], v[144:145], v[148:149]
	v_mul_f64 v[148:149], v[146:147], v[144:145]
	v_fma_f64 v[142:143], -v[142:143], v[148:149], v[146:147]
	v_div_fmas_f64 v[142:143], v[142:143], v[144:145], v[148:149]
	v_div_fixup_f64 v[132:133], v[142:143], v[132:133], 1.0
; %bb.801:
	s_or_b64 exec, exec, s[0:1]
	v_cmp_ne_u32_e32 vcc, v137, v134
	s_and_saveexec_b64 s[0:1], vcc
	s_xor_b64 s[0:1], exec, s[0:1]
	s_cbranch_execz .LBB126_807
; %bb.802:
	v_cmp_eq_u32_e32 vcc, 47, v137
	s_and_saveexec_b64 s[2:3], vcc
	s_cbranch_execz .LBB126_806
; %bb.803:
	v_cmp_ne_u32_e32 vcc, 47, v134
	s_xor_b64 s[14:15], s[6:7], -1
	s_and_b64 s[16:17], s[14:15], vcc
	s_and_saveexec_b64 s[14:15], s[16:17]
	s_cbranch_execz .LBB126_805
; %bb.804:
	v_ashrrev_i32_e32 v135, 31, v134
	v_lshlrev_b64 v[142:143], 2, v[134:135]
	v_add_co_u32_e32 v142, vcc, v4, v142
	v_addc_co_u32_e32 v143, vcc, v5, v143, vcc
	flat_load_dword v135, v[142:143]
	flat_load_dword v137, v[4:5] offset:188
	s_waitcnt vmcnt(0) lgkmcnt(0)
	flat_store_dword v[4:5], v135 offset:188
	flat_store_dword v[142:143], v137
.LBB126_805:
	s_or_b64 exec, exec, s[14:15]
	v_mov_b32_e32 v135, v134
	v_mov_b32_e32 v137, v134
.LBB126_806:
	s_or_b64 exec, exec, s[2:3]
.LBB126_807:
	s_andn2_saveexec_b64 s[0:1], s[0:1]
	s_cbranch_execz .LBB126_809
; %bb.808:
	v_mov_b32_e32 v142, v32
	v_mov_b32_e32 v143, v33
	v_mov_b32_e32 v144, v30
	v_mov_b32_e32 v145, v31
	ds_write2_b64 v136, v[142:143], v[144:145] offset0:48 offset1:49
	v_mov_b32_e32 v142, v28
	v_mov_b32_e32 v143, v29
	v_mov_b32_e32 v144, v26
	v_mov_b32_e32 v145, v27
	ds_write2_b64 v136, v[142:143], v[144:145] offset0:50 offset1:51
	;; [unrolled: 5-line block ×7, first 2 shown]
	v_mov_b32_e32 v142, v0
	v_mov_b32_e32 v143, v1
	;; [unrolled: 1-line block ×3, first 2 shown]
	ds_write2_b64 v136, v[142:143], v[130:131] offset0:62 offset1:63
.LBB126_809:
	s_or_b64 exec, exec, s[0:1]
	v_cmp_lt_i32_e32 vcc, 47, v137
	s_waitcnt lgkmcnt(0)
	s_barrier
	s_and_saveexec_b64 s[0:1], vcc
	s_cbranch_execz .LBB126_811
; %bb.810:
	ds_read2_b64 v[142:145], v136 offset0:48 offset1:49
	ds_read2_b64 v[146:149], v136 offset0:50 offset1:51
	v_mul_f64 v[34:35], v[132:133], v[34:35]
	ds_read2_b64 v[150:153], v136 offset0:52 offset1:53
	s_waitcnt lgkmcnt(0)
	v_fma_f64 v[32:33], -v[34:35], v[142:143], v[32:33]
	v_fma_f64 v[30:31], -v[34:35], v[144:145], v[30:31]
	ds_read2_b64 v[142:145], v136 offset0:54 offset1:55
	v_fma_f64 v[28:29], -v[34:35], v[146:147], v[28:29]
	v_fma_f64 v[26:27], -v[34:35], v[148:149], v[26:27]
	ds_read2_b64 v[146:149], v136 offset0:56 offset1:57
	v_fma_f64 v[24:25], -v[34:35], v[150:151], v[24:25]
	v_fma_f64 v[22:23], -v[34:35], v[152:153], v[22:23]
	s_waitcnt lgkmcnt(0)
	v_fma_f64 v[20:21], -v[34:35], v[142:143], v[20:21]
	v_fma_f64 v[18:19], -v[34:35], v[144:145], v[18:19]
	ds_read2_b64 v[142:145], v136 offset0:58 offset1:59
	v_fma_f64 v[16:17], -v[34:35], v[146:147], v[16:17]
	ds_read2_b64 v[150:153], v136 offset0:60 offset1:61
	;; [unrolled: 2-line block ×3, first 2 shown]
	s_waitcnt lgkmcnt(0)
	v_fma_f64 v[12:13], -v[34:35], v[142:143], v[12:13]
	v_fma_f64 v[10:11], -v[34:35], v[144:145], v[10:11]
	v_fma_f64 v[8:9], -v[34:35], v[150:151], v[8:9]
	v_fma_f64 v[6:7], -v[34:35], v[152:153], v[6:7]
	v_fma_f64 v[0:1], -v[34:35], v[146:147], v[0:1]
	v_fma_f64 v[130:131], -v[34:35], v[148:149], v[130:131]
.LBB126_811:
	s_or_b64 exec, exec, s[0:1]
	v_lshl_add_u32 v132, v137, 3, v136
	s_barrier
	ds_write_b64 v132, v[32:33]
	s_waitcnt lgkmcnt(0)
	s_barrier
	ds_read_b64 v[132:133], v136 offset:384
	s_cmp_lt_i32 s18, 50
	v_mov_b32_e32 v134, 48
	s_cbranch_scc1 .LBB126_814
; %bb.812:
	v_add_u32_e32 v141, 0x188, v136
	s_mov_b32 s0, 49
	v_mov_b32_e32 v134, 48
.LBB126_813:                            ; =>This Inner Loop Header: Depth=1
	ds_read_b64 v[142:143], v141
	v_mov_b32_e32 v144, s0
	s_add_i32 s0, s0, 1
	v_add_u32_e32 v141, 8, v141
	s_cmp_lg_u32 s18, s0
	s_waitcnt lgkmcnt(0)
	v_cmp_lt_f64_e64 vcc, |v[132:133]|, |v[142:143]|
	v_cndmask_b32_e32 v133, v133, v143, vcc
	v_cndmask_b32_e32 v132, v132, v142, vcc
	;; [unrolled: 1-line block ×3, first 2 shown]
	s_cbranch_scc1 .LBB126_813
.LBB126_814:
	s_waitcnt lgkmcnt(0)
	v_cmp_eq_f64_e32 vcc, 0, v[132:133]
	s_and_saveexec_b64 s[0:1], vcc
	s_xor_b64 s[0:1], exec, s[0:1]
; %bb.815:
	v_cmp_ne_u32_e32 vcc, 0, v140
	v_cndmask_b32_e32 v140, 49, v140, vcc
; %bb.816:
	s_andn2_saveexec_b64 s[0:1], s[0:1]
; %bb.817:
	v_div_scale_f64 v[142:143], s[2:3], v[132:133], v[132:133], 1.0
	v_rcp_f64_e32 v[144:145], v[142:143]
	v_div_scale_f64 v[146:147], vcc, 1.0, v[132:133], 1.0
	v_fma_f64 v[148:149], -v[142:143], v[144:145], 1.0
	v_fmac_f64_e32 v[144:145], v[144:145], v[148:149]
	v_fma_f64 v[148:149], -v[142:143], v[144:145], 1.0
	v_fmac_f64_e32 v[144:145], v[144:145], v[148:149]
	v_mul_f64 v[148:149], v[146:147], v[144:145]
	v_fma_f64 v[142:143], -v[142:143], v[148:149], v[146:147]
	v_div_fmas_f64 v[142:143], v[142:143], v[144:145], v[148:149]
	v_div_fixup_f64 v[132:133], v[142:143], v[132:133], 1.0
; %bb.818:
	s_or_b64 exec, exec, s[0:1]
	v_cmp_ne_u32_e32 vcc, v137, v134
	s_and_saveexec_b64 s[0:1], vcc
	s_xor_b64 s[0:1], exec, s[0:1]
	s_cbranch_execz .LBB126_824
; %bb.819:
	v_cmp_eq_u32_e32 vcc, 48, v137
	s_and_saveexec_b64 s[2:3], vcc
	s_cbranch_execz .LBB126_823
; %bb.820:
	v_cmp_ne_u32_e32 vcc, 48, v134
	s_xor_b64 s[14:15], s[6:7], -1
	s_and_b64 s[16:17], s[14:15], vcc
	s_and_saveexec_b64 s[14:15], s[16:17]
	s_cbranch_execz .LBB126_822
; %bb.821:
	v_ashrrev_i32_e32 v135, 31, v134
	v_lshlrev_b64 v[142:143], 2, v[134:135]
	v_add_co_u32_e32 v142, vcc, v4, v142
	v_addc_co_u32_e32 v143, vcc, v5, v143, vcc
	flat_load_dword v135, v[142:143]
	flat_load_dword v137, v[4:5] offset:192
	s_waitcnt vmcnt(0) lgkmcnt(0)
	flat_store_dword v[4:5], v135 offset:192
	flat_store_dword v[142:143], v137
.LBB126_822:
	s_or_b64 exec, exec, s[14:15]
	v_mov_b32_e32 v135, v134
	v_mov_b32_e32 v137, v134
.LBB126_823:
	s_or_b64 exec, exec, s[2:3]
.LBB126_824:
	s_andn2_saveexec_b64 s[0:1], s[0:1]
	s_cbranch_execz .LBB126_826
; %bb.825:
	v_mov_b32_e32 v137, 48
	ds_write2_b64 v136, v[30:31], v[28:29] offset0:49 offset1:50
	ds_write2_b64 v136, v[26:27], v[24:25] offset0:51 offset1:52
	;; [unrolled: 1-line block ×7, first 2 shown]
	ds_write_b64 v136, v[130:131] offset:504
.LBB126_826:
	s_or_b64 exec, exec, s[0:1]
	v_cmp_lt_i32_e32 vcc, 48, v137
	s_waitcnt lgkmcnt(0)
	s_barrier
	s_and_saveexec_b64 s[0:1], vcc
	s_cbranch_execz .LBB126_828
; %bb.827:
	ds_read2_b64 v[142:145], v136 offset0:49 offset1:50
	ds_read2_b64 v[146:149], v136 offset0:51 offset1:52
	v_mul_f64 v[32:33], v[132:133], v[32:33]
	ds_read2_b64 v[150:153], v136 offset0:53 offset1:54
	ds_read_b64 v[132:133], v136 offset:504
	s_waitcnt lgkmcnt(0)
	v_fma_f64 v[30:31], -v[32:33], v[142:143], v[30:31]
	v_fma_f64 v[28:29], -v[32:33], v[144:145], v[28:29]
	ds_read2_b64 v[142:145], v136 offset0:55 offset1:56
	v_fma_f64 v[26:27], -v[32:33], v[146:147], v[26:27]
	v_fma_f64 v[24:25], -v[32:33], v[148:149], v[24:25]
	;; [unrolled: 1-line block ×3, first 2 shown]
	ds_read2_b64 v[146:149], v136 offset0:57 offset1:58
	v_fma_f64 v[20:21], -v[32:33], v[152:153], v[20:21]
	s_waitcnt lgkmcnt(0)
	v_fma_f64 v[18:19], -v[32:33], v[142:143], v[18:19]
	v_fma_f64 v[16:17], -v[32:33], v[144:145], v[16:17]
	ds_read2_b64 v[142:145], v136 offset0:59 offset1:60
	ds_read2_b64 v[150:153], v136 offset0:61 offset1:62
	v_fma_f64 v[14:15], -v[32:33], v[146:147], v[14:15]
	v_fma_f64 v[12:13], -v[32:33], v[148:149], v[12:13]
	;; [unrolled: 1-line block ×3, first 2 shown]
	s_waitcnt lgkmcnt(0)
	v_fma_f64 v[10:11], -v[32:33], v[142:143], v[10:11]
	v_fma_f64 v[8:9], -v[32:33], v[144:145], v[8:9]
	;; [unrolled: 1-line block ×4, first 2 shown]
.LBB126_828:
	s_or_b64 exec, exec, s[0:1]
	v_lshl_add_u32 v132, v137, 3, v136
	s_barrier
	ds_write_b64 v132, v[30:31]
	s_waitcnt lgkmcnt(0)
	s_barrier
	ds_read_b64 v[132:133], v136 offset:392
	s_cmp_lt_i32 s18, 51
	v_mov_b32_e32 v134, 49
	s_cbranch_scc1 .LBB126_831
; %bb.829:
	v_add_u32_e32 v141, 0x190, v136
	s_mov_b32 s0, 50
	v_mov_b32_e32 v134, 49
.LBB126_830:                            ; =>This Inner Loop Header: Depth=1
	ds_read_b64 v[142:143], v141
	v_mov_b32_e32 v144, s0
	s_add_i32 s0, s0, 1
	v_add_u32_e32 v141, 8, v141
	s_cmp_lg_u32 s18, s0
	s_waitcnt lgkmcnt(0)
	v_cmp_lt_f64_e64 vcc, |v[132:133]|, |v[142:143]|
	v_cndmask_b32_e32 v133, v133, v143, vcc
	v_cndmask_b32_e32 v132, v132, v142, vcc
	;; [unrolled: 1-line block ×3, first 2 shown]
	s_cbranch_scc1 .LBB126_830
.LBB126_831:
	s_waitcnt lgkmcnt(0)
	v_cmp_eq_f64_e32 vcc, 0, v[132:133]
	s_and_saveexec_b64 s[0:1], vcc
	s_xor_b64 s[0:1], exec, s[0:1]
; %bb.832:
	v_cmp_ne_u32_e32 vcc, 0, v140
	v_cndmask_b32_e32 v140, 50, v140, vcc
; %bb.833:
	s_andn2_saveexec_b64 s[0:1], s[0:1]
; %bb.834:
	v_div_scale_f64 v[142:143], s[2:3], v[132:133], v[132:133], 1.0
	v_rcp_f64_e32 v[144:145], v[142:143]
	v_div_scale_f64 v[146:147], vcc, 1.0, v[132:133], 1.0
	v_fma_f64 v[148:149], -v[142:143], v[144:145], 1.0
	v_fmac_f64_e32 v[144:145], v[144:145], v[148:149]
	v_fma_f64 v[148:149], -v[142:143], v[144:145], 1.0
	v_fmac_f64_e32 v[144:145], v[144:145], v[148:149]
	v_mul_f64 v[148:149], v[146:147], v[144:145]
	v_fma_f64 v[142:143], -v[142:143], v[148:149], v[146:147]
	v_div_fmas_f64 v[142:143], v[142:143], v[144:145], v[148:149]
	v_div_fixup_f64 v[132:133], v[142:143], v[132:133], 1.0
; %bb.835:
	s_or_b64 exec, exec, s[0:1]
	v_cmp_ne_u32_e32 vcc, v137, v134
	s_and_saveexec_b64 s[0:1], vcc
	s_xor_b64 s[0:1], exec, s[0:1]
	s_cbranch_execz .LBB126_841
; %bb.836:
	v_cmp_eq_u32_e32 vcc, 49, v137
	s_and_saveexec_b64 s[2:3], vcc
	s_cbranch_execz .LBB126_840
; %bb.837:
	v_cmp_ne_u32_e32 vcc, 49, v134
	s_xor_b64 s[14:15], s[6:7], -1
	s_and_b64 s[16:17], s[14:15], vcc
	s_and_saveexec_b64 s[14:15], s[16:17]
	s_cbranch_execz .LBB126_839
; %bb.838:
	v_ashrrev_i32_e32 v135, 31, v134
	v_lshlrev_b64 v[142:143], 2, v[134:135]
	v_add_co_u32_e32 v142, vcc, v4, v142
	v_addc_co_u32_e32 v143, vcc, v5, v143, vcc
	flat_load_dword v135, v[142:143]
	flat_load_dword v137, v[4:5] offset:196
	s_waitcnt vmcnt(0) lgkmcnt(0)
	flat_store_dword v[4:5], v135 offset:196
	flat_store_dword v[142:143], v137
.LBB126_839:
	s_or_b64 exec, exec, s[14:15]
	v_mov_b32_e32 v135, v134
	v_mov_b32_e32 v137, v134
.LBB126_840:
	s_or_b64 exec, exec, s[2:3]
.LBB126_841:
	s_andn2_saveexec_b64 s[0:1], s[0:1]
	s_cbranch_execz .LBB126_843
; %bb.842:
	v_mov_b32_e32 v142, v28
	v_mov_b32_e32 v143, v29
	v_mov_b32_e32 v144, v26
	v_mov_b32_e32 v145, v27
	ds_write2_b64 v136, v[142:143], v[144:145] offset0:50 offset1:51
	v_mov_b32_e32 v142, v24
	v_mov_b32_e32 v143, v25
	v_mov_b32_e32 v144, v22
	v_mov_b32_e32 v145, v23
	ds_write2_b64 v136, v[142:143], v[144:145] offset0:52 offset1:53
	;; [unrolled: 5-line block ×6, first 2 shown]
	v_mov_b32_e32 v142, v0
	v_mov_b32_e32 v143, v1
	;; [unrolled: 1-line block ×3, first 2 shown]
	ds_write2_b64 v136, v[142:143], v[130:131] offset0:62 offset1:63
.LBB126_843:
	s_or_b64 exec, exec, s[0:1]
	v_cmp_lt_i32_e32 vcc, 49, v137
	s_waitcnt lgkmcnt(0)
	s_barrier
	s_and_saveexec_b64 s[0:1], vcc
	s_cbranch_execz .LBB126_845
; %bb.844:
	ds_read2_b64 v[142:145], v136 offset0:50 offset1:51
	ds_read2_b64 v[146:149], v136 offset0:52 offset1:53
	v_mul_f64 v[30:31], v[132:133], v[30:31]
	ds_read2_b64 v[150:153], v136 offset0:54 offset1:55
	s_waitcnt lgkmcnt(0)
	v_fma_f64 v[28:29], -v[30:31], v[142:143], v[28:29]
	v_fma_f64 v[26:27], -v[30:31], v[144:145], v[26:27]
	ds_read2_b64 v[142:145], v136 offset0:56 offset1:57
	v_fma_f64 v[24:25], -v[30:31], v[146:147], v[24:25]
	v_fma_f64 v[22:23], -v[30:31], v[148:149], v[22:23]
	;; [unrolled: 1-line block ×4, first 2 shown]
	ds_read2_b64 v[146:149], v136 offset0:58 offset1:59
	ds_read2_b64 v[150:153], v136 offset0:60 offset1:61
	s_waitcnt lgkmcnt(0)
	v_fma_f64 v[16:17], -v[30:31], v[142:143], v[16:17]
	v_fma_f64 v[14:15], -v[30:31], v[144:145], v[14:15]
	ds_read2_b64 v[142:145], v136 offset0:62 offset1:63
	v_fma_f64 v[12:13], -v[30:31], v[146:147], v[12:13]
	v_fma_f64 v[10:11], -v[30:31], v[148:149], v[10:11]
	;; [unrolled: 1-line block ×4, first 2 shown]
	s_waitcnt lgkmcnt(0)
	v_fma_f64 v[0:1], -v[30:31], v[142:143], v[0:1]
	v_fma_f64 v[130:131], -v[30:31], v[144:145], v[130:131]
.LBB126_845:
	s_or_b64 exec, exec, s[0:1]
	v_lshl_add_u32 v132, v137, 3, v136
	s_barrier
	ds_write_b64 v132, v[28:29]
	s_waitcnt lgkmcnt(0)
	s_barrier
	ds_read_b64 v[132:133], v136 offset:400
	s_cmp_lt_i32 s18, 52
	v_mov_b32_e32 v134, 50
	s_cbranch_scc1 .LBB126_848
; %bb.846:
	v_add_u32_e32 v141, 0x198, v136
	s_mov_b32 s0, 51
	v_mov_b32_e32 v134, 50
.LBB126_847:                            ; =>This Inner Loop Header: Depth=1
	ds_read_b64 v[142:143], v141
	v_mov_b32_e32 v144, s0
	s_add_i32 s0, s0, 1
	v_add_u32_e32 v141, 8, v141
	s_cmp_lg_u32 s18, s0
	s_waitcnt lgkmcnt(0)
	v_cmp_lt_f64_e64 vcc, |v[132:133]|, |v[142:143]|
	v_cndmask_b32_e32 v133, v133, v143, vcc
	v_cndmask_b32_e32 v132, v132, v142, vcc
	;; [unrolled: 1-line block ×3, first 2 shown]
	s_cbranch_scc1 .LBB126_847
.LBB126_848:
	s_waitcnt lgkmcnt(0)
	v_cmp_eq_f64_e32 vcc, 0, v[132:133]
	s_and_saveexec_b64 s[0:1], vcc
	s_xor_b64 s[0:1], exec, s[0:1]
; %bb.849:
	v_cmp_ne_u32_e32 vcc, 0, v140
	v_cndmask_b32_e32 v140, 51, v140, vcc
; %bb.850:
	s_andn2_saveexec_b64 s[0:1], s[0:1]
; %bb.851:
	v_div_scale_f64 v[142:143], s[2:3], v[132:133], v[132:133], 1.0
	v_rcp_f64_e32 v[144:145], v[142:143]
	v_div_scale_f64 v[146:147], vcc, 1.0, v[132:133], 1.0
	v_fma_f64 v[148:149], -v[142:143], v[144:145], 1.0
	v_fmac_f64_e32 v[144:145], v[144:145], v[148:149]
	v_fma_f64 v[148:149], -v[142:143], v[144:145], 1.0
	v_fmac_f64_e32 v[144:145], v[144:145], v[148:149]
	v_mul_f64 v[148:149], v[146:147], v[144:145]
	v_fma_f64 v[142:143], -v[142:143], v[148:149], v[146:147]
	v_div_fmas_f64 v[142:143], v[142:143], v[144:145], v[148:149]
	v_div_fixup_f64 v[132:133], v[142:143], v[132:133], 1.0
; %bb.852:
	s_or_b64 exec, exec, s[0:1]
	v_cmp_ne_u32_e32 vcc, v137, v134
	s_and_saveexec_b64 s[0:1], vcc
	s_xor_b64 s[0:1], exec, s[0:1]
	s_cbranch_execz .LBB126_858
; %bb.853:
	v_cmp_eq_u32_e32 vcc, 50, v137
	s_and_saveexec_b64 s[2:3], vcc
	s_cbranch_execz .LBB126_857
; %bb.854:
	v_cmp_ne_u32_e32 vcc, 50, v134
	s_xor_b64 s[14:15], s[6:7], -1
	s_and_b64 s[16:17], s[14:15], vcc
	s_and_saveexec_b64 s[14:15], s[16:17]
	s_cbranch_execz .LBB126_856
; %bb.855:
	v_ashrrev_i32_e32 v135, 31, v134
	v_lshlrev_b64 v[142:143], 2, v[134:135]
	v_add_co_u32_e32 v142, vcc, v4, v142
	v_addc_co_u32_e32 v143, vcc, v5, v143, vcc
	flat_load_dword v135, v[142:143]
	flat_load_dword v137, v[4:5] offset:200
	s_waitcnt vmcnt(0) lgkmcnt(0)
	flat_store_dword v[4:5], v135 offset:200
	flat_store_dword v[142:143], v137
.LBB126_856:
	s_or_b64 exec, exec, s[14:15]
	v_mov_b32_e32 v135, v134
	v_mov_b32_e32 v137, v134
.LBB126_857:
	s_or_b64 exec, exec, s[2:3]
.LBB126_858:
	s_andn2_saveexec_b64 s[0:1], s[0:1]
	s_cbranch_execz .LBB126_860
; %bb.859:
	v_mov_b32_e32 v137, 50
	ds_write2_b64 v136, v[26:27], v[24:25] offset0:51 offset1:52
	ds_write2_b64 v136, v[22:23], v[20:21] offset0:53 offset1:54
	;; [unrolled: 1-line block ×6, first 2 shown]
	ds_write_b64 v136, v[130:131] offset:504
.LBB126_860:
	s_or_b64 exec, exec, s[0:1]
	v_cmp_lt_i32_e32 vcc, 50, v137
	s_waitcnt lgkmcnt(0)
	s_barrier
	s_and_saveexec_b64 s[0:1], vcc
	s_cbranch_execz .LBB126_862
; %bb.861:
	ds_read2_b64 v[142:145], v136 offset0:51 offset1:52
	ds_read2_b64 v[146:149], v136 offset0:53 offset1:54
	ds_read2_b64 v[150:153], v136 offset0:55 offset1:56
	v_mul_f64 v[28:29], v[132:133], v[28:29]
	ds_read_b64 v[132:133], v136 offset:504
	s_waitcnt lgkmcnt(0)
	v_fma_f64 v[26:27], -v[28:29], v[142:143], v[26:27]
	v_fma_f64 v[24:25], -v[28:29], v[144:145], v[24:25]
	ds_read2_b64 v[142:145], v136 offset0:57 offset1:58
	v_fma_f64 v[22:23], -v[28:29], v[146:147], v[22:23]
	v_fma_f64 v[20:21], -v[28:29], v[148:149], v[20:21]
	;; [unrolled: 1-line block ×4, first 2 shown]
	ds_read2_b64 v[146:149], v136 offset0:59 offset1:60
	ds_read2_b64 v[150:153], v136 offset0:61 offset1:62
	s_waitcnt lgkmcnt(0)
	v_fma_f64 v[14:15], -v[28:29], v[142:143], v[14:15]
	v_fma_f64 v[12:13], -v[28:29], v[144:145], v[12:13]
	;; [unrolled: 1-line block ×7, first 2 shown]
.LBB126_862:
	s_or_b64 exec, exec, s[0:1]
	v_lshl_add_u32 v132, v137, 3, v136
	s_barrier
	ds_write_b64 v132, v[26:27]
	s_waitcnt lgkmcnt(0)
	s_barrier
	ds_read_b64 v[132:133], v136 offset:408
	s_cmp_lt_i32 s18, 53
	v_mov_b32_e32 v134, 51
	s_cbranch_scc1 .LBB126_865
; %bb.863:
	v_add_u32_e32 v141, 0x1a0, v136
	s_mov_b32 s0, 52
	v_mov_b32_e32 v134, 51
.LBB126_864:                            ; =>This Inner Loop Header: Depth=1
	ds_read_b64 v[142:143], v141
	v_mov_b32_e32 v144, s0
	s_add_i32 s0, s0, 1
	v_add_u32_e32 v141, 8, v141
	s_cmp_lg_u32 s18, s0
	s_waitcnt lgkmcnt(0)
	v_cmp_lt_f64_e64 vcc, |v[132:133]|, |v[142:143]|
	v_cndmask_b32_e32 v133, v133, v143, vcc
	v_cndmask_b32_e32 v132, v132, v142, vcc
	;; [unrolled: 1-line block ×3, first 2 shown]
	s_cbranch_scc1 .LBB126_864
.LBB126_865:
	s_waitcnt lgkmcnt(0)
	v_cmp_eq_f64_e32 vcc, 0, v[132:133]
	s_and_saveexec_b64 s[0:1], vcc
	s_xor_b64 s[0:1], exec, s[0:1]
; %bb.866:
	v_cmp_ne_u32_e32 vcc, 0, v140
	v_cndmask_b32_e32 v140, 52, v140, vcc
; %bb.867:
	s_andn2_saveexec_b64 s[0:1], s[0:1]
; %bb.868:
	v_div_scale_f64 v[142:143], s[2:3], v[132:133], v[132:133], 1.0
	v_rcp_f64_e32 v[144:145], v[142:143]
	v_div_scale_f64 v[146:147], vcc, 1.0, v[132:133], 1.0
	v_fma_f64 v[148:149], -v[142:143], v[144:145], 1.0
	v_fmac_f64_e32 v[144:145], v[144:145], v[148:149]
	v_fma_f64 v[148:149], -v[142:143], v[144:145], 1.0
	v_fmac_f64_e32 v[144:145], v[144:145], v[148:149]
	v_mul_f64 v[148:149], v[146:147], v[144:145]
	v_fma_f64 v[142:143], -v[142:143], v[148:149], v[146:147]
	v_div_fmas_f64 v[142:143], v[142:143], v[144:145], v[148:149]
	v_div_fixup_f64 v[132:133], v[142:143], v[132:133], 1.0
; %bb.869:
	s_or_b64 exec, exec, s[0:1]
	v_cmp_ne_u32_e32 vcc, v137, v134
	s_and_saveexec_b64 s[0:1], vcc
	s_xor_b64 s[0:1], exec, s[0:1]
	s_cbranch_execz .LBB126_875
; %bb.870:
	v_cmp_eq_u32_e32 vcc, 51, v137
	s_and_saveexec_b64 s[2:3], vcc
	s_cbranch_execz .LBB126_874
; %bb.871:
	v_cmp_ne_u32_e32 vcc, 51, v134
	s_xor_b64 s[14:15], s[6:7], -1
	s_and_b64 s[16:17], s[14:15], vcc
	s_and_saveexec_b64 s[14:15], s[16:17]
	s_cbranch_execz .LBB126_873
; %bb.872:
	v_ashrrev_i32_e32 v135, 31, v134
	v_lshlrev_b64 v[142:143], 2, v[134:135]
	v_add_co_u32_e32 v142, vcc, v4, v142
	v_addc_co_u32_e32 v143, vcc, v5, v143, vcc
	flat_load_dword v135, v[142:143]
	flat_load_dword v137, v[4:5] offset:204
	s_waitcnt vmcnt(0) lgkmcnt(0)
	flat_store_dword v[4:5], v135 offset:204
	flat_store_dword v[142:143], v137
.LBB126_873:
	s_or_b64 exec, exec, s[14:15]
	v_mov_b32_e32 v135, v134
	v_mov_b32_e32 v137, v134
.LBB126_874:
	s_or_b64 exec, exec, s[2:3]
.LBB126_875:
	s_andn2_saveexec_b64 s[0:1], s[0:1]
	s_cbranch_execz .LBB126_877
; %bb.876:
	v_mov_b32_e32 v142, v24
	v_mov_b32_e32 v143, v25
	v_mov_b32_e32 v144, v22
	v_mov_b32_e32 v145, v23
	ds_write2_b64 v136, v[142:143], v[144:145] offset0:52 offset1:53
	v_mov_b32_e32 v142, v20
	v_mov_b32_e32 v143, v21
	v_mov_b32_e32 v144, v18
	v_mov_b32_e32 v145, v19
	ds_write2_b64 v136, v[142:143], v[144:145] offset0:54 offset1:55
	;; [unrolled: 5-line block ×5, first 2 shown]
	v_mov_b32_e32 v142, v0
	v_mov_b32_e32 v143, v1
	;; [unrolled: 1-line block ×3, first 2 shown]
	ds_write2_b64 v136, v[142:143], v[130:131] offset0:62 offset1:63
.LBB126_877:
	s_or_b64 exec, exec, s[0:1]
	v_cmp_lt_i32_e32 vcc, 51, v137
	s_waitcnt lgkmcnt(0)
	s_barrier
	s_and_saveexec_b64 s[0:1], vcc
	s_cbranch_execz .LBB126_879
; %bb.878:
	ds_read2_b64 v[142:145], v136 offset0:52 offset1:53
	ds_read2_b64 v[146:149], v136 offset0:54 offset1:55
	;; [unrolled: 1-line block ×3, first 2 shown]
	v_mul_f64 v[26:27], v[132:133], v[26:27]
	s_waitcnt lgkmcnt(0)
	v_fma_f64 v[24:25], -v[26:27], v[142:143], v[24:25]
	v_fma_f64 v[22:23], -v[26:27], v[144:145], v[22:23]
	ds_read2_b64 v[142:145], v136 offset0:58 offset1:59
	v_fma_f64 v[20:21], -v[26:27], v[146:147], v[20:21]
	v_fma_f64 v[18:19], -v[26:27], v[148:149], v[18:19]
	;; [unrolled: 1-line block ×3, first 2 shown]
	ds_read2_b64 v[146:149], v136 offset0:60 offset1:61
	v_fma_f64 v[14:15], -v[26:27], v[152:153], v[14:15]
	ds_read2_b64 v[150:153], v136 offset0:62 offset1:63
	s_waitcnt lgkmcnt(0)
	v_fma_f64 v[12:13], -v[26:27], v[142:143], v[12:13]
	v_fma_f64 v[10:11], -v[26:27], v[144:145], v[10:11]
	;; [unrolled: 1-line block ×6, first 2 shown]
.LBB126_879:
	s_or_b64 exec, exec, s[0:1]
	v_lshl_add_u32 v132, v137, 3, v136
	s_barrier
	ds_write_b64 v132, v[24:25]
	s_waitcnt lgkmcnt(0)
	s_barrier
	ds_read_b64 v[132:133], v136 offset:416
	s_cmp_lt_i32 s18, 54
	v_mov_b32_e32 v134, 52
	s_cbranch_scc1 .LBB126_882
; %bb.880:
	v_add_u32_e32 v141, 0x1a8, v136
	s_mov_b32 s0, 53
	v_mov_b32_e32 v134, 52
.LBB126_881:                            ; =>This Inner Loop Header: Depth=1
	ds_read_b64 v[142:143], v141
	v_mov_b32_e32 v144, s0
	s_add_i32 s0, s0, 1
	v_add_u32_e32 v141, 8, v141
	s_cmp_lg_u32 s18, s0
	s_waitcnt lgkmcnt(0)
	v_cmp_lt_f64_e64 vcc, |v[132:133]|, |v[142:143]|
	v_cndmask_b32_e32 v133, v133, v143, vcc
	v_cndmask_b32_e32 v132, v132, v142, vcc
	;; [unrolled: 1-line block ×3, first 2 shown]
	s_cbranch_scc1 .LBB126_881
.LBB126_882:
	s_waitcnt lgkmcnt(0)
	v_cmp_eq_f64_e32 vcc, 0, v[132:133]
	s_and_saveexec_b64 s[0:1], vcc
	s_xor_b64 s[0:1], exec, s[0:1]
; %bb.883:
	v_cmp_ne_u32_e32 vcc, 0, v140
	v_cndmask_b32_e32 v140, 53, v140, vcc
; %bb.884:
	s_andn2_saveexec_b64 s[0:1], s[0:1]
; %bb.885:
	v_div_scale_f64 v[142:143], s[2:3], v[132:133], v[132:133], 1.0
	v_rcp_f64_e32 v[144:145], v[142:143]
	v_div_scale_f64 v[146:147], vcc, 1.0, v[132:133], 1.0
	v_fma_f64 v[148:149], -v[142:143], v[144:145], 1.0
	v_fmac_f64_e32 v[144:145], v[144:145], v[148:149]
	v_fma_f64 v[148:149], -v[142:143], v[144:145], 1.0
	v_fmac_f64_e32 v[144:145], v[144:145], v[148:149]
	v_mul_f64 v[148:149], v[146:147], v[144:145]
	v_fma_f64 v[142:143], -v[142:143], v[148:149], v[146:147]
	v_div_fmas_f64 v[142:143], v[142:143], v[144:145], v[148:149]
	v_div_fixup_f64 v[132:133], v[142:143], v[132:133], 1.0
; %bb.886:
	s_or_b64 exec, exec, s[0:1]
	v_cmp_ne_u32_e32 vcc, v137, v134
	s_and_saveexec_b64 s[0:1], vcc
	s_xor_b64 s[0:1], exec, s[0:1]
	s_cbranch_execz .LBB126_892
; %bb.887:
	v_cmp_eq_u32_e32 vcc, 52, v137
	s_and_saveexec_b64 s[2:3], vcc
	s_cbranch_execz .LBB126_891
; %bb.888:
	v_cmp_ne_u32_e32 vcc, 52, v134
	s_xor_b64 s[14:15], s[6:7], -1
	s_and_b64 s[16:17], s[14:15], vcc
	s_and_saveexec_b64 s[14:15], s[16:17]
	s_cbranch_execz .LBB126_890
; %bb.889:
	v_ashrrev_i32_e32 v135, 31, v134
	v_lshlrev_b64 v[142:143], 2, v[134:135]
	v_add_co_u32_e32 v142, vcc, v4, v142
	v_addc_co_u32_e32 v143, vcc, v5, v143, vcc
	flat_load_dword v135, v[142:143]
	flat_load_dword v137, v[4:5] offset:208
	s_waitcnt vmcnt(0) lgkmcnt(0)
	flat_store_dword v[4:5], v135 offset:208
	flat_store_dword v[142:143], v137
.LBB126_890:
	s_or_b64 exec, exec, s[14:15]
	v_mov_b32_e32 v135, v134
	v_mov_b32_e32 v137, v134
.LBB126_891:
	s_or_b64 exec, exec, s[2:3]
.LBB126_892:
	s_andn2_saveexec_b64 s[0:1], s[0:1]
	s_cbranch_execz .LBB126_894
; %bb.893:
	v_mov_b32_e32 v137, 52
	ds_write2_b64 v136, v[22:23], v[20:21] offset0:53 offset1:54
	ds_write2_b64 v136, v[18:19], v[16:17] offset0:55 offset1:56
	ds_write2_b64 v136, v[14:15], v[12:13] offset0:57 offset1:58
	ds_write2_b64 v136, v[10:11], v[8:9] offset0:59 offset1:60
	ds_write2_b64 v136, v[6:7], v[0:1] offset0:61 offset1:62
	ds_write_b64 v136, v[130:131] offset:504
.LBB126_894:
	s_or_b64 exec, exec, s[0:1]
	v_cmp_lt_i32_e32 vcc, 52, v137
	s_waitcnt lgkmcnt(0)
	s_barrier
	s_and_saveexec_b64 s[0:1], vcc
	s_cbranch_execz .LBB126_896
; %bb.895:
	ds_read2_b64 v[142:145], v136 offset0:53 offset1:54
	ds_read2_b64 v[146:149], v136 offset0:55 offset1:56
	v_mul_f64 v[24:25], v[132:133], v[24:25]
	ds_read2_b64 v[150:153], v136 offset0:57 offset1:58
	ds_read_b64 v[132:133], v136 offset:504
	s_waitcnt lgkmcnt(0)
	v_fma_f64 v[22:23], -v[24:25], v[142:143], v[22:23]
	v_fma_f64 v[20:21], -v[24:25], v[144:145], v[20:21]
	ds_read2_b64 v[142:145], v136 offset0:59 offset1:60
	v_fma_f64 v[18:19], -v[24:25], v[146:147], v[18:19]
	v_fma_f64 v[16:17], -v[24:25], v[148:149], v[16:17]
	ds_read2_b64 v[146:149], v136 offset0:61 offset1:62
	v_fma_f64 v[14:15], -v[24:25], v[150:151], v[14:15]
	v_fma_f64 v[12:13], -v[24:25], v[152:153], v[12:13]
	s_waitcnt lgkmcnt(0)
	v_fma_f64 v[10:11], -v[24:25], v[142:143], v[10:11]
	v_fma_f64 v[8:9], -v[24:25], v[144:145], v[8:9]
	;; [unrolled: 1-line block ×5, first 2 shown]
.LBB126_896:
	s_or_b64 exec, exec, s[0:1]
	v_lshl_add_u32 v132, v137, 3, v136
	s_barrier
	ds_write_b64 v132, v[22:23]
	s_waitcnt lgkmcnt(0)
	s_barrier
	ds_read_b64 v[132:133], v136 offset:424
	s_cmp_lt_i32 s18, 55
	v_mov_b32_e32 v134, 53
	s_cbranch_scc1 .LBB126_899
; %bb.897:
	v_add_u32_e32 v141, 0x1b0, v136
	s_mov_b32 s0, 54
	v_mov_b32_e32 v134, 53
.LBB126_898:                            ; =>This Inner Loop Header: Depth=1
	ds_read_b64 v[142:143], v141
	v_mov_b32_e32 v144, s0
	s_add_i32 s0, s0, 1
	v_add_u32_e32 v141, 8, v141
	s_cmp_lg_u32 s18, s0
	s_waitcnt lgkmcnt(0)
	v_cmp_lt_f64_e64 vcc, |v[132:133]|, |v[142:143]|
	v_cndmask_b32_e32 v133, v133, v143, vcc
	v_cndmask_b32_e32 v132, v132, v142, vcc
	;; [unrolled: 1-line block ×3, first 2 shown]
	s_cbranch_scc1 .LBB126_898
.LBB126_899:
	s_waitcnt lgkmcnt(0)
	v_cmp_eq_f64_e32 vcc, 0, v[132:133]
	s_and_saveexec_b64 s[0:1], vcc
	s_xor_b64 s[0:1], exec, s[0:1]
; %bb.900:
	v_cmp_ne_u32_e32 vcc, 0, v140
	v_cndmask_b32_e32 v140, 54, v140, vcc
; %bb.901:
	s_andn2_saveexec_b64 s[0:1], s[0:1]
; %bb.902:
	v_div_scale_f64 v[142:143], s[2:3], v[132:133], v[132:133], 1.0
	v_rcp_f64_e32 v[144:145], v[142:143]
	v_div_scale_f64 v[146:147], vcc, 1.0, v[132:133], 1.0
	v_fma_f64 v[148:149], -v[142:143], v[144:145], 1.0
	v_fmac_f64_e32 v[144:145], v[144:145], v[148:149]
	v_fma_f64 v[148:149], -v[142:143], v[144:145], 1.0
	v_fmac_f64_e32 v[144:145], v[144:145], v[148:149]
	v_mul_f64 v[148:149], v[146:147], v[144:145]
	v_fma_f64 v[142:143], -v[142:143], v[148:149], v[146:147]
	v_div_fmas_f64 v[142:143], v[142:143], v[144:145], v[148:149]
	v_div_fixup_f64 v[132:133], v[142:143], v[132:133], 1.0
; %bb.903:
	s_or_b64 exec, exec, s[0:1]
	v_cmp_ne_u32_e32 vcc, v137, v134
	s_and_saveexec_b64 s[0:1], vcc
	s_xor_b64 s[0:1], exec, s[0:1]
	s_cbranch_execz .LBB126_909
; %bb.904:
	v_cmp_eq_u32_e32 vcc, 53, v137
	s_and_saveexec_b64 s[2:3], vcc
	s_cbranch_execz .LBB126_908
; %bb.905:
	v_cmp_ne_u32_e32 vcc, 53, v134
	s_xor_b64 s[14:15], s[6:7], -1
	s_and_b64 s[16:17], s[14:15], vcc
	s_and_saveexec_b64 s[14:15], s[16:17]
	s_cbranch_execz .LBB126_907
; %bb.906:
	v_ashrrev_i32_e32 v135, 31, v134
	v_lshlrev_b64 v[142:143], 2, v[134:135]
	v_add_co_u32_e32 v142, vcc, v4, v142
	v_addc_co_u32_e32 v143, vcc, v5, v143, vcc
	flat_load_dword v135, v[142:143]
	flat_load_dword v137, v[4:5] offset:212
	s_waitcnt vmcnt(0) lgkmcnt(0)
	flat_store_dword v[4:5], v135 offset:212
	flat_store_dword v[142:143], v137
.LBB126_907:
	s_or_b64 exec, exec, s[14:15]
	v_mov_b32_e32 v135, v134
	v_mov_b32_e32 v137, v134
.LBB126_908:
	s_or_b64 exec, exec, s[2:3]
.LBB126_909:
	s_andn2_saveexec_b64 s[0:1], s[0:1]
	s_cbranch_execz .LBB126_911
; %bb.910:
	v_mov_b32_e32 v142, v20
	v_mov_b32_e32 v143, v21
	v_mov_b32_e32 v144, v18
	v_mov_b32_e32 v145, v19
	ds_write2_b64 v136, v[142:143], v[144:145] offset0:54 offset1:55
	v_mov_b32_e32 v142, v16
	v_mov_b32_e32 v143, v17
	v_mov_b32_e32 v144, v14
	v_mov_b32_e32 v145, v15
	ds_write2_b64 v136, v[142:143], v[144:145] offset0:56 offset1:57
	;; [unrolled: 5-line block ×4, first 2 shown]
	v_mov_b32_e32 v142, v0
	v_mov_b32_e32 v143, v1
	;; [unrolled: 1-line block ×3, first 2 shown]
	ds_write2_b64 v136, v[142:143], v[130:131] offset0:62 offset1:63
.LBB126_911:
	s_or_b64 exec, exec, s[0:1]
	v_cmp_lt_i32_e32 vcc, 53, v137
	s_waitcnt lgkmcnt(0)
	s_barrier
	s_and_saveexec_b64 s[0:1], vcc
	s_cbranch_execz .LBB126_913
; %bb.912:
	ds_read2_b64 v[142:145], v136 offset0:54 offset1:55
	ds_read2_b64 v[146:149], v136 offset0:56 offset1:57
	v_mul_f64 v[22:23], v[132:133], v[22:23]
	ds_read2_b64 v[150:153], v136 offset0:60 offset1:61
	s_waitcnt lgkmcnt(0)
	v_fma_f64 v[20:21], -v[22:23], v[142:143], v[20:21]
	v_fma_f64 v[18:19], -v[22:23], v[144:145], v[18:19]
	ds_read2_b64 v[142:145], v136 offset0:58 offset1:59
	v_fma_f64 v[16:17], -v[22:23], v[146:147], v[16:17]
	v_fma_f64 v[14:15], -v[22:23], v[148:149], v[14:15]
	ds_read2_b64 v[146:149], v136 offset0:62 offset1:63
	v_fma_f64 v[8:9], -v[22:23], v[150:151], v[8:9]
	s_waitcnt lgkmcnt(0)
	v_fma_f64 v[12:13], -v[22:23], v[142:143], v[12:13]
	v_fma_f64 v[10:11], -v[22:23], v[144:145], v[10:11]
	;; [unrolled: 1-line block ×5, first 2 shown]
.LBB126_913:
	s_or_b64 exec, exec, s[0:1]
	v_lshl_add_u32 v132, v137, 3, v136
	s_barrier
	ds_write_b64 v132, v[20:21]
	s_waitcnt lgkmcnt(0)
	s_barrier
	ds_read_b64 v[132:133], v136 offset:432
	s_cmp_lt_i32 s18, 56
	v_mov_b32_e32 v134, 54
	s_cbranch_scc1 .LBB126_916
; %bb.914:
	v_add_u32_e32 v141, 0x1b8, v136
	s_mov_b32 s0, 55
	v_mov_b32_e32 v134, 54
.LBB126_915:                            ; =>This Inner Loop Header: Depth=1
	ds_read_b64 v[142:143], v141
	v_mov_b32_e32 v144, s0
	s_add_i32 s0, s0, 1
	v_add_u32_e32 v141, 8, v141
	s_cmp_lg_u32 s18, s0
	s_waitcnt lgkmcnt(0)
	v_cmp_lt_f64_e64 vcc, |v[132:133]|, |v[142:143]|
	v_cndmask_b32_e32 v133, v133, v143, vcc
	v_cndmask_b32_e32 v132, v132, v142, vcc
	v_cndmask_b32_e32 v134, v134, v144, vcc
	s_cbranch_scc1 .LBB126_915
.LBB126_916:
	s_waitcnt lgkmcnt(0)
	v_cmp_eq_f64_e32 vcc, 0, v[132:133]
	s_and_saveexec_b64 s[0:1], vcc
	s_xor_b64 s[0:1], exec, s[0:1]
; %bb.917:
	v_cmp_ne_u32_e32 vcc, 0, v140
	v_cndmask_b32_e32 v140, 55, v140, vcc
; %bb.918:
	s_andn2_saveexec_b64 s[0:1], s[0:1]
; %bb.919:
	v_div_scale_f64 v[142:143], s[2:3], v[132:133], v[132:133], 1.0
	v_rcp_f64_e32 v[144:145], v[142:143]
	v_div_scale_f64 v[146:147], vcc, 1.0, v[132:133], 1.0
	v_fma_f64 v[148:149], -v[142:143], v[144:145], 1.0
	v_fmac_f64_e32 v[144:145], v[144:145], v[148:149]
	v_fma_f64 v[148:149], -v[142:143], v[144:145], 1.0
	v_fmac_f64_e32 v[144:145], v[144:145], v[148:149]
	v_mul_f64 v[148:149], v[146:147], v[144:145]
	v_fma_f64 v[142:143], -v[142:143], v[148:149], v[146:147]
	v_div_fmas_f64 v[142:143], v[142:143], v[144:145], v[148:149]
	v_div_fixup_f64 v[132:133], v[142:143], v[132:133], 1.0
; %bb.920:
	s_or_b64 exec, exec, s[0:1]
	v_cmp_ne_u32_e32 vcc, v137, v134
	s_and_saveexec_b64 s[0:1], vcc
	s_xor_b64 s[0:1], exec, s[0:1]
	s_cbranch_execz .LBB126_926
; %bb.921:
	v_cmp_eq_u32_e32 vcc, 54, v137
	s_and_saveexec_b64 s[2:3], vcc
	s_cbranch_execz .LBB126_925
; %bb.922:
	v_cmp_ne_u32_e32 vcc, 54, v134
	s_xor_b64 s[14:15], s[6:7], -1
	s_and_b64 s[16:17], s[14:15], vcc
	s_and_saveexec_b64 s[14:15], s[16:17]
	s_cbranch_execz .LBB126_924
; %bb.923:
	v_ashrrev_i32_e32 v135, 31, v134
	v_lshlrev_b64 v[142:143], 2, v[134:135]
	v_add_co_u32_e32 v142, vcc, v4, v142
	v_addc_co_u32_e32 v143, vcc, v5, v143, vcc
	flat_load_dword v135, v[142:143]
	flat_load_dword v137, v[4:5] offset:216
	s_waitcnt vmcnt(0) lgkmcnt(0)
	flat_store_dword v[4:5], v135 offset:216
	flat_store_dword v[142:143], v137
.LBB126_924:
	s_or_b64 exec, exec, s[14:15]
	v_mov_b32_e32 v135, v134
	v_mov_b32_e32 v137, v134
.LBB126_925:
	s_or_b64 exec, exec, s[2:3]
.LBB126_926:
	s_andn2_saveexec_b64 s[0:1], s[0:1]
	s_cbranch_execz .LBB126_928
; %bb.927:
	v_mov_b32_e32 v137, 54
	ds_write2_b64 v136, v[18:19], v[16:17] offset0:55 offset1:56
	ds_write2_b64 v136, v[14:15], v[12:13] offset0:57 offset1:58
	;; [unrolled: 1-line block ×4, first 2 shown]
	ds_write_b64 v136, v[130:131] offset:504
.LBB126_928:
	s_or_b64 exec, exec, s[0:1]
	v_cmp_lt_i32_e32 vcc, 54, v137
	s_waitcnt lgkmcnt(0)
	s_barrier
	s_and_saveexec_b64 s[0:1], vcc
	s_cbranch_execz .LBB126_930
; %bb.929:
	ds_read2_b64 v[142:145], v136 offset0:55 offset1:56
	ds_read2_b64 v[146:149], v136 offset0:57 offset1:58
	v_mul_f64 v[20:21], v[132:133], v[20:21]
	ds_read_b64 v[132:133], v136 offset:504
	ds_read2_b64 v[150:153], v136 offset0:61 offset1:62
	s_waitcnt lgkmcnt(0)
	v_fma_f64 v[18:19], -v[20:21], v[142:143], v[18:19]
	v_fma_f64 v[16:17], -v[20:21], v[144:145], v[16:17]
	ds_read2_b64 v[142:145], v136 offset0:59 offset1:60
	v_fma_f64 v[14:15], -v[20:21], v[146:147], v[14:15]
	v_fma_f64 v[12:13], -v[20:21], v[148:149], v[12:13]
	;; [unrolled: 1-line block ×4, first 2 shown]
	s_waitcnt lgkmcnt(0)
	v_fma_f64 v[10:11], -v[20:21], v[142:143], v[10:11]
	v_fma_f64 v[8:9], -v[20:21], v[144:145], v[8:9]
	;; [unrolled: 1-line block ×3, first 2 shown]
.LBB126_930:
	s_or_b64 exec, exec, s[0:1]
	v_lshl_add_u32 v132, v137, 3, v136
	s_barrier
	ds_write_b64 v132, v[18:19]
	s_waitcnt lgkmcnt(0)
	s_barrier
	ds_read_b64 v[132:133], v136 offset:440
	s_cmp_lt_i32 s18, 57
	v_mov_b32_e32 v134, 55
	s_cbranch_scc1 .LBB126_933
; %bb.931:
	v_add_u32_e32 v141, 0x1c0, v136
	s_mov_b32 s0, 56
	v_mov_b32_e32 v134, 55
.LBB126_932:                            ; =>This Inner Loop Header: Depth=1
	ds_read_b64 v[142:143], v141
	v_mov_b32_e32 v144, s0
	s_add_i32 s0, s0, 1
	v_add_u32_e32 v141, 8, v141
	s_cmp_lg_u32 s18, s0
	s_waitcnt lgkmcnt(0)
	v_cmp_lt_f64_e64 vcc, |v[132:133]|, |v[142:143]|
	v_cndmask_b32_e32 v133, v133, v143, vcc
	v_cndmask_b32_e32 v132, v132, v142, vcc
	;; [unrolled: 1-line block ×3, first 2 shown]
	s_cbranch_scc1 .LBB126_932
.LBB126_933:
	s_waitcnt lgkmcnt(0)
	v_cmp_eq_f64_e32 vcc, 0, v[132:133]
	s_and_saveexec_b64 s[0:1], vcc
	s_xor_b64 s[0:1], exec, s[0:1]
; %bb.934:
	v_cmp_ne_u32_e32 vcc, 0, v140
	v_cndmask_b32_e32 v140, 56, v140, vcc
; %bb.935:
	s_andn2_saveexec_b64 s[0:1], s[0:1]
; %bb.936:
	v_div_scale_f64 v[142:143], s[2:3], v[132:133], v[132:133], 1.0
	v_rcp_f64_e32 v[144:145], v[142:143]
	v_div_scale_f64 v[146:147], vcc, 1.0, v[132:133], 1.0
	v_fma_f64 v[148:149], -v[142:143], v[144:145], 1.0
	v_fmac_f64_e32 v[144:145], v[144:145], v[148:149]
	v_fma_f64 v[148:149], -v[142:143], v[144:145], 1.0
	v_fmac_f64_e32 v[144:145], v[144:145], v[148:149]
	v_mul_f64 v[148:149], v[146:147], v[144:145]
	v_fma_f64 v[142:143], -v[142:143], v[148:149], v[146:147]
	v_div_fmas_f64 v[142:143], v[142:143], v[144:145], v[148:149]
	v_div_fixup_f64 v[132:133], v[142:143], v[132:133], 1.0
; %bb.937:
	s_or_b64 exec, exec, s[0:1]
	v_cmp_ne_u32_e32 vcc, v137, v134
	s_and_saveexec_b64 s[0:1], vcc
	s_xor_b64 s[0:1], exec, s[0:1]
	s_cbranch_execz .LBB126_943
; %bb.938:
	v_cmp_eq_u32_e32 vcc, 55, v137
	s_and_saveexec_b64 s[2:3], vcc
	s_cbranch_execz .LBB126_942
; %bb.939:
	v_cmp_ne_u32_e32 vcc, 55, v134
	s_xor_b64 s[14:15], s[6:7], -1
	s_and_b64 s[16:17], s[14:15], vcc
	s_and_saveexec_b64 s[14:15], s[16:17]
	s_cbranch_execz .LBB126_941
; %bb.940:
	v_ashrrev_i32_e32 v135, 31, v134
	v_lshlrev_b64 v[142:143], 2, v[134:135]
	v_add_co_u32_e32 v142, vcc, v4, v142
	v_addc_co_u32_e32 v143, vcc, v5, v143, vcc
	flat_load_dword v135, v[142:143]
	flat_load_dword v137, v[4:5] offset:220
	s_waitcnt vmcnt(0) lgkmcnt(0)
	flat_store_dword v[4:5], v135 offset:220
	flat_store_dword v[142:143], v137
.LBB126_941:
	s_or_b64 exec, exec, s[14:15]
	v_mov_b32_e32 v135, v134
	v_mov_b32_e32 v137, v134
.LBB126_942:
	s_or_b64 exec, exec, s[2:3]
.LBB126_943:
	s_andn2_saveexec_b64 s[0:1], s[0:1]
	s_cbranch_execz .LBB126_945
; %bb.944:
	v_mov_b32_e32 v142, v16
	v_mov_b32_e32 v143, v17
	v_mov_b32_e32 v144, v14
	v_mov_b32_e32 v145, v15
	ds_write2_b64 v136, v[142:143], v[144:145] offset0:56 offset1:57
	v_mov_b32_e32 v142, v12
	v_mov_b32_e32 v143, v13
	v_mov_b32_e32 v144, v10
	v_mov_b32_e32 v145, v11
	ds_write2_b64 v136, v[142:143], v[144:145] offset0:58 offset1:59
	;; [unrolled: 5-line block ×3, first 2 shown]
	v_mov_b32_e32 v142, v0
	v_mov_b32_e32 v143, v1
	;; [unrolled: 1-line block ×3, first 2 shown]
	ds_write2_b64 v136, v[142:143], v[130:131] offset0:62 offset1:63
.LBB126_945:
	s_or_b64 exec, exec, s[0:1]
	v_cmp_lt_i32_e32 vcc, 55, v137
	s_waitcnt lgkmcnt(0)
	s_barrier
	s_and_saveexec_b64 s[0:1], vcc
	s_cbranch_execz .LBB126_947
; %bb.946:
	ds_read2_b64 v[142:145], v136 offset0:56 offset1:57
	ds_read2_b64 v[146:149], v136 offset0:58 offset1:59
	v_mul_f64 v[18:19], v[132:133], v[18:19]
	ds_read2_b64 v[150:153], v136 offset0:60 offset1:61
	s_waitcnt lgkmcnt(0)
	v_fma_f64 v[16:17], -v[18:19], v[142:143], v[16:17]
	v_fma_f64 v[14:15], -v[18:19], v[144:145], v[14:15]
	ds_read2_b64 v[142:145], v136 offset0:62 offset1:63
	v_fma_f64 v[12:13], -v[18:19], v[146:147], v[12:13]
	v_fma_f64 v[10:11], -v[18:19], v[148:149], v[10:11]
	;; [unrolled: 1-line block ×4, first 2 shown]
	s_waitcnt lgkmcnt(0)
	v_fma_f64 v[0:1], -v[18:19], v[142:143], v[0:1]
	v_fma_f64 v[130:131], -v[18:19], v[144:145], v[130:131]
.LBB126_947:
	s_or_b64 exec, exec, s[0:1]
	v_lshl_add_u32 v132, v137, 3, v136
	s_barrier
	ds_write_b64 v132, v[16:17]
	s_waitcnt lgkmcnt(0)
	s_barrier
	ds_read_b64 v[132:133], v136 offset:448
	s_cmp_lt_i32 s18, 58
	v_mov_b32_e32 v134, 56
	s_cbranch_scc1 .LBB126_950
; %bb.948:
	v_add_u32_e32 v141, 0x1c8, v136
	s_mov_b32 s0, 57
	v_mov_b32_e32 v134, 56
.LBB126_949:                            ; =>This Inner Loop Header: Depth=1
	ds_read_b64 v[142:143], v141
	v_mov_b32_e32 v144, s0
	s_add_i32 s0, s0, 1
	v_add_u32_e32 v141, 8, v141
	s_cmp_lg_u32 s18, s0
	s_waitcnt lgkmcnt(0)
	v_cmp_lt_f64_e64 vcc, |v[132:133]|, |v[142:143]|
	v_cndmask_b32_e32 v133, v133, v143, vcc
	v_cndmask_b32_e32 v132, v132, v142, vcc
	;; [unrolled: 1-line block ×3, first 2 shown]
	s_cbranch_scc1 .LBB126_949
.LBB126_950:
	s_waitcnt lgkmcnt(0)
	v_cmp_eq_f64_e32 vcc, 0, v[132:133]
	s_and_saveexec_b64 s[0:1], vcc
	s_xor_b64 s[0:1], exec, s[0:1]
; %bb.951:
	v_cmp_ne_u32_e32 vcc, 0, v140
	v_cndmask_b32_e32 v140, 57, v140, vcc
; %bb.952:
	s_andn2_saveexec_b64 s[0:1], s[0:1]
; %bb.953:
	v_div_scale_f64 v[142:143], s[2:3], v[132:133], v[132:133], 1.0
	v_rcp_f64_e32 v[144:145], v[142:143]
	v_div_scale_f64 v[146:147], vcc, 1.0, v[132:133], 1.0
	v_fma_f64 v[148:149], -v[142:143], v[144:145], 1.0
	v_fmac_f64_e32 v[144:145], v[144:145], v[148:149]
	v_fma_f64 v[148:149], -v[142:143], v[144:145], 1.0
	v_fmac_f64_e32 v[144:145], v[144:145], v[148:149]
	v_mul_f64 v[148:149], v[146:147], v[144:145]
	v_fma_f64 v[142:143], -v[142:143], v[148:149], v[146:147]
	v_div_fmas_f64 v[142:143], v[142:143], v[144:145], v[148:149]
	v_div_fixup_f64 v[132:133], v[142:143], v[132:133], 1.0
; %bb.954:
	s_or_b64 exec, exec, s[0:1]
	v_cmp_ne_u32_e32 vcc, v137, v134
	s_and_saveexec_b64 s[0:1], vcc
	s_xor_b64 s[0:1], exec, s[0:1]
	s_cbranch_execz .LBB126_960
; %bb.955:
	v_cmp_eq_u32_e32 vcc, 56, v137
	s_and_saveexec_b64 s[2:3], vcc
	s_cbranch_execz .LBB126_959
; %bb.956:
	v_cmp_ne_u32_e32 vcc, 56, v134
	s_xor_b64 s[14:15], s[6:7], -1
	s_and_b64 s[16:17], s[14:15], vcc
	s_and_saveexec_b64 s[14:15], s[16:17]
	s_cbranch_execz .LBB126_958
; %bb.957:
	v_ashrrev_i32_e32 v135, 31, v134
	v_lshlrev_b64 v[142:143], 2, v[134:135]
	v_add_co_u32_e32 v142, vcc, v4, v142
	v_addc_co_u32_e32 v143, vcc, v5, v143, vcc
	flat_load_dword v135, v[142:143]
	flat_load_dword v137, v[4:5] offset:224
	s_waitcnt vmcnt(0) lgkmcnt(0)
	flat_store_dword v[4:5], v135 offset:224
	flat_store_dword v[142:143], v137
.LBB126_958:
	s_or_b64 exec, exec, s[14:15]
	v_mov_b32_e32 v135, v134
	v_mov_b32_e32 v137, v134
.LBB126_959:
	s_or_b64 exec, exec, s[2:3]
.LBB126_960:
	s_andn2_saveexec_b64 s[0:1], s[0:1]
	s_cbranch_execz .LBB126_962
; %bb.961:
	v_mov_b32_e32 v137, 56
	ds_write2_b64 v136, v[14:15], v[12:13] offset0:57 offset1:58
	ds_write2_b64 v136, v[10:11], v[8:9] offset0:59 offset1:60
	;; [unrolled: 1-line block ×3, first 2 shown]
	ds_write_b64 v136, v[130:131] offset:504
.LBB126_962:
	s_or_b64 exec, exec, s[0:1]
	v_cmp_lt_i32_e32 vcc, 56, v137
	s_waitcnt lgkmcnt(0)
	s_barrier
	s_and_saveexec_b64 s[0:1], vcc
	s_cbranch_execz .LBB126_964
; %bb.963:
	ds_read2_b64 v[142:145], v136 offset0:57 offset1:58
	ds_read2_b64 v[146:149], v136 offset0:59 offset1:60
	v_mul_f64 v[16:17], v[132:133], v[16:17]
	ds_read2_b64 v[150:153], v136 offset0:61 offset1:62
	ds_read_b64 v[132:133], v136 offset:504
	s_waitcnt lgkmcnt(0)
	v_fma_f64 v[14:15], -v[16:17], v[142:143], v[14:15]
	v_fma_f64 v[12:13], -v[16:17], v[144:145], v[12:13]
	;; [unrolled: 1-line block ×7, first 2 shown]
.LBB126_964:
	s_or_b64 exec, exec, s[0:1]
	v_lshl_add_u32 v132, v137, 3, v136
	s_barrier
	ds_write_b64 v132, v[14:15]
	s_waitcnt lgkmcnt(0)
	s_barrier
	ds_read_b64 v[132:133], v136 offset:456
	s_cmp_lt_i32 s18, 59
	v_mov_b32_e32 v134, 57
	s_cbranch_scc1 .LBB126_967
; %bb.965:
	v_add_u32_e32 v141, 0x1d0, v136
	s_mov_b32 s0, 58
	v_mov_b32_e32 v134, 57
.LBB126_966:                            ; =>This Inner Loop Header: Depth=1
	ds_read_b64 v[142:143], v141
	v_mov_b32_e32 v144, s0
	s_add_i32 s0, s0, 1
	v_add_u32_e32 v141, 8, v141
	s_cmp_lg_u32 s18, s0
	s_waitcnt lgkmcnt(0)
	v_cmp_lt_f64_e64 vcc, |v[132:133]|, |v[142:143]|
	v_cndmask_b32_e32 v133, v133, v143, vcc
	v_cndmask_b32_e32 v132, v132, v142, vcc
	;; [unrolled: 1-line block ×3, first 2 shown]
	s_cbranch_scc1 .LBB126_966
.LBB126_967:
	s_waitcnt lgkmcnt(0)
	v_cmp_eq_f64_e32 vcc, 0, v[132:133]
	s_and_saveexec_b64 s[0:1], vcc
	s_xor_b64 s[0:1], exec, s[0:1]
; %bb.968:
	v_cmp_ne_u32_e32 vcc, 0, v140
	v_cndmask_b32_e32 v140, 58, v140, vcc
; %bb.969:
	s_andn2_saveexec_b64 s[0:1], s[0:1]
; %bb.970:
	v_div_scale_f64 v[142:143], s[2:3], v[132:133], v[132:133], 1.0
	v_rcp_f64_e32 v[144:145], v[142:143]
	v_div_scale_f64 v[146:147], vcc, 1.0, v[132:133], 1.0
	v_fma_f64 v[148:149], -v[142:143], v[144:145], 1.0
	v_fmac_f64_e32 v[144:145], v[144:145], v[148:149]
	v_fma_f64 v[148:149], -v[142:143], v[144:145], 1.0
	v_fmac_f64_e32 v[144:145], v[144:145], v[148:149]
	v_mul_f64 v[148:149], v[146:147], v[144:145]
	v_fma_f64 v[142:143], -v[142:143], v[148:149], v[146:147]
	v_div_fmas_f64 v[142:143], v[142:143], v[144:145], v[148:149]
	v_div_fixup_f64 v[132:133], v[142:143], v[132:133], 1.0
; %bb.971:
	s_or_b64 exec, exec, s[0:1]
	v_cmp_ne_u32_e32 vcc, v137, v134
	s_and_saveexec_b64 s[0:1], vcc
	s_xor_b64 s[0:1], exec, s[0:1]
	s_cbranch_execz .LBB126_977
; %bb.972:
	v_cmp_eq_u32_e32 vcc, 57, v137
	s_and_saveexec_b64 s[2:3], vcc
	s_cbranch_execz .LBB126_976
; %bb.973:
	v_cmp_ne_u32_e32 vcc, 57, v134
	s_xor_b64 s[14:15], s[6:7], -1
	s_and_b64 s[16:17], s[14:15], vcc
	s_and_saveexec_b64 s[14:15], s[16:17]
	s_cbranch_execz .LBB126_975
; %bb.974:
	v_ashrrev_i32_e32 v135, 31, v134
	v_lshlrev_b64 v[142:143], 2, v[134:135]
	v_add_co_u32_e32 v142, vcc, v4, v142
	v_addc_co_u32_e32 v143, vcc, v5, v143, vcc
	flat_load_dword v135, v[142:143]
	flat_load_dword v137, v[4:5] offset:228
	s_waitcnt vmcnt(0) lgkmcnt(0)
	flat_store_dword v[4:5], v135 offset:228
	flat_store_dword v[142:143], v137
.LBB126_975:
	s_or_b64 exec, exec, s[14:15]
	v_mov_b32_e32 v135, v134
	v_mov_b32_e32 v137, v134
.LBB126_976:
	s_or_b64 exec, exec, s[2:3]
.LBB126_977:
	s_andn2_saveexec_b64 s[0:1], s[0:1]
	s_cbranch_execz .LBB126_979
; %bb.978:
	v_mov_b32_e32 v142, v12
	v_mov_b32_e32 v143, v13
	;; [unrolled: 1-line block ×4, first 2 shown]
	ds_write2_b64 v136, v[142:143], v[144:145] offset0:58 offset1:59
	v_mov_b32_e32 v142, v8
	v_mov_b32_e32 v143, v9
	;; [unrolled: 1-line block ×4, first 2 shown]
	ds_write2_b64 v136, v[142:143], v[144:145] offset0:60 offset1:61
	v_mov_b32_e32 v142, v0
	v_mov_b32_e32 v143, v1
	;; [unrolled: 1-line block ×3, first 2 shown]
	ds_write2_b64 v136, v[142:143], v[130:131] offset0:62 offset1:63
.LBB126_979:
	s_or_b64 exec, exec, s[0:1]
	v_cmp_lt_i32_e32 vcc, 57, v137
	s_waitcnt lgkmcnt(0)
	s_barrier
	s_and_saveexec_b64 s[0:1], vcc
	s_cbranch_execz .LBB126_981
; %bb.980:
	ds_read2_b64 v[142:145], v136 offset0:58 offset1:59
	ds_read2_b64 v[146:149], v136 offset0:60 offset1:61
	;; [unrolled: 1-line block ×3, first 2 shown]
	v_mul_f64 v[14:15], v[132:133], v[14:15]
	s_waitcnt lgkmcnt(0)
	v_fma_f64 v[12:13], -v[14:15], v[142:143], v[12:13]
	v_fma_f64 v[10:11], -v[14:15], v[144:145], v[10:11]
	;; [unrolled: 1-line block ×6, first 2 shown]
.LBB126_981:
	s_or_b64 exec, exec, s[0:1]
	v_lshl_add_u32 v132, v137, 3, v136
	s_barrier
	ds_write_b64 v132, v[12:13]
	s_waitcnt lgkmcnt(0)
	s_barrier
	ds_read_b64 v[132:133], v136 offset:464
	s_cmp_lt_i32 s18, 60
	v_mov_b32_e32 v134, 58
	s_cbranch_scc1 .LBB126_984
; %bb.982:
	v_add_u32_e32 v141, 0x1d8, v136
	s_mov_b32 s0, 59
	v_mov_b32_e32 v134, 58
.LBB126_983:                            ; =>This Inner Loop Header: Depth=1
	ds_read_b64 v[142:143], v141
	v_mov_b32_e32 v144, s0
	s_add_i32 s0, s0, 1
	v_add_u32_e32 v141, 8, v141
	s_cmp_lg_u32 s18, s0
	s_waitcnt lgkmcnt(0)
	v_cmp_lt_f64_e64 vcc, |v[132:133]|, |v[142:143]|
	v_cndmask_b32_e32 v133, v133, v143, vcc
	v_cndmask_b32_e32 v132, v132, v142, vcc
	v_cndmask_b32_e32 v134, v134, v144, vcc
	s_cbranch_scc1 .LBB126_983
.LBB126_984:
	s_waitcnt lgkmcnt(0)
	v_cmp_eq_f64_e32 vcc, 0, v[132:133]
	s_and_saveexec_b64 s[0:1], vcc
	s_xor_b64 s[0:1], exec, s[0:1]
; %bb.985:
	v_cmp_ne_u32_e32 vcc, 0, v140
	v_cndmask_b32_e32 v140, 59, v140, vcc
; %bb.986:
	s_andn2_saveexec_b64 s[0:1], s[0:1]
; %bb.987:
	v_div_scale_f64 v[142:143], s[2:3], v[132:133], v[132:133], 1.0
	v_rcp_f64_e32 v[144:145], v[142:143]
	v_div_scale_f64 v[146:147], vcc, 1.0, v[132:133], 1.0
	v_fma_f64 v[148:149], -v[142:143], v[144:145], 1.0
	v_fmac_f64_e32 v[144:145], v[144:145], v[148:149]
	v_fma_f64 v[148:149], -v[142:143], v[144:145], 1.0
	v_fmac_f64_e32 v[144:145], v[144:145], v[148:149]
	v_mul_f64 v[148:149], v[146:147], v[144:145]
	v_fma_f64 v[142:143], -v[142:143], v[148:149], v[146:147]
	v_div_fmas_f64 v[142:143], v[142:143], v[144:145], v[148:149]
	v_div_fixup_f64 v[132:133], v[142:143], v[132:133], 1.0
; %bb.988:
	s_or_b64 exec, exec, s[0:1]
	v_cmp_ne_u32_e32 vcc, v137, v134
	s_and_saveexec_b64 s[0:1], vcc
	s_xor_b64 s[0:1], exec, s[0:1]
	s_cbranch_execz .LBB126_994
; %bb.989:
	v_cmp_eq_u32_e32 vcc, 58, v137
	s_and_saveexec_b64 s[2:3], vcc
	s_cbranch_execz .LBB126_993
; %bb.990:
	v_cmp_ne_u32_e32 vcc, 58, v134
	s_xor_b64 s[14:15], s[6:7], -1
	s_and_b64 s[16:17], s[14:15], vcc
	s_and_saveexec_b64 s[14:15], s[16:17]
	s_cbranch_execz .LBB126_992
; %bb.991:
	v_ashrrev_i32_e32 v135, 31, v134
	v_lshlrev_b64 v[142:143], 2, v[134:135]
	v_add_co_u32_e32 v142, vcc, v4, v142
	v_addc_co_u32_e32 v143, vcc, v5, v143, vcc
	flat_load_dword v135, v[142:143]
	flat_load_dword v137, v[4:5] offset:232
	s_waitcnt vmcnt(0) lgkmcnt(0)
	flat_store_dword v[4:5], v135 offset:232
	flat_store_dword v[142:143], v137
.LBB126_992:
	s_or_b64 exec, exec, s[14:15]
	v_mov_b32_e32 v135, v134
	v_mov_b32_e32 v137, v134
.LBB126_993:
	s_or_b64 exec, exec, s[2:3]
.LBB126_994:
	s_andn2_saveexec_b64 s[0:1], s[0:1]
	s_cbranch_execz .LBB126_996
; %bb.995:
	v_mov_b32_e32 v137, 58
	ds_write2_b64 v136, v[10:11], v[8:9] offset0:59 offset1:60
	ds_write2_b64 v136, v[6:7], v[0:1] offset0:61 offset1:62
	ds_write_b64 v136, v[130:131] offset:504
.LBB126_996:
	s_or_b64 exec, exec, s[0:1]
	v_cmp_lt_i32_e32 vcc, 58, v137
	s_waitcnt lgkmcnt(0)
	s_barrier
	s_and_saveexec_b64 s[0:1], vcc
	s_cbranch_execz .LBB126_998
; %bb.997:
	ds_read2_b64 v[142:145], v136 offset0:59 offset1:60
	ds_read2_b64 v[146:149], v136 offset0:61 offset1:62
	v_mul_f64 v[12:13], v[132:133], v[12:13]
	ds_read_b64 v[132:133], v136 offset:504
	s_waitcnt lgkmcnt(0)
	v_fma_f64 v[10:11], -v[12:13], v[142:143], v[10:11]
	v_fma_f64 v[8:9], -v[12:13], v[144:145], v[8:9]
	;; [unrolled: 1-line block ×5, first 2 shown]
.LBB126_998:
	s_or_b64 exec, exec, s[0:1]
	v_lshl_add_u32 v132, v137, 3, v136
	s_barrier
	ds_write_b64 v132, v[10:11]
	s_waitcnt lgkmcnt(0)
	s_barrier
	ds_read_b64 v[132:133], v136 offset:472
	s_cmp_lt_i32 s18, 61
	v_mov_b32_e32 v134, 59
	s_cbranch_scc1 .LBB126_1001
; %bb.999:
	v_add_u32_e32 v141, 0x1e0, v136
	s_mov_b32 s0, 60
	v_mov_b32_e32 v134, 59
.LBB126_1000:                           ; =>This Inner Loop Header: Depth=1
	ds_read_b64 v[142:143], v141
	v_mov_b32_e32 v144, s0
	s_add_i32 s0, s0, 1
	v_add_u32_e32 v141, 8, v141
	s_cmp_lg_u32 s18, s0
	s_waitcnt lgkmcnt(0)
	v_cmp_lt_f64_e64 vcc, |v[132:133]|, |v[142:143]|
	v_cndmask_b32_e32 v133, v133, v143, vcc
	v_cndmask_b32_e32 v132, v132, v142, vcc
	;; [unrolled: 1-line block ×3, first 2 shown]
	s_cbranch_scc1 .LBB126_1000
.LBB126_1001:
	s_waitcnt lgkmcnt(0)
	v_cmp_eq_f64_e32 vcc, 0, v[132:133]
	s_and_saveexec_b64 s[0:1], vcc
	s_xor_b64 s[0:1], exec, s[0:1]
; %bb.1002:
	v_cmp_ne_u32_e32 vcc, 0, v140
	v_cndmask_b32_e32 v140, 60, v140, vcc
; %bb.1003:
	s_andn2_saveexec_b64 s[0:1], s[0:1]
; %bb.1004:
	v_div_scale_f64 v[142:143], s[2:3], v[132:133], v[132:133], 1.0
	v_rcp_f64_e32 v[144:145], v[142:143]
	v_div_scale_f64 v[146:147], vcc, 1.0, v[132:133], 1.0
	v_fma_f64 v[148:149], -v[142:143], v[144:145], 1.0
	v_fmac_f64_e32 v[144:145], v[144:145], v[148:149]
	v_fma_f64 v[148:149], -v[142:143], v[144:145], 1.0
	v_fmac_f64_e32 v[144:145], v[144:145], v[148:149]
	v_mul_f64 v[148:149], v[146:147], v[144:145]
	v_fma_f64 v[142:143], -v[142:143], v[148:149], v[146:147]
	v_div_fmas_f64 v[142:143], v[142:143], v[144:145], v[148:149]
	v_div_fixup_f64 v[132:133], v[142:143], v[132:133], 1.0
; %bb.1005:
	s_or_b64 exec, exec, s[0:1]
	v_cmp_ne_u32_e32 vcc, v137, v134
	s_and_saveexec_b64 s[0:1], vcc
	s_xor_b64 s[0:1], exec, s[0:1]
	s_cbranch_execz .LBB126_1011
; %bb.1006:
	v_cmp_eq_u32_e32 vcc, 59, v137
	s_and_saveexec_b64 s[2:3], vcc
	s_cbranch_execz .LBB126_1010
; %bb.1007:
	v_cmp_ne_u32_e32 vcc, 59, v134
	s_xor_b64 s[14:15], s[6:7], -1
	s_and_b64 s[16:17], s[14:15], vcc
	s_and_saveexec_b64 s[14:15], s[16:17]
	s_cbranch_execz .LBB126_1009
; %bb.1008:
	v_ashrrev_i32_e32 v135, 31, v134
	v_lshlrev_b64 v[142:143], 2, v[134:135]
	v_add_co_u32_e32 v142, vcc, v4, v142
	v_addc_co_u32_e32 v143, vcc, v5, v143, vcc
	flat_load_dword v135, v[142:143]
	flat_load_dword v137, v[4:5] offset:236
	s_waitcnt vmcnt(0) lgkmcnt(0)
	flat_store_dword v[4:5], v135 offset:236
	flat_store_dword v[142:143], v137
.LBB126_1009:
	s_or_b64 exec, exec, s[14:15]
	v_mov_b32_e32 v135, v134
	v_mov_b32_e32 v137, v134
.LBB126_1010:
	s_or_b64 exec, exec, s[2:3]
.LBB126_1011:
	s_andn2_saveexec_b64 s[0:1], s[0:1]
	s_cbranch_execz .LBB126_1013
; %bb.1012:
	v_mov_b32_e32 v142, v8
	v_mov_b32_e32 v143, v9
	;; [unrolled: 1-line block ×4, first 2 shown]
	ds_write2_b64 v136, v[142:143], v[144:145] offset0:60 offset1:61
	v_mov_b32_e32 v142, v0
	v_mov_b32_e32 v143, v1
	;; [unrolled: 1-line block ×3, first 2 shown]
	ds_write2_b64 v136, v[142:143], v[130:131] offset0:62 offset1:63
.LBB126_1013:
	s_or_b64 exec, exec, s[0:1]
	v_cmp_lt_i32_e32 vcc, 59, v137
	s_waitcnt lgkmcnt(0)
	s_barrier
	s_and_saveexec_b64 s[0:1], vcc
	s_cbranch_execz .LBB126_1015
; %bb.1014:
	ds_read2_b64 v[142:145], v136 offset0:60 offset1:61
	ds_read2_b64 v[146:149], v136 offset0:62 offset1:63
	v_mul_f64 v[10:11], v[132:133], v[10:11]
	s_waitcnt lgkmcnt(0)
	v_fma_f64 v[8:9], -v[10:11], v[142:143], v[8:9]
	v_fma_f64 v[6:7], -v[10:11], v[144:145], v[6:7]
	;; [unrolled: 1-line block ×4, first 2 shown]
.LBB126_1015:
	s_or_b64 exec, exec, s[0:1]
	v_lshl_add_u32 v132, v137, 3, v136
	s_barrier
	ds_write_b64 v132, v[8:9]
	s_waitcnt lgkmcnt(0)
	s_barrier
	ds_read_b64 v[132:133], v136 offset:480
	s_cmp_lt_i32 s18, 62
	v_mov_b32_e32 v134, 60
	s_cbranch_scc1 .LBB126_1018
; %bb.1016:
	v_add_u32_e32 v141, 0x1e8, v136
	s_mov_b32 s0, 61
	v_mov_b32_e32 v134, 60
.LBB126_1017:                           ; =>This Inner Loop Header: Depth=1
	ds_read_b64 v[142:143], v141
	v_mov_b32_e32 v144, s0
	s_add_i32 s0, s0, 1
	v_add_u32_e32 v141, 8, v141
	s_cmp_lg_u32 s18, s0
	s_waitcnt lgkmcnt(0)
	v_cmp_lt_f64_e64 vcc, |v[132:133]|, |v[142:143]|
	v_cndmask_b32_e32 v133, v133, v143, vcc
	v_cndmask_b32_e32 v132, v132, v142, vcc
	;; [unrolled: 1-line block ×3, first 2 shown]
	s_cbranch_scc1 .LBB126_1017
.LBB126_1018:
	s_waitcnt lgkmcnt(0)
	v_cmp_eq_f64_e32 vcc, 0, v[132:133]
	s_and_saveexec_b64 s[0:1], vcc
	s_xor_b64 s[0:1], exec, s[0:1]
; %bb.1019:
	v_cmp_ne_u32_e32 vcc, 0, v140
	v_cndmask_b32_e32 v140, 61, v140, vcc
; %bb.1020:
	s_andn2_saveexec_b64 s[0:1], s[0:1]
; %bb.1021:
	v_div_scale_f64 v[142:143], s[2:3], v[132:133], v[132:133], 1.0
	v_rcp_f64_e32 v[144:145], v[142:143]
	v_div_scale_f64 v[146:147], vcc, 1.0, v[132:133], 1.0
	v_fma_f64 v[148:149], -v[142:143], v[144:145], 1.0
	v_fmac_f64_e32 v[144:145], v[144:145], v[148:149]
	v_fma_f64 v[148:149], -v[142:143], v[144:145], 1.0
	v_fmac_f64_e32 v[144:145], v[144:145], v[148:149]
	v_mul_f64 v[148:149], v[146:147], v[144:145]
	v_fma_f64 v[142:143], -v[142:143], v[148:149], v[146:147]
	v_div_fmas_f64 v[142:143], v[142:143], v[144:145], v[148:149]
	v_div_fixup_f64 v[132:133], v[142:143], v[132:133], 1.0
; %bb.1022:
	s_or_b64 exec, exec, s[0:1]
	v_cmp_ne_u32_e32 vcc, v137, v134
	s_and_saveexec_b64 s[0:1], vcc
	s_xor_b64 s[0:1], exec, s[0:1]
	s_cbranch_execz .LBB126_1028
; %bb.1023:
	v_cmp_eq_u32_e32 vcc, 60, v137
	s_and_saveexec_b64 s[2:3], vcc
	s_cbranch_execz .LBB126_1027
; %bb.1024:
	v_cmp_ne_u32_e32 vcc, 60, v134
	s_xor_b64 s[14:15], s[6:7], -1
	s_and_b64 s[16:17], s[14:15], vcc
	s_and_saveexec_b64 s[14:15], s[16:17]
	s_cbranch_execz .LBB126_1026
; %bb.1025:
	v_ashrrev_i32_e32 v135, 31, v134
	v_lshlrev_b64 v[142:143], 2, v[134:135]
	v_add_co_u32_e32 v142, vcc, v4, v142
	v_addc_co_u32_e32 v143, vcc, v5, v143, vcc
	flat_load_dword v135, v[142:143]
	flat_load_dword v137, v[4:5] offset:240
	s_waitcnt vmcnt(0) lgkmcnt(0)
	flat_store_dword v[4:5], v135 offset:240
	flat_store_dword v[142:143], v137
.LBB126_1026:
	s_or_b64 exec, exec, s[14:15]
	v_mov_b32_e32 v135, v134
	v_mov_b32_e32 v137, v134
.LBB126_1027:
	s_or_b64 exec, exec, s[2:3]
.LBB126_1028:
	s_andn2_saveexec_b64 s[0:1], s[0:1]
	s_cbranch_execz .LBB126_1030
; %bb.1029:
	v_mov_b32_e32 v137, 60
	ds_write2_b64 v136, v[6:7], v[0:1] offset0:61 offset1:62
	ds_write_b64 v136, v[130:131] offset:504
.LBB126_1030:
	s_or_b64 exec, exec, s[0:1]
	v_cmp_lt_i32_e32 vcc, 60, v137
	s_waitcnt lgkmcnt(0)
	s_barrier
	s_and_saveexec_b64 s[0:1], vcc
	s_cbranch_execz .LBB126_1032
; %bb.1031:
	ds_read2_b64 v[142:145], v136 offset0:61 offset1:62
	ds_read_b64 v[146:147], v136 offset:504
	v_mul_f64 v[8:9], v[132:133], v[8:9]
	s_waitcnt lgkmcnt(0)
	v_fma_f64 v[6:7], -v[8:9], v[142:143], v[6:7]
	v_fma_f64 v[0:1], -v[8:9], v[144:145], v[0:1]
	;; [unrolled: 1-line block ×3, first 2 shown]
.LBB126_1032:
	s_or_b64 exec, exec, s[0:1]
	v_lshl_add_u32 v132, v137, 3, v136
	s_barrier
	ds_write_b64 v132, v[6:7]
	s_waitcnt lgkmcnt(0)
	s_barrier
	ds_read_b64 v[132:133], v136 offset:488
	s_cmp_lt_i32 s18, 63
	v_mov_b32_e32 v134, 61
	s_cbranch_scc1 .LBB126_1035
; %bb.1033:
	v_add_u32_e32 v141, 0x1f0, v136
	s_mov_b32 s0, 62
	v_mov_b32_e32 v134, 61
.LBB126_1034:                           ; =>This Inner Loop Header: Depth=1
	ds_read_b64 v[142:143], v141
	v_mov_b32_e32 v144, s0
	s_add_i32 s0, s0, 1
	v_add_u32_e32 v141, 8, v141
	s_cmp_lg_u32 s18, s0
	s_waitcnt lgkmcnt(0)
	v_cmp_lt_f64_e64 vcc, |v[132:133]|, |v[142:143]|
	v_cndmask_b32_e32 v133, v133, v143, vcc
	v_cndmask_b32_e32 v132, v132, v142, vcc
	;; [unrolled: 1-line block ×3, first 2 shown]
	s_cbranch_scc1 .LBB126_1034
.LBB126_1035:
	s_waitcnt lgkmcnt(0)
	v_cmp_eq_f64_e32 vcc, 0, v[132:133]
	s_and_saveexec_b64 s[0:1], vcc
	s_xor_b64 s[0:1], exec, s[0:1]
; %bb.1036:
	v_cmp_ne_u32_e32 vcc, 0, v140
	v_cndmask_b32_e32 v140, 62, v140, vcc
; %bb.1037:
	s_andn2_saveexec_b64 s[0:1], s[0:1]
; %bb.1038:
	v_div_scale_f64 v[142:143], s[2:3], v[132:133], v[132:133], 1.0
	v_rcp_f64_e32 v[144:145], v[142:143]
	v_div_scale_f64 v[146:147], vcc, 1.0, v[132:133], 1.0
	v_fma_f64 v[148:149], -v[142:143], v[144:145], 1.0
	v_fmac_f64_e32 v[144:145], v[144:145], v[148:149]
	v_fma_f64 v[148:149], -v[142:143], v[144:145], 1.0
	v_fmac_f64_e32 v[144:145], v[144:145], v[148:149]
	v_mul_f64 v[148:149], v[146:147], v[144:145]
	v_fma_f64 v[142:143], -v[142:143], v[148:149], v[146:147]
	v_div_fmas_f64 v[142:143], v[142:143], v[144:145], v[148:149]
	v_div_fixup_f64 v[132:133], v[142:143], v[132:133], 1.0
; %bb.1039:
	s_or_b64 exec, exec, s[0:1]
	v_cmp_ne_u32_e32 vcc, v137, v134
	s_and_saveexec_b64 s[0:1], vcc
	s_xor_b64 s[0:1], exec, s[0:1]
	s_cbranch_execz .LBB126_1045
; %bb.1040:
	v_cmp_eq_u32_e32 vcc, 61, v137
	s_and_saveexec_b64 s[2:3], vcc
	s_cbranch_execz .LBB126_1044
; %bb.1041:
	v_cmp_ne_u32_e32 vcc, 61, v134
	s_xor_b64 s[14:15], s[6:7], -1
	s_and_b64 s[16:17], s[14:15], vcc
	s_and_saveexec_b64 s[14:15], s[16:17]
	s_cbranch_execz .LBB126_1043
; %bb.1042:
	v_ashrrev_i32_e32 v135, 31, v134
	v_lshlrev_b64 v[142:143], 2, v[134:135]
	v_add_co_u32_e32 v142, vcc, v4, v142
	v_addc_co_u32_e32 v143, vcc, v5, v143, vcc
	flat_load_dword v135, v[142:143]
	flat_load_dword v137, v[4:5] offset:244
	s_waitcnt vmcnt(0) lgkmcnt(0)
	flat_store_dword v[4:5], v135 offset:244
	flat_store_dword v[142:143], v137
.LBB126_1043:
	s_or_b64 exec, exec, s[14:15]
	v_mov_b32_e32 v135, v134
	v_mov_b32_e32 v137, v134
.LBB126_1044:
	s_or_b64 exec, exec, s[2:3]
.LBB126_1045:
	s_andn2_saveexec_b64 s[0:1], s[0:1]
	s_cbranch_execz .LBB126_1047
; %bb.1046:
	v_mov_b32_e32 v142, v0
	v_mov_b32_e32 v143, v1
	;; [unrolled: 1-line block ×3, first 2 shown]
	ds_write2_b64 v136, v[142:143], v[130:131] offset0:62 offset1:63
.LBB126_1047:
	s_or_b64 exec, exec, s[0:1]
	v_cmp_lt_i32_e32 vcc, 61, v137
	s_waitcnt lgkmcnt(0)
	s_barrier
	s_and_saveexec_b64 s[0:1], vcc
	s_cbranch_execz .LBB126_1049
; %bb.1048:
	ds_read2_b64 v[142:145], v136 offset0:62 offset1:63
	v_mul_f64 v[6:7], v[132:133], v[6:7]
	s_waitcnt lgkmcnt(0)
	v_fma_f64 v[0:1], -v[6:7], v[142:143], v[0:1]
	v_fma_f64 v[130:131], -v[6:7], v[144:145], v[130:131]
.LBB126_1049:
	s_or_b64 exec, exec, s[0:1]
	v_lshl_add_u32 v132, v137, 3, v136
	s_barrier
	ds_write_b64 v132, v[0:1]
	s_waitcnt lgkmcnt(0)
	s_barrier
	ds_read_b64 v[132:133], v136 offset:496
	s_cmp_lt_i32 s18, 64
	v_mov_b32_e32 v134, 62
	s_cbranch_scc1 .LBB126_1052
; %bb.1050:
	v_add_u32_e32 v141, 0x1f8, v136
	s_mov_b32 s0, 63
	v_mov_b32_e32 v134, 62
.LBB126_1051:                           ; =>This Inner Loop Header: Depth=1
	ds_read_b64 v[142:143], v141
	v_mov_b32_e32 v144, s0
	s_add_i32 s0, s0, 1
	v_add_u32_e32 v141, 8, v141
	s_cmp_lg_u32 s18, s0
	s_waitcnt lgkmcnt(0)
	v_cmp_lt_f64_e64 vcc, |v[132:133]|, |v[142:143]|
	v_cndmask_b32_e32 v133, v133, v143, vcc
	v_cndmask_b32_e32 v132, v132, v142, vcc
	v_cndmask_b32_e32 v134, v134, v144, vcc
	s_cbranch_scc1 .LBB126_1051
.LBB126_1052:
	s_waitcnt lgkmcnt(0)
	v_cmp_eq_f64_e32 vcc, 0, v[132:133]
	s_and_saveexec_b64 s[0:1], vcc
	s_xor_b64 s[0:1], exec, s[0:1]
; %bb.1053:
	v_cmp_ne_u32_e32 vcc, 0, v140
	v_cndmask_b32_e32 v140, 63, v140, vcc
; %bb.1054:
	s_andn2_saveexec_b64 s[0:1], s[0:1]
; %bb.1055:
	v_div_scale_f64 v[142:143], s[2:3], v[132:133], v[132:133], 1.0
	v_rcp_f64_e32 v[144:145], v[142:143]
	v_div_scale_f64 v[146:147], vcc, 1.0, v[132:133], 1.0
	v_fma_f64 v[148:149], -v[142:143], v[144:145], 1.0
	v_fmac_f64_e32 v[144:145], v[144:145], v[148:149]
	v_fma_f64 v[148:149], -v[142:143], v[144:145], 1.0
	v_fmac_f64_e32 v[144:145], v[144:145], v[148:149]
	v_mul_f64 v[148:149], v[146:147], v[144:145]
	v_fma_f64 v[142:143], -v[142:143], v[148:149], v[146:147]
	v_div_fmas_f64 v[142:143], v[142:143], v[144:145], v[148:149]
	v_div_fixup_f64 v[132:133], v[142:143], v[132:133], 1.0
; %bb.1056:
	s_or_b64 exec, exec, s[0:1]
	v_cmp_ne_u32_e32 vcc, v137, v134
	s_and_saveexec_b64 s[0:1], vcc
	s_xor_b64 s[0:1], exec, s[0:1]
	s_cbranch_execz .LBB126_1062
; %bb.1057:
	v_cmp_eq_u32_e32 vcc, 62, v137
	s_and_saveexec_b64 s[2:3], vcc
	s_cbranch_execz .LBB126_1061
; %bb.1058:
	v_cmp_ne_u32_e32 vcc, 62, v134
	s_xor_b64 s[14:15], s[6:7], -1
	s_and_b64 s[16:17], s[14:15], vcc
	s_and_saveexec_b64 s[14:15], s[16:17]
	s_cbranch_execz .LBB126_1060
; %bb.1059:
	v_ashrrev_i32_e32 v135, 31, v134
	v_lshlrev_b64 v[142:143], 2, v[134:135]
	v_add_co_u32_e32 v142, vcc, v4, v142
	v_addc_co_u32_e32 v143, vcc, v5, v143, vcc
	flat_load_dword v135, v[142:143]
	flat_load_dword v137, v[4:5] offset:248
	s_waitcnt vmcnt(0) lgkmcnt(0)
	flat_store_dword v[4:5], v135 offset:248
	flat_store_dword v[142:143], v137
.LBB126_1060:
	s_or_b64 exec, exec, s[14:15]
	v_mov_b32_e32 v135, v134
	v_mov_b32_e32 v137, v134
.LBB126_1061:
	s_or_b64 exec, exec, s[2:3]
.LBB126_1062:
	s_andn2_saveexec_b64 s[0:1], s[0:1]
	s_cbranch_execz .LBB126_1064
; %bb.1063:
	v_mov_b32_e32 v137, 62
	ds_write_b64 v136, v[130:131] offset:504
.LBB126_1064:
	s_or_b64 exec, exec, s[0:1]
	v_cmp_lt_i32_e32 vcc, 62, v137
	s_waitcnt lgkmcnt(0)
	s_barrier
	s_and_saveexec_b64 s[0:1], vcc
	s_cbranch_execz .LBB126_1066
; %bb.1065:
	ds_read_b64 v[142:143], v136 offset:504
	v_mul_f64 v[0:1], v[132:133], v[0:1]
	s_waitcnt lgkmcnt(0)
	v_fma_f64 v[130:131], -v[0:1], v[142:143], v[130:131]
.LBB126_1066:
	s_or_b64 exec, exec, s[0:1]
	v_lshl_add_u32 v132, v137, 3, v136
	s_barrier
	ds_write_b64 v132, v[130:131]
	s_waitcnt lgkmcnt(0)
	s_barrier
	ds_read_b64 v[132:133], v136 offset:504
	s_cmpk_lt_i32 s18, 0x41
	v_mov_b32_e32 v134, 63
	s_cbranch_scc1 .LBB126_1069
; %bb.1067:
	v_add_u32_e32 v136, 0x200, v136
	s_mov_b32 s0, 64
	v_mov_b32_e32 v134, 63
.LBB126_1068:                           ; =>This Inner Loop Header: Depth=1
	ds_read_b64 v[142:143], v136
	v_mov_b32_e32 v141, s0
	s_add_i32 s0, s0, 1
	v_add_u32_e32 v136, 8, v136
	s_cmp_lg_u32 s18, s0
	s_waitcnt lgkmcnt(0)
	v_cmp_lt_f64_e64 vcc, |v[132:133]|, |v[142:143]|
	v_cndmask_b32_e32 v133, v133, v143, vcc
	v_cndmask_b32_e32 v132, v132, v142, vcc
	;; [unrolled: 1-line block ×3, first 2 shown]
	s_cbranch_scc1 .LBB126_1068
.LBB126_1069:
	s_waitcnt lgkmcnt(0)
	v_cmp_eq_f64_e32 vcc, 0, v[132:133]
	s_and_saveexec_b64 s[0:1], vcc
	s_xor_b64 s[0:1], exec, s[0:1]
; %bb.1070:
	v_cmp_ne_u32_e32 vcc, 0, v140
	v_cndmask_b32_e32 v140, 64, v140, vcc
; %bb.1071:
	s_andn2_saveexec_b64 s[0:1], s[0:1]
; %bb.1072:
	v_div_scale_f64 v[142:143], s[2:3], v[132:133], v[132:133], 1.0
	v_rcp_f64_e32 v[144:145], v[142:143]
	v_div_scale_f64 v[146:147], vcc, 1.0, v[132:133], 1.0
	v_fma_f64 v[148:149], -v[142:143], v[144:145], 1.0
	v_fmac_f64_e32 v[144:145], v[144:145], v[148:149]
	v_fma_f64 v[148:149], -v[142:143], v[144:145], 1.0
	v_fmac_f64_e32 v[144:145], v[144:145], v[148:149]
	v_mul_f64 v[148:149], v[146:147], v[144:145]
	v_fma_f64 v[142:143], -v[142:143], v[148:149], v[146:147]
	v_div_fmas_f64 v[142:143], v[142:143], v[144:145], v[148:149]
	v_div_fixup_f64 v[132:133], v[142:143], v[132:133], 1.0
; %bb.1073:
	s_or_b64 exec, exec, s[0:1]
	v_cmp_ne_u32_e32 vcc, v137, v134
	v_mov_b32_e32 v136, 63
	s_and_saveexec_b64 s[0:1], vcc
	s_cbranch_execz .LBB126_1079
; %bb.1074:
	v_cmp_eq_u32_e32 vcc, 63, v137
	s_and_saveexec_b64 s[2:3], vcc
	s_cbranch_execz .LBB126_1078
; %bb.1075:
	v_cmp_ne_u32_e32 vcc, 63, v134
	s_xor_b64 s[6:7], s[6:7], -1
	s_and_b64 s[14:15], s[6:7], vcc
	s_and_saveexec_b64 s[6:7], s[14:15]
	s_cbranch_execz .LBB126_1077
; %bb.1076:
	v_ashrrev_i32_e32 v135, 31, v134
	v_lshlrev_b64 v[136:137], 2, v[134:135]
	v_add_co_u32_e32 v136, vcc, v4, v136
	v_addc_co_u32_e32 v137, vcc, v5, v137, vcc
	flat_load_dword v135, v[136:137]
	flat_load_dword v141, v[4:5] offset:252
	s_waitcnt vmcnt(0) lgkmcnt(0)
	flat_store_dword v[4:5], v135 offset:252
	flat_store_dword v[136:137], v141
.LBB126_1077:
	s_or_b64 exec, exec, s[6:7]
	v_mov_b32_e32 v135, v134
	v_mov_b32_e32 v137, v134
.LBB126_1078:
	s_or_b64 exec, exec, s[2:3]
	v_mov_b32_e32 v136, v137
.LBB126_1079:
	s_or_b64 exec, exec, s[0:1]
	s_load_dwordx8 s[0:7], s[4:5], 0x28
	v_cmp_gt_i32_e32 vcc, 64, v136
	v_ashrrev_i32_e32 v137, 31, v136
	s_waitcnt lgkmcnt(0)
	s_barrier
	s_barrier
	s_and_saveexec_b64 s[14:15], vcc
	s_cbranch_execz .LBB126_1081
; %bb.1080:
	v_mul_lo_u32 v134, v3, s4
	v_mul_lo_u32 v141, v2, s5
	v_mad_u64_u32 v[4:5], s[4:5], v2, s4, 0
	s_lshl_b64 s[2:3], s[2:3], 2
	v_add3_u32 v5, v5, v141, v134
	s_add_u32 s0, s2, s0
	v_lshlrev_b64 v[4:5], 2, v[4:5]
	s_addc_u32 s1, s3, s1
	v_mov_b32_e32 v134, s1
	v_add_co_u32_e32 v141, vcc, s0, v4
	v_addc_co_u32_e32 v134, vcc, v134, v5, vcc
	v_lshlrev_b64 v[4:5], 2, v[136:137]
	v_add_co_u32_e32 v4, vcc, v141, v4
	v_addc_co_u32_e32 v5, vcc, v134, v5, vcc
	v_add3_u32 v134, v135, s13, 1
	global_store_dword v[4:5], v134, off
.LBB126_1081:
	s_or_b64 exec, exec, s[14:15]
	v_cmp_eq_u32_e32 vcc, 0, v136
	s_and_saveexec_b64 s[2:3], vcc
	s_cbranch_execz .LBB126_1084
; %bb.1082:
	v_lshlrev_b64 v[2:3], 2, v[2:3]
	v_mov_b32_e32 v4, s7
	v_add_co_u32_e32 v2, vcc, s6, v2
	v_addc_co_u32_e32 v3, vcc, v4, v3, vcc
	global_load_dword v4, v[2:3], off
	v_cmp_lt_i32_e64 s[0:1], 0, v140
	s_waitcnt vmcnt(0)
	v_cmp_eq_u32_e32 vcc, 0, v4
	s_and_b64 s[0:1], vcc, s[0:1]
	s_and_b64 exec, exec, s[0:1]
	s_cbranch_execz .LBB126_1084
; %bb.1083:
	v_add_u32_e32 v4, s13, v140
	global_store_dword v[2:3], v4, off
.LBB126_1084:
	s_or_b64 exec, exec, s[2:3]
	v_mul_f64 v[2:3], v[132:133], v[130:131]
	v_cmp_lt_i32_e32 vcc, 63, v136
	v_lshlrev_b64 v[4:5], 3, v[136:137]
	v_cndmask_b32_e32 v3, v131, v3, vcc
	v_cndmask_b32_e32 v2, v130, v2, vcc
	v_add_co_u32_e32 v4, vcc, v138, v4
	v_addc_co_u32_e32 v5, vcc, v139, v5, vcc
	global_store_dwordx2 v[4:5], v[126:127], off
	v_mov_b32_e32 v126, s11
	v_add_co_u32_e32 v4, vcc, s10, v4
	v_addc_co_u32_e32 v5, vcc, v5, v126, vcc
	global_store_dwordx2 v[4:5], v[128:129], off
	v_add_u32_e32 v4, s12, v136
	v_ashrrev_i32_e32 v5, 31, v4
	v_lshlrev_b64 v[126:127], 3, v[4:5]
	v_add_co_u32_e32 v126, vcc, v138, v126
	v_add_u32_e32 v4, s8, v4
	v_addc_co_u32_e32 v127, vcc, v139, v127, vcc
	v_ashrrev_i32_e32 v5, 31, v4
	global_store_dwordx2 v[126:127], v[124:125], off
	v_lshlrev_b64 v[124:125], 3, v[4:5]
	v_add_co_u32_e32 v124, vcc, v138, v124
	v_add_u32_e32 v4, s8, v4
	v_addc_co_u32_e32 v125, vcc, v139, v125, vcc
	v_ashrrev_i32_e32 v5, 31, v4
	global_store_dwordx2 v[124:125], v[122:123], off
	;; [unrolled: 6-line block ×60, first 2 shown]
	v_lshlrev_b64 v[6:7], 3, v[4:5]
	v_add_co_u32_e32 v6, vcc, v138, v6
	v_addc_co_u32_e32 v7, vcc, v139, v7, vcc
	global_store_dwordx2 v[6:7], v[0:1], off
	v_add_u32_e32 v0, s8, v4
	v_ashrrev_i32_e32 v1, 31, v0
	v_lshlrev_b64 v[0:1], 3, v[0:1]
	v_add_co_u32_e32 v0, vcc, v138, v0
	v_addc_co_u32_e32 v1, vcc, v139, v1, vcc
	global_store_dwordx2 v[0:1], v[2:3], off
.LBB126_1085:
	s_endpgm
	.section	.rodata,"a",@progbits
	.p2align	6, 0x0
	.amdhsa_kernel _ZN9rocsolver6v33100L18getf2_small_kernelILi64EdiiPKPdEEvT1_T3_lS5_lPS5_llPT2_S5_S5_S7_l
		.amdhsa_group_segment_fixed_size 0
		.amdhsa_private_segment_fixed_size 0
		.amdhsa_kernarg_size 352
		.amdhsa_user_sgpr_count 6
		.amdhsa_user_sgpr_private_segment_buffer 1
		.amdhsa_user_sgpr_dispatch_ptr 0
		.amdhsa_user_sgpr_queue_ptr 0
		.amdhsa_user_sgpr_kernarg_segment_ptr 1
		.amdhsa_user_sgpr_dispatch_id 0
		.amdhsa_user_sgpr_flat_scratch_init 0
		.amdhsa_user_sgpr_kernarg_preload_length 0
		.amdhsa_user_sgpr_kernarg_preload_offset 0
		.amdhsa_user_sgpr_private_segment_size 0
		.amdhsa_uses_dynamic_stack 0
		.amdhsa_system_sgpr_private_segment_wavefront_offset 0
		.amdhsa_system_sgpr_workgroup_id_x 1
		.amdhsa_system_sgpr_workgroup_id_y 1
		.amdhsa_system_sgpr_workgroup_id_z 0
		.amdhsa_system_sgpr_workgroup_info 0
		.amdhsa_system_vgpr_workitem_id 1
		.amdhsa_next_free_vgpr 200
		.amdhsa_next_free_sgpr 22
		.amdhsa_accum_offset 200
		.amdhsa_reserve_vcc 1
		.amdhsa_reserve_flat_scratch 0
		.amdhsa_float_round_mode_32 0
		.amdhsa_float_round_mode_16_64 0
		.amdhsa_float_denorm_mode_32 3
		.amdhsa_float_denorm_mode_16_64 3
		.amdhsa_dx10_clamp 1
		.amdhsa_ieee_mode 1
		.amdhsa_fp16_overflow 0
		.amdhsa_tg_split 0
		.amdhsa_exception_fp_ieee_invalid_op 0
		.amdhsa_exception_fp_denorm_src 0
		.amdhsa_exception_fp_ieee_div_zero 0
		.amdhsa_exception_fp_ieee_overflow 0
		.amdhsa_exception_fp_ieee_underflow 0
		.amdhsa_exception_fp_ieee_inexact 0
		.amdhsa_exception_int_div_zero 0
	.end_amdhsa_kernel
	.section	.text._ZN9rocsolver6v33100L18getf2_small_kernelILi64EdiiPKPdEEvT1_T3_lS5_lPS5_llPT2_S5_S5_S7_l,"axG",@progbits,_ZN9rocsolver6v33100L18getf2_small_kernelILi64EdiiPKPdEEvT1_T3_lS5_lPS5_llPT2_S5_S5_S7_l,comdat
.Lfunc_end126:
	.size	_ZN9rocsolver6v33100L18getf2_small_kernelILi64EdiiPKPdEEvT1_T3_lS5_lPS5_llPT2_S5_S5_S7_l, .Lfunc_end126-_ZN9rocsolver6v33100L18getf2_small_kernelILi64EdiiPKPdEEvT1_T3_lS5_lPS5_llPT2_S5_S5_S7_l
                                        ; -- End function
	.section	.AMDGPU.csdata,"",@progbits
; Kernel info:
; codeLenInByte = 71404
; NumSgprs: 26
; NumVgprs: 200
; NumAgprs: 0
; TotalNumVgprs: 200
; ScratchSize: 0
; MemoryBound: 0
; FloatMode: 240
; IeeeMode: 1
; LDSByteSize: 0 bytes/workgroup (compile time only)
; SGPRBlocks: 3
; VGPRBlocks: 24
; NumSGPRsForWavesPerEU: 26
; NumVGPRsForWavesPerEU: 200
; AccumOffset: 200
; Occupancy: 2
; WaveLimiterHint : 1
; COMPUTE_PGM_RSRC2:SCRATCH_EN: 0
; COMPUTE_PGM_RSRC2:USER_SGPR: 6
; COMPUTE_PGM_RSRC2:TRAP_HANDLER: 0
; COMPUTE_PGM_RSRC2:TGID_X_EN: 1
; COMPUTE_PGM_RSRC2:TGID_Y_EN: 1
; COMPUTE_PGM_RSRC2:TGID_Z_EN: 0
; COMPUTE_PGM_RSRC2:TIDIG_COMP_CNT: 1
; COMPUTE_PGM_RSRC3_GFX90A:ACCUM_OFFSET: 49
; COMPUTE_PGM_RSRC3_GFX90A:TG_SPLIT: 0
	.section	.text._ZN9rocsolver6v33100L23getf2_npvt_small_kernelILi64EdiiPKPdEEvT1_T3_lS5_lPT2_S5_S5_,"axG",@progbits,_ZN9rocsolver6v33100L23getf2_npvt_small_kernelILi64EdiiPKPdEEvT1_T3_lS5_lPT2_S5_S5_,comdat
	.globl	_ZN9rocsolver6v33100L23getf2_npvt_small_kernelILi64EdiiPKPdEEvT1_T3_lS5_lPT2_S5_S5_ ; -- Begin function _ZN9rocsolver6v33100L23getf2_npvt_small_kernelILi64EdiiPKPdEEvT1_T3_lS5_lPT2_S5_S5_
	.p2align	8
	.type	_ZN9rocsolver6v33100L23getf2_npvt_small_kernelILi64EdiiPKPdEEvT1_T3_lS5_lPT2_S5_S5_,@function
_ZN9rocsolver6v33100L23getf2_npvt_small_kernelILi64EdiiPKPdEEvT1_T3_lS5_lPT2_S5_S5_: ; @_ZN9rocsolver6v33100L23getf2_npvt_small_kernelILi64EdiiPKPdEEvT1_T3_lS5_lPT2_S5_S5_
; %bb.0:
	s_mov_b64 s[18:19], s[2:3]
	s_mov_b64 s[16:17], s[0:1]
	s_add_u32 s16, s16, s8
	s_load_dword s0, s[4:5], 0x44
	s_load_dwordx2 s[8:9], s[4:5], 0x30
	s_addc_u32 s17, s17, 0
	v_bfe_u32 v1, v0, 10, 10
	s_waitcnt lgkmcnt(0)
	s_lshr_b32 s6, s0, 16
	s_mul_i32 s7, s7, s6
	v_add_u32_e32 v90, s7, v1
	v_cmp_gt_i32_e32 vcc, s8, v90
	s_and_saveexec_b64 s[0:1], vcc
	s_cbranch_execz .LBB127_323
; %bb.1:
	s_load_dwordx4 s[12:15], s[4:5], 0x8
	s_load_dword s0, s[4:5], 0x18
	v_ashrrev_i32_e32 v91, 31, v90
	v_lshlrev_b64 v[2:3], 3, v[90:91]
	v_and_b32_e32 v82, 0x3ff, v0
	s_waitcnt lgkmcnt(0)
	v_mov_b32_e32 v4, s13
	v_add_co_u32_e32 v2, vcc, s12, v2
	v_addc_co_u32_e32 v3, vcc, v4, v3, vcc
	global_load_dwordx2 v[2:3], v[2:3], off
	s_add_i32 s1, s0, s0
	s_lshl_b64 s[2:3], s[14:15], 3
	v_add_u32_e32 v4, s1, v82
	v_mov_b32_e32 v25, s3
	v_ashrrev_i32_e32 v5, 31, v4
	v_add_u32_e32 v6, s0, v4
	v_lshlrev_b64 v[4:5], 3, v[4:5]
	v_ashrrev_i32_e32 v7, 31, v6
	v_add_u32_e32 v8, s0, v6
	v_lshlrev_b64 v[6:7], 3, v[6:7]
	;; [unrolled: 3-line block ×10, first 2 shown]
	s_ashr_i32 s1, s0, 31
	v_lshl_add_u32 v81, v1, 9, 0
	s_waitcnt vmcnt(0)
	v_add_co_u32_e32 v0, vcc, s2, v2
	v_addc_co_u32_e32 v2, vcc, v3, v25, vcc
	v_add_co_u32_e32 v92, vcc, v0, v4
	v_addc_co_u32_e32 v93, vcc, v2, v5, vcc
	;; [unrolled: 2-line block ×10, first 2 shown]
	v_add_co_u32_e32 v110, vcc, v0, v22
	v_ashrrev_i32_e32 v25, 31, v24
	v_addc_co_u32_e32 v111, vcc, v2, v23, vcc
	v_lshlrev_b64 v[4:5], 3, v[24:25]
	v_add_co_u32_e32 v112, vcc, v0, v4
	v_add_u32_e32 v4, s0, v24
	v_addc_co_u32_e32 v113, vcc, v2, v5, vcc
	v_ashrrev_i32_e32 v5, 31, v4
	v_lshlrev_b64 v[6:7], 3, v[4:5]
	v_add_u32_e32 v4, s0, v4
	v_add_co_u32_e32 v114, vcc, v0, v6
	v_ashrrev_i32_e32 v5, 31, v4
	v_addc_co_u32_e32 v115, vcc, v2, v7, vcc
	v_lshlrev_b64 v[6:7], 3, v[4:5]
	v_add_u32_e32 v4, s0, v4
	v_add_co_u32_e32 v116, vcc, v0, v6
	v_ashrrev_i32_e32 v5, 31, v4
	v_addc_co_u32_e32 v117, vcc, v2, v7, vcc
	v_lshlrev_b64 v[6:7], 3, v[4:5]
	v_add_u32_e32 v4, s0, v4
	v_add_co_u32_e32 v118, vcc, v0, v6
	v_ashrrev_i32_e32 v5, 31, v4
	v_addc_co_u32_e32 v119, vcc, v2, v7, vcc
	v_lshlrev_b64 v[6:7], 3, v[4:5]
	v_add_u32_e32 v4, s0, v4
	v_add_co_u32_e32 v120, vcc, v0, v6
	v_ashrrev_i32_e32 v5, 31, v4
	v_addc_co_u32_e32 v121, vcc, v2, v7, vcc
	v_lshlrev_b64 v[6:7], 3, v[4:5]
	v_add_u32_e32 v4, s0, v4
	v_add_co_u32_e32 v122, vcc, v0, v6
	v_ashrrev_i32_e32 v5, 31, v4
	v_addc_co_u32_e32 v123, vcc, v2, v7, vcc
	v_lshlrev_b64 v[6:7], 3, v[4:5]
	v_add_u32_e32 v4, s0, v4
	v_add_co_u32_e32 v124, vcc, v0, v6
	v_ashrrev_i32_e32 v5, 31, v4
	v_addc_co_u32_e32 v125, vcc, v2, v7, vcc
	v_lshlrev_b64 v[6:7], 3, v[4:5]
	v_add_u32_e32 v4, s0, v4
	v_add_co_u32_e32 v128, vcc, v0, v6
	v_ashrrev_i32_e32 v5, 31, v4
	v_addc_co_u32_e32 v129, vcc, v2, v7, vcc
	v_lshlrev_b64 v[6:7], 3, v[4:5]
	v_add_u32_e32 v4, s0, v4
	v_add_co_u32_e32 v88, vcc, v0, v6
	v_ashrrev_i32_e32 v5, 31, v4
	v_addc_co_u32_e32 v89, vcc, v2, v7, vcc
	v_lshlrev_b64 v[6:7], 3, v[4:5]
	v_add_u32_e32 v4, s0, v4
	v_add_co_u32_e32 v8, vcc, v0, v6
	v_ashrrev_i32_e32 v5, 31, v4
	v_addc_co_u32_e32 v9, vcc, v2, v7, vcc
	v_lshlrev_b64 v[6:7], 3, v[4:5]
	v_add_u32_e32 v4, s0, v4
	v_add_co_u32_e32 v10, vcc, v0, v6
	v_ashrrev_i32_e32 v5, 31, v4
	v_addc_co_u32_e32 v11, vcc, v2, v7, vcc
	v_lshlrev_b64 v[6:7], 3, v[4:5]
	v_add_u32_e32 v4, s0, v4
	v_add_co_u32_e32 v12, vcc, v0, v6
	v_ashrrev_i32_e32 v5, 31, v4
	v_addc_co_u32_e32 v13, vcc, v2, v7, vcc
	v_lshlrev_b64 v[6:7], 3, v[4:5]
	v_add_u32_e32 v4, s0, v4
	v_add_co_u32_e32 v14, vcc, v0, v6
	v_ashrrev_i32_e32 v5, 31, v4
	v_addc_co_u32_e32 v15, vcc, v2, v7, vcc
	v_lshlrev_b64 v[6:7], 3, v[4:5]
	v_add_u32_e32 v4, s0, v4
	v_add_co_u32_e32 v16, vcc, v0, v6
	v_ashrrev_i32_e32 v5, 31, v4
	v_addc_co_u32_e32 v17, vcc, v2, v7, vcc
	v_lshlrev_b64 v[6:7], 3, v[4:5]
	v_add_u32_e32 v4, s0, v4
	v_add_co_u32_e32 v18, vcc, v0, v6
	v_ashrrev_i32_e32 v5, 31, v4
	v_addc_co_u32_e32 v19, vcc, v2, v7, vcc
	v_lshlrev_b64 v[6:7], 3, v[4:5]
	v_add_u32_e32 v4, s0, v4
	v_add_co_u32_e32 v20, vcc, v0, v6
	v_ashrrev_i32_e32 v5, 31, v4
	v_addc_co_u32_e32 v21, vcc, v2, v7, vcc
	v_lshlrev_b64 v[6:7], 3, v[4:5]
	v_add_u32_e32 v4, s0, v4
	v_add_co_u32_e32 v22, vcc, v0, v6
	v_ashrrev_i32_e32 v5, 31, v4
	v_addc_co_u32_e32 v23, vcc, v2, v7, vcc
	v_lshlrev_b64 v[6:7], 3, v[4:5]
	v_add_u32_e32 v4, s0, v4
	v_add_co_u32_e32 v24, vcc, v0, v6
	v_ashrrev_i32_e32 v5, 31, v4
	v_addc_co_u32_e32 v25, vcc, v2, v7, vcc
	v_lshlrev_b64 v[6:7], 3, v[4:5]
	v_add_u32_e32 v4, s0, v4
	v_add_co_u32_e32 v26, vcc, v0, v6
	v_ashrrev_i32_e32 v5, 31, v4
	v_addc_co_u32_e32 v27, vcc, v2, v7, vcc
	v_lshlrev_b64 v[6:7], 3, v[4:5]
	v_add_u32_e32 v4, s0, v4
	v_add_co_u32_e32 v28, vcc, v0, v6
	v_ashrrev_i32_e32 v5, 31, v4
	v_addc_co_u32_e32 v29, vcc, v2, v7, vcc
	v_lshlrev_b64 v[6:7], 3, v[4:5]
	v_add_u32_e32 v4, s0, v4
	v_add_co_u32_e32 v30, vcc, v0, v6
	v_ashrrev_i32_e32 v5, 31, v4
	v_addc_co_u32_e32 v31, vcc, v2, v7, vcc
	v_lshlrev_b64 v[6:7], 3, v[4:5]
	v_add_u32_e32 v4, s0, v4
	v_add_co_u32_e32 v32, vcc, v0, v6
	v_ashrrev_i32_e32 v5, 31, v4
	v_addc_co_u32_e32 v33, vcc, v2, v7, vcc
	v_lshlrev_b64 v[6:7], 3, v[4:5]
	v_add_u32_e32 v4, s0, v4
	v_add_co_u32_e32 v34, vcc, v0, v6
	v_ashrrev_i32_e32 v5, 31, v4
	v_addc_co_u32_e32 v35, vcc, v2, v7, vcc
	v_lshlrev_b64 v[6:7], 3, v[4:5]
	v_add_u32_e32 v4, s0, v4
	v_add_co_u32_e32 v36, vcc, v0, v6
	v_ashrrev_i32_e32 v5, 31, v4
	v_addc_co_u32_e32 v37, vcc, v2, v7, vcc
	v_lshlrev_b64 v[6:7], 3, v[4:5]
	v_add_u32_e32 v4, s0, v4
	v_add_co_u32_e32 v38, vcc, v0, v6
	v_ashrrev_i32_e32 v5, 31, v4
	v_addc_co_u32_e32 v39, vcc, v2, v7, vcc
	v_lshlrev_b64 v[6:7], 3, v[4:5]
	v_add_u32_e32 v4, s0, v4
	v_add_co_u32_e32 v40, vcc, v0, v6
	v_ashrrev_i32_e32 v5, 31, v4
	v_addc_co_u32_e32 v41, vcc, v2, v7, vcc
	v_lshlrev_b64 v[6:7], 3, v[4:5]
	v_add_u32_e32 v4, s0, v4
	v_add_co_u32_e32 v42, vcc, v0, v6
	v_ashrrev_i32_e32 v5, 31, v4
	v_addc_co_u32_e32 v43, vcc, v2, v7, vcc
	v_lshlrev_b64 v[6:7], 3, v[4:5]
	v_add_u32_e32 v4, s0, v4
	v_add_co_u32_e32 v44, vcc, v0, v6
	v_ashrrev_i32_e32 v5, 31, v4
	v_addc_co_u32_e32 v45, vcc, v2, v7, vcc
	v_lshlrev_b64 v[6:7], 3, v[4:5]
	v_add_u32_e32 v4, s0, v4
	v_add_co_u32_e32 v46, vcc, v0, v6
	v_ashrrev_i32_e32 v5, 31, v4
	v_addc_co_u32_e32 v47, vcc, v2, v7, vcc
	v_lshlrev_b64 v[6:7], 3, v[4:5]
	v_add_u32_e32 v4, s0, v4
	v_add_co_u32_e32 v48, vcc, v0, v6
	v_ashrrev_i32_e32 v5, 31, v4
	v_addc_co_u32_e32 v49, vcc, v2, v7, vcc
	v_lshlrev_b64 v[6:7], 3, v[4:5]
	v_add_u32_e32 v4, s0, v4
	v_add_co_u32_e32 v50, vcc, v0, v6
	v_ashrrev_i32_e32 v5, 31, v4
	v_addc_co_u32_e32 v51, vcc, v2, v7, vcc
	v_lshlrev_b64 v[6:7], 3, v[4:5]
	v_add_u32_e32 v4, s0, v4
	v_add_co_u32_e32 v52, vcc, v0, v6
	v_ashrrev_i32_e32 v5, 31, v4
	v_addc_co_u32_e32 v53, vcc, v2, v7, vcc
	v_lshlrev_b64 v[6:7], 3, v[4:5]
	v_add_u32_e32 v4, s0, v4
	v_add_co_u32_e32 v54, vcc, v0, v6
	v_ashrrev_i32_e32 v5, 31, v4
	v_addc_co_u32_e32 v55, vcc, v2, v7, vcc
	v_lshlrev_b64 v[6:7], 3, v[4:5]
	v_add_u32_e32 v4, s0, v4
	v_add_co_u32_e32 v56, vcc, v0, v6
	v_ashrrev_i32_e32 v5, 31, v4
	v_addc_co_u32_e32 v57, vcc, v2, v7, vcc
	v_lshlrev_b64 v[6:7], 3, v[4:5]
	v_add_u32_e32 v4, s0, v4
	v_add_co_u32_e32 v58, vcc, v0, v6
	v_ashrrev_i32_e32 v5, 31, v4
	v_addc_co_u32_e32 v59, vcc, v2, v7, vcc
	v_lshlrev_b64 v[6:7], 3, v[4:5]
	v_add_u32_e32 v4, s0, v4
	v_add_co_u32_e32 v60, vcc, v0, v6
	v_ashrrev_i32_e32 v5, 31, v4
	v_addc_co_u32_e32 v61, vcc, v2, v7, vcc
	v_lshlrev_b64 v[6:7], 3, v[4:5]
	v_add_u32_e32 v4, s0, v4
	v_add_co_u32_e32 v62, vcc, v0, v6
	v_ashrrev_i32_e32 v5, 31, v4
	v_addc_co_u32_e32 v63, vcc, v2, v7, vcc
	v_lshlrev_b64 v[6:7], 3, v[4:5]
	v_add_u32_e32 v4, s0, v4
	v_add_co_u32_e32 v64, vcc, v0, v6
	v_ashrrev_i32_e32 v5, 31, v4
	v_addc_co_u32_e32 v65, vcc, v2, v7, vcc
	v_lshlrev_b64 v[6:7], 3, v[4:5]
	v_add_u32_e32 v4, s0, v4
	v_add_co_u32_e32 v66, vcc, v0, v6
	v_ashrrev_i32_e32 v5, 31, v4
	v_addc_co_u32_e32 v67, vcc, v2, v7, vcc
	v_lshlrev_b64 v[6:7], 3, v[4:5]
	v_add_u32_e32 v4, s0, v4
	v_add_co_u32_e32 v68, vcc, v0, v6
	v_ashrrev_i32_e32 v5, 31, v4
	v_addc_co_u32_e32 v69, vcc, v2, v7, vcc
	v_lshlrev_b64 v[6:7], 3, v[4:5]
	v_add_u32_e32 v4, s0, v4
	v_add_co_u32_e32 v70, vcc, v0, v6
	v_ashrrev_i32_e32 v5, 31, v4
	v_addc_co_u32_e32 v71, vcc, v2, v7, vcc
	v_lshlrev_b64 v[6:7], 3, v[4:5]
	v_add_u32_e32 v4, s0, v4
	v_add_co_u32_e32 v72, vcc, v0, v6
	v_ashrrev_i32_e32 v5, 31, v4
	v_addc_co_u32_e32 v73, vcc, v2, v7, vcc
	v_lshlrev_b64 v[6:7], 3, v[4:5]
	v_add_u32_e32 v4, s0, v4
	v_add_co_u32_e32 v74, vcc, v0, v6
	v_ashrrev_i32_e32 v5, 31, v4
	v_addc_co_u32_e32 v75, vcc, v2, v7, vcc
	v_lshlrev_b64 v[6:7], 3, v[4:5]
	v_add_u32_e32 v4, s0, v4
	v_add_co_u32_e32 v76, vcc, v0, v6
	v_ashrrev_i32_e32 v5, 31, v4
	v_addc_co_u32_e32 v77, vcc, v2, v7, vcc
	v_lshlrev_b64 v[6:7], 3, v[4:5]
	v_add_u32_e32 v4, s0, v4
	v_add_co_u32_e32 v78, vcc, v0, v6
	v_ashrrev_i32_e32 v5, 31, v4
	v_addc_co_u32_e32 v79, vcc, v2, v7, vcc
	v_lshlrev_b64 v[6:7], 3, v[4:5]
	v_add_u32_e32 v4, s0, v4
	v_add_co_u32_e32 v84, vcc, v0, v6
	v_ashrrev_i32_e32 v5, 31, v4
	v_addc_co_u32_e32 v85, vcc, v2, v7, vcc
	v_lshlrev_b64 v[6:7], 3, v[4:5]
	v_add_u32_e32 v4, s0, v4
	v_add_co_u32_e32 v86, vcc, v0, v6
	v_ashrrev_i32_e32 v5, 31, v4
	v_addc_co_u32_e32 v87, vcc, v2, v7, vcc
	v_lshlrev_b64 v[6:7], 3, v[4:5]
	v_add_u32_e32 v4, s0, v4
	v_add_co_u32_e32 v132, vcc, v0, v6
	v_ashrrev_i32_e32 v5, 31, v4
	v_addc_co_u32_e32 v133, vcc, v2, v7, vcc
	v_lshlrev_b64 v[6:7], 3, v[4:5]
	v_add_u32_e32 v4, s0, v4
	v_add_co_u32_e32 v194, vcc, v0, v6
	v_ashrrev_i32_e32 v5, 31, v4
	v_addc_co_u32_e32 v195, vcc, v2, v7, vcc
	v_lshlrev_b64 v[6:7], 3, v[4:5]
	v_add_u32_e32 v4, s0, v4
	v_add_co_u32_e32 v94, vcc, v0, v6
	v_ashrrev_i32_e32 v5, 31, v4
	v_addc_co_u32_e32 v95, vcc, v2, v7, vcc
	v_lshlrev_b64 v[6:7], 3, v[4:5]
	v_add_u32_e32 v4, s0, v4
	v_add_co_u32_e32 v6, vcc, v0, v6
	v_ashrrev_i32_e32 v5, 31, v4
	v_addc_co_u32_e32 v7, vcc, v2, v7, vcc
	v_lshlrev_b64 v[4:5], 3, v[4:5]
	v_add_co_u32_e32 v4, vcc, v0, v4
	v_addc_co_u32_e32 v5, vcc, v2, v5, vcc
	v_lshlrev_b32_e32 v3, 3, v82
	v_add_co_u32_e32 v126, vcc, v0, v3
	v_addc_co_u32_e32 v127, vcc, 0, v2, vcc
	s_lshl_b64 s[0:1], s[0:1], 3
	v_mov_b32_e32 v0, s1
	v_add_co_u32_e32 v2, vcc, s0, v126
	v_addc_co_u32_e32 v3, vcc, v127, v0, vcc
	global_load_dwordx2 v[130:131], v[126:127], off
	s_nop 0
	buffer_store_dword v2, off, s[16:19], 0 offset:352 ; 4-byte Folded Spill
	s_nop 0
	buffer_store_dword v3, off, s[16:19], 0 offset:356 ; 4-byte Folded Spill
	global_load_dwordx2 v[192:193], v[2:3], off
	global_load_dwordx2 v[254:255], v[92:93], off
	s_nop 0
	buffer_store_dword v134, off, s[16:19], 0 offset:328 ; 4-byte Folded Spill
	s_nop 0
	buffer_store_dword v135, off, s[16:19], 0 offset:332 ; 4-byte Folded Spill
	global_load_dwordx2 v[190:191], v[134:135], off
	global_load_dwordx2 v[252:253], v[96:97], off
	;; [unrolled: 1-line block ×18, first 2 shown]
	s_nop 0
	buffer_store_dword v8, off, s[16:19], 0 ; 4-byte Folded Spill
	s_nop 0
	buffer_store_dword v9, off, s[16:19], 0 offset:4 ; 4-byte Folded Spill
	s_lshl_b32 s0, s6, 9
	s_add_i32 s0, s0, 0
	v_lshl_add_u32 v80, v1, 3, s0
	v_cmp_ne_u32_e64 s[2:3], 0, v82
	v_cmp_eq_u32_e64 s[0:1], 0, v82
	global_load_dwordx2 v[172:173], v[8:9], off
	s_nop 0
	buffer_store_dword v10, off, s[16:19], 0 offset:8 ; 4-byte Folded Spill
	s_nop 0
	buffer_store_dword v11, off, s[16:19], 0 offset:12 ; 4-byte Folded Spill
	global_load_dwordx2 v[234:235], v[10:11], off
	s_nop 0
	buffer_store_dword v12, off, s[16:19], 0 offset:16 ; 4-byte Folded Spill
	s_nop 0
	buffer_store_dword v13, off, s[16:19], 0 offset:20 ; 4-byte Folded Spill
	;; [unrolled: 5-line block ×42, first 2 shown]
	global_load_dwordx2 v[2:3], v[4:5], off
	s_and_saveexec_b64 s[6:7], s[0:1]
	s_cbranch_execz .LBB127_4
; %bb.2:
	s_waitcnt vmcnt(62)
	ds_write_b64 v80, v[130:131]
	ds_write2_b64 v81, v[192:193], v[254:255] offset0:1 offset1:2
	ds_write2_b64 v81, v[190:191], v[252:253] offset0:3 offset1:4
	;; [unrolled: 1-line block ×21, first 2 shown]
	s_waitcnt vmcnt(57)
	ds_write2_b64 v81, v[150:151], v[212:213] offset0:43 offset1:44
	s_waitcnt vmcnt(51)
	ds_write2_b64 v81, v[148:149], v[210:211] offset0:45 offset1:46
	;; [unrolled: 2-line block ×10, first 2 shown]
	s_waitcnt vmcnt(0)
	ds_write_b64 v81, v[2:3] offset:504
	ds_read_b64 v[0:1], v80
	s_waitcnt lgkmcnt(0)
	v_cmp_neq_f64_e32 vcc, 0, v[0:1]
	s_and_b64 exec, exec, vcc
	s_cbranch_execz .LBB127_4
; %bb.3:
	v_div_scale_f64 v[4:5], s[10:11], v[0:1], v[0:1], 1.0
	v_rcp_f64_e32 v[6:7], v[4:5]
	v_div_scale_f64 v[8:9], vcc, 1.0, v[0:1], 1.0
	v_fma_f64 v[10:11], -v[4:5], v[6:7], 1.0
	v_fmac_f64_e32 v[6:7], v[6:7], v[10:11]
	v_fma_f64 v[10:11], -v[4:5], v[6:7], 1.0
	v_fmac_f64_e32 v[6:7], v[6:7], v[10:11]
	v_mul_f64 v[10:11], v[8:9], v[6:7]
	v_fma_f64 v[4:5], -v[4:5], v[10:11], v[8:9]
	v_div_fmas_f64 v[4:5], v[4:5], v[6:7], v[10:11]
	v_div_fixup_f64 v[0:1], v[4:5], v[0:1], 1.0
	ds_write_b64 v80, v[0:1]
.LBB127_4:
	s_or_b64 exec, exec, s[6:7]
	s_waitcnt lgkmcnt(0)
	s_barrier
	ds_read_b64 v[94:95], v80
	s_and_saveexec_b64 s[6:7], s[2:3]
	s_cbranch_execz .LBB127_6
; %bb.5:
	ds_read2_b64 v[4:7], v81 offset0:1 offset1:2
	ds_read_b64 v[0:1], v81 offset:504
	s_waitcnt lgkmcnt(2)
	v_mul_f64 v[130:131], v[94:95], v[130:131]
	s_waitcnt lgkmcnt(1)
	v_fma_f64 v[192:193], -v[130:131], v[4:5], v[192:193]
	v_fma_f64 v[254:255], -v[130:131], v[6:7], v[254:255]
	ds_read2_b64 v[4:7], v81 offset0:3 offset1:4
	s_waitcnt vmcnt(0) lgkmcnt(1)
	v_fma_f64 v[2:3], -v[130:131], v[0:1], v[2:3]
	s_waitcnt lgkmcnt(0)
	v_fma_f64 v[190:191], -v[130:131], v[4:5], v[190:191]
	v_fma_f64 v[252:253], -v[130:131], v[6:7], v[252:253]
	ds_read2_b64 v[4:7], v81 offset0:5 offset1:6
	s_waitcnt lgkmcnt(0)
	v_fma_f64 v[188:189], -v[130:131], v[4:5], v[188:189]
	v_fma_f64 v[250:251], -v[130:131], v[6:7], v[250:251]
	ds_read2_b64 v[4:7], v81 offset0:7 offset1:8
	s_waitcnt lgkmcnt(0)
	v_fma_f64 v[186:187], -v[130:131], v[4:5], v[186:187]
	v_fma_f64 v[248:249], -v[130:131], v[6:7], v[248:249]
	ds_read2_b64 v[4:7], v81 offset0:9 offset1:10
	s_waitcnt lgkmcnt(0)
	v_fma_f64 v[184:185], -v[130:131], v[4:5], v[184:185]
	v_fma_f64 v[246:247], -v[130:131], v[6:7], v[246:247]
	ds_read2_b64 v[4:7], v81 offset0:11 offset1:12
	s_waitcnt lgkmcnt(0)
	v_fma_f64 v[182:183], -v[130:131], v[4:5], v[182:183]
	v_fma_f64 v[244:245], -v[130:131], v[6:7], v[244:245]
	ds_read2_b64 v[4:7], v81 offset0:13 offset1:14
	s_waitcnt lgkmcnt(0)
	v_fma_f64 v[180:181], -v[130:131], v[4:5], v[180:181]
	v_fma_f64 v[242:243], -v[130:131], v[6:7], v[242:243]
	ds_read2_b64 v[4:7], v81 offset0:15 offset1:16
	s_waitcnt lgkmcnt(0)
	v_fma_f64 v[178:179], -v[130:131], v[4:5], v[178:179]
	v_fma_f64 v[240:241], -v[130:131], v[6:7], v[240:241]
	ds_read2_b64 v[4:7], v81 offset0:17 offset1:18
	s_waitcnt lgkmcnt(0)
	v_fma_f64 v[176:177], -v[130:131], v[4:5], v[176:177]
	v_fma_f64 v[238:239], -v[130:131], v[6:7], v[238:239]
	ds_read2_b64 v[4:7], v81 offset0:19 offset1:20
	s_waitcnt lgkmcnt(0)
	v_fma_f64 v[174:175], -v[130:131], v[4:5], v[174:175]
	v_fma_f64 v[236:237], -v[130:131], v[6:7], v[236:237]
	ds_read2_b64 v[4:7], v81 offset0:21 offset1:22
	s_waitcnt lgkmcnt(0)
	v_fma_f64 v[172:173], -v[130:131], v[4:5], v[172:173]
	v_fma_f64 v[234:235], -v[130:131], v[6:7], v[234:235]
	ds_read2_b64 v[4:7], v81 offset0:23 offset1:24
	s_waitcnt lgkmcnt(0)
	v_fma_f64 v[170:171], -v[130:131], v[4:5], v[170:171]
	v_fma_f64 v[232:233], -v[130:131], v[6:7], v[232:233]
	ds_read2_b64 v[4:7], v81 offset0:25 offset1:26
	s_waitcnt lgkmcnt(0)
	v_fma_f64 v[168:169], -v[130:131], v[4:5], v[168:169]
	v_fma_f64 v[230:231], -v[130:131], v[6:7], v[230:231]
	ds_read2_b64 v[4:7], v81 offset0:27 offset1:28
	s_waitcnt lgkmcnt(0)
	v_fma_f64 v[166:167], -v[130:131], v[4:5], v[166:167]
	v_fma_f64 v[228:229], -v[130:131], v[6:7], v[228:229]
	ds_read2_b64 v[4:7], v81 offset0:29 offset1:30
	s_waitcnt lgkmcnt(0)
	v_fma_f64 v[164:165], -v[130:131], v[4:5], v[164:165]
	v_fma_f64 v[226:227], -v[130:131], v[6:7], v[226:227]
	ds_read2_b64 v[4:7], v81 offset0:31 offset1:32
	s_waitcnt lgkmcnt(0)
	v_fma_f64 v[162:163], -v[130:131], v[4:5], v[162:163]
	v_fma_f64 v[224:225], -v[130:131], v[6:7], v[224:225]
	ds_read2_b64 v[4:7], v81 offset0:33 offset1:34
	s_waitcnt lgkmcnt(0)
	v_fma_f64 v[160:161], -v[130:131], v[4:5], v[160:161]
	v_fma_f64 v[222:223], -v[130:131], v[6:7], v[222:223]
	ds_read2_b64 v[4:7], v81 offset0:35 offset1:36
	s_waitcnt lgkmcnt(0)
	v_fma_f64 v[158:159], -v[130:131], v[4:5], v[158:159]
	v_fma_f64 v[220:221], -v[130:131], v[6:7], v[220:221]
	ds_read2_b64 v[4:7], v81 offset0:37 offset1:38
	s_waitcnt lgkmcnt(0)
	v_fma_f64 v[156:157], -v[130:131], v[4:5], v[156:157]
	v_fma_f64 v[218:219], -v[130:131], v[6:7], v[218:219]
	ds_read2_b64 v[4:7], v81 offset0:39 offset1:40
	s_waitcnt lgkmcnt(0)
	v_fma_f64 v[154:155], -v[130:131], v[4:5], v[154:155]
	v_fma_f64 v[216:217], -v[130:131], v[6:7], v[216:217]
	ds_read2_b64 v[4:7], v81 offset0:41 offset1:42
	s_waitcnt lgkmcnt(0)
	v_fma_f64 v[152:153], -v[130:131], v[4:5], v[152:153]
	v_fma_f64 v[214:215], -v[130:131], v[6:7], v[214:215]
	ds_read2_b64 v[4:7], v81 offset0:43 offset1:44
	s_waitcnt lgkmcnt(0)
	v_fma_f64 v[150:151], -v[130:131], v[4:5], v[150:151]
	v_fma_f64 v[212:213], -v[130:131], v[6:7], v[212:213]
	ds_read2_b64 v[4:7], v81 offset0:45 offset1:46
	s_waitcnt lgkmcnt(0)
	v_fma_f64 v[148:149], -v[130:131], v[4:5], v[148:149]
	v_fma_f64 v[210:211], -v[130:131], v[6:7], v[210:211]
	ds_read2_b64 v[4:7], v81 offset0:47 offset1:48
	s_waitcnt lgkmcnt(0)
	v_fma_f64 v[146:147], -v[130:131], v[4:5], v[146:147]
	v_fma_f64 v[208:209], -v[130:131], v[6:7], v[208:209]
	ds_read2_b64 v[4:7], v81 offset0:49 offset1:50
	s_waitcnt lgkmcnt(0)
	v_fma_f64 v[144:145], -v[130:131], v[4:5], v[144:145]
	v_fma_f64 v[206:207], -v[130:131], v[6:7], v[206:207]
	ds_read2_b64 v[4:7], v81 offset0:51 offset1:52
	s_waitcnt lgkmcnt(0)
	v_fma_f64 v[142:143], -v[130:131], v[4:5], v[142:143]
	v_fma_f64 v[204:205], -v[130:131], v[6:7], v[204:205]
	ds_read2_b64 v[4:7], v81 offset0:53 offset1:54
	s_waitcnt lgkmcnt(0)
	v_fma_f64 v[140:141], -v[130:131], v[4:5], v[140:141]
	v_fma_f64 v[202:203], -v[130:131], v[6:7], v[202:203]
	ds_read2_b64 v[4:7], v81 offset0:55 offset1:56
	s_waitcnt lgkmcnt(0)
	v_fma_f64 v[138:139], -v[130:131], v[4:5], v[138:139]
	v_fma_f64 v[200:201], -v[130:131], v[6:7], v[200:201]
	ds_read2_b64 v[4:7], v81 offset0:57 offset1:58
	s_waitcnt lgkmcnt(0)
	v_fma_f64 v[136:137], -v[130:131], v[4:5], v[136:137]
	v_fma_f64 v[198:199], -v[130:131], v[6:7], v[198:199]
	ds_read2_b64 v[4:7], v81 offset0:59 offset1:60
	s_waitcnt lgkmcnt(0)
	v_fma_f64 v[134:135], -v[130:131], v[4:5], v[134:135]
	v_fma_f64 v[196:197], -v[130:131], v[6:7], v[196:197]
	ds_read2_b64 v[4:7], v81 offset0:61 offset1:62
	s_waitcnt lgkmcnt(0)
	v_fma_f64 v[132:133], -v[130:131], v[4:5], v[132:133]
	v_fma_f64 v[194:195], -v[130:131], v[6:7], v[194:195]
.LBB127_6:
	s_or_b64 exec, exec, s[6:7]
	v_cmp_eq_u32_e32 vcc, 1, v82
	s_waitcnt lgkmcnt(0)
	s_barrier
	s_and_saveexec_b64 s[2:3], vcc
	s_cbranch_execz .LBB127_9
; %bb.7:
	v_mov_b32_e32 v0, v254
	v_mov_b32_e32 v1, v255
	;; [unrolled: 1-line block ×4, first 2 shown]
	ds_write_b64 v80, v[192:193]
	ds_write2_b64 v81, v[0:1], v[4:5] offset0:2 offset1:3
	v_mov_b32_e32 v0, v252
	v_mov_b32_e32 v1, v253
	v_mov_b32_e32 v4, v188
	v_mov_b32_e32 v5, v189
	ds_write2_b64 v81, v[0:1], v[4:5] offset0:4 offset1:5
	v_mov_b32_e32 v0, v250
	v_mov_b32_e32 v1, v251
	v_mov_b32_e32 v4, v186
	v_mov_b32_e32 v5, v187
	;; [unrolled: 5-line block ×19, first 2 shown]
	ds_write2_b64 v81, v[0:1], v[4:5] offset0:40 offset1:41
	v_mov_b32_e32 v0, v214
	v_mov_b32_e32 v1, v215
	s_waitcnt vmcnt(60)
	v_mov_b32_e32 v4, v150
	v_mov_b32_e32 v5, v151
	ds_write2_b64 v81, v[0:1], v[4:5] offset0:42 offset1:43
	s_waitcnt vmcnt(57)
	v_mov_b32_e32 v0, v212
	v_mov_b32_e32 v1, v213
	s_waitcnt vmcnt(54)
	v_mov_b32_e32 v4, v148
	v_mov_b32_e32 v5, v149
	ds_write2_b64 v81, v[0:1], v[4:5] offset0:44 offset1:45
	s_waitcnt vmcnt(51)
	;; [unrolled: 7-line block ×10, first 2 shown]
	v_mov_b32_e32 v0, v194
	v_mov_b32_e32 v1, v195
	s_waitcnt vmcnt(0)
	ds_write2_b64 v81, v[0:1], v[2:3] offset0:62 offset1:63
	ds_read_b64 v[0:1], v80
	s_waitcnt lgkmcnt(0)
	v_cmp_neq_f64_e32 vcc, 0, v[0:1]
	s_and_b64 exec, exec, vcc
	s_cbranch_execz .LBB127_9
; %bb.8:
	v_div_scale_f64 v[4:5], s[6:7], v[0:1], v[0:1], 1.0
	v_rcp_f64_e32 v[6:7], v[4:5]
	v_div_scale_f64 v[8:9], vcc, 1.0, v[0:1], 1.0
	v_fma_f64 v[10:11], -v[4:5], v[6:7], 1.0
	v_fmac_f64_e32 v[6:7], v[6:7], v[10:11]
	v_fma_f64 v[10:11], -v[4:5], v[6:7], 1.0
	v_fmac_f64_e32 v[6:7], v[6:7], v[10:11]
	v_mul_f64 v[10:11], v[8:9], v[6:7]
	v_fma_f64 v[4:5], -v[4:5], v[10:11], v[8:9]
	v_div_fmas_f64 v[4:5], v[4:5], v[6:7], v[10:11]
	v_div_fixup_f64 v[0:1], v[4:5], v[0:1], 1.0
	ds_write_b64 v80, v[0:1]
.LBB127_9:
	s_or_b64 exec, exec, s[2:3]
	s_waitcnt lgkmcnt(0)
	s_barrier
	ds_read_b64 v[0:1], v80
	v_cmp_lt_u32_e32 vcc, 1, v82
	s_waitcnt lgkmcnt(0)
	buffer_store_dword v0, off, s[16:19], 0 offset:360 ; 4-byte Folded Spill
	s_nop 0
	buffer_store_dword v1, off, s[16:19], 0 offset:364 ; 4-byte Folded Spill
	s_and_saveexec_b64 s[2:3], vcc
	s_cbranch_execz .LBB127_11
; %bb.10:
	buffer_load_dword v0, off, s[16:19], 0 offset:360 ; 4-byte Folded Reload
	buffer_load_dword v1, off, s[16:19], 0 offset:364 ; 4-byte Folded Reload
	ds_read2_b64 v[4:7], v81 offset0:2 offset1:3
	s_waitcnt vmcnt(0)
	v_mul_f64 v[192:193], v[0:1], v[192:193]
	s_waitcnt lgkmcnt(0)
	v_fma_f64 v[254:255], -v[192:193], v[4:5], v[254:255]
	v_fma_f64 v[190:191], -v[192:193], v[6:7], v[190:191]
	ds_read2_b64 v[4:7], v81 offset0:4 offset1:5
	s_waitcnt lgkmcnt(0)
	v_fma_f64 v[252:253], -v[192:193], v[4:5], v[252:253]
	v_fma_f64 v[188:189], -v[192:193], v[6:7], v[188:189]
	ds_read2_b64 v[4:7], v81 offset0:6 offset1:7
	;; [unrolled: 4-line block ×30, first 2 shown]
	s_waitcnt lgkmcnt(0)
	v_fma_f64 v[194:195], -v[192:193], v[4:5], v[194:195]
	v_fma_f64 v[2:3], -v[192:193], v[6:7], v[2:3]
.LBB127_11:
	s_or_b64 exec, exec, s[2:3]
	v_cmp_eq_u32_e32 vcc, 2, v82
	s_waitcnt vmcnt(63) expcnt(7) lgkmcnt(15)
	s_barrier
	s_and_saveexec_b64 s[2:3], vcc
	s_cbranch_execz .LBB127_14
; %bb.12:
	ds_write_b64 v80, v[254:255]
	ds_write2_b64 v81, v[190:191], v[252:253] offset0:3 offset1:4
	ds_write2_b64 v81, v[188:189], v[250:251] offset0:5 offset1:6
	;; [unrolled: 1-line block ×20, first 2 shown]
	s_waitcnt vmcnt(59)
	ds_write2_b64 v81, v[150:151], v[212:213] offset0:43 offset1:44
	s_waitcnt vmcnt(53)
	ds_write2_b64 v81, v[148:149], v[210:211] offset0:45 offset1:46
	;; [unrolled: 2-line block ×10, first 2 shown]
	s_waitcnt vmcnt(2)
	ds_write_b64 v81, v[2:3] offset:504
	ds_read_b64 v[0:1], v80
	s_waitcnt lgkmcnt(0)
	v_cmp_neq_f64_e32 vcc, 0, v[0:1]
	s_and_b64 exec, exec, vcc
	s_cbranch_execz .LBB127_14
; %bb.13:
	v_div_scale_f64 v[4:5], s[6:7], v[0:1], v[0:1], 1.0
	v_rcp_f64_e32 v[6:7], v[4:5]
	v_div_scale_f64 v[8:9], vcc, 1.0, v[0:1], 1.0
	v_fma_f64 v[10:11], -v[4:5], v[6:7], 1.0
	v_fmac_f64_e32 v[6:7], v[6:7], v[10:11]
	v_fma_f64 v[10:11], -v[4:5], v[6:7], 1.0
	v_fmac_f64_e32 v[6:7], v[6:7], v[10:11]
	v_mul_f64 v[10:11], v[8:9], v[6:7]
	v_fma_f64 v[4:5], -v[4:5], v[10:11], v[8:9]
	v_div_fmas_f64 v[4:5], v[4:5], v[6:7], v[10:11]
	v_div_fixup_f64 v[0:1], v[4:5], v[0:1], 1.0
	ds_write_b64 v80, v[0:1]
.LBB127_14:
	s_or_b64 exec, exec, s[2:3]
	s_waitcnt lgkmcnt(0)
	s_barrier
	ds_read_b64 v[0:1], v80
	v_cmp_lt_u32_e32 vcc, 2, v82
	s_waitcnt lgkmcnt(0)
	buffer_store_dword v0, off, s[16:19], 0 offset:368 ; 4-byte Folded Spill
	s_nop 0
	buffer_store_dword v1, off, s[16:19], 0 offset:372 ; 4-byte Folded Spill
	s_and_saveexec_b64 s[2:3], vcc
	s_cbranch_execz .LBB127_16
; %bb.15:
	buffer_load_dword v0, off, s[16:19], 0 offset:368 ; 4-byte Folded Reload
	buffer_load_dword v1, off, s[16:19], 0 offset:372 ; 4-byte Folded Reload
	ds_read2_b64 v[4:7], v81 offset0:3 offset1:4
	s_waitcnt vmcnt(0)
	v_mul_f64 v[254:255], v[0:1], v[254:255]
	ds_read_b64 v[0:1], v81 offset:504
	s_waitcnt lgkmcnt(1)
	v_fma_f64 v[190:191], -v[254:255], v[4:5], v[190:191]
	v_fma_f64 v[252:253], -v[254:255], v[6:7], v[252:253]
	ds_read2_b64 v[4:7], v81 offset0:5 offset1:6
	s_waitcnt lgkmcnt(1)
	v_fma_f64 v[2:3], -v[254:255], v[0:1], v[2:3]
	s_waitcnt lgkmcnt(0)
	v_fma_f64 v[188:189], -v[254:255], v[4:5], v[188:189]
	v_fma_f64 v[250:251], -v[254:255], v[6:7], v[250:251]
	ds_read2_b64 v[4:7], v81 offset0:7 offset1:8
	s_waitcnt lgkmcnt(0)
	v_fma_f64 v[186:187], -v[254:255], v[4:5], v[186:187]
	v_fma_f64 v[248:249], -v[254:255], v[6:7], v[248:249]
	ds_read2_b64 v[4:7], v81 offset0:9 offset1:10
	s_waitcnt lgkmcnt(0)
	v_fma_f64 v[184:185], -v[254:255], v[4:5], v[184:185]
	v_fma_f64 v[246:247], -v[254:255], v[6:7], v[246:247]
	ds_read2_b64 v[4:7], v81 offset0:11 offset1:12
	s_waitcnt lgkmcnt(0)
	v_fma_f64 v[182:183], -v[254:255], v[4:5], v[182:183]
	v_fma_f64 v[244:245], -v[254:255], v[6:7], v[244:245]
	ds_read2_b64 v[4:7], v81 offset0:13 offset1:14
	s_waitcnt lgkmcnt(0)
	v_fma_f64 v[180:181], -v[254:255], v[4:5], v[180:181]
	v_fma_f64 v[242:243], -v[254:255], v[6:7], v[242:243]
	ds_read2_b64 v[4:7], v81 offset0:15 offset1:16
	s_waitcnt lgkmcnt(0)
	v_fma_f64 v[178:179], -v[254:255], v[4:5], v[178:179]
	v_fma_f64 v[240:241], -v[254:255], v[6:7], v[240:241]
	ds_read2_b64 v[4:7], v81 offset0:17 offset1:18
	s_waitcnt lgkmcnt(0)
	v_fma_f64 v[176:177], -v[254:255], v[4:5], v[176:177]
	v_fma_f64 v[238:239], -v[254:255], v[6:7], v[238:239]
	ds_read2_b64 v[4:7], v81 offset0:19 offset1:20
	s_waitcnt lgkmcnt(0)
	v_fma_f64 v[174:175], -v[254:255], v[4:5], v[174:175]
	v_fma_f64 v[236:237], -v[254:255], v[6:7], v[236:237]
	ds_read2_b64 v[4:7], v81 offset0:21 offset1:22
	s_waitcnt lgkmcnt(0)
	v_fma_f64 v[172:173], -v[254:255], v[4:5], v[172:173]
	v_fma_f64 v[234:235], -v[254:255], v[6:7], v[234:235]
	ds_read2_b64 v[4:7], v81 offset0:23 offset1:24
	s_waitcnt lgkmcnt(0)
	v_fma_f64 v[170:171], -v[254:255], v[4:5], v[170:171]
	v_fma_f64 v[232:233], -v[254:255], v[6:7], v[232:233]
	ds_read2_b64 v[4:7], v81 offset0:25 offset1:26
	s_waitcnt lgkmcnt(0)
	v_fma_f64 v[168:169], -v[254:255], v[4:5], v[168:169]
	v_fma_f64 v[230:231], -v[254:255], v[6:7], v[230:231]
	ds_read2_b64 v[4:7], v81 offset0:27 offset1:28
	s_waitcnt lgkmcnt(0)
	v_fma_f64 v[166:167], -v[254:255], v[4:5], v[166:167]
	v_fma_f64 v[228:229], -v[254:255], v[6:7], v[228:229]
	ds_read2_b64 v[4:7], v81 offset0:29 offset1:30
	s_waitcnt lgkmcnt(0)
	v_fma_f64 v[164:165], -v[254:255], v[4:5], v[164:165]
	v_fma_f64 v[226:227], -v[254:255], v[6:7], v[226:227]
	ds_read2_b64 v[4:7], v81 offset0:31 offset1:32
	s_waitcnt lgkmcnt(0)
	v_fma_f64 v[162:163], -v[254:255], v[4:5], v[162:163]
	v_fma_f64 v[224:225], -v[254:255], v[6:7], v[224:225]
	ds_read2_b64 v[4:7], v81 offset0:33 offset1:34
	s_waitcnt lgkmcnt(0)
	v_fma_f64 v[160:161], -v[254:255], v[4:5], v[160:161]
	v_fma_f64 v[222:223], -v[254:255], v[6:7], v[222:223]
	ds_read2_b64 v[4:7], v81 offset0:35 offset1:36
	s_waitcnt lgkmcnt(0)
	v_fma_f64 v[158:159], -v[254:255], v[4:5], v[158:159]
	v_fma_f64 v[220:221], -v[254:255], v[6:7], v[220:221]
	ds_read2_b64 v[4:7], v81 offset0:37 offset1:38
	s_waitcnt lgkmcnt(0)
	v_fma_f64 v[156:157], -v[254:255], v[4:5], v[156:157]
	v_fma_f64 v[218:219], -v[254:255], v[6:7], v[218:219]
	ds_read2_b64 v[4:7], v81 offset0:39 offset1:40
	s_waitcnt lgkmcnt(0)
	v_fma_f64 v[154:155], -v[254:255], v[4:5], v[154:155]
	v_fma_f64 v[216:217], -v[254:255], v[6:7], v[216:217]
	ds_read2_b64 v[4:7], v81 offset0:41 offset1:42
	s_waitcnt lgkmcnt(0)
	v_fma_f64 v[152:153], -v[254:255], v[4:5], v[152:153]
	v_fma_f64 v[214:215], -v[254:255], v[6:7], v[214:215]
	ds_read2_b64 v[4:7], v81 offset0:43 offset1:44
	s_waitcnt lgkmcnt(0)
	v_fma_f64 v[150:151], -v[254:255], v[4:5], v[150:151]
	v_fma_f64 v[212:213], -v[254:255], v[6:7], v[212:213]
	ds_read2_b64 v[4:7], v81 offset0:45 offset1:46
	s_waitcnt lgkmcnt(0)
	v_fma_f64 v[148:149], -v[254:255], v[4:5], v[148:149]
	v_fma_f64 v[210:211], -v[254:255], v[6:7], v[210:211]
	ds_read2_b64 v[4:7], v81 offset0:47 offset1:48
	s_waitcnt lgkmcnt(0)
	v_fma_f64 v[146:147], -v[254:255], v[4:5], v[146:147]
	v_fma_f64 v[208:209], -v[254:255], v[6:7], v[208:209]
	ds_read2_b64 v[4:7], v81 offset0:49 offset1:50
	s_waitcnt lgkmcnt(0)
	v_fma_f64 v[144:145], -v[254:255], v[4:5], v[144:145]
	v_fma_f64 v[206:207], -v[254:255], v[6:7], v[206:207]
	ds_read2_b64 v[4:7], v81 offset0:51 offset1:52
	s_waitcnt lgkmcnt(0)
	v_fma_f64 v[142:143], -v[254:255], v[4:5], v[142:143]
	v_fma_f64 v[204:205], -v[254:255], v[6:7], v[204:205]
	ds_read2_b64 v[4:7], v81 offset0:53 offset1:54
	s_waitcnt lgkmcnt(0)
	v_fma_f64 v[140:141], -v[254:255], v[4:5], v[140:141]
	v_fma_f64 v[202:203], -v[254:255], v[6:7], v[202:203]
	ds_read2_b64 v[4:7], v81 offset0:55 offset1:56
	s_waitcnt lgkmcnt(0)
	v_fma_f64 v[138:139], -v[254:255], v[4:5], v[138:139]
	v_fma_f64 v[200:201], -v[254:255], v[6:7], v[200:201]
	ds_read2_b64 v[4:7], v81 offset0:57 offset1:58
	s_waitcnt lgkmcnt(0)
	v_fma_f64 v[136:137], -v[254:255], v[4:5], v[136:137]
	v_fma_f64 v[198:199], -v[254:255], v[6:7], v[198:199]
	ds_read2_b64 v[4:7], v81 offset0:59 offset1:60
	s_waitcnt lgkmcnt(0)
	v_fma_f64 v[134:135], -v[254:255], v[4:5], v[134:135]
	v_fma_f64 v[196:197], -v[254:255], v[6:7], v[196:197]
	ds_read2_b64 v[4:7], v81 offset0:61 offset1:62
	s_waitcnt lgkmcnt(0)
	v_fma_f64 v[132:133], -v[254:255], v[4:5], v[132:133]
	v_fma_f64 v[194:195], -v[254:255], v[6:7], v[194:195]
.LBB127_16:
	s_or_b64 exec, exec, s[2:3]
	v_cmp_eq_u32_e32 vcc, 3, v82
	s_waitcnt vmcnt(63) expcnt(7) lgkmcnt(15)
	s_barrier
	s_and_saveexec_b64 s[2:3], vcc
	s_cbranch_execz .LBB127_19
; %bb.17:
	v_mov_b32_e32 v0, v252
	v_mov_b32_e32 v1, v253
	;; [unrolled: 1-line block ×4, first 2 shown]
	ds_write_b64 v80, v[190:191]
	ds_write2_b64 v81, v[0:1], v[4:5] offset0:4 offset1:5
	v_mov_b32_e32 v0, v250
	v_mov_b32_e32 v1, v251
	v_mov_b32_e32 v4, v186
	v_mov_b32_e32 v5, v187
	ds_write2_b64 v81, v[0:1], v[4:5] offset0:6 offset1:7
	v_mov_b32_e32 v0, v248
	v_mov_b32_e32 v1, v249
	v_mov_b32_e32 v4, v184
	v_mov_b32_e32 v5, v185
	;; [unrolled: 5-line block ×19, first 2 shown]
	ds_write2_b64 v81, v[0:1], v[4:5] offset0:42 offset1:43
	s_waitcnt vmcnt(61)
	v_mov_b32_e32 v0, v212
	v_mov_b32_e32 v1, v213
	s_waitcnt vmcnt(58)
	v_mov_b32_e32 v4, v148
	v_mov_b32_e32 v5, v149
	ds_write2_b64 v81, v[0:1], v[4:5] offset0:44 offset1:45
	s_waitcnt vmcnt(55)
	v_mov_b32_e32 v0, v210
	v_mov_b32_e32 v1, v211
	s_waitcnt vmcnt(52)
	v_mov_b32_e32 v4, v146
	v_mov_b32_e32 v5, v147
	;; [unrolled: 7-line block ×9, first 2 shown]
	ds_write2_b64 v81, v[0:1], v[4:5] offset0:60 offset1:61
	s_waitcnt vmcnt(7)
	v_mov_b32_e32 v0, v194
	v_mov_b32_e32 v1, v195
	s_waitcnt vmcnt(4)
	ds_write2_b64 v81, v[0:1], v[2:3] offset0:62 offset1:63
	ds_read_b64 v[0:1], v80
	s_waitcnt lgkmcnt(0)
	v_cmp_neq_f64_e32 vcc, 0, v[0:1]
	s_and_b64 exec, exec, vcc
	s_cbranch_execz .LBB127_19
; %bb.18:
	v_div_scale_f64 v[4:5], s[6:7], v[0:1], v[0:1], 1.0
	v_rcp_f64_e32 v[6:7], v[4:5]
	v_div_scale_f64 v[8:9], vcc, 1.0, v[0:1], 1.0
	v_fma_f64 v[10:11], -v[4:5], v[6:7], 1.0
	v_fmac_f64_e32 v[6:7], v[6:7], v[10:11]
	v_fma_f64 v[10:11], -v[4:5], v[6:7], 1.0
	v_fmac_f64_e32 v[6:7], v[6:7], v[10:11]
	v_mul_f64 v[10:11], v[8:9], v[6:7]
	v_fma_f64 v[4:5], -v[4:5], v[10:11], v[8:9]
	v_div_fmas_f64 v[4:5], v[4:5], v[6:7], v[10:11]
	v_div_fixup_f64 v[0:1], v[4:5], v[0:1], 1.0
	ds_write_b64 v80, v[0:1]
.LBB127_19:
	s_or_b64 exec, exec, s[2:3]
	s_waitcnt lgkmcnt(0)
	s_barrier
	ds_read_b64 v[0:1], v80
	v_cmp_lt_u32_e32 vcc, 3, v82
	s_and_saveexec_b64 s[2:3], vcc
	s_cbranch_execz .LBB127_21
; %bb.20:
	ds_read2_b64 v[4:7], v81 offset0:4 offset1:5
	s_waitcnt lgkmcnt(1)
	v_mul_f64 v[190:191], v[0:1], v[190:191]
	s_waitcnt lgkmcnt(0)
	v_fma_f64 v[252:253], -v[190:191], v[4:5], v[252:253]
	v_fma_f64 v[188:189], -v[190:191], v[6:7], v[188:189]
	ds_read2_b64 v[4:7], v81 offset0:6 offset1:7
	s_waitcnt lgkmcnt(0)
	v_fma_f64 v[250:251], -v[190:191], v[4:5], v[250:251]
	v_fma_f64 v[186:187], -v[190:191], v[6:7], v[186:187]
	ds_read2_b64 v[4:7], v81 offset0:8 offset1:9
	;; [unrolled: 4-line block ×20, first 2 shown]
	s_waitcnt vmcnt(61) lgkmcnt(0)
	v_fma_f64 v[212:213], -v[190:191], v[4:5], v[212:213]
	s_waitcnt vmcnt(58)
	v_fma_f64 v[148:149], -v[190:191], v[6:7], v[148:149]
	ds_read2_b64 v[4:7], v81 offset0:46 offset1:47
	s_waitcnt vmcnt(55) lgkmcnt(0)
	v_fma_f64 v[210:211], -v[190:191], v[4:5], v[210:211]
	s_waitcnt vmcnt(52)
	v_fma_f64 v[146:147], -v[190:191], v[6:7], v[146:147]
	ds_read2_b64 v[4:7], v81 offset0:48 offset1:49
	;; [unrolled: 5-line block ×9, first 2 shown]
	s_waitcnt vmcnt(7) lgkmcnt(0)
	v_fma_f64 v[194:195], -v[190:191], v[4:5], v[194:195]
	s_waitcnt vmcnt(4)
	v_fma_f64 v[2:3], -v[190:191], v[6:7], v[2:3]
.LBB127_21:
	s_or_b64 exec, exec, s[2:3]
	v_cmp_eq_u32_e32 vcc, 4, v82
	s_waitcnt lgkmcnt(0)
	buffer_store_dword v0, off, s[16:19], 0 offset:464 ; 4-byte Folded Spill
	s_nop 0
	buffer_store_dword v1, off, s[16:19], 0 offset:468 ; 4-byte Folded Spill
	s_waitcnt vmcnt(63) expcnt(7) lgkmcnt(15)
	s_barrier
	s_and_saveexec_b64 s[2:3], vcc
	s_cbranch_execz .LBB127_24
; %bb.22:
	ds_write_b64 v80, v[252:253]
	ds_write2_b64 v81, v[188:189], v[250:251] offset0:5 offset1:6
	ds_write2_b64 v81, v[186:187], v[248:249] offset0:7 offset1:8
	;; [unrolled: 1-line block ×20, first 2 shown]
	s_waitcnt vmcnt(57)
	ds_write2_b64 v81, v[148:149], v[210:211] offset0:45 offset1:46
	s_waitcnt vmcnt(51)
	ds_write2_b64 v81, v[146:147], v[208:209] offset0:47 offset1:48
	;; [unrolled: 2-line block ×9, first 2 shown]
	s_waitcnt vmcnt(6)
	ds_write_b64 v81, v[2:3] offset:504
	ds_read_b64 v[0:1], v80
	s_waitcnt lgkmcnt(0)
	v_cmp_neq_f64_e32 vcc, 0, v[0:1]
	s_and_b64 exec, exec, vcc
	s_cbranch_execz .LBB127_24
; %bb.23:
	v_div_scale_f64 v[4:5], s[6:7], v[0:1], v[0:1], 1.0
	v_rcp_f64_e32 v[6:7], v[4:5]
	v_div_scale_f64 v[8:9], vcc, 1.0, v[0:1], 1.0
	v_fma_f64 v[10:11], -v[4:5], v[6:7], 1.0
	v_fmac_f64_e32 v[6:7], v[6:7], v[10:11]
	v_fma_f64 v[10:11], -v[4:5], v[6:7], 1.0
	v_fmac_f64_e32 v[6:7], v[6:7], v[10:11]
	v_mul_f64 v[10:11], v[8:9], v[6:7]
	v_fma_f64 v[4:5], -v[4:5], v[10:11], v[8:9]
	v_div_fmas_f64 v[4:5], v[4:5], v[6:7], v[10:11]
	v_div_fixup_f64 v[0:1], v[4:5], v[0:1], 1.0
	ds_write_b64 v80, v[0:1]
.LBB127_24:
	s_or_b64 exec, exec, s[2:3]
	s_waitcnt lgkmcnt(0)
	s_barrier
	ds_read_b64 v[0:1], v80
	v_cmp_lt_u32_e32 vcc, 4, v82
	s_waitcnt lgkmcnt(0)
	buffer_store_dword v0, off, s[16:19], 0 offset:376 ; 4-byte Folded Spill
	s_nop 0
	buffer_store_dword v1, off, s[16:19], 0 offset:380 ; 4-byte Folded Spill
	s_and_saveexec_b64 s[2:3], vcc
	s_cbranch_execz .LBB127_26
; %bb.25:
	buffer_load_dword v0, off, s[16:19], 0 offset:376 ; 4-byte Folded Reload
	buffer_load_dword v1, off, s[16:19], 0 offset:380 ; 4-byte Folded Reload
	ds_read2_b64 v[4:7], v81 offset0:5 offset1:6
	s_waitcnt vmcnt(0)
	v_mul_f64 v[252:253], v[0:1], v[252:253]
	ds_read_b64 v[0:1], v81 offset:504
	s_waitcnt lgkmcnt(1)
	v_fma_f64 v[188:189], -v[252:253], v[4:5], v[188:189]
	v_fma_f64 v[250:251], -v[252:253], v[6:7], v[250:251]
	ds_read2_b64 v[4:7], v81 offset0:7 offset1:8
	s_waitcnt lgkmcnt(1)
	v_fma_f64 v[2:3], -v[252:253], v[0:1], v[2:3]
	s_waitcnt lgkmcnt(0)
	v_fma_f64 v[186:187], -v[252:253], v[4:5], v[186:187]
	v_fma_f64 v[248:249], -v[252:253], v[6:7], v[248:249]
	ds_read2_b64 v[4:7], v81 offset0:9 offset1:10
	s_waitcnt lgkmcnt(0)
	v_fma_f64 v[184:185], -v[252:253], v[4:5], v[184:185]
	v_fma_f64 v[246:247], -v[252:253], v[6:7], v[246:247]
	ds_read2_b64 v[4:7], v81 offset0:11 offset1:12
	;; [unrolled: 4-line block ×27, first 2 shown]
	s_waitcnt lgkmcnt(0)
	v_fma_f64 v[132:133], -v[252:253], v[4:5], v[132:133]
	v_fma_f64 v[194:195], -v[252:253], v[6:7], v[194:195]
.LBB127_26:
	s_or_b64 exec, exec, s[2:3]
	v_cmp_eq_u32_e32 vcc, 5, v82
	s_waitcnt vmcnt(63) expcnt(7) lgkmcnt(15)
	s_barrier
	s_and_saveexec_b64 s[2:3], vcc
	s_cbranch_execz .LBB127_29
; %bb.27:
	v_mov_b32_e32 v0, v250
	v_mov_b32_e32 v1, v251
	;; [unrolled: 1-line block ×4, first 2 shown]
	ds_write_b64 v80, v[188:189]
	ds_write2_b64 v81, v[0:1], v[4:5] offset0:6 offset1:7
	v_mov_b32_e32 v0, v248
	v_mov_b32_e32 v1, v249
	v_mov_b32_e32 v4, v184
	v_mov_b32_e32 v5, v185
	ds_write2_b64 v81, v[0:1], v[4:5] offset0:8 offset1:9
	v_mov_b32_e32 v0, v246
	v_mov_b32_e32 v1, v247
	v_mov_b32_e32 v4, v182
	v_mov_b32_e32 v5, v183
	;; [unrolled: 5-line block ×18, first 2 shown]
	ds_write2_b64 v81, v[0:1], v[4:5] offset0:42 offset1:43
	v_mov_b32_e32 v0, v212
	v_mov_b32_e32 v1, v213
	s_waitcnt vmcnt(62)
	v_mov_b32_e32 v4, v148
	v_mov_b32_e32 v5, v149
	ds_write2_b64 v81, v[0:1], v[4:5] offset0:44 offset1:45
	s_waitcnt vmcnt(59)
	v_mov_b32_e32 v0, v210
	v_mov_b32_e32 v1, v211
	s_waitcnt vmcnt(56)
	v_mov_b32_e32 v4, v146
	v_mov_b32_e32 v5, v147
	ds_write2_b64 v81, v[0:1], v[4:5] offset0:46 offset1:47
	s_waitcnt vmcnt(53)
	;; [unrolled: 7-line block ×9, first 2 shown]
	v_mov_b32_e32 v0, v194
	v_mov_b32_e32 v1, v195
	s_waitcnt vmcnt(8)
	ds_write2_b64 v81, v[0:1], v[2:3] offset0:62 offset1:63
	ds_read_b64 v[0:1], v80
	s_waitcnt lgkmcnt(0)
	v_cmp_neq_f64_e32 vcc, 0, v[0:1]
	s_and_b64 exec, exec, vcc
	s_cbranch_execz .LBB127_29
; %bb.28:
	v_div_scale_f64 v[4:5], s[6:7], v[0:1], v[0:1], 1.0
	v_rcp_f64_e32 v[6:7], v[4:5]
	v_div_scale_f64 v[8:9], vcc, 1.0, v[0:1], 1.0
	v_fma_f64 v[10:11], -v[4:5], v[6:7], 1.0
	v_fmac_f64_e32 v[6:7], v[6:7], v[10:11]
	v_fma_f64 v[10:11], -v[4:5], v[6:7], 1.0
	v_fmac_f64_e32 v[6:7], v[6:7], v[10:11]
	v_mul_f64 v[10:11], v[8:9], v[6:7]
	v_fma_f64 v[4:5], -v[4:5], v[10:11], v[8:9]
	v_div_fmas_f64 v[4:5], v[4:5], v[6:7], v[10:11]
	v_div_fixup_f64 v[0:1], v[4:5], v[0:1], 1.0
	ds_write_b64 v80, v[0:1]
.LBB127_29:
	s_or_b64 exec, exec, s[2:3]
	s_waitcnt lgkmcnt(0)
	s_barrier
	ds_read_b64 v[0:1], v80
	v_cmp_lt_u32_e32 vcc, 5, v82
	s_and_saveexec_b64 s[2:3], vcc
	s_cbranch_execz .LBB127_31
; %bb.30:
	ds_read2_b64 v[4:7], v81 offset0:6 offset1:7
	s_waitcnt lgkmcnt(1)
	v_mul_f64 v[188:189], v[0:1], v[188:189]
	s_waitcnt lgkmcnt(0)
	v_fma_f64 v[250:251], -v[188:189], v[4:5], v[250:251]
	v_fma_f64 v[186:187], -v[188:189], v[6:7], v[186:187]
	ds_read2_b64 v[4:7], v81 offset0:8 offset1:9
	s_waitcnt lgkmcnt(0)
	v_fma_f64 v[248:249], -v[188:189], v[4:5], v[248:249]
	v_fma_f64 v[184:185], -v[188:189], v[6:7], v[184:185]
	ds_read2_b64 v[4:7], v81 offset0:10 offset1:11
	;; [unrolled: 4-line block ×19, first 2 shown]
	s_waitcnt lgkmcnt(0)
	v_fma_f64 v[212:213], -v[188:189], v[4:5], v[212:213]
	s_waitcnt vmcnt(62)
	v_fma_f64 v[148:149], -v[188:189], v[6:7], v[148:149]
	ds_read2_b64 v[4:7], v81 offset0:46 offset1:47
	s_waitcnt vmcnt(59) lgkmcnt(0)
	v_fma_f64 v[210:211], -v[188:189], v[4:5], v[210:211]
	s_waitcnt vmcnt(56)
	v_fma_f64 v[146:147], -v[188:189], v[6:7], v[146:147]
	ds_read2_b64 v[4:7], v81 offset0:48 offset1:49
	s_waitcnt vmcnt(53) lgkmcnt(0)
	;; [unrolled: 5-line block ×9, first 2 shown]
	v_fma_f64 v[194:195], -v[188:189], v[4:5], v[194:195]
	s_waitcnt vmcnt(8)
	v_fma_f64 v[2:3], -v[188:189], v[6:7], v[2:3]
.LBB127_31:
	s_or_b64 exec, exec, s[2:3]
	v_cmp_eq_u32_e32 vcc, 6, v82
	s_waitcnt lgkmcnt(0)
	buffer_store_dword v0, off, s[16:19], 0 offset:472 ; 4-byte Folded Spill
	s_nop 0
	buffer_store_dword v1, off, s[16:19], 0 offset:476 ; 4-byte Folded Spill
	s_waitcnt vmcnt(63) expcnt(7) lgkmcnt(15)
	s_barrier
	s_and_saveexec_b64 s[2:3], vcc
	s_cbranch_execz .LBB127_34
; %bb.32:
	ds_write_b64 v80, v[250:251]
	ds_write2_b64 v81, v[186:187], v[248:249] offset0:7 offset1:8
	ds_write2_b64 v81, v[184:185], v[246:247] offset0:9 offset1:10
	;; [unrolled: 1-line block ×19, first 2 shown]
	s_waitcnt vmcnt(61)
	ds_write2_b64 v81, v[148:149], v[210:211] offset0:45 offset1:46
	s_waitcnt vmcnt(55)
	ds_write2_b64 v81, v[146:147], v[208:209] offset0:47 offset1:48
	;; [unrolled: 2-line block ×9, first 2 shown]
	s_waitcnt vmcnt(10)
	ds_write_b64 v81, v[2:3] offset:504
	ds_read_b64 v[0:1], v80
	s_waitcnt lgkmcnt(0)
	v_cmp_neq_f64_e32 vcc, 0, v[0:1]
	s_and_b64 exec, exec, vcc
	s_cbranch_execz .LBB127_34
; %bb.33:
	v_div_scale_f64 v[4:5], s[6:7], v[0:1], v[0:1], 1.0
	v_rcp_f64_e32 v[6:7], v[4:5]
	v_div_scale_f64 v[8:9], vcc, 1.0, v[0:1], 1.0
	v_fma_f64 v[10:11], -v[4:5], v[6:7], 1.0
	v_fmac_f64_e32 v[6:7], v[6:7], v[10:11]
	v_fma_f64 v[10:11], -v[4:5], v[6:7], 1.0
	v_fmac_f64_e32 v[6:7], v[6:7], v[10:11]
	v_mul_f64 v[10:11], v[8:9], v[6:7]
	v_fma_f64 v[4:5], -v[4:5], v[10:11], v[8:9]
	v_div_fmas_f64 v[4:5], v[4:5], v[6:7], v[10:11]
	v_div_fixup_f64 v[0:1], v[4:5], v[0:1], 1.0
	ds_write_b64 v80, v[0:1]
.LBB127_34:
	s_or_b64 exec, exec, s[2:3]
	s_waitcnt lgkmcnt(0)
	s_barrier
	ds_read_b64 v[0:1], v80
	v_cmp_lt_u32_e32 vcc, 6, v82
	s_waitcnt lgkmcnt(0)
	buffer_store_dword v0, off, s[16:19], 0 offset:384 ; 4-byte Folded Spill
	s_nop 0
	buffer_store_dword v1, off, s[16:19], 0 offset:388 ; 4-byte Folded Spill
	s_and_saveexec_b64 s[2:3], vcc
	s_cbranch_execz .LBB127_36
; %bb.35:
	buffer_load_dword v0, off, s[16:19], 0 offset:384 ; 4-byte Folded Reload
	buffer_load_dword v1, off, s[16:19], 0 offset:388 ; 4-byte Folded Reload
	ds_read2_b64 v[4:7], v81 offset0:7 offset1:8
	s_waitcnt vmcnt(0)
	v_mul_f64 v[250:251], v[0:1], v[250:251]
	ds_read_b64 v[0:1], v81 offset:504
	s_waitcnt lgkmcnt(1)
	v_fma_f64 v[186:187], -v[250:251], v[4:5], v[186:187]
	v_fma_f64 v[248:249], -v[250:251], v[6:7], v[248:249]
	ds_read2_b64 v[4:7], v81 offset0:9 offset1:10
	s_waitcnt lgkmcnt(1)
	v_fma_f64 v[2:3], -v[250:251], v[0:1], v[2:3]
	s_waitcnt lgkmcnt(0)
	v_fma_f64 v[184:185], -v[250:251], v[4:5], v[184:185]
	v_fma_f64 v[246:247], -v[250:251], v[6:7], v[246:247]
	ds_read2_b64 v[4:7], v81 offset0:11 offset1:12
	s_waitcnt lgkmcnt(0)
	v_fma_f64 v[182:183], -v[250:251], v[4:5], v[182:183]
	v_fma_f64 v[244:245], -v[250:251], v[6:7], v[244:245]
	ds_read2_b64 v[4:7], v81 offset0:13 offset1:14
	;; [unrolled: 4-line block ×26, first 2 shown]
	s_waitcnt lgkmcnt(0)
	v_fma_f64 v[132:133], -v[250:251], v[4:5], v[132:133]
	v_fma_f64 v[194:195], -v[250:251], v[6:7], v[194:195]
.LBB127_36:
	s_or_b64 exec, exec, s[2:3]
	v_cmp_eq_u32_e32 vcc, 7, v82
	s_waitcnt vmcnt(63) expcnt(7) lgkmcnt(15)
	s_barrier
	s_and_saveexec_b64 s[2:3], vcc
	s_cbranch_execz .LBB127_39
; %bb.37:
	v_mov_b32_e32 v0, v248
	v_mov_b32_e32 v1, v249
	;; [unrolled: 1-line block ×4, first 2 shown]
	ds_write_b64 v80, v[186:187]
	ds_write2_b64 v81, v[0:1], v[4:5] offset0:8 offset1:9
	v_mov_b32_e32 v0, v246
	v_mov_b32_e32 v1, v247
	v_mov_b32_e32 v4, v182
	v_mov_b32_e32 v5, v183
	ds_write2_b64 v81, v[0:1], v[4:5] offset0:10 offset1:11
	v_mov_b32_e32 v0, v244
	v_mov_b32_e32 v1, v245
	v_mov_b32_e32 v4, v180
	v_mov_b32_e32 v5, v181
	;; [unrolled: 5-line block ×18, first 2 shown]
	ds_write2_b64 v81, v[0:1], v[4:5] offset0:44 offset1:45
	v_mov_b32_e32 v0, v210
	v_mov_b32_e32 v1, v211
	s_waitcnt vmcnt(60)
	v_mov_b32_e32 v4, v146
	v_mov_b32_e32 v5, v147
	ds_write2_b64 v81, v[0:1], v[4:5] offset0:46 offset1:47
	s_waitcnt vmcnt(57)
	v_mov_b32_e32 v0, v208
	v_mov_b32_e32 v1, v209
	s_waitcnt vmcnt(54)
	v_mov_b32_e32 v4, v144
	v_mov_b32_e32 v5, v145
	ds_write2_b64 v81, v[0:1], v[4:5] offset0:48 offset1:49
	s_waitcnt vmcnt(51)
	;; [unrolled: 7-line block ×8, first 2 shown]
	v_mov_b32_e32 v0, v194
	v_mov_b32_e32 v1, v195
	s_waitcnt vmcnt(12)
	ds_write2_b64 v81, v[0:1], v[2:3] offset0:62 offset1:63
	ds_read_b64 v[0:1], v80
	s_waitcnt lgkmcnt(0)
	v_cmp_neq_f64_e32 vcc, 0, v[0:1]
	s_and_b64 exec, exec, vcc
	s_cbranch_execz .LBB127_39
; %bb.38:
	v_div_scale_f64 v[4:5], s[6:7], v[0:1], v[0:1], 1.0
	v_rcp_f64_e32 v[6:7], v[4:5]
	v_div_scale_f64 v[8:9], vcc, 1.0, v[0:1], 1.0
	v_fma_f64 v[10:11], -v[4:5], v[6:7], 1.0
	v_fmac_f64_e32 v[6:7], v[6:7], v[10:11]
	v_fma_f64 v[10:11], -v[4:5], v[6:7], 1.0
	v_fmac_f64_e32 v[6:7], v[6:7], v[10:11]
	v_mul_f64 v[10:11], v[8:9], v[6:7]
	v_fma_f64 v[4:5], -v[4:5], v[10:11], v[8:9]
	v_div_fmas_f64 v[4:5], v[4:5], v[6:7], v[10:11]
	v_div_fixup_f64 v[0:1], v[4:5], v[0:1], 1.0
	ds_write_b64 v80, v[0:1]
.LBB127_39:
	s_or_b64 exec, exec, s[2:3]
	s_waitcnt lgkmcnt(0)
	s_barrier
	ds_read_b64 v[0:1], v80
	v_cmp_lt_u32_e32 vcc, 7, v82
	s_and_saveexec_b64 s[2:3], vcc
	s_cbranch_execz .LBB127_41
; %bb.40:
	ds_read2_b64 v[4:7], v81 offset0:8 offset1:9
	s_waitcnt lgkmcnt(1)
	v_mul_f64 v[186:187], v[0:1], v[186:187]
	s_waitcnt lgkmcnt(0)
	v_fma_f64 v[248:249], -v[186:187], v[4:5], v[248:249]
	v_fma_f64 v[184:185], -v[186:187], v[6:7], v[184:185]
	ds_read2_b64 v[4:7], v81 offset0:10 offset1:11
	s_waitcnt lgkmcnt(0)
	v_fma_f64 v[246:247], -v[186:187], v[4:5], v[246:247]
	v_fma_f64 v[182:183], -v[186:187], v[6:7], v[182:183]
	ds_read2_b64 v[4:7], v81 offset0:12 offset1:13
	;; [unrolled: 4-line block ×19, first 2 shown]
	s_waitcnt lgkmcnt(0)
	v_fma_f64 v[210:211], -v[186:187], v[4:5], v[210:211]
	s_waitcnt vmcnt(60)
	v_fma_f64 v[146:147], -v[186:187], v[6:7], v[146:147]
	ds_read2_b64 v[4:7], v81 offset0:48 offset1:49
	s_waitcnt vmcnt(57) lgkmcnt(0)
	v_fma_f64 v[208:209], -v[186:187], v[4:5], v[208:209]
	s_waitcnt vmcnt(54)
	v_fma_f64 v[144:145], -v[186:187], v[6:7], v[144:145]
	ds_read2_b64 v[4:7], v81 offset0:50 offset1:51
	s_waitcnt vmcnt(51) lgkmcnt(0)
	;; [unrolled: 5-line block ×8, first 2 shown]
	v_fma_f64 v[194:195], -v[186:187], v[4:5], v[194:195]
	s_waitcnt vmcnt(12)
	v_fma_f64 v[2:3], -v[186:187], v[6:7], v[2:3]
.LBB127_41:
	s_or_b64 exec, exec, s[2:3]
	v_cmp_eq_u32_e32 vcc, 8, v82
	s_waitcnt lgkmcnt(0)
	buffer_store_dword v0, off, s[16:19], 0 offset:480 ; 4-byte Folded Spill
	s_nop 0
	buffer_store_dword v1, off, s[16:19], 0 offset:484 ; 4-byte Folded Spill
	s_waitcnt vmcnt(63) expcnt(7) lgkmcnt(15)
	s_barrier
	s_and_saveexec_b64 s[2:3], vcc
	s_cbranch_execz .LBB127_44
; %bb.42:
	ds_write_b64 v80, v[248:249]
	ds_write2_b64 v81, v[184:185], v[246:247] offset0:9 offset1:10
	ds_write2_b64 v81, v[182:183], v[244:245] offset0:11 offset1:12
	;; [unrolled: 1-line block ×19, first 2 shown]
	s_waitcnt vmcnt(59)
	ds_write2_b64 v81, v[146:147], v[208:209] offset0:47 offset1:48
	s_waitcnt vmcnt(53)
	ds_write2_b64 v81, v[144:145], v[206:207] offset0:49 offset1:50
	;; [unrolled: 2-line block ×8, first 2 shown]
	s_waitcnt vmcnt(14)
	ds_write_b64 v81, v[2:3] offset:504
	ds_read_b64 v[0:1], v80
	s_waitcnt lgkmcnt(0)
	v_cmp_neq_f64_e32 vcc, 0, v[0:1]
	s_and_b64 exec, exec, vcc
	s_cbranch_execz .LBB127_44
; %bb.43:
	v_div_scale_f64 v[4:5], s[6:7], v[0:1], v[0:1], 1.0
	v_rcp_f64_e32 v[6:7], v[4:5]
	v_div_scale_f64 v[8:9], vcc, 1.0, v[0:1], 1.0
	v_fma_f64 v[10:11], -v[4:5], v[6:7], 1.0
	v_fmac_f64_e32 v[6:7], v[6:7], v[10:11]
	v_fma_f64 v[10:11], -v[4:5], v[6:7], 1.0
	v_fmac_f64_e32 v[6:7], v[6:7], v[10:11]
	v_mul_f64 v[10:11], v[8:9], v[6:7]
	v_fma_f64 v[4:5], -v[4:5], v[10:11], v[8:9]
	v_div_fmas_f64 v[4:5], v[4:5], v[6:7], v[10:11]
	v_div_fixup_f64 v[0:1], v[4:5], v[0:1], 1.0
	ds_write_b64 v80, v[0:1]
.LBB127_44:
	s_or_b64 exec, exec, s[2:3]
	s_waitcnt lgkmcnt(0)
	s_barrier
	ds_read_b64 v[0:1], v80
	v_cmp_lt_u32_e32 vcc, 8, v82
	s_waitcnt lgkmcnt(0)
	buffer_store_dword v0, off, s[16:19], 0 offset:392 ; 4-byte Folded Spill
	s_nop 0
	buffer_store_dword v1, off, s[16:19], 0 offset:396 ; 4-byte Folded Spill
	s_and_saveexec_b64 s[2:3], vcc
	s_cbranch_execz .LBB127_46
; %bb.45:
	buffer_load_dword v0, off, s[16:19], 0 offset:392 ; 4-byte Folded Reload
	buffer_load_dword v1, off, s[16:19], 0 offset:396 ; 4-byte Folded Reload
	ds_read2_b64 v[4:7], v81 offset0:9 offset1:10
	s_waitcnt vmcnt(0)
	v_mul_f64 v[248:249], v[0:1], v[248:249]
	ds_read_b64 v[0:1], v81 offset:504
	s_waitcnt lgkmcnt(1)
	v_fma_f64 v[184:185], -v[248:249], v[4:5], v[184:185]
	v_fma_f64 v[246:247], -v[248:249], v[6:7], v[246:247]
	ds_read2_b64 v[4:7], v81 offset0:11 offset1:12
	s_waitcnt lgkmcnt(1)
	v_fma_f64 v[2:3], -v[248:249], v[0:1], v[2:3]
	s_waitcnt lgkmcnt(0)
	v_fma_f64 v[182:183], -v[248:249], v[4:5], v[182:183]
	v_fma_f64 v[244:245], -v[248:249], v[6:7], v[244:245]
	ds_read2_b64 v[4:7], v81 offset0:13 offset1:14
	s_waitcnt lgkmcnt(0)
	v_fma_f64 v[180:181], -v[248:249], v[4:5], v[180:181]
	v_fma_f64 v[242:243], -v[248:249], v[6:7], v[242:243]
	ds_read2_b64 v[4:7], v81 offset0:15 offset1:16
	;; [unrolled: 4-line block ×25, first 2 shown]
	s_waitcnt lgkmcnt(0)
	v_fma_f64 v[132:133], -v[248:249], v[4:5], v[132:133]
	v_fma_f64 v[194:195], -v[248:249], v[6:7], v[194:195]
.LBB127_46:
	s_or_b64 exec, exec, s[2:3]
	v_cmp_eq_u32_e32 vcc, 9, v82
	s_waitcnt vmcnt(63) expcnt(7) lgkmcnt(15)
	s_barrier
	s_and_saveexec_b64 s[2:3], vcc
	s_cbranch_execz .LBB127_49
; %bb.47:
	v_mov_b32_e32 v0, v246
	v_mov_b32_e32 v1, v247
	;; [unrolled: 1-line block ×4, first 2 shown]
	ds_write_b64 v80, v[184:185]
	ds_write2_b64 v81, v[0:1], v[4:5] offset0:10 offset1:11
	v_mov_b32_e32 v0, v244
	v_mov_b32_e32 v1, v245
	v_mov_b32_e32 v4, v180
	v_mov_b32_e32 v5, v181
	ds_write2_b64 v81, v[0:1], v[4:5] offset0:12 offset1:13
	v_mov_b32_e32 v0, v242
	v_mov_b32_e32 v1, v243
	v_mov_b32_e32 v4, v178
	v_mov_b32_e32 v5, v179
	;; [unrolled: 5-line block ×18, first 2 shown]
	ds_write2_b64 v81, v[0:1], v[4:5] offset0:46 offset1:47
	s_waitcnt vmcnt(61)
	v_mov_b32_e32 v0, v208
	v_mov_b32_e32 v1, v209
	s_waitcnt vmcnt(58)
	v_mov_b32_e32 v4, v144
	v_mov_b32_e32 v5, v145
	ds_write2_b64 v81, v[0:1], v[4:5] offset0:48 offset1:49
	s_waitcnt vmcnt(55)
	v_mov_b32_e32 v0, v206
	v_mov_b32_e32 v1, v207
	s_waitcnt vmcnt(52)
	v_mov_b32_e32 v4, v142
	v_mov_b32_e32 v5, v143
	;; [unrolled: 7-line block ×7, first 2 shown]
	ds_write2_b64 v81, v[0:1], v[4:5] offset0:60 offset1:61
	s_waitcnt vmcnt(19)
	v_mov_b32_e32 v0, v194
	v_mov_b32_e32 v1, v195
	s_waitcnt vmcnt(16)
	ds_write2_b64 v81, v[0:1], v[2:3] offset0:62 offset1:63
	ds_read_b64 v[0:1], v80
	s_waitcnt lgkmcnt(0)
	v_cmp_neq_f64_e32 vcc, 0, v[0:1]
	s_and_b64 exec, exec, vcc
	s_cbranch_execz .LBB127_49
; %bb.48:
	v_div_scale_f64 v[4:5], s[6:7], v[0:1], v[0:1], 1.0
	v_rcp_f64_e32 v[6:7], v[4:5]
	v_div_scale_f64 v[8:9], vcc, 1.0, v[0:1], 1.0
	v_fma_f64 v[10:11], -v[4:5], v[6:7], 1.0
	v_fmac_f64_e32 v[6:7], v[6:7], v[10:11]
	v_fma_f64 v[10:11], -v[4:5], v[6:7], 1.0
	v_fmac_f64_e32 v[6:7], v[6:7], v[10:11]
	v_mul_f64 v[10:11], v[8:9], v[6:7]
	v_fma_f64 v[4:5], -v[4:5], v[10:11], v[8:9]
	v_div_fmas_f64 v[4:5], v[4:5], v[6:7], v[10:11]
	v_div_fixup_f64 v[0:1], v[4:5], v[0:1], 1.0
	ds_write_b64 v80, v[0:1]
.LBB127_49:
	s_or_b64 exec, exec, s[2:3]
	s_waitcnt lgkmcnt(0)
	s_barrier
	ds_read_b64 v[0:1], v80
	v_cmp_lt_u32_e32 vcc, 9, v82
	s_and_saveexec_b64 s[2:3], vcc
	s_cbranch_execz .LBB127_51
; %bb.50:
	ds_read2_b64 v[4:7], v81 offset0:10 offset1:11
	s_waitcnt lgkmcnt(1)
	v_mul_f64 v[184:185], v[0:1], v[184:185]
	s_waitcnt lgkmcnt(0)
	v_fma_f64 v[246:247], -v[184:185], v[4:5], v[246:247]
	v_fma_f64 v[182:183], -v[184:185], v[6:7], v[182:183]
	ds_read2_b64 v[4:7], v81 offset0:12 offset1:13
	s_waitcnt lgkmcnt(0)
	v_fma_f64 v[244:245], -v[184:185], v[4:5], v[244:245]
	v_fma_f64 v[180:181], -v[184:185], v[6:7], v[180:181]
	ds_read2_b64 v[4:7], v81 offset0:14 offset1:15
	;; [unrolled: 4-line block ×19, first 2 shown]
	s_waitcnt vmcnt(61) lgkmcnt(0)
	v_fma_f64 v[208:209], -v[184:185], v[4:5], v[208:209]
	s_waitcnt vmcnt(58)
	v_fma_f64 v[144:145], -v[184:185], v[6:7], v[144:145]
	ds_read2_b64 v[4:7], v81 offset0:50 offset1:51
	s_waitcnt vmcnt(55) lgkmcnt(0)
	v_fma_f64 v[206:207], -v[184:185], v[4:5], v[206:207]
	s_waitcnt vmcnt(52)
	v_fma_f64 v[142:143], -v[184:185], v[6:7], v[142:143]
	ds_read2_b64 v[4:7], v81 offset0:52 offset1:53
	s_waitcnt vmcnt(49) lgkmcnt(0)
	v_fma_f64 v[204:205], -v[184:185], v[4:5], v[204:205]
	s_waitcnt vmcnt(46)
	v_fma_f64 v[140:141], -v[184:185], v[6:7], v[140:141]
	ds_read2_b64 v[4:7], v81 offset0:54 offset1:55
	s_waitcnt vmcnt(43) lgkmcnt(0)
	v_fma_f64 v[202:203], -v[184:185], v[4:5], v[202:203]
	s_waitcnt vmcnt(40)
	v_fma_f64 v[138:139], -v[184:185], v[6:7], v[138:139]
	ds_read2_b64 v[4:7], v81 offset0:56 offset1:57
	s_waitcnt vmcnt(37) lgkmcnt(0)
	v_fma_f64 v[200:201], -v[184:185], v[4:5], v[200:201]
	s_waitcnt vmcnt(34)
	v_fma_f64 v[136:137], -v[184:185], v[6:7], v[136:137]
	ds_read2_b64 v[4:7], v81 offset0:58 offset1:59
	s_waitcnt vmcnt(31) lgkmcnt(0)
	v_fma_f64 v[198:199], -v[184:185], v[4:5], v[198:199]
	s_waitcnt vmcnt(28)
	v_fma_f64 v[134:135], -v[184:185], v[6:7], v[134:135]
	ds_read2_b64 v[4:7], v81 offset0:60 offset1:61
	s_waitcnt vmcnt(25) lgkmcnt(0)
	v_fma_f64 v[196:197], -v[184:185], v[4:5], v[196:197]
	s_waitcnt vmcnt(22)
	v_fma_f64 v[132:133], -v[184:185], v[6:7], v[132:133]
	ds_read2_b64 v[4:7], v81 offset0:62 offset1:63
	s_waitcnt vmcnt(19) lgkmcnt(0)
	v_fma_f64 v[194:195], -v[184:185], v[4:5], v[194:195]
	s_waitcnt vmcnt(16)
	v_fma_f64 v[2:3], -v[184:185], v[6:7], v[2:3]
.LBB127_51:
	s_or_b64 exec, exec, s[2:3]
	v_cmp_eq_u32_e32 vcc, 10, v82
	s_waitcnt lgkmcnt(0)
	buffer_store_dword v0, off, s[16:19], 0 offset:488 ; 4-byte Folded Spill
	s_nop 0
	buffer_store_dword v1, off, s[16:19], 0 offset:492 ; 4-byte Folded Spill
	s_waitcnt vmcnt(63) expcnt(7) lgkmcnt(15)
	s_barrier
	s_and_saveexec_b64 s[2:3], vcc
	s_cbranch_execz .LBB127_54
; %bb.52:
	ds_write_b64 v80, v[246:247]
	ds_write2_b64 v81, v[182:183], v[244:245] offset0:11 offset1:12
	ds_write2_b64 v81, v[180:181], v[242:243] offset0:13 offset1:14
	;; [unrolled: 1-line block ×19, first 2 shown]
	s_waitcnt vmcnt(57)
	ds_write2_b64 v81, v[144:145], v[206:207] offset0:49 offset1:50
	s_waitcnt vmcnt(51)
	ds_write2_b64 v81, v[142:143], v[204:205] offset0:51 offset1:52
	;; [unrolled: 2-line block ×7, first 2 shown]
	s_waitcnt vmcnt(18)
	ds_write_b64 v81, v[2:3] offset:504
	ds_read_b64 v[0:1], v80
	s_waitcnt lgkmcnt(0)
	v_cmp_neq_f64_e32 vcc, 0, v[0:1]
	s_and_b64 exec, exec, vcc
	s_cbranch_execz .LBB127_54
; %bb.53:
	v_div_scale_f64 v[4:5], s[6:7], v[0:1], v[0:1], 1.0
	v_rcp_f64_e32 v[6:7], v[4:5]
	v_div_scale_f64 v[8:9], vcc, 1.0, v[0:1], 1.0
	v_fma_f64 v[10:11], -v[4:5], v[6:7], 1.0
	v_fmac_f64_e32 v[6:7], v[6:7], v[10:11]
	v_fma_f64 v[10:11], -v[4:5], v[6:7], 1.0
	v_fmac_f64_e32 v[6:7], v[6:7], v[10:11]
	v_mul_f64 v[10:11], v[8:9], v[6:7]
	v_fma_f64 v[4:5], -v[4:5], v[10:11], v[8:9]
	v_div_fmas_f64 v[4:5], v[4:5], v[6:7], v[10:11]
	v_div_fixup_f64 v[0:1], v[4:5], v[0:1], 1.0
	ds_write_b64 v80, v[0:1]
.LBB127_54:
	s_or_b64 exec, exec, s[2:3]
	s_waitcnt lgkmcnt(0)
	s_barrier
	ds_read_b64 v[0:1], v80
	v_cmp_lt_u32_e32 vcc, 10, v82
	s_waitcnt lgkmcnt(0)
	buffer_store_dword v0, off, s[16:19], 0 offset:400 ; 4-byte Folded Spill
	s_nop 0
	buffer_store_dword v1, off, s[16:19], 0 offset:404 ; 4-byte Folded Spill
	s_and_saveexec_b64 s[2:3], vcc
	s_cbranch_execz .LBB127_56
; %bb.55:
	buffer_load_dword v0, off, s[16:19], 0 offset:400 ; 4-byte Folded Reload
	buffer_load_dword v1, off, s[16:19], 0 offset:404 ; 4-byte Folded Reload
	ds_read2_b64 v[4:7], v81 offset0:11 offset1:12
	s_waitcnt vmcnt(0)
	v_mul_f64 v[246:247], v[0:1], v[246:247]
	ds_read_b64 v[0:1], v81 offset:504
	s_waitcnt lgkmcnt(1)
	v_fma_f64 v[182:183], -v[246:247], v[4:5], v[182:183]
	v_fma_f64 v[244:245], -v[246:247], v[6:7], v[244:245]
	ds_read2_b64 v[4:7], v81 offset0:13 offset1:14
	s_waitcnt lgkmcnt(1)
	v_fma_f64 v[2:3], -v[246:247], v[0:1], v[2:3]
	s_waitcnt lgkmcnt(0)
	v_fma_f64 v[180:181], -v[246:247], v[4:5], v[180:181]
	v_fma_f64 v[242:243], -v[246:247], v[6:7], v[242:243]
	ds_read2_b64 v[4:7], v81 offset0:15 offset1:16
	s_waitcnt lgkmcnt(0)
	v_fma_f64 v[178:179], -v[246:247], v[4:5], v[178:179]
	v_fma_f64 v[240:241], -v[246:247], v[6:7], v[240:241]
	ds_read2_b64 v[4:7], v81 offset0:17 offset1:18
	;; [unrolled: 4-line block ×24, first 2 shown]
	s_waitcnt lgkmcnt(0)
	v_fma_f64 v[132:133], -v[246:247], v[4:5], v[132:133]
	v_fma_f64 v[194:195], -v[246:247], v[6:7], v[194:195]
.LBB127_56:
	s_or_b64 exec, exec, s[2:3]
	v_cmp_eq_u32_e32 vcc, 11, v82
	s_waitcnt vmcnt(63) expcnt(7) lgkmcnt(15)
	s_barrier
	s_and_saveexec_b64 s[2:3], vcc
	s_cbranch_execz .LBB127_59
; %bb.57:
	v_mov_b32_e32 v0, v244
	v_mov_b32_e32 v1, v245
	;; [unrolled: 1-line block ×4, first 2 shown]
	ds_write_b64 v80, v[182:183]
	ds_write2_b64 v81, v[0:1], v[4:5] offset0:12 offset1:13
	v_mov_b32_e32 v0, v242
	v_mov_b32_e32 v1, v243
	v_mov_b32_e32 v4, v178
	v_mov_b32_e32 v5, v179
	ds_write2_b64 v81, v[0:1], v[4:5] offset0:14 offset1:15
	v_mov_b32_e32 v0, v240
	v_mov_b32_e32 v1, v241
	v_mov_b32_e32 v4, v176
	v_mov_b32_e32 v5, v177
	;; [unrolled: 5-line block ×17, first 2 shown]
	ds_write2_b64 v81, v[0:1], v[4:5] offset0:46 offset1:47
	v_mov_b32_e32 v0, v208
	v_mov_b32_e32 v1, v209
	s_waitcnt vmcnt(62)
	v_mov_b32_e32 v4, v144
	v_mov_b32_e32 v5, v145
	ds_write2_b64 v81, v[0:1], v[4:5] offset0:48 offset1:49
	s_waitcnt vmcnt(59)
	v_mov_b32_e32 v0, v206
	v_mov_b32_e32 v1, v207
	s_waitcnt vmcnt(56)
	v_mov_b32_e32 v4, v142
	v_mov_b32_e32 v5, v143
	ds_write2_b64 v81, v[0:1], v[4:5] offset0:50 offset1:51
	s_waitcnt vmcnt(53)
	;; [unrolled: 7-line block ×7, first 2 shown]
	v_mov_b32_e32 v0, v194
	v_mov_b32_e32 v1, v195
	s_waitcnt vmcnt(20)
	ds_write2_b64 v81, v[0:1], v[2:3] offset0:62 offset1:63
	ds_read_b64 v[0:1], v80
	s_waitcnt lgkmcnt(0)
	v_cmp_neq_f64_e32 vcc, 0, v[0:1]
	s_and_b64 exec, exec, vcc
	s_cbranch_execz .LBB127_59
; %bb.58:
	v_div_scale_f64 v[4:5], s[6:7], v[0:1], v[0:1], 1.0
	v_rcp_f64_e32 v[6:7], v[4:5]
	v_div_scale_f64 v[8:9], vcc, 1.0, v[0:1], 1.0
	v_fma_f64 v[10:11], -v[4:5], v[6:7], 1.0
	v_fmac_f64_e32 v[6:7], v[6:7], v[10:11]
	v_fma_f64 v[10:11], -v[4:5], v[6:7], 1.0
	v_fmac_f64_e32 v[6:7], v[6:7], v[10:11]
	v_mul_f64 v[10:11], v[8:9], v[6:7]
	v_fma_f64 v[4:5], -v[4:5], v[10:11], v[8:9]
	v_div_fmas_f64 v[4:5], v[4:5], v[6:7], v[10:11]
	v_div_fixup_f64 v[0:1], v[4:5], v[0:1], 1.0
	ds_write_b64 v80, v[0:1]
.LBB127_59:
	s_or_b64 exec, exec, s[2:3]
	s_waitcnt lgkmcnt(0)
	s_barrier
	ds_read_b64 v[0:1], v80
	v_cmp_lt_u32_e32 vcc, 11, v82
	s_and_saveexec_b64 s[2:3], vcc
	s_cbranch_execz .LBB127_61
; %bb.60:
	ds_read2_b64 v[4:7], v81 offset0:12 offset1:13
	s_waitcnt lgkmcnt(1)
	v_mul_f64 v[182:183], v[0:1], v[182:183]
	s_waitcnt lgkmcnt(0)
	v_fma_f64 v[244:245], -v[182:183], v[4:5], v[244:245]
	v_fma_f64 v[180:181], -v[182:183], v[6:7], v[180:181]
	ds_read2_b64 v[4:7], v81 offset0:14 offset1:15
	s_waitcnt lgkmcnt(0)
	v_fma_f64 v[242:243], -v[182:183], v[4:5], v[242:243]
	v_fma_f64 v[178:179], -v[182:183], v[6:7], v[178:179]
	ds_read2_b64 v[4:7], v81 offset0:16 offset1:17
	;; [unrolled: 4-line block ×18, first 2 shown]
	s_waitcnt lgkmcnt(0)
	v_fma_f64 v[208:209], -v[182:183], v[4:5], v[208:209]
	s_waitcnt vmcnt(62)
	v_fma_f64 v[144:145], -v[182:183], v[6:7], v[144:145]
	ds_read2_b64 v[4:7], v81 offset0:50 offset1:51
	s_waitcnt vmcnt(59) lgkmcnt(0)
	v_fma_f64 v[206:207], -v[182:183], v[4:5], v[206:207]
	s_waitcnt vmcnt(56)
	v_fma_f64 v[142:143], -v[182:183], v[6:7], v[142:143]
	ds_read2_b64 v[4:7], v81 offset0:52 offset1:53
	s_waitcnt vmcnt(53) lgkmcnt(0)
	;; [unrolled: 5-line block ×7, first 2 shown]
	v_fma_f64 v[194:195], -v[182:183], v[4:5], v[194:195]
	s_waitcnt vmcnt(20)
	v_fma_f64 v[2:3], -v[182:183], v[6:7], v[2:3]
.LBB127_61:
	s_or_b64 exec, exec, s[2:3]
	v_cmp_eq_u32_e32 vcc, 12, v82
	s_waitcnt lgkmcnt(0)
	buffer_store_dword v0, off, s[16:19], 0 offset:496 ; 4-byte Folded Spill
	s_nop 0
	buffer_store_dword v1, off, s[16:19], 0 offset:500 ; 4-byte Folded Spill
	s_waitcnt vmcnt(63) expcnt(7) lgkmcnt(15)
	s_barrier
	s_and_saveexec_b64 s[2:3], vcc
	s_cbranch_execz .LBB127_64
; %bb.62:
	ds_write_b64 v80, v[244:245]
	ds_write2_b64 v81, v[180:181], v[242:243] offset0:13 offset1:14
	ds_write2_b64 v81, v[178:179], v[240:241] offset0:15 offset1:16
	;; [unrolled: 1-line block ×18, first 2 shown]
	s_waitcnt vmcnt(61)
	ds_write2_b64 v81, v[144:145], v[206:207] offset0:49 offset1:50
	s_waitcnt vmcnt(55)
	ds_write2_b64 v81, v[142:143], v[204:205] offset0:51 offset1:52
	;; [unrolled: 2-line block ×7, first 2 shown]
	s_waitcnt vmcnt(22)
	ds_write_b64 v81, v[2:3] offset:504
	ds_read_b64 v[0:1], v80
	s_waitcnt lgkmcnt(0)
	v_cmp_neq_f64_e32 vcc, 0, v[0:1]
	s_and_b64 exec, exec, vcc
	s_cbranch_execz .LBB127_64
; %bb.63:
	v_div_scale_f64 v[4:5], s[6:7], v[0:1], v[0:1], 1.0
	v_rcp_f64_e32 v[6:7], v[4:5]
	v_div_scale_f64 v[8:9], vcc, 1.0, v[0:1], 1.0
	v_fma_f64 v[10:11], -v[4:5], v[6:7], 1.0
	v_fmac_f64_e32 v[6:7], v[6:7], v[10:11]
	v_fma_f64 v[10:11], -v[4:5], v[6:7], 1.0
	v_fmac_f64_e32 v[6:7], v[6:7], v[10:11]
	v_mul_f64 v[10:11], v[8:9], v[6:7]
	v_fma_f64 v[4:5], -v[4:5], v[10:11], v[8:9]
	v_div_fmas_f64 v[4:5], v[4:5], v[6:7], v[10:11]
	v_div_fixup_f64 v[0:1], v[4:5], v[0:1], 1.0
	ds_write_b64 v80, v[0:1]
.LBB127_64:
	s_or_b64 exec, exec, s[2:3]
	s_waitcnt lgkmcnt(0)
	s_barrier
	ds_read_b64 v[0:1], v80
	v_cmp_lt_u32_e32 vcc, 12, v82
	s_waitcnt lgkmcnt(0)
	buffer_store_dword v0, off, s[16:19], 0 offset:408 ; 4-byte Folded Spill
	s_nop 0
	buffer_store_dword v1, off, s[16:19], 0 offset:412 ; 4-byte Folded Spill
	s_and_saveexec_b64 s[2:3], vcc
	s_cbranch_execz .LBB127_66
; %bb.65:
	buffer_load_dword v0, off, s[16:19], 0 offset:408 ; 4-byte Folded Reload
	buffer_load_dword v1, off, s[16:19], 0 offset:412 ; 4-byte Folded Reload
	ds_read2_b64 v[4:7], v81 offset0:13 offset1:14
	s_waitcnt vmcnt(0)
	v_mul_f64 v[244:245], v[0:1], v[244:245]
	ds_read_b64 v[0:1], v81 offset:504
	s_waitcnt lgkmcnt(1)
	v_fma_f64 v[180:181], -v[244:245], v[4:5], v[180:181]
	v_fma_f64 v[242:243], -v[244:245], v[6:7], v[242:243]
	ds_read2_b64 v[4:7], v81 offset0:15 offset1:16
	s_waitcnt lgkmcnt(1)
	v_fma_f64 v[2:3], -v[244:245], v[0:1], v[2:3]
	s_waitcnt lgkmcnt(0)
	v_fma_f64 v[178:179], -v[244:245], v[4:5], v[178:179]
	v_fma_f64 v[240:241], -v[244:245], v[6:7], v[240:241]
	ds_read2_b64 v[4:7], v81 offset0:17 offset1:18
	s_waitcnt lgkmcnt(0)
	v_fma_f64 v[176:177], -v[244:245], v[4:5], v[176:177]
	v_fma_f64 v[238:239], -v[244:245], v[6:7], v[238:239]
	ds_read2_b64 v[4:7], v81 offset0:19 offset1:20
	;; [unrolled: 4-line block ×23, first 2 shown]
	s_waitcnt lgkmcnt(0)
	v_fma_f64 v[132:133], -v[244:245], v[4:5], v[132:133]
	v_fma_f64 v[194:195], -v[244:245], v[6:7], v[194:195]
.LBB127_66:
	s_or_b64 exec, exec, s[2:3]
	v_cmp_eq_u32_e32 vcc, 13, v82
	s_waitcnt vmcnt(63) expcnt(7) lgkmcnt(15)
	s_barrier
	s_and_saveexec_b64 s[2:3], vcc
	s_cbranch_execz .LBB127_69
; %bb.67:
	v_mov_b32_e32 v0, v242
	v_mov_b32_e32 v1, v243
	;; [unrolled: 1-line block ×4, first 2 shown]
	ds_write_b64 v80, v[180:181]
	ds_write2_b64 v81, v[0:1], v[4:5] offset0:14 offset1:15
	v_mov_b32_e32 v0, v240
	v_mov_b32_e32 v1, v241
	v_mov_b32_e32 v4, v176
	v_mov_b32_e32 v5, v177
	ds_write2_b64 v81, v[0:1], v[4:5] offset0:16 offset1:17
	v_mov_b32_e32 v0, v238
	v_mov_b32_e32 v1, v239
	v_mov_b32_e32 v4, v174
	v_mov_b32_e32 v5, v175
	;; [unrolled: 5-line block ×17, first 2 shown]
	ds_write2_b64 v81, v[0:1], v[4:5] offset0:48 offset1:49
	v_mov_b32_e32 v0, v206
	v_mov_b32_e32 v1, v207
	s_waitcnt vmcnt(60)
	v_mov_b32_e32 v4, v142
	v_mov_b32_e32 v5, v143
	ds_write2_b64 v81, v[0:1], v[4:5] offset0:50 offset1:51
	s_waitcnt vmcnt(57)
	v_mov_b32_e32 v0, v204
	v_mov_b32_e32 v1, v205
	s_waitcnt vmcnt(54)
	v_mov_b32_e32 v4, v140
	v_mov_b32_e32 v5, v141
	ds_write2_b64 v81, v[0:1], v[4:5] offset0:52 offset1:53
	s_waitcnt vmcnt(51)
	;; [unrolled: 7-line block ×6, first 2 shown]
	v_mov_b32_e32 v0, v194
	v_mov_b32_e32 v1, v195
	s_waitcnt vmcnt(24)
	ds_write2_b64 v81, v[0:1], v[2:3] offset0:62 offset1:63
	ds_read_b64 v[0:1], v80
	s_waitcnt lgkmcnt(0)
	v_cmp_neq_f64_e32 vcc, 0, v[0:1]
	s_and_b64 exec, exec, vcc
	s_cbranch_execz .LBB127_69
; %bb.68:
	v_div_scale_f64 v[4:5], s[6:7], v[0:1], v[0:1], 1.0
	v_rcp_f64_e32 v[6:7], v[4:5]
	v_div_scale_f64 v[8:9], vcc, 1.0, v[0:1], 1.0
	v_fma_f64 v[10:11], -v[4:5], v[6:7], 1.0
	v_fmac_f64_e32 v[6:7], v[6:7], v[10:11]
	v_fma_f64 v[10:11], -v[4:5], v[6:7], 1.0
	v_fmac_f64_e32 v[6:7], v[6:7], v[10:11]
	v_mul_f64 v[10:11], v[8:9], v[6:7]
	v_fma_f64 v[4:5], -v[4:5], v[10:11], v[8:9]
	v_div_fmas_f64 v[4:5], v[4:5], v[6:7], v[10:11]
	v_div_fixup_f64 v[0:1], v[4:5], v[0:1], 1.0
	ds_write_b64 v80, v[0:1]
.LBB127_69:
	s_or_b64 exec, exec, s[2:3]
	s_waitcnt lgkmcnt(0)
	s_barrier
	ds_read_b64 v[0:1], v80
	v_cmp_lt_u32_e32 vcc, 13, v82
	s_and_saveexec_b64 s[2:3], vcc
	s_cbranch_execz .LBB127_71
; %bb.70:
	ds_read2_b64 v[4:7], v81 offset0:14 offset1:15
	s_waitcnt lgkmcnt(1)
	v_mul_f64 v[180:181], v[0:1], v[180:181]
	s_waitcnt lgkmcnt(0)
	v_fma_f64 v[242:243], -v[180:181], v[4:5], v[242:243]
	v_fma_f64 v[178:179], -v[180:181], v[6:7], v[178:179]
	ds_read2_b64 v[4:7], v81 offset0:16 offset1:17
	s_waitcnt lgkmcnt(0)
	v_fma_f64 v[240:241], -v[180:181], v[4:5], v[240:241]
	v_fma_f64 v[176:177], -v[180:181], v[6:7], v[176:177]
	ds_read2_b64 v[4:7], v81 offset0:18 offset1:19
	;; [unrolled: 4-line block ×18, first 2 shown]
	s_waitcnt lgkmcnt(0)
	v_fma_f64 v[206:207], -v[180:181], v[4:5], v[206:207]
	s_waitcnt vmcnt(60)
	v_fma_f64 v[142:143], -v[180:181], v[6:7], v[142:143]
	ds_read2_b64 v[4:7], v81 offset0:52 offset1:53
	s_waitcnt vmcnt(57) lgkmcnt(0)
	v_fma_f64 v[204:205], -v[180:181], v[4:5], v[204:205]
	s_waitcnt vmcnt(54)
	v_fma_f64 v[140:141], -v[180:181], v[6:7], v[140:141]
	ds_read2_b64 v[4:7], v81 offset0:54 offset1:55
	s_waitcnt vmcnt(51) lgkmcnt(0)
	;; [unrolled: 5-line block ×6, first 2 shown]
	v_fma_f64 v[194:195], -v[180:181], v[4:5], v[194:195]
	s_waitcnt vmcnt(24)
	v_fma_f64 v[2:3], -v[180:181], v[6:7], v[2:3]
.LBB127_71:
	s_or_b64 exec, exec, s[2:3]
	v_cmp_eq_u32_e32 vcc, 14, v82
	s_waitcnt lgkmcnt(0)
	buffer_store_dword v0, off, s[16:19], 0 offset:504 ; 4-byte Folded Spill
	s_nop 0
	buffer_store_dword v1, off, s[16:19], 0 offset:508 ; 4-byte Folded Spill
	s_waitcnt vmcnt(63) expcnt(7) lgkmcnt(15)
	s_barrier
	s_and_saveexec_b64 s[2:3], vcc
	s_cbranch_execz .LBB127_74
; %bb.72:
	ds_write_b64 v80, v[242:243]
	ds_write2_b64 v81, v[178:179], v[240:241] offset0:15 offset1:16
	ds_write2_b64 v81, v[176:177], v[238:239] offset0:17 offset1:18
	;; [unrolled: 1-line block ×18, first 2 shown]
	s_waitcnt vmcnt(59)
	ds_write2_b64 v81, v[142:143], v[204:205] offset0:51 offset1:52
	s_waitcnt vmcnt(53)
	ds_write2_b64 v81, v[140:141], v[202:203] offset0:53 offset1:54
	;; [unrolled: 2-line block ×6, first 2 shown]
	s_waitcnt vmcnt(26)
	ds_write_b64 v81, v[2:3] offset:504
	ds_read_b64 v[0:1], v80
	s_waitcnt lgkmcnt(0)
	v_cmp_neq_f64_e32 vcc, 0, v[0:1]
	s_and_b64 exec, exec, vcc
	s_cbranch_execz .LBB127_74
; %bb.73:
	v_div_scale_f64 v[4:5], s[6:7], v[0:1], v[0:1], 1.0
	v_rcp_f64_e32 v[6:7], v[4:5]
	v_div_scale_f64 v[8:9], vcc, 1.0, v[0:1], 1.0
	v_fma_f64 v[10:11], -v[4:5], v[6:7], 1.0
	v_fmac_f64_e32 v[6:7], v[6:7], v[10:11]
	v_fma_f64 v[10:11], -v[4:5], v[6:7], 1.0
	v_fmac_f64_e32 v[6:7], v[6:7], v[10:11]
	v_mul_f64 v[10:11], v[8:9], v[6:7]
	v_fma_f64 v[4:5], -v[4:5], v[10:11], v[8:9]
	v_div_fmas_f64 v[4:5], v[4:5], v[6:7], v[10:11]
	v_div_fixup_f64 v[0:1], v[4:5], v[0:1], 1.0
	ds_write_b64 v80, v[0:1]
.LBB127_74:
	s_or_b64 exec, exec, s[2:3]
	s_waitcnt lgkmcnt(0)
	s_barrier
	ds_read_b64 v[0:1], v80
	v_cmp_lt_u32_e32 vcc, 14, v82
	s_waitcnt lgkmcnt(0)
	buffer_store_dword v0, off, s[16:19], 0 offset:416 ; 4-byte Folded Spill
	s_nop 0
	buffer_store_dword v1, off, s[16:19], 0 offset:420 ; 4-byte Folded Spill
	s_and_saveexec_b64 s[2:3], vcc
	s_cbranch_execz .LBB127_76
; %bb.75:
	buffer_load_dword v0, off, s[16:19], 0 offset:416 ; 4-byte Folded Reload
	buffer_load_dword v1, off, s[16:19], 0 offset:420 ; 4-byte Folded Reload
	ds_read2_b64 v[4:7], v81 offset0:15 offset1:16
	s_waitcnt vmcnt(0)
	v_mul_f64 v[242:243], v[0:1], v[242:243]
	ds_read_b64 v[0:1], v81 offset:504
	s_waitcnt lgkmcnt(1)
	v_fma_f64 v[178:179], -v[242:243], v[4:5], v[178:179]
	v_fma_f64 v[240:241], -v[242:243], v[6:7], v[240:241]
	ds_read2_b64 v[4:7], v81 offset0:17 offset1:18
	s_waitcnt lgkmcnt(1)
	v_fma_f64 v[2:3], -v[242:243], v[0:1], v[2:3]
	s_waitcnt lgkmcnt(0)
	v_fma_f64 v[176:177], -v[242:243], v[4:5], v[176:177]
	v_fma_f64 v[238:239], -v[242:243], v[6:7], v[238:239]
	ds_read2_b64 v[4:7], v81 offset0:19 offset1:20
	s_waitcnt lgkmcnt(0)
	v_fma_f64 v[174:175], -v[242:243], v[4:5], v[174:175]
	v_fma_f64 v[236:237], -v[242:243], v[6:7], v[236:237]
	ds_read2_b64 v[4:7], v81 offset0:21 offset1:22
	;; [unrolled: 4-line block ×22, first 2 shown]
	s_waitcnt lgkmcnt(0)
	v_fma_f64 v[132:133], -v[242:243], v[4:5], v[132:133]
	v_fma_f64 v[194:195], -v[242:243], v[6:7], v[194:195]
.LBB127_76:
	s_or_b64 exec, exec, s[2:3]
	v_cmp_eq_u32_e32 vcc, 15, v82
	s_waitcnt vmcnt(63) expcnt(7) lgkmcnt(15)
	s_barrier
	s_and_saveexec_b64 s[2:3], vcc
	s_cbranch_execz .LBB127_79
; %bb.77:
	v_mov_b32_e32 v0, v240
	v_mov_b32_e32 v1, v241
	;; [unrolled: 1-line block ×4, first 2 shown]
	ds_write_b64 v80, v[178:179]
	ds_write2_b64 v81, v[0:1], v[4:5] offset0:16 offset1:17
	v_mov_b32_e32 v0, v238
	v_mov_b32_e32 v1, v239
	v_mov_b32_e32 v4, v174
	v_mov_b32_e32 v5, v175
	ds_write2_b64 v81, v[0:1], v[4:5] offset0:18 offset1:19
	v_mov_b32_e32 v0, v236
	v_mov_b32_e32 v1, v237
	v_mov_b32_e32 v4, v172
	v_mov_b32_e32 v5, v173
	;; [unrolled: 5-line block ×17, first 2 shown]
	ds_write2_b64 v81, v[0:1], v[4:5] offset0:50 offset1:51
	s_waitcnt vmcnt(61)
	v_mov_b32_e32 v0, v204
	v_mov_b32_e32 v1, v205
	s_waitcnt vmcnt(58)
	v_mov_b32_e32 v4, v140
	v_mov_b32_e32 v5, v141
	ds_write2_b64 v81, v[0:1], v[4:5] offset0:52 offset1:53
	s_waitcnt vmcnt(55)
	v_mov_b32_e32 v0, v202
	v_mov_b32_e32 v1, v203
	s_waitcnt vmcnt(52)
	v_mov_b32_e32 v4, v138
	v_mov_b32_e32 v5, v139
	;; [unrolled: 7-line block ×5, first 2 shown]
	ds_write2_b64 v81, v[0:1], v[4:5] offset0:60 offset1:61
	s_waitcnt vmcnt(31)
	v_mov_b32_e32 v0, v194
	v_mov_b32_e32 v1, v195
	s_waitcnt vmcnt(28)
	ds_write2_b64 v81, v[0:1], v[2:3] offset0:62 offset1:63
	ds_read_b64 v[0:1], v80
	s_waitcnt lgkmcnt(0)
	v_cmp_neq_f64_e32 vcc, 0, v[0:1]
	s_and_b64 exec, exec, vcc
	s_cbranch_execz .LBB127_79
; %bb.78:
	v_div_scale_f64 v[4:5], s[6:7], v[0:1], v[0:1], 1.0
	v_rcp_f64_e32 v[6:7], v[4:5]
	v_div_scale_f64 v[8:9], vcc, 1.0, v[0:1], 1.0
	v_fma_f64 v[10:11], -v[4:5], v[6:7], 1.0
	v_fmac_f64_e32 v[6:7], v[6:7], v[10:11]
	v_fma_f64 v[10:11], -v[4:5], v[6:7], 1.0
	v_fmac_f64_e32 v[6:7], v[6:7], v[10:11]
	v_mul_f64 v[10:11], v[8:9], v[6:7]
	v_fma_f64 v[4:5], -v[4:5], v[10:11], v[8:9]
	v_div_fmas_f64 v[4:5], v[4:5], v[6:7], v[10:11]
	v_div_fixup_f64 v[0:1], v[4:5], v[0:1], 1.0
	ds_write_b64 v80, v[0:1]
.LBB127_79:
	s_or_b64 exec, exec, s[2:3]
	s_waitcnt lgkmcnt(0)
	s_barrier
	ds_read_b64 v[0:1], v80
	v_cmp_lt_u32_e32 vcc, 15, v82
	s_and_saveexec_b64 s[2:3], vcc
	s_cbranch_execz .LBB127_81
; %bb.80:
	ds_read2_b64 v[4:7], v81 offset0:16 offset1:17
	s_waitcnt lgkmcnt(1)
	v_mul_f64 v[178:179], v[0:1], v[178:179]
	s_waitcnt lgkmcnt(0)
	v_fma_f64 v[240:241], -v[178:179], v[4:5], v[240:241]
	v_fma_f64 v[176:177], -v[178:179], v[6:7], v[176:177]
	ds_read2_b64 v[4:7], v81 offset0:18 offset1:19
	s_waitcnt lgkmcnt(0)
	v_fma_f64 v[238:239], -v[178:179], v[4:5], v[238:239]
	v_fma_f64 v[174:175], -v[178:179], v[6:7], v[174:175]
	ds_read2_b64 v[4:7], v81 offset0:20 offset1:21
	;; [unrolled: 4-line block ×18, first 2 shown]
	s_waitcnt vmcnt(61) lgkmcnt(0)
	v_fma_f64 v[204:205], -v[178:179], v[4:5], v[204:205]
	s_waitcnt vmcnt(58)
	v_fma_f64 v[140:141], -v[178:179], v[6:7], v[140:141]
	ds_read2_b64 v[4:7], v81 offset0:54 offset1:55
	s_waitcnt vmcnt(55) lgkmcnt(0)
	v_fma_f64 v[202:203], -v[178:179], v[4:5], v[202:203]
	s_waitcnt vmcnt(52)
	v_fma_f64 v[138:139], -v[178:179], v[6:7], v[138:139]
	ds_read2_b64 v[4:7], v81 offset0:56 offset1:57
	;; [unrolled: 5-line block ×5, first 2 shown]
	s_waitcnt vmcnt(31) lgkmcnt(0)
	v_fma_f64 v[194:195], -v[178:179], v[4:5], v[194:195]
	s_waitcnt vmcnt(28)
	v_fma_f64 v[2:3], -v[178:179], v[6:7], v[2:3]
.LBB127_81:
	s_or_b64 exec, exec, s[2:3]
	v_cmp_eq_u32_e32 vcc, 16, v82
	s_waitcnt lgkmcnt(0)
	buffer_store_dword v0, off, s[16:19], 0 offset:512 ; 4-byte Folded Spill
	s_nop 0
	buffer_store_dword v1, off, s[16:19], 0 offset:516 ; 4-byte Folded Spill
	s_waitcnt vmcnt(63) expcnt(7) lgkmcnt(15)
	s_barrier
	s_and_saveexec_b64 s[2:3], vcc
	s_cbranch_execz .LBB127_84
; %bb.82:
	ds_write_b64 v80, v[240:241]
	ds_write2_b64 v81, v[176:177], v[238:239] offset0:17 offset1:18
	ds_write2_b64 v81, v[174:175], v[236:237] offset0:19 offset1:20
	;; [unrolled: 1-line block ×18, first 2 shown]
	s_waitcnt vmcnt(57)
	ds_write2_b64 v81, v[140:141], v[202:203] offset0:53 offset1:54
	s_waitcnt vmcnt(51)
	ds_write2_b64 v81, v[138:139], v[200:201] offset0:55 offset1:56
	;; [unrolled: 2-line block ×5, first 2 shown]
	s_waitcnt vmcnt(30)
	ds_write_b64 v81, v[2:3] offset:504
	ds_read_b64 v[0:1], v80
	s_waitcnt lgkmcnt(0)
	v_cmp_neq_f64_e32 vcc, 0, v[0:1]
	s_and_b64 exec, exec, vcc
	s_cbranch_execz .LBB127_84
; %bb.83:
	v_div_scale_f64 v[4:5], s[6:7], v[0:1], v[0:1], 1.0
	v_rcp_f64_e32 v[6:7], v[4:5]
	v_div_scale_f64 v[8:9], vcc, 1.0, v[0:1], 1.0
	v_fma_f64 v[10:11], -v[4:5], v[6:7], 1.0
	v_fmac_f64_e32 v[6:7], v[6:7], v[10:11]
	v_fma_f64 v[10:11], -v[4:5], v[6:7], 1.0
	v_fmac_f64_e32 v[6:7], v[6:7], v[10:11]
	v_mul_f64 v[10:11], v[8:9], v[6:7]
	v_fma_f64 v[4:5], -v[4:5], v[10:11], v[8:9]
	v_div_fmas_f64 v[4:5], v[4:5], v[6:7], v[10:11]
	v_div_fixup_f64 v[0:1], v[4:5], v[0:1], 1.0
	ds_write_b64 v80, v[0:1]
.LBB127_84:
	s_or_b64 exec, exec, s[2:3]
	s_waitcnt lgkmcnt(0)
	s_barrier
	ds_read_b64 v[0:1], v80
	v_cmp_lt_u32_e32 vcc, 16, v82
	s_waitcnt lgkmcnt(0)
	buffer_store_dword v0, off, s[16:19], 0 offset:424 ; 4-byte Folded Spill
	s_nop 0
	buffer_store_dword v1, off, s[16:19], 0 offset:428 ; 4-byte Folded Spill
	s_and_saveexec_b64 s[2:3], vcc
	s_cbranch_execz .LBB127_86
; %bb.85:
	buffer_load_dword v0, off, s[16:19], 0 offset:424 ; 4-byte Folded Reload
	buffer_load_dword v1, off, s[16:19], 0 offset:428 ; 4-byte Folded Reload
	ds_read2_b64 v[4:7], v81 offset0:17 offset1:18
	s_waitcnt vmcnt(0)
	v_mul_f64 v[240:241], v[0:1], v[240:241]
	ds_read_b64 v[0:1], v81 offset:504
	s_waitcnt lgkmcnt(1)
	v_fma_f64 v[176:177], -v[240:241], v[4:5], v[176:177]
	v_fma_f64 v[238:239], -v[240:241], v[6:7], v[238:239]
	ds_read2_b64 v[4:7], v81 offset0:19 offset1:20
	s_waitcnt lgkmcnt(1)
	v_fma_f64 v[2:3], -v[240:241], v[0:1], v[2:3]
	s_waitcnt lgkmcnt(0)
	v_fma_f64 v[174:175], -v[240:241], v[4:5], v[174:175]
	v_fma_f64 v[236:237], -v[240:241], v[6:7], v[236:237]
	ds_read2_b64 v[4:7], v81 offset0:21 offset1:22
	s_waitcnt lgkmcnt(0)
	v_fma_f64 v[172:173], -v[240:241], v[4:5], v[172:173]
	v_fma_f64 v[234:235], -v[240:241], v[6:7], v[234:235]
	ds_read2_b64 v[4:7], v81 offset0:23 offset1:24
	;; [unrolled: 4-line block ×21, first 2 shown]
	s_waitcnt lgkmcnt(0)
	v_fma_f64 v[132:133], -v[240:241], v[4:5], v[132:133]
	v_fma_f64 v[194:195], -v[240:241], v[6:7], v[194:195]
.LBB127_86:
	s_or_b64 exec, exec, s[2:3]
	v_cmp_eq_u32_e32 vcc, 17, v82
	s_waitcnt vmcnt(63) expcnt(7) lgkmcnt(15)
	s_barrier
	s_and_saveexec_b64 s[2:3], vcc
	s_cbranch_execz .LBB127_89
; %bb.87:
	v_mov_b32_e32 v0, v238
	v_mov_b32_e32 v1, v239
	;; [unrolled: 1-line block ×4, first 2 shown]
	ds_write_b64 v80, v[176:177]
	ds_write2_b64 v81, v[0:1], v[4:5] offset0:18 offset1:19
	v_mov_b32_e32 v0, v236
	v_mov_b32_e32 v1, v237
	v_mov_b32_e32 v4, v172
	v_mov_b32_e32 v5, v173
	ds_write2_b64 v81, v[0:1], v[4:5] offset0:20 offset1:21
	v_mov_b32_e32 v0, v234
	v_mov_b32_e32 v1, v235
	v_mov_b32_e32 v4, v170
	v_mov_b32_e32 v5, v171
	;; [unrolled: 5-line block ×16, first 2 shown]
	ds_write2_b64 v81, v[0:1], v[4:5] offset0:50 offset1:51
	v_mov_b32_e32 v0, v204
	v_mov_b32_e32 v1, v205
	s_waitcnt vmcnt(62)
	v_mov_b32_e32 v4, v140
	v_mov_b32_e32 v5, v141
	ds_write2_b64 v81, v[0:1], v[4:5] offset0:52 offset1:53
	s_waitcnt vmcnt(59)
	v_mov_b32_e32 v0, v202
	v_mov_b32_e32 v1, v203
	s_waitcnt vmcnt(56)
	v_mov_b32_e32 v4, v138
	v_mov_b32_e32 v5, v139
	ds_write2_b64 v81, v[0:1], v[4:5] offset0:54 offset1:55
	s_waitcnt vmcnt(53)
	;; [unrolled: 7-line block ×5, first 2 shown]
	v_mov_b32_e32 v0, v194
	v_mov_b32_e32 v1, v195
	s_waitcnt vmcnt(32)
	ds_write2_b64 v81, v[0:1], v[2:3] offset0:62 offset1:63
	ds_read_b64 v[0:1], v80
	s_waitcnt lgkmcnt(0)
	v_cmp_neq_f64_e32 vcc, 0, v[0:1]
	s_and_b64 exec, exec, vcc
	s_cbranch_execz .LBB127_89
; %bb.88:
	v_div_scale_f64 v[4:5], s[6:7], v[0:1], v[0:1], 1.0
	v_rcp_f64_e32 v[6:7], v[4:5]
	v_div_scale_f64 v[8:9], vcc, 1.0, v[0:1], 1.0
	v_fma_f64 v[10:11], -v[4:5], v[6:7], 1.0
	v_fmac_f64_e32 v[6:7], v[6:7], v[10:11]
	v_fma_f64 v[10:11], -v[4:5], v[6:7], 1.0
	v_fmac_f64_e32 v[6:7], v[6:7], v[10:11]
	v_mul_f64 v[10:11], v[8:9], v[6:7]
	v_fma_f64 v[4:5], -v[4:5], v[10:11], v[8:9]
	v_div_fmas_f64 v[4:5], v[4:5], v[6:7], v[10:11]
	v_div_fixup_f64 v[0:1], v[4:5], v[0:1], 1.0
	ds_write_b64 v80, v[0:1]
.LBB127_89:
	s_or_b64 exec, exec, s[2:3]
	s_waitcnt lgkmcnt(0)
	s_barrier
	ds_read_b64 v[0:1], v80
	v_cmp_lt_u32_e32 vcc, 17, v82
	s_and_saveexec_b64 s[2:3], vcc
	s_cbranch_execz .LBB127_91
; %bb.90:
	ds_read2_b64 v[4:7], v81 offset0:18 offset1:19
	s_waitcnt lgkmcnt(1)
	v_mul_f64 v[176:177], v[0:1], v[176:177]
	s_waitcnt lgkmcnt(0)
	v_fma_f64 v[238:239], -v[176:177], v[4:5], v[238:239]
	v_fma_f64 v[174:175], -v[176:177], v[6:7], v[174:175]
	ds_read2_b64 v[4:7], v81 offset0:20 offset1:21
	s_waitcnt lgkmcnt(0)
	v_fma_f64 v[236:237], -v[176:177], v[4:5], v[236:237]
	v_fma_f64 v[172:173], -v[176:177], v[6:7], v[172:173]
	ds_read2_b64 v[4:7], v81 offset0:22 offset1:23
	;; [unrolled: 4-line block ×17, first 2 shown]
	s_waitcnt lgkmcnt(0)
	v_fma_f64 v[204:205], -v[176:177], v[4:5], v[204:205]
	s_waitcnt vmcnt(62)
	v_fma_f64 v[140:141], -v[176:177], v[6:7], v[140:141]
	ds_read2_b64 v[4:7], v81 offset0:54 offset1:55
	s_waitcnt vmcnt(59) lgkmcnt(0)
	v_fma_f64 v[202:203], -v[176:177], v[4:5], v[202:203]
	s_waitcnt vmcnt(56)
	v_fma_f64 v[138:139], -v[176:177], v[6:7], v[138:139]
	ds_read2_b64 v[4:7], v81 offset0:56 offset1:57
	s_waitcnt vmcnt(53) lgkmcnt(0)
	;; [unrolled: 5-line block ×5, first 2 shown]
	v_fma_f64 v[194:195], -v[176:177], v[4:5], v[194:195]
	s_waitcnt vmcnt(32)
	v_fma_f64 v[2:3], -v[176:177], v[6:7], v[2:3]
.LBB127_91:
	s_or_b64 exec, exec, s[2:3]
	v_cmp_eq_u32_e32 vcc, 18, v82
	s_waitcnt lgkmcnt(0)
	buffer_store_dword v0, off, s[16:19], 0 offset:520 ; 4-byte Folded Spill
	s_nop 0
	buffer_store_dword v1, off, s[16:19], 0 offset:524 ; 4-byte Folded Spill
	s_waitcnt vmcnt(63) expcnt(7) lgkmcnt(15)
	s_barrier
	s_and_saveexec_b64 s[2:3], vcc
	s_cbranch_execz .LBB127_94
; %bb.92:
	ds_write_b64 v80, v[238:239]
	ds_write2_b64 v81, v[174:175], v[236:237] offset0:19 offset1:20
	ds_write2_b64 v81, v[172:173], v[234:235] offset0:21 offset1:22
	;; [unrolled: 1-line block ×17, first 2 shown]
	s_waitcnt vmcnt(61)
	ds_write2_b64 v81, v[140:141], v[202:203] offset0:53 offset1:54
	s_waitcnt vmcnt(55)
	ds_write2_b64 v81, v[138:139], v[200:201] offset0:55 offset1:56
	;; [unrolled: 2-line block ×5, first 2 shown]
	s_waitcnt vmcnt(34)
	ds_write_b64 v81, v[2:3] offset:504
	ds_read_b64 v[0:1], v80
	s_waitcnt lgkmcnt(0)
	v_cmp_neq_f64_e32 vcc, 0, v[0:1]
	s_and_b64 exec, exec, vcc
	s_cbranch_execz .LBB127_94
; %bb.93:
	v_div_scale_f64 v[4:5], s[6:7], v[0:1], v[0:1], 1.0
	v_rcp_f64_e32 v[6:7], v[4:5]
	v_div_scale_f64 v[8:9], vcc, 1.0, v[0:1], 1.0
	v_fma_f64 v[10:11], -v[4:5], v[6:7], 1.0
	v_fmac_f64_e32 v[6:7], v[6:7], v[10:11]
	v_fma_f64 v[10:11], -v[4:5], v[6:7], 1.0
	v_fmac_f64_e32 v[6:7], v[6:7], v[10:11]
	v_mul_f64 v[10:11], v[8:9], v[6:7]
	v_fma_f64 v[4:5], -v[4:5], v[10:11], v[8:9]
	v_div_fmas_f64 v[4:5], v[4:5], v[6:7], v[10:11]
	v_div_fixup_f64 v[0:1], v[4:5], v[0:1], 1.0
	ds_write_b64 v80, v[0:1]
.LBB127_94:
	s_or_b64 exec, exec, s[2:3]
	s_waitcnt lgkmcnt(0)
	s_barrier
	ds_read_b64 v[0:1], v80
	v_cmp_lt_u32_e32 vcc, 18, v82
	s_waitcnt lgkmcnt(0)
	buffer_store_dword v0, off, s[16:19], 0 offset:432 ; 4-byte Folded Spill
	s_nop 0
	buffer_store_dword v1, off, s[16:19], 0 offset:436 ; 4-byte Folded Spill
	s_and_saveexec_b64 s[2:3], vcc
	s_cbranch_execz .LBB127_96
; %bb.95:
	buffer_load_dword v0, off, s[16:19], 0 offset:432 ; 4-byte Folded Reload
	buffer_load_dword v1, off, s[16:19], 0 offset:436 ; 4-byte Folded Reload
	ds_read2_b64 v[4:7], v81 offset0:19 offset1:20
	s_waitcnt vmcnt(0)
	v_mul_f64 v[238:239], v[0:1], v[238:239]
	ds_read_b64 v[0:1], v81 offset:504
	s_waitcnt lgkmcnt(1)
	v_fma_f64 v[174:175], -v[238:239], v[4:5], v[174:175]
	v_fma_f64 v[236:237], -v[238:239], v[6:7], v[236:237]
	ds_read2_b64 v[4:7], v81 offset0:21 offset1:22
	s_waitcnt lgkmcnt(1)
	v_fma_f64 v[2:3], -v[238:239], v[0:1], v[2:3]
	s_waitcnt lgkmcnt(0)
	v_fma_f64 v[172:173], -v[238:239], v[4:5], v[172:173]
	v_fma_f64 v[234:235], -v[238:239], v[6:7], v[234:235]
	ds_read2_b64 v[4:7], v81 offset0:23 offset1:24
	s_waitcnt lgkmcnt(0)
	v_fma_f64 v[170:171], -v[238:239], v[4:5], v[170:171]
	v_fma_f64 v[232:233], -v[238:239], v[6:7], v[232:233]
	ds_read2_b64 v[4:7], v81 offset0:25 offset1:26
	;; [unrolled: 4-line block ×20, first 2 shown]
	s_waitcnt lgkmcnt(0)
	v_fma_f64 v[132:133], -v[238:239], v[4:5], v[132:133]
	v_fma_f64 v[194:195], -v[238:239], v[6:7], v[194:195]
.LBB127_96:
	s_or_b64 exec, exec, s[2:3]
	v_cmp_eq_u32_e32 vcc, 19, v82
	s_waitcnt vmcnt(63) expcnt(7) lgkmcnt(15)
	s_barrier
	s_and_saveexec_b64 s[2:3], vcc
	s_cbranch_execz .LBB127_99
; %bb.97:
	v_mov_b32_e32 v0, v236
	v_mov_b32_e32 v1, v237
	;; [unrolled: 1-line block ×4, first 2 shown]
	ds_write_b64 v80, v[174:175]
	ds_write2_b64 v81, v[0:1], v[4:5] offset0:20 offset1:21
	v_mov_b32_e32 v0, v234
	v_mov_b32_e32 v1, v235
	v_mov_b32_e32 v4, v170
	v_mov_b32_e32 v5, v171
	ds_write2_b64 v81, v[0:1], v[4:5] offset0:22 offset1:23
	v_mov_b32_e32 v0, v232
	v_mov_b32_e32 v1, v233
	v_mov_b32_e32 v4, v168
	v_mov_b32_e32 v5, v169
	;; [unrolled: 5-line block ×16, first 2 shown]
	ds_write2_b64 v81, v[0:1], v[4:5] offset0:52 offset1:53
	v_mov_b32_e32 v0, v202
	v_mov_b32_e32 v1, v203
	s_waitcnt vmcnt(60)
	v_mov_b32_e32 v4, v138
	v_mov_b32_e32 v5, v139
	ds_write2_b64 v81, v[0:1], v[4:5] offset0:54 offset1:55
	s_waitcnt vmcnt(57)
	v_mov_b32_e32 v0, v200
	v_mov_b32_e32 v1, v201
	s_waitcnt vmcnt(54)
	v_mov_b32_e32 v4, v136
	v_mov_b32_e32 v5, v137
	ds_write2_b64 v81, v[0:1], v[4:5] offset0:56 offset1:57
	s_waitcnt vmcnt(51)
	;; [unrolled: 7-line block ×4, first 2 shown]
	v_mov_b32_e32 v0, v194
	v_mov_b32_e32 v1, v195
	s_waitcnt vmcnt(36)
	ds_write2_b64 v81, v[0:1], v[2:3] offset0:62 offset1:63
	ds_read_b64 v[0:1], v80
	s_waitcnt lgkmcnt(0)
	v_cmp_neq_f64_e32 vcc, 0, v[0:1]
	s_and_b64 exec, exec, vcc
	s_cbranch_execz .LBB127_99
; %bb.98:
	v_div_scale_f64 v[4:5], s[6:7], v[0:1], v[0:1], 1.0
	v_rcp_f64_e32 v[6:7], v[4:5]
	v_div_scale_f64 v[8:9], vcc, 1.0, v[0:1], 1.0
	v_fma_f64 v[10:11], -v[4:5], v[6:7], 1.0
	v_fmac_f64_e32 v[6:7], v[6:7], v[10:11]
	v_fma_f64 v[10:11], -v[4:5], v[6:7], 1.0
	v_fmac_f64_e32 v[6:7], v[6:7], v[10:11]
	v_mul_f64 v[10:11], v[8:9], v[6:7]
	v_fma_f64 v[4:5], -v[4:5], v[10:11], v[8:9]
	v_div_fmas_f64 v[4:5], v[4:5], v[6:7], v[10:11]
	v_div_fixup_f64 v[0:1], v[4:5], v[0:1], 1.0
	ds_write_b64 v80, v[0:1]
.LBB127_99:
	s_or_b64 exec, exec, s[2:3]
	s_waitcnt lgkmcnt(0)
	s_barrier
	ds_read_b64 v[0:1], v80
	v_cmp_lt_u32_e32 vcc, 19, v82
	s_and_saveexec_b64 s[2:3], vcc
	s_cbranch_execz .LBB127_101
; %bb.100:
	ds_read2_b64 v[4:7], v81 offset0:20 offset1:21
	s_waitcnt lgkmcnt(1)
	v_mul_f64 v[174:175], v[0:1], v[174:175]
	s_waitcnt lgkmcnt(0)
	v_fma_f64 v[236:237], -v[174:175], v[4:5], v[236:237]
	v_fma_f64 v[172:173], -v[174:175], v[6:7], v[172:173]
	ds_read2_b64 v[4:7], v81 offset0:22 offset1:23
	s_waitcnt lgkmcnt(0)
	v_fma_f64 v[234:235], -v[174:175], v[4:5], v[234:235]
	v_fma_f64 v[170:171], -v[174:175], v[6:7], v[170:171]
	ds_read2_b64 v[4:7], v81 offset0:24 offset1:25
	;; [unrolled: 4-line block ×17, first 2 shown]
	s_waitcnt lgkmcnt(0)
	v_fma_f64 v[202:203], -v[174:175], v[4:5], v[202:203]
	s_waitcnt vmcnt(60)
	v_fma_f64 v[138:139], -v[174:175], v[6:7], v[138:139]
	ds_read2_b64 v[4:7], v81 offset0:56 offset1:57
	s_waitcnt vmcnt(57) lgkmcnt(0)
	v_fma_f64 v[200:201], -v[174:175], v[4:5], v[200:201]
	s_waitcnt vmcnt(54)
	v_fma_f64 v[136:137], -v[174:175], v[6:7], v[136:137]
	ds_read2_b64 v[4:7], v81 offset0:58 offset1:59
	s_waitcnt vmcnt(51) lgkmcnt(0)
	;; [unrolled: 5-line block ×4, first 2 shown]
	v_fma_f64 v[194:195], -v[174:175], v[4:5], v[194:195]
	s_waitcnt vmcnt(36)
	v_fma_f64 v[2:3], -v[174:175], v[6:7], v[2:3]
.LBB127_101:
	s_or_b64 exec, exec, s[2:3]
	v_cmp_eq_u32_e32 vcc, 20, v82
	s_waitcnt lgkmcnt(0)
	buffer_store_dword v0, off, s[16:19], 0 offset:528 ; 4-byte Folded Spill
	s_nop 0
	buffer_store_dword v1, off, s[16:19], 0 offset:532 ; 4-byte Folded Spill
	s_waitcnt vmcnt(63) expcnt(7) lgkmcnt(15)
	s_barrier
	s_and_saveexec_b64 s[2:3], vcc
	s_cbranch_execz .LBB127_104
; %bb.102:
	ds_write_b64 v80, v[236:237]
	ds_write2_b64 v81, v[172:173], v[234:235] offset0:21 offset1:22
	ds_write2_b64 v81, v[170:171], v[232:233] offset0:23 offset1:24
	ds_write2_b64 v81, v[168:169], v[230:231] offset0:25 offset1:26
	ds_write2_b64 v81, v[166:167], v[228:229] offset0:27 offset1:28
	ds_write2_b64 v81, v[164:165], v[226:227] offset0:29 offset1:30
	ds_write2_b64 v81, v[162:163], v[224:225] offset0:31 offset1:32
	ds_write2_b64 v81, v[160:161], v[222:223] offset0:33 offset1:34
	ds_write2_b64 v81, v[158:159], v[220:221] offset0:35 offset1:36
	ds_write2_b64 v81, v[156:157], v[218:219] offset0:37 offset1:38
	ds_write2_b64 v81, v[154:155], v[216:217] offset0:39 offset1:40
	ds_write2_b64 v81, v[152:153], v[214:215] offset0:41 offset1:42
	ds_write2_b64 v81, v[150:151], v[212:213] offset0:43 offset1:44
	ds_write2_b64 v81, v[148:149], v[210:211] offset0:45 offset1:46
	ds_write2_b64 v81, v[146:147], v[208:209] offset0:47 offset1:48
	ds_write2_b64 v81, v[144:145], v[206:207] offset0:49 offset1:50
	ds_write2_b64 v81, v[142:143], v[204:205] offset0:51 offset1:52
	ds_write2_b64 v81, v[140:141], v[202:203] offset0:53 offset1:54
	s_waitcnt vmcnt(59)
	ds_write2_b64 v81, v[138:139], v[200:201] offset0:55 offset1:56
	s_waitcnt vmcnt(53)
	ds_write2_b64 v81, v[136:137], v[198:199] offset0:57 offset1:58
	;; [unrolled: 2-line block ×4, first 2 shown]
	s_waitcnt vmcnt(38)
	ds_write_b64 v81, v[2:3] offset:504
	ds_read_b64 v[0:1], v80
	s_waitcnt lgkmcnt(0)
	v_cmp_neq_f64_e32 vcc, 0, v[0:1]
	s_and_b64 exec, exec, vcc
	s_cbranch_execz .LBB127_104
; %bb.103:
	v_div_scale_f64 v[4:5], s[6:7], v[0:1], v[0:1], 1.0
	v_rcp_f64_e32 v[6:7], v[4:5]
	v_div_scale_f64 v[8:9], vcc, 1.0, v[0:1], 1.0
	v_fma_f64 v[10:11], -v[4:5], v[6:7], 1.0
	v_fmac_f64_e32 v[6:7], v[6:7], v[10:11]
	v_fma_f64 v[10:11], -v[4:5], v[6:7], 1.0
	v_fmac_f64_e32 v[6:7], v[6:7], v[10:11]
	v_mul_f64 v[10:11], v[8:9], v[6:7]
	v_fma_f64 v[4:5], -v[4:5], v[10:11], v[8:9]
	v_div_fmas_f64 v[4:5], v[4:5], v[6:7], v[10:11]
	v_div_fixup_f64 v[0:1], v[4:5], v[0:1], 1.0
	ds_write_b64 v80, v[0:1]
.LBB127_104:
	s_or_b64 exec, exec, s[2:3]
	s_waitcnt lgkmcnt(0)
	s_barrier
	ds_read_b64 v[0:1], v80
	v_cmp_lt_u32_e32 vcc, 20, v82
	s_waitcnt lgkmcnt(0)
	buffer_store_dword v0, off, s[16:19], 0 offset:440 ; 4-byte Folded Spill
	s_nop 0
	buffer_store_dword v1, off, s[16:19], 0 offset:444 ; 4-byte Folded Spill
	s_and_saveexec_b64 s[2:3], vcc
	s_cbranch_execz .LBB127_106
; %bb.105:
	buffer_load_dword v0, off, s[16:19], 0 offset:440 ; 4-byte Folded Reload
	buffer_load_dword v1, off, s[16:19], 0 offset:444 ; 4-byte Folded Reload
	ds_read2_b64 v[4:7], v81 offset0:21 offset1:22
	s_waitcnt vmcnt(0)
	v_mul_f64 v[236:237], v[0:1], v[236:237]
	ds_read_b64 v[0:1], v81 offset:504
	s_waitcnt lgkmcnt(1)
	v_fma_f64 v[172:173], -v[236:237], v[4:5], v[172:173]
	v_fma_f64 v[234:235], -v[236:237], v[6:7], v[234:235]
	ds_read2_b64 v[4:7], v81 offset0:23 offset1:24
	s_waitcnt lgkmcnt(1)
	v_fma_f64 v[2:3], -v[236:237], v[0:1], v[2:3]
	s_waitcnt lgkmcnt(0)
	v_fma_f64 v[170:171], -v[236:237], v[4:5], v[170:171]
	v_fma_f64 v[232:233], -v[236:237], v[6:7], v[232:233]
	ds_read2_b64 v[4:7], v81 offset0:25 offset1:26
	s_waitcnt lgkmcnt(0)
	v_fma_f64 v[168:169], -v[236:237], v[4:5], v[168:169]
	v_fma_f64 v[230:231], -v[236:237], v[6:7], v[230:231]
	ds_read2_b64 v[4:7], v81 offset0:27 offset1:28
	s_waitcnt lgkmcnt(0)
	v_fma_f64 v[166:167], -v[236:237], v[4:5], v[166:167]
	v_fma_f64 v[228:229], -v[236:237], v[6:7], v[228:229]
	ds_read2_b64 v[4:7], v81 offset0:29 offset1:30
	s_waitcnt lgkmcnt(0)
	v_fma_f64 v[164:165], -v[236:237], v[4:5], v[164:165]
	v_fma_f64 v[226:227], -v[236:237], v[6:7], v[226:227]
	ds_read2_b64 v[4:7], v81 offset0:31 offset1:32
	s_waitcnt lgkmcnt(0)
	v_fma_f64 v[162:163], -v[236:237], v[4:5], v[162:163]
	v_fma_f64 v[224:225], -v[236:237], v[6:7], v[224:225]
	ds_read2_b64 v[4:7], v81 offset0:33 offset1:34
	s_waitcnt lgkmcnt(0)
	v_fma_f64 v[160:161], -v[236:237], v[4:5], v[160:161]
	v_fma_f64 v[222:223], -v[236:237], v[6:7], v[222:223]
	ds_read2_b64 v[4:7], v81 offset0:35 offset1:36
	s_waitcnt lgkmcnt(0)
	v_fma_f64 v[158:159], -v[236:237], v[4:5], v[158:159]
	v_fma_f64 v[220:221], -v[236:237], v[6:7], v[220:221]
	ds_read2_b64 v[4:7], v81 offset0:37 offset1:38
	s_waitcnt lgkmcnt(0)
	v_fma_f64 v[156:157], -v[236:237], v[4:5], v[156:157]
	v_fma_f64 v[218:219], -v[236:237], v[6:7], v[218:219]
	ds_read2_b64 v[4:7], v81 offset0:39 offset1:40
	s_waitcnt lgkmcnt(0)
	v_fma_f64 v[154:155], -v[236:237], v[4:5], v[154:155]
	v_fma_f64 v[216:217], -v[236:237], v[6:7], v[216:217]
	ds_read2_b64 v[4:7], v81 offset0:41 offset1:42
	s_waitcnt lgkmcnt(0)
	v_fma_f64 v[152:153], -v[236:237], v[4:5], v[152:153]
	v_fma_f64 v[214:215], -v[236:237], v[6:7], v[214:215]
	ds_read2_b64 v[4:7], v81 offset0:43 offset1:44
	s_waitcnt lgkmcnt(0)
	v_fma_f64 v[150:151], -v[236:237], v[4:5], v[150:151]
	v_fma_f64 v[212:213], -v[236:237], v[6:7], v[212:213]
	ds_read2_b64 v[4:7], v81 offset0:45 offset1:46
	s_waitcnt lgkmcnt(0)
	v_fma_f64 v[148:149], -v[236:237], v[4:5], v[148:149]
	v_fma_f64 v[210:211], -v[236:237], v[6:7], v[210:211]
	ds_read2_b64 v[4:7], v81 offset0:47 offset1:48
	s_waitcnt lgkmcnt(0)
	v_fma_f64 v[146:147], -v[236:237], v[4:5], v[146:147]
	v_fma_f64 v[208:209], -v[236:237], v[6:7], v[208:209]
	ds_read2_b64 v[4:7], v81 offset0:49 offset1:50
	s_waitcnt lgkmcnt(0)
	v_fma_f64 v[144:145], -v[236:237], v[4:5], v[144:145]
	v_fma_f64 v[206:207], -v[236:237], v[6:7], v[206:207]
	ds_read2_b64 v[4:7], v81 offset0:51 offset1:52
	s_waitcnt lgkmcnt(0)
	v_fma_f64 v[142:143], -v[236:237], v[4:5], v[142:143]
	v_fma_f64 v[204:205], -v[236:237], v[6:7], v[204:205]
	ds_read2_b64 v[4:7], v81 offset0:53 offset1:54
	s_waitcnt lgkmcnt(0)
	v_fma_f64 v[140:141], -v[236:237], v[4:5], v[140:141]
	v_fma_f64 v[202:203], -v[236:237], v[6:7], v[202:203]
	ds_read2_b64 v[4:7], v81 offset0:55 offset1:56
	s_waitcnt lgkmcnt(0)
	v_fma_f64 v[138:139], -v[236:237], v[4:5], v[138:139]
	v_fma_f64 v[200:201], -v[236:237], v[6:7], v[200:201]
	ds_read2_b64 v[4:7], v81 offset0:57 offset1:58
	s_waitcnt lgkmcnt(0)
	v_fma_f64 v[136:137], -v[236:237], v[4:5], v[136:137]
	v_fma_f64 v[198:199], -v[236:237], v[6:7], v[198:199]
	ds_read2_b64 v[4:7], v81 offset0:59 offset1:60
	s_waitcnt lgkmcnt(0)
	v_fma_f64 v[134:135], -v[236:237], v[4:5], v[134:135]
	v_fma_f64 v[196:197], -v[236:237], v[6:7], v[196:197]
	ds_read2_b64 v[4:7], v81 offset0:61 offset1:62
	s_waitcnt lgkmcnt(0)
	v_fma_f64 v[132:133], -v[236:237], v[4:5], v[132:133]
	v_fma_f64 v[194:195], -v[236:237], v[6:7], v[194:195]
.LBB127_106:
	s_or_b64 exec, exec, s[2:3]
	v_cmp_eq_u32_e32 vcc, 21, v82
	s_waitcnt vmcnt(63) expcnt(7) lgkmcnt(15)
	s_barrier
	s_and_saveexec_b64 s[2:3], vcc
	s_cbranch_execz .LBB127_109
; %bb.107:
	v_mov_b32_e32 v0, v234
	v_mov_b32_e32 v1, v235
	;; [unrolled: 1-line block ×4, first 2 shown]
	ds_write_b64 v80, v[172:173]
	ds_write2_b64 v81, v[0:1], v[4:5] offset0:22 offset1:23
	v_mov_b32_e32 v0, v232
	v_mov_b32_e32 v1, v233
	v_mov_b32_e32 v4, v168
	v_mov_b32_e32 v5, v169
	ds_write2_b64 v81, v[0:1], v[4:5] offset0:24 offset1:25
	v_mov_b32_e32 v0, v230
	v_mov_b32_e32 v1, v231
	v_mov_b32_e32 v4, v166
	v_mov_b32_e32 v5, v167
	;; [unrolled: 5-line block ×16, first 2 shown]
	ds_write2_b64 v81, v[0:1], v[4:5] offset0:54 offset1:55
	s_waitcnt vmcnt(61)
	v_mov_b32_e32 v0, v200
	v_mov_b32_e32 v1, v201
	s_waitcnt vmcnt(58)
	v_mov_b32_e32 v4, v136
	v_mov_b32_e32 v5, v137
	ds_write2_b64 v81, v[0:1], v[4:5] offset0:56 offset1:57
	s_waitcnt vmcnt(55)
	v_mov_b32_e32 v0, v198
	v_mov_b32_e32 v1, v199
	s_waitcnt vmcnt(52)
	v_mov_b32_e32 v4, v134
	v_mov_b32_e32 v5, v135
	ds_write2_b64 v81, v[0:1], v[4:5] offset0:58 offset1:59
	s_waitcnt vmcnt(49)
	v_mov_b32_e32 v0, v196
	v_mov_b32_e32 v1, v197
	s_waitcnt vmcnt(46)
	v_mov_b32_e32 v4, v132
	v_mov_b32_e32 v5, v133
	ds_write2_b64 v81, v[0:1], v[4:5] offset0:60 offset1:61
	s_waitcnt vmcnt(43)
	v_mov_b32_e32 v0, v194
	v_mov_b32_e32 v1, v195
	s_waitcnt vmcnt(40)
	ds_write2_b64 v81, v[0:1], v[2:3] offset0:62 offset1:63
	ds_read_b64 v[0:1], v80
	s_waitcnt lgkmcnt(0)
	v_cmp_neq_f64_e32 vcc, 0, v[0:1]
	s_and_b64 exec, exec, vcc
	s_cbranch_execz .LBB127_109
; %bb.108:
	v_div_scale_f64 v[4:5], s[6:7], v[0:1], v[0:1], 1.0
	v_rcp_f64_e32 v[6:7], v[4:5]
	v_div_scale_f64 v[8:9], vcc, 1.0, v[0:1], 1.0
	v_fma_f64 v[10:11], -v[4:5], v[6:7], 1.0
	v_fmac_f64_e32 v[6:7], v[6:7], v[10:11]
	v_fma_f64 v[10:11], -v[4:5], v[6:7], 1.0
	v_fmac_f64_e32 v[6:7], v[6:7], v[10:11]
	v_mul_f64 v[10:11], v[8:9], v[6:7]
	v_fma_f64 v[4:5], -v[4:5], v[10:11], v[8:9]
	v_div_fmas_f64 v[4:5], v[4:5], v[6:7], v[10:11]
	v_div_fixup_f64 v[0:1], v[4:5], v[0:1], 1.0
	ds_write_b64 v80, v[0:1]
.LBB127_109:
	s_or_b64 exec, exec, s[2:3]
	s_waitcnt lgkmcnt(0)
	s_barrier
	ds_read_b64 v[0:1], v80
	v_cmp_lt_u32_e32 vcc, 21, v82
	s_and_saveexec_b64 s[2:3], vcc
	s_cbranch_execz .LBB127_111
; %bb.110:
	ds_read2_b64 v[4:7], v81 offset0:22 offset1:23
	s_waitcnt lgkmcnt(1)
	v_mul_f64 v[172:173], v[0:1], v[172:173]
	s_waitcnt lgkmcnt(0)
	v_fma_f64 v[234:235], -v[172:173], v[4:5], v[234:235]
	v_fma_f64 v[170:171], -v[172:173], v[6:7], v[170:171]
	ds_read2_b64 v[4:7], v81 offset0:24 offset1:25
	s_waitcnt lgkmcnt(0)
	v_fma_f64 v[232:233], -v[172:173], v[4:5], v[232:233]
	v_fma_f64 v[168:169], -v[172:173], v[6:7], v[168:169]
	ds_read2_b64 v[4:7], v81 offset0:26 offset1:27
	;; [unrolled: 4-line block ×17, first 2 shown]
	s_waitcnt vmcnt(61) lgkmcnt(0)
	v_fma_f64 v[200:201], -v[172:173], v[4:5], v[200:201]
	s_waitcnt vmcnt(58)
	v_fma_f64 v[136:137], -v[172:173], v[6:7], v[136:137]
	ds_read2_b64 v[4:7], v81 offset0:58 offset1:59
	s_waitcnt vmcnt(55) lgkmcnt(0)
	v_fma_f64 v[198:199], -v[172:173], v[4:5], v[198:199]
	s_waitcnt vmcnt(52)
	v_fma_f64 v[134:135], -v[172:173], v[6:7], v[134:135]
	ds_read2_b64 v[4:7], v81 offset0:60 offset1:61
	;; [unrolled: 5-line block ×3, first 2 shown]
	s_waitcnt vmcnt(43) lgkmcnt(0)
	v_fma_f64 v[194:195], -v[172:173], v[4:5], v[194:195]
	s_waitcnt vmcnt(40)
	v_fma_f64 v[2:3], -v[172:173], v[6:7], v[2:3]
.LBB127_111:
	s_or_b64 exec, exec, s[2:3]
	v_cmp_eq_u32_e32 vcc, 22, v82
	s_waitcnt lgkmcnt(0)
	buffer_store_dword v0, off, s[16:19], 0 offset:536 ; 4-byte Folded Spill
	s_nop 0
	buffer_store_dword v1, off, s[16:19], 0 offset:540 ; 4-byte Folded Spill
	s_waitcnt vmcnt(63) expcnt(7) lgkmcnt(15)
	s_barrier
	s_and_saveexec_b64 s[2:3], vcc
	s_cbranch_execz .LBB127_114
; %bb.112:
	ds_write_b64 v80, v[234:235]
	ds_write2_b64 v81, v[170:171], v[232:233] offset0:23 offset1:24
	ds_write2_b64 v81, v[168:169], v[230:231] offset0:25 offset1:26
	;; [unrolled: 1-line block ×17, first 2 shown]
	s_waitcnt vmcnt(57)
	ds_write2_b64 v81, v[136:137], v[198:199] offset0:57 offset1:58
	s_waitcnt vmcnt(51)
	ds_write2_b64 v81, v[134:135], v[196:197] offset0:59 offset1:60
	;; [unrolled: 2-line block ×3, first 2 shown]
	s_waitcnt vmcnt(42)
	ds_write_b64 v81, v[2:3] offset:504
	ds_read_b64 v[0:1], v80
	s_waitcnt lgkmcnt(0)
	v_cmp_neq_f64_e32 vcc, 0, v[0:1]
	s_and_b64 exec, exec, vcc
	s_cbranch_execz .LBB127_114
; %bb.113:
	v_div_scale_f64 v[4:5], s[6:7], v[0:1], v[0:1], 1.0
	v_rcp_f64_e32 v[6:7], v[4:5]
	v_div_scale_f64 v[8:9], vcc, 1.0, v[0:1], 1.0
	v_fma_f64 v[10:11], -v[4:5], v[6:7], 1.0
	v_fmac_f64_e32 v[6:7], v[6:7], v[10:11]
	v_fma_f64 v[10:11], -v[4:5], v[6:7], 1.0
	v_fmac_f64_e32 v[6:7], v[6:7], v[10:11]
	v_mul_f64 v[10:11], v[8:9], v[6:7]
	v_fma_f64 v[4:5], -v[4:5], v[10:11], v[8:9]
	v_div_fmas_f64 v[4:5], v[4:5], v[6:7], v[10:11]
	v_div_fixup_f64 v[0:1], v[4:5], v[0:1], 1.0
	ds_write_b64 v80, v[0:1]
.LBB127_114:
	s_or_b64 exec, exec, s[2:3]
	s_waitcnt lgkmcnt(0)
	s_barrier
	ds_read_b64 v[0:1], v80
	v_cmp_lt_u32_e32 vcc, 22, v82
	s_waitcnt lgkmcnt(0)
	buffer_store_dword v0, off, s[16:19], 0 offset:448 ; 4-byte Folded Spill
	s_nop 0
	buffer_store_dword v1, off, s[16:19], 0 offset:452 ; 4-byte Folded Spill
	s_and_saveexec_b64 s[2:3], vcc
	s_cbranch_execz .LBB127_116
; %bb.115:
	buffer_load_dword v0, off, s[16:19], 0 offset:448 ; 4-byte Folded Reload
	buffer_load_dword v1, off, s[16:19], 0 offset:452 ; 4-byte Folded Reload
	ds_read2_b64 v[4:7], v81 offset0:23 offset1:24
	s_waitcnt vmcnt(0)
	v_mul_f64 v[234:235], v[0:1], v[234:235]
	ds_read_b64 v[0:1], v81 offset:504
	s_waitcnt lgkmcnt(1)
	v_fma_f64 v[170:171], -v[234:235], v[4:5], v[170:171]
	v_fma_f64 v[232:233], -v[234:235], v[6:7], v[232:233]
	ds_read2_b64 v[4:7], v81 offset0:25 offset1:26
	s_waitcnt lgkmcnt(1)
	v_fma_f64 v[2:3], -v[234:235], v[0:1], v[2:3]
	s_waitcnt lgkmcnt(0)
	v_fma_f64 v[168:169], -v[234:235], v[4:5], v[168:169]
	v_fma_f64 v[230:231], -v[234:235], v[6:7], v[230:231]
	ds_read2_b64 v[4:7], v81 offset0:27 offset1:28
	s_waitcnt lgkmcnt(0)
	v_fma_f64 v[166:167], -v[234:235], v[4:5], v[166:167]
	v_fma_f64 v[228:229], -v[234:235], v[6:7], v[228:229]
	ds_read2_b64 v[4:7], v81 offset0:29 offset1:30
	;; [unrolled: 4-line block ×18, first 2 shown]
	s_waitcnt lgkmcnt(0)
	v_fma_f64 v[132:133], -v[234:235], v[4:5], v[132:133]
	v_fma_f64 v[194:195], -v[234:235], v[6:7], v[194:195]
.LBB127_116:
	s_or_b64 exec, exec, s[2:3]
	v_cmp_eq_u32_e32 vcc, 23, v82
	s_waitcnt vmcnt(63) expcnt(7) lgkmcnt(15)
	s_barrier
	s_and_saveexec_b64 s[2:3], vcc
	s_cbranch_execz .LBB127_119
; %bb.117:
	v_mov_b32_e32 v0, v232
	v_mov_b32_e32 v1, v233
	;; [unrolled: 1-line block ×4, first 2 shown]
	ds_write_b64 v80, v[170:171]
	ds_write2_b64 v81, v[0:1], v[4:5] offset0:24 offset1:25
	v_mov_b32_e32 v0, v230
	v_mov_b32_e32 v1, v231
	v_mov_b32_e32 v4, v166
	v_mov_b32_e32 v5, v167
	ds_write2_b64 v81, v[0:1], v[4:5] offset0:26 offset1:27
	v_mov_b32_e32 v0, v228
	v_mov_b32_e32 v1, v229
	v_mov_b32_e32 v4, v164
	v_mov_b32_e32 v5, v165
	;; [unrolled: 5-line block ×15, first 2 shown]
	ds_write2_b64 v81, v[0:1], v[4:5] offset0:54 offset1:55
	v_mov_b32_e32 v0, v200
	v_mov_b32_e32 v1, v201
	s_waitcnt vmcnt(62)
	v_mov_b32_e32 v4, v136
	v_mov_b32_e32 v5, v137
	ds_write2_b64 v81, v[0:1], v[4:5] offset0:56 offset1:57
	s_waitcnt vmcnt(59)
	v_mov_b32_e32 v0, v198
	v_mov_b32_e32 v1, v199
	s_waitcnt vmcnt(56)
	v_mov_b32_e32 v4, v134
	v_mov_b32_e32 v5, v135
	ds_write2_b64 v81, v[0:1], v[4:5] offset0:58 offset1:59
	s_waitcnt vmcnt(53)
	;; [unrolled: 7-line block ×3, first 2 shown]
	v_mov_b32_e32 v0, v194
	v_mov_b32_e32 v1, v195
	s_waitcnt vmcnt(44)
	ds_write2_b64 v81, v[0:1], v[2:3] offset0:62 offset1:63
	ds_read_b64 v[0:1], v80
	s_waitcnt lgkmcnt(0)
	v_cmp_neq_f64_e32 vcc, 0, v[0:1]
	s_and_b64 exec, exec, vcc
	s_cbranch_execz .LBB127_119
; %bb.118:
	v_div_scale_f64 v[4:5], s[6:7], v[0:1], v[0:1], 1.0
	v_rcp_f64_e32 v[6:7], v[4:5]
	v_div_scale_f64 v[8:9], vcc, 1.0, v[0:1], 1.0
	v_fma_f64 v[10:11], -v[4:5], v[6:7], 1.0
	v_fmac_f64_e32 v[6:7], v[6:7], v[10:11]
	v_fma_f64 v[10:11], -v[4:5], v[6:7], 1.0
	v_fmac_f64_e32 v[6:7], v[6:7], v[10:11]
	v_mul_f64 v[10:11], v[8:9], v[6:7]
	v_fma_f64 v[4:5], -v[4:5], v[10:11], v[8:9]
	v_div_fmas_f64 v[4:5], v[4:5], v[6:7], v[10:11]
	v_div_fixup_f64 v[0:1], v[4:5], v[0:1], 1.0
	ds_write_b64 v80, v[0:1]
.LBB127_119:
	s_or_b64 exec, exec, s[2:3]
	s_waitcnt lgkmcnt(0)
	s_barrier
	ds_read_b64 v[0:1], v80
	v_cmp_lt_u32_e32 vcc, 23, v82
	s_and_saveexec_b64 s[2:3], vcc
	s_cbranch_execz .LBB127_121
; %bb.120:
	ds_read2_b64 v[4:7], v81 offset0:24 offset1:25
	s_waitcnt lgkmcnt(1)
	v_mul_f64 v[170:171], v[0:1], v[170:171]
	s_waitcnt lgkmcnt(0)
	v_fma_f64 v[232:233], -v[170:171], v[4:5], v[232:233]
	v_fma_f64 v[168:169], -v[170:171], v[6:7], v[168:169]
	ds_read2_b64 v[4:7], v81 offset0:26 offset1:27
	s_waitcnt lgkmcnt(0)
	v_fma_f64 v[230:231], -v[170:171], v[4:5], v[230:231]
	v_fma_f64 v[166:167], -v[170:171], v[6:7], v[166:167]
	ds_read2_b64 v[4:7], v81 offset0:28 offset1:29
	;; [unrolled: 4-line block ×16, first 2 shown]
	s_waitcnt lgkmcnt(0)
	v_fma_f64 v[200:201], -v[170:171], v[4:5], v[200:201]
	s_waitcnt vmcnt(62)
	v_fma_f64 v[136:137], -v[170:171], v[6:7], v[136:137]
	ds_read2_b64 v[4:7], v81 offset0:58 offset1:59
	s_waitcnt vmcnt(59) lgkmcnt(0)
	v_fma_f64 v[198:199], -v[170:171], v[4:5], v[198:199]
	s_waitcnt vmcnt(56)
	v_fma_f64 v[134:135], -v[170:171], v[6:7], v[134:135]
	ds_read2_b64 v[4:7], v81 offset0:60 offset1:61
	s_waitcnt vmcnt(53) lgkmcnt(0)
	;; [unrolled: 5-line block ×3, first 2 shown]
	v_fma_f64 v[194:195], -v[170:171], v[4:5], v[194:195]
	s_waitcnt vmcnt(44)
	v_fma_f64 v[2:3], -v[170:171], v[6:7], v[2:3]
.LBB127_121:
	s_or_b64 exec, exec, s[2:3]
	v_cmp_eq_u32_e32 vcc, 24, v82
	s_waitcnt lgkmcnt(0)
	buffer_store_dword v0, off, s[16:19], 0 offset:544 ; 4-byte Folded Spill
	s_nop 0
	buffer_store_dword v1, off, s[16:19], 0 offset:548 ; 4-byte Folded Spill
	s_waitcnt vmcnt(63) expcnt(7) lgkmcnt(15)
	s_barrier
	s_and_saveexec_b64 s[2:3], vcc
	s_cbranch_execz .LBB127_124
; %bb.122:
	ds_write_b64 v80, v[232:233]
	ds_write2_b64 v81, v[168:169], v[230:231] offset0:25 offset1:26
	ds_write2_b64 v81, v[166:167], v[228:229] offset0:27 offset1:28
	;; [unrolled: 1-line block ×16, first 2 shown]
	s_waitcnt vmcnt(61)
	ds_write2_b64 v81, v[136:137], v[198:199] offset0:57 offset1:58
	s_waitcnt vmcnt(55)
	ds_write2_b64 v81, v[134:135], v[196:197] offset0:59 offset1:60
	;; [unrolled: 2-line block ×3, first 2 shown]
	s_waitcnt vmcnt(46)
	ds_write_b64 v81, v[2:3] offset:504
	ds_read_b64 v[0:1], v80
	s_waitcnt lgkmcnt(0)
	v_cmp_neq_f64_e32 vcc, 0, v[0:1]
	s_and_b64 exec, exec, vcc
	s_cbranch_execz .LBB127_124
; %bb.123:
	v_div_scale_f64 v[4:5], s[6:7], v[0:1], v[0:1], 1.0
	v_rcp_f64_e32 v[6:7], v[4:5]
	v_div_scale_f64 v[8:9], vcc, 1.0, v[0:1], 1.0
	v_fma_f64 v[10:11], -v[4:5], v[6:7], 1.0
	v_fmac_f64_e32 v[6:7], v[6:7], v[10:11]
	v_fma_f64 v[10:11], -v[4:5], v[6:7], 1.0
	v_fmac_f64_e32 v[6:7], v[6:7], v[10:11]
	v_mul_f64 v[10:11], v[8:9], v[6:7]
	v_fma_f64 v[4:5], -v[4:5], v[10:11], v[8:9]
	v_div_fmas_f64 v[4:5], v[4:5], v[6:7], v[10:11]
	v_div_fixup_f64 v[0:1], v[4:5], v[0:1], 1.0
	ds_write_b64 v80, v[0:1]
.LBB127_124:
	s_or_b64 exec, exec, s[2:3]
	s_waitcnt lgkmcnt(0)
	s_barrier
	ds_read_b64 v[0:1], v80
	v_cmp_lt_u32_e32 vcc, 24, v82
	s_waitcnt lgkmcnt(0)
	buffer_store_dword v0, off, s[16:19], 0 offset:456 ; 4-byte Folded Spill
	s_nop 0
	buffer_store_dword v1, off, s[16:19], 0 offset:460 ; 4-byte Folded Spill
	s_and_saveexec_b64 s[2:3], vcc
	s_cbranch_execz .LBB127_126
; %bb.125:
	buffer_load_dword v0, off, s[16:19], 0 offset:456 ; 4-byte Folded Reload
	buffer_load_dword v1, off, s[16:19], 0 offset:460 ; 4-byte Folded Reload
	ds_read2_b64 v[4:7], v81 offset0:25 offset1:26
	s_waitcnt vmcnt(0)
	v_mul_f64 v[232:233], v[0:1], v[232:233]
	s_waitcnt lgkmcnt(0)
	v_fma_f64 v[168:169], -v[232:233], v[4:5], v[168:169]
	v_fma_f64 v[230:231], -v[232:233], v[6:7], v[230:231]
	ds_read2_b64 v[4:7], v81 offset0:27 offset1:28
	s_waitcnt lgkmcnt(0)
	v_fma_f64 v[166:167], -v[232:233], v[4:5], v[166:167]
	v_fma_f64 v[228:229], -v[232:233], v[6:7], v[228:229]
	ds_read2_b64 v[4:7], v81 offset0:29 offset1:30
	;; [unrolled: 4-line block ×18, first 2 shown]
	s_waitcnt lgkmcnt(0)
	v_fma_f64 v[132:133], -v[232:233], v[4:5], v[132:133]
	ds_read_b64 v[4:5], v81 offset:504
	v_fma_f64 v[194:195], -v[232:233], v[6:7], v[194:195]
	s_waitcnt lgkmcnt(0)
	v_fma_f64 v[2:3], -v[232:233], v[4:5], v[2:3]
.LBB127_126:
	s_or_b64 exec, exec, s[2:3]
	v_cmp_eq_u32_e32 vcc, 25, v82
	s_waitcnt vmcnt(63) expcnt(7) lgkmcnt(15)
	s_barrier
	s_and_saveexec_b64 s[2:3], vcc
	s_cbranch_execz .LBB127_129
; %bb.127:
	v_mov_b32_e32 v4, v230
	v_mov_b32_e32 v5, v231
	;; [unrolled: 1-line block ×4, first 2 shown]
	ds_write_b64 v80, v[168:169]
	ds_write2_b64 v81, v[4:5], v[6:7] offset0:26 offset1:27
	v_mov_b32_e32 v4, v228
	v_mov_b32_e32 v5, v229
	v_mov_b32_e32 v6, v164
	v_mov_b32_e32 v7, v165
	ds_write2_b64 v81, v[4:5], v[6:7] offset0:28 offset1:29
	v_mov_b32_e32 v4, v226
	v_mov_b32_e32 v5, v227
	v_mov_b32_e32 v6, v162
	v_mov_b32_e32 v7, v163
	;; [unrolled: 5-line block ×15, first 2 shown]
	ds_write2_b64 v81, v[4:5], v[6:7] offset0:56 offset1:57
	v_mov_b32_e32 v4, v198
	v_mov_b32_e32 v5, v199
	s_waitcnt vmcnt(60)
	v_mov_b32_e32 v6, v134
	v_mov_b32_e32 v7, v135
	ds_write2_b64 v81, v[4:5], v[6:7] offset0:58 offset1:59
	s_waitcnt vmcnt(57)
	v_mov_b32_e32 v4, v196
	v_mov_b32_e32 v5, v197
	s_waitcnt vmcnt(54)
	v_mov_b32_e32 v6, v132
	v_mov_b32_e32 v7, v133
	ds_write2_b64 v81, v[4:5], v[6:7] offset0:60 offset1:61
	s_waitcnt vmcnt(51)
	v_mov_b32_e32 v4, v194
	v_mov_b32_e32 v5, v195
	s_waitcnt vmcnt(48)
	ds_write2_b64 v81, v[4:5], v[2:3] offset0:62 offset1:63
	ds_read_b64 v[4:5], v80
	s_waitcnt lgkmcnt(0)
	v_cmp_neq_f64_e32 vcc, 0, v[4:5]
	s_and_b64 exec, exec, vcc
	s_cbranch_execz .LBB127_129
; %bb.128:
	v_div_scale_f64 v[6:7], s[6:7], v[4:5], v[4:5], 1.0
	v_rcp_f64_e32 v[8:9], v[6:7]
	v_div_scale_f64 v[10:11], vcc, 1.0, v[4:5], 1.0
	v_fma_f64 v[12:13], -v[6:7], v[8:9], 1.0
	v_fmac_f64_e32 v[8:9], v[8:9], v[12:13]
	v_fma_f64 v[12:13], -v[6:7], v[8:9], 1.0
	v_fmac_f64_e32 v[8:9], v[8:9], v[12:13]
	v_mul_f64 v[12:13], v[10:11], v[8:9]
	v_fma_f64 v[6:7], -v[6:7], v[12:13], v[10:11]
	v_div_fmas_f64 v[6:7], v[6:7], v[8:9], v[12:13]
	v_div_fixup_f64 v[4:5], v[6:7], v[4:5], 1.0
	ds_write_b64 v80, v[4:5]
.LBB127_129:
	s_or_b64 exec, exec, s[2:3]
	s_waitcnt lgkmcnt(0)
	s_barrier
	ds_read_b64 v[4:5], v80
	v_cmp_lt_u32_e32 vcc, 25, v82
	s_and_saveexec_b64 s[2:3], vcc
	s_cbranch_execz .LBB127_131
; %bb.130:
	ds_read2_b64 v[6:9], v81 offset0:26 offset1:27
	s_waitcnt lgkmcnt(1)
	v_mul_f64 v[168:169], v[4:5], v[168:169]
	s_waitcnt lgkmcnt(0)
	v_fma_f64 v[230:231], -v[168:169], v[6:7], v[230:231]
	v_fma_f64 v[166:167], -v[168:169], v[8:9], v[166:167]
	ds_read2_b64 v[6:9], v81 offset0:28 offset1:29
	s_waitcnt lgkmcnt(0)
	v_fma_f64 v[228:229], -v[168:169], v[6:7], v[228:229]
	v_fma_f64 v[164:165], -v[168:169], v[8:9], v[164:165]
	ds_read2_b64 v[6:9], v81 offset0:30 offset1:31
	;; [unrolled: 4-line block ×16, first 2 shown]
	s_waitcnt lgkmcnt(0)
	v_fma_f64 v[198:199], -v[168:169], v[6:7], v[198:199]
	s_waitcnt vmcnt(60)
	v_fma_f64 v[134:135], -v[168:169], v[8:9], v[134:135]
	ds_read2_b64 v[6:9], v81 offset0:60 offset1:61
	s_waitcnt vmcnt(57) lgkmcnt(0)
	v_fma_f64 v[196:197], -v[168:169], v[6:7], v[196:197]
	s_waitcnt vmcnt(54)
	v_fma_f64 v[132:133], -v[168:169], v[8:9], v[132:133]
	ds_read2_b64 v[6:9], v81 offset0:62 offset1:63
	s_waitcnt vmcnt(51) lgkmcnt(0)
	v_fma_f64 v[194:195], -v[168:169], v[6:7], v[194:195]
	s_waitcnt vmcnt(48)
	v_fma_f64 v[2:3], -v[168:169], v[8:9], v[2:3]
.LBB127_131:
	s_or_b64 exec, exec, s[2:3]
	v_cmp_eq_u32_e32 vcc, 26, v82
	s_waitcnt lgkmcnt(0)
	s_barrier
	s_and_saveexec_b64 s[2:3], vcc
	s_cbranch_execz .LBB127_134
; %bb.132:
	ds_write_b64 v80, v[230:231]
	ds_write2_b64 v81, v[166:167], v[228:229] offset0:27 offset1:28
	ds_write2_b64 v81, v[164:165], v[226:227] offset0:29 offset1:30
	;; [unrolled: 1-line block ×16, first 2 shown]
	s_waitcnt vmcnt(57)
	ds_write2_b64 v81, v[134:135], v[196:197] offset0:59 offset1:60
	s_waitcnt vmcnt(51)
	ds_write2_b64 v81, v[132:133], v[194:195] offset0:61 offset1:62
	s_waitcnt vmcnt(48)
	ds_write_b64 v81, v[2:3] offset:504
	ds_read_b64 v[6:7], v80
	s_waitcnt lgkmcnt(0)
	v_cmp_neq_f64_e32 vcc, 0, v[6:7]
	s_and_b64 exec, exec, vcc
	s_cbranch_execz .LBB127_134
; %bb.133:
	v_div_scale_f64 v[8:9], s[6:7], v[6:7], v[6:7], 1.0
	v_rcp_f64_e32 v[10:11], v[8:9]
	v_div_scale_f64 v[12:13], vcc, 1.0, v[6:7], 1.0
	v_fma_f64 v[14:15], -v[8:9], v[10:11], 1.0
	v_fmac_f64_e32 v[10:11], v[10:11], v[14:15]
	v_fma_f64 v[14:15], -v[8:9], v[10:11], 1.0
	v_fmac_f64_e32 v[10:11], v[10:11], v[14:15]
	v_mul_f64 v[14:15], v[12:13], v[10:11]
	v_fma_f64 v[8:9], -v[8:9], v[14:15], v[12:13]
	v_div_fmas_f64 v[8:9], v[8:9], v[10:11], v[14:15]
	v_div_fixup_f64 v[6:7], v[8:9], v[6:7], 1.0
	ds_write_b64 v80, v[6:7]
.LBB127_134:
	s_or_b64 exec, exec, s[2:3]
	s_waitcnt lgkmcnt(0)
	s_barrier
	ds_read_b64 v[6:7], v80
	v_cmp_lt_u32_e32 vcc, 26, v82
	s_and_saveexec_b64 s[2:3], vcc
	s_cbranch_execz .LBB127_136
; %bb.135:
	ds_read2_b64 v[8:11], v81 offset0:27 offset1:28
	s_waitcnt lgkmcnt(1)
	v_mul_f64 v[230:231], v[6:7], v[230:231]
	s_waitcnt lgkmcnt(0)
	v_fma_f64 v[166:167], -v[230:231], v[8:9], v[166:167]
	v_fma_f64 v[228:229], -v[230:231], v[10:11], v[228:229]
	ds_read2_b64 v[8:11], v81 offset0:29 offset1:30
	s_waitcnt lgkmcnt(0)
	v_fma_f64 v[164:165], -v[230:231], v[8:9], v[164:165]
	v_fma_f64 v[226:227], -v[230:231], v[10:11], v[226:227]
	ds_read2_b64 v[8:11], v81 offset0:31 offset1:32
	;; [unrolled: 4-line block ×16, first 2 shown]
	s_waitcnt vmcnt(60) lgkmcnt(0)
	v_fma_f64 v[134:135], -v[230:231], v[8:9], v[134:135]
	s_waitcnt vmcnt(57)
	v_fma_f64 v[196:197], -v[230:231], v[10:11], v[196:197]
	ds_read2_b64 v[8:11], v81 offset0:61 offset1:62
	s_waitcnt vmcnt(54) lgkmcnt(0)
	v_fma_f64 v[132:133], -v[230:231], v[8:9], v[132:133]
	ds_read_b64 v[8:9], v81 offset:504
	s_waitcnt vmcnt(51)
	v_fma_f64 v[194:195], -v[230:231], v[10:11], v[194:195]
	s_waitcnt vmcnt(48) lgkmcnt(0)
	v_fma_f64 v[2:3], -v[230:231], v[8:9], v[2:3]
.LBB127_136:
	s_or_b64 exec, exec, s[2:3]
	v_cmp_eq_u32_e32 vcc, 27, v82
	s_waitcnt lgkmcnt(0)
	s_barrier
	s_and_saveexec_b64 s[2:3], vcc
	s_cbranch_execz .LBB127_139
; %bb.137:
	v_mov_b32_e32 v8, v228
	v_mov_b32_e32 v9, v229
	;; [unrolled: 1-line block ×4, first 2 shown]
	ds_write_b64 v80, v[166:167]
	ds_write2_b64 v81, v[8:9], v[10:11] offset0:28 offset1:29
	v_mov_b32_e32 v8, v226
	v_mov_b32_e32 v9, v227
	v_mov_b32_e32 v10, v162
	v_mov_b32_e32 v11, v163
	ds_write2_b64 v81, v[8:9], v[10:11] offset0:30 offset1:31
	v_mov_b32_e32 v8, v224
	v_mov_b32_e32 v9, v225
	v_mov_b32_e32 v10, v160
	v_mov_b32_e32 v11, v161
	;; [unrolled: 5-line block ×14, first 2 shown]
	ds_write2_b64 v81, v[8:9], v[10:11] offset0:56 offset1:57
	v_mov_b32_e32 v8, v198
	v_mov_b32_e32 v9, v199
	s_waitcnt vmcnt(60)
	v_mov_b32_e32 v10, v134
	v_mov_b32_e32 v11, v135
	ds_write2_b64 v81, v[8:9], v[10:11] offset0:58 offset1:59
	s_waitcnt vmcnt(57)
	v_mov_b32_e32 v8, v196
	v_mov_b32_e32 v9, v197
	s_waitcnt vmcnt(54)
	v_mov_b32_e32 v10, v132
	v_mov_b32_e32 v11, v133
	ds_write2_b64 v81, v[8:9], v[10:11] offset0:60 offset1:61
	s_waitcnt vmcnt(51)
	v_mov_b32_e32 v8, v194
	v_mov_b32_e32 v9, v195
	s_waitcnt vmcnt(48)
	ds_write2_b64 v81, v[8:9], v[2:3] offset0:62 offset1:63
	ds_read_b64 v[8:9], v80
	s_waitcnt lgkmcnt(0)
	v_cmp_neq_f64_e32 vcc, 0, v[8:9]
	s_and_b64 exec, exec, vcc
	s_cbranch_execz .LBB127_139
; %bb.138:
	v_div_scale_f64 v[10:11], s[6:7], v[8:9], v[8:9], 1.0
	v_rcp_f64_e32 v[12:13], v[10:11]
	v_div_scale_f64 v[14:15], vcc, 1.0, v[8:9], 1.0
	v_fma_f64 v[16:17], -v[10:11], v[12:13], 1.0
	v_fmac_f64_e32 v[12:13], v[12:13], v[16:17]
	v_fma_f64 v[16:17], -v[10:11], v[12:13], 1.0
	v_fmac_f64_e32 v[12:13], v[12:13], v[16:17]
	v_mul_f64 v[16:17], v[14:15], v[12:13]
	v_fma_f64 v[10:11], -v[10:11], v[16:17], v[14:15]
	v_div_fmas_f64 v[10:11], v[10:11], v[12:13], v[16:17]
	v_div_fixup_f64 v[8:9], v[10:11], v[8:9], 1.0
	ds_write_b64 v80, v[8:9]
.LBB127_139:
	s_or_b64 exec, exec, s[2:3]
	s_waitcnt lgkmcnt(0)
	s_barrier
	ds_read_b64 v[8:9], v80
	v_cmp_lt_u32_e32 vcc, 27, v82
	s_and_saveexec_b64 s[2:3], vcc
	s_cbranch_execz .LBB127_141
; %bb.140:
	ds_read2_b64 v[10:13], v81 offset0:28 offset1:29
	s_waitcnt lgkmcnt(1)
	v_mul_f64 v[166:167], v[8:9], v[166:167]
	s_waitcnt lgkmcnt(0)
	v_fma_f64 v[228:229], -v[166:167], v[10:11], v[228:229]
	v_fma_f64 v[164:165], -v[166:167], v[12:13], v[164:165]
	ds_read2_b64 v[10:13], v81 offset0:30 offset1:31
	s_waitcnt lgkmcnt(0)
	v_fma_f64 v[226:227], -v[166:167], v[10:11], v[226:227]
	v_fma_f64 v[162:163], -v[166:167], v[12:13], v[162:163]
	ds_read2_b64 v[10:13], v81 offset0:32 offset1:33
	;; [unrolled: 4-line block ×15, first 2 shown]
	s_waitcnt lgkmcnt(0)
	v_fma_f64 v[198:199], -v[166:167], v[10:11], v[198:199]
	s_waitcnt vmcnt(60)
	v_fma_f64 v[134:135], -v[166:167], v[12:13], v[134:135]
	ds_read2_b64 v[10:13], v81 offset0:60 offset1:61
	s_waitcnt vmcnt(57) lgkmcnt(0)
	v_fma_f64 v[196:197], -v[166:167], v[10:11], v[196:197]
	s_waitcnt vmcnt(54)
	v_fma_f64 v[132:133], -v[166:167], v[12:13], v[132:133]
	ds_read2_b64 v[10:13], v81 offset0:62 offset1:63
	s_waitcnt vmcnt(51) lgkmcnt(0)
	v_fma_f64 v[194:195], -v[166:167], v[10:11], v[194:195]
	s_waitcnt vmcnt(48)
	v_fma_f64 v[2:3], -v[166:167], v[12:13], v[2:3]
.LBB127_141:
	s_or_b64 exec, exec, s[2:3]
	v_cmp_eq_u32_e32 vcc, 28, v82
	s_waitcnt lgkmcnt(0)
	s_barrier
	s_and_saveexec_b64 s[2:3], vcc
	s_cbranch_execz .LBB127_144
; %bb.142:
	ds_write_b64 v80, v[228:229]
	ds_write2_b64 v81, v[164:165], v[226:227] offset0:29 offset1:30
	ds_write2_b64 v81, v[162:163], v[224:225] offset0:31 offset1:32
	;; [unrolled: 1-line block ×15, first 2 shown]
	s_waitcnt vmcnt(57)
	ds_write2_b64 v81, v[134:135], v[196:197] offset0:59 offset1:60
	s_waitcnt vmcnt(51)
	ds_write2_b64 v81, v[132:133], v[194:195] offset0:61 offset1:62
	s_waitcnt vmcnt(48)
	ds_write_b64 v81, v[2:3] offset:504
	ds_read_b64 v[10:11], v80
	s_waitcnt lgkmcnt(0)
	v_cmp_neq_f64_e32 vcc, 0, v[10:11]
	s_and_b64 exec, exec, vcc
	s_cbranch_execz .LBB127_144
; %bb.143:
	v_div_scale_f64 v[12:13], s[6:7], v[10:11], v[10:11], 1.0
	v_rcp_f64_e32 v[14:15], v[12:13]
	v_div_scale_f64 v[16:17], vcc, 1.0, v[10:11], 1.0
	v_fma_f64 v[18:19], -v[12:13], v[14:15], 1.0
	v_fmac_f64_e32 v[14:15], v[14:15], v[18:19]
	v_fma_f64 v[18:19], -v[12:13], v[14:15], 1.0
	v_fmac_f64_e32 v[14:15], v[14:15], v[18:19]
	v_mul_f64 v[18:19], v[16:17], v[14:15]
	v_fma_f64 v[12:13], -v[12:13], v[18:19], v[16:17]
	v_div_fmas_f64 v[12:13], v[12:13], v[14:15], v[18:19]
	v_div_fixup_f64 v[10:11], v[12:13], v[10:11], 1.0
	ds_write_b64 v80, v[10:11]
.LBB127_144:
	s_or_b64 exec, exec, s[2:3]
	s_waitcnt lgkmcnt(0)
	s_barrier
	ds_read_b64 v[10:11], v80
	v_cmp_lt_u32_e32 vcc, 28, v82
	s_and_saveexec_b64 s[2:3], vcc
	s_cbranch_execz .LBB127_146
; %bb.145:
	ds_read2_b64 v[12:15], v81 offset0:29 offset1:30
	s_waitcnt lgkmcnt(1)
	v_mul_f64 v[228:229], v[10:11], v[228:229]
	s_waitcnt lgkmcnt(0)
	v_fma_f64 v[164:165], -v[228:229], v[12:13], v[164:165]
	v_fma_f64 v[226:227], -v[228:229], v[14:15], v[226:227]
	ds_read2_b64 v[12:15], v81 offset0:31 offset1:32
	s_waitcnt lgkmcnt(0)
	v_fma_f64 v[162:163], -v[228:229], v[12:13], v[162:163]
	v_fma_f64 v[224:225], -v[228:229], v[14:15], v[224:225]
	ds_read2_b64 v[12:15], v81 offset0:33 offset1:34
	;; [unrolled: 4-line block ×15, first 2 shown]
	s_waitcnt vmcnt(60) lgkmcnt(0)
	v_fma_f64 v[134:135], -v[228:229], v[12:13], v[134:135]
	s_waitcnt vmcnt(57)
	v_fma_f64 v[196:197], -v[228:229], v[14:15], v[196:197]
	ds_read2_b64 v[12:15], v81 offset0:61 offset1:62
	s_waitcnt vmcnt(54) lgkmcnt(0)
	v_fma_f64 v[132:133], -v[228:229], v[12:13], v[132:133]
	ds_read_b64 v[12:13], v81 offset:504
	s_waitcnt vmcnt(51)
	v_fma_f64 v[194:195], -v[228:229], v[14:15], v[194:195]
	s_waitcnt vmcnt(48) lgkmcnt(0)
	v_fma_f64 v[2:3], -v[228:229], v[12:13], v[2:3]
.LBB127_146:
	s_or_b64 exec, exec, s[2:3]
	v_cmp_eq_u32_e32 vcc, 29, v82
	s_waitcnt lgkmcnt(0)
	s_barrier
	s_and_saveexec_b64 s[2:3], vcc
	s_cbranch_execz .LBB127_149
; %bb.147:
	v_mov_b32_e32 v12, v226
	v_mov_b32_e32 v13, v227
	;; [unrolled: 1-line block ×4, first 2 shown]
	ds_write_b64 v80, v[164:165]
	ds_write2_b64 v81, v[12:13], v[14:15] offset0:30 offset1:31
	v_mov_b32_e32 v12, v224
	v_mov_b32_e32 v13, v225
	v_mov_b32_e32 v14, v160
	v_mov_b32_e32 v15, v161
	ds_write2_b64 v81, v[12:13], v[14:15] offset0:32 offset1:33
	v_mov_b32_e32 v12, v222
	v_mov_b32_e32 v13, v223
	v_mov_b32_e32 v14, v158
	v_mov_b32_e32 v15, v159
	;; [unrolled: 5-line block ×13, first 2 shown]
	ds_write2_b64 v81, v[12:13], v[14:15] offset0:56 offset1:57
	v_mov_b32_e32 v12, v198
	v_mov_b32_e32 v13, v199
	s_waitcnt vmcnt(60)
	v_mov_b32_e32 v14, v134
	v_mov_b32_e32 v15, v135
	ds_write2_b64 v81, v[12:13], v[14:15] offset0:58 offset1:59
	s_waitcnt vmcnt(57)
	v_mov_b32_e32 v12, v196
	v_mov_b32_e32 v13, v197
	s_waitcnt vmcnt(54)
	v_mov_b32_e32 v14, v132
	v_mov_b32_e32 v15, v133
	ds_write2_b64 v81, v[12:13], v[14:15] offset0:60 offset1:61
	s_waitcnt vmcnt(51)
	v_mov_b32_e32 v12, v194
	v_mov_b32_e32 v13, v195
	s_waitcnt vmcnt(48)
	ds_write2_b64 v81, v[12:13], v[2:3] offset0:62 offset1:63
	ds_read_b64 v[12:13], v80
	s_waitcnt lgkmcnt(0)
	v_cmp_neq_f64_e32 vcc, 0, v[12:13]
	s_and_b64 exec, exec, vcc
	s_cbranch_execz .LBB127_149
; %bb.148:
	v_div_scale_f64 v[14:15], s[6:7], v[12:13], v[12:13], 1.0
	v_rcp_f64_e32 v[16:17], v[14:15]
	v_div_scale_f64 v[18:19], vcc, 1.0, v[12:13], 1.0
	v_fma_f64 v[20:21], -v[14:15], v[16:17], 1.0
	v_fmac_f64_e32 v[16:17], v[16:17], v[20:21]
	v_fma_f64 v[20:21], -v[14:15], v[16:17], 1.0
	v_fmac_f64_e32 v[16:17], v[16:17], v[20:21]
	v_mul_f64 v[20:21], v[18:19], v[16:17]
	v_fma_f64 v[14:15], -v[14:15], v[20:21], v[18:19]
	v_div_fmas_f64 v[14:15], v[14:15], v[16:17], v[20:21]
	v_div_fixup_f64 v[12:13], v[14:15], v[12:13], 1.0
	ds_write_b64 v80, v[12:13]
.LBB127_149:
	s_or_b64 exec, exec, s[2:3]
	s_waitcnt lgkmcnt(0)
	s_barrier
	ds_read_b64 v[12:13], v80
	v_cmp_lt_u32_e32 vcc, 29, v82
	s_and_saveexec_b64 s[2:3], vcc
	s_cbranch_execz .LBB127_151
; %bb.150:
	ds_read2_b64 v[14:17], v81 offset0:30 offset1:31
	s_waitcnt lgkmcnt(1)
	v_mul_f64 v[164:165], v[12:13], v[164:165]
	s_waitcnt lgkmcnt(0)
	v_fma_f64 v[226:227], -v[164:165], v[14:15], v[226:227]
	v_fma_f64 v[162:163], -v[164:165], v[16:17], v[162:163]
	ds_read2_b64 v[14:17], v81 offset0:32 offset1:33
	s_waitcnt lgkmcnt(0)
	v_fma_f64 v[224:225], -v[164:165], v[14:15], v[224:225]
	v_fma_f64 v[160:161], -v[164:165], v[16:17], v[160:161]
	ds_read2_b64 v[14:17], v81 offset0:34 offset1:35
	;; [unrolled: 4-line block ×14, first 2 shown]
	s_waitcnt lgkmcnt(0)
	v_fma_f64 v[198:199], -v[164:165], v[14:15], v[198:199]
	s_waitcnt vmcnt(60)
	v_fma_f64 v[134:135], -v[164:165], v[16:17], v[134:135]
	ds_read2_b64 v[14:17], v81 offset0:60 offset1:61
	s_waitcnt vmcnt(57) lgkmcnt(0)
	v_fma_f64 v[196:197], -v[164:165], v[14:15], v[196:197]
	s_waitcnt vmcnt(54)
	v_fma_f64 v[132:133], -v[164:165], v[16:17], v[132:133]
	ds_read2_b64 v[14:17], v81 offset0:62 offset1:63
	s_waitcnt vmcnt(51) lgkmcnt(0)
	v_fma_f64 v[194:195], -v[164:165], v[14:15], v[194:195]
	s_waitcnt vmcnt(48)
	v_fma_f64 v[2:3], -v[164:165], v[16:17], v[2:3]
.LBB127_151:
	s_or_b64 exec, exec, s[2:3]
	v_cmp_eq_u32_e32 vcc, 30, v82
	s_waitcnt lgkmcnt(0)
	s_barrier
	s_and_saveexec_b64 s[2:3], vcc
	s_cbranch_execz .LBB127_154
; %bb.152:
	ds_write_b64 v80, v[226:227]
	ds_write2_b64 v81, v[162:163], v[224:225] offset0:31 offset1:32
	ds_write2_b64 v81, v[160:161], v[222:223] offset0:33 offset1:34
	;; [unrolled: 1-line block ×14, first 2 shown]
	s_waitcnt vmcnt(57)
	ds_write2_b64 v81, v[134:135], v[196:197] offset0:59 offset1:60
	s_waitcnt vmcnt(51)
	ds_write2_b64 v81, v[132:133], v[194:195] offset0:61 offset1:62
	s_waitcnt vmcnt(48)
	ds_write_b64 v81, v[2:3] offset:504
	ds_read_b64 v[14:15], v80
	s_waitcnt lgkmcnt(0)
	v_cmp_neq_f64_e32 vcc, 0, v[14:15]
	s_and_b64 exec, exec, vcc
	s_cbranch_execz .LBB127_154
; %bb.153:
	v_div_scale_f64 v[16:17], s[6:7], v[14:15], v[14:15], 1.0
	v_rcp_f64_e32 v[18:19], v[16:17]
	v_div_scale_f64 v[20:21], vcc, 1.0, v[14:15], 1.0
	v_fma_f64 v[22:23], -v[16:17], v[18:19], 1.0
	v_fmac_f64_e32 v[18:19], v[18:19], v[22:23]
	v_fma_f64 v[22:23], -v[16:17], v[18:19], 1.0
	v_fmac_f64_e32 v[18:19], v[18:19], v[22:23]
	v_mul_f64 v[22:23], v[20:21], v[18:19]
	v_fma_f64 v[16:17], -v[16:17], v[22:23], v[20:21]
	v_div_fmas_f64 v[16:17], v[16:17], v[18:19], v[22:23]
	v_div_fixup_f64 v[14:15], v[16:17], v[14:15], 1.0
	ds_write_b64 v80, v[14:15]
.LBB127_154:
	s_or_b64 exec, exec, s[2:3]
	s_waitcnt lgkmcnt(0)
	s_barrier
	ds_read_b64 v[14:15], v80
	v_cmp_lt_u32_e32 vcc, 30, v82
	s_and_saveexec_b64 s[2:3], vcc
	s_cbranch_execz .LBB127_156
; %bb.155:
	ds_read2_b64 v[16:19], v81 offset0:31 offset1:32
	s_waitcnt lgkmcnt(1)
	v_mul_f64 v[226:227], v[14:15], v[226:227]
	s_waitcnt lgkmcnt(0)
	v_fma_f64 v[162:163], -v[226:227], v[16:17], v[162:163]
	v_fma_f64 v[224:225], -v[226:227], v[18:19], v[224:225]
	ds_read2_b64 v[16:19], v81 offset0:33 offset1:34
	s_waitcnt lgkmcnt(0)
	v_fma_f64 v[160:161], -v[226:227], v[16:17], v[160:161]
	v_fma_f64 v[222:223], -v[226:227], v[18:19], v[222:223]
	ds_read2_b64 v[16:19], v81 offset0:35 offset1:36
	;; [unrolled: 4-line block ×14, first 2 shown]
	s_waitcnt vmcnt(60) lgkmcnt(0)
	v_fma_f64 v[134:135], -v[226:227], v[16:17], v[134:135]
	s_waitcnt vmcnt(57)
	v_fma_f64 v[196:197], -v[226:227], v[18:19], v[196:197]
	ds_read2_b64 v[16:19], v81 offset0:61 offset1:62
	s_waitcnt vmcnt(54) lgkmcnt(0)
	v_fma_f64 v[132:133], -v[226:227], v[16:17], v[132:133]
	ds_read_b64 v[16:17], v81 offset:504
	s_waitcnt vmcnt(51)
	v_fma_f64 v[194:195], -v[226:227], v[18:19], v[194:195]
	s_waitcnt vmcnt(48) lgkmcnt(0)
	v_fma_f64 v[2:3], -v[226:227], v[16:17], v[2:3]
.LBB127_156:
	s_or_b64 exec, exec, s[2:3]
	v_cmp_eq_u32_e32 vcc, 31, v82
	s_waitcnt lgkmcnt(0)
	s_barrier
	s_and_saveexec_b64 s[2:3], vcc
	s_cbranch_execz .LBB127_159
; %bb.157:
	v_mov_b32_e32 v16, v224
	v_mov_b32_e32 v17, v225
	;; [unrolled: 1-line block ×4, first 2 shown]
	ds_write_b64 v80, v[162:163]
	ds_write2_b64 v81, v[16:17], v[18:19] offset0:32 offset1:33
	v_mov_b32_e32 v16, v222
	v_mov_b32_e32 v17, v223
	v_mov_b32_e32 v18, v158
	v_mov_b32_e32 v19, v159
	ds_write2_b64 v81, v[16:17], v[18:19] offset0:34 offset1:35
	v_mov_b32_e32 v16, v220
	v_mov_b32_e32 v17, v221
	v_mov_b32_e32 v18, v156
	v_mov_b32_e32 v19, v157
	;; [unrolled: 5-line block ×12, first 2 shown]
	ds_write2_b64 v81, v[16:17], v[18:19] offset0:56 offset1:57
	v_mov_b32_e32 v16, v198
	v_mov_b32_e32 v17, v199
	s_waitcnt vmcnt(60)
	v_mov_b32_e32 v18, v134
	v_mov_b32_e32 v19, v135
	ds_write2_b64 v81, v[16:17], v[18:19] offset0:58 offset1:59
	s_waitcnt vmcnt(57)
	v_mov_b32_e32 v16, v196
	v_mov_b32_e32 v17, v197
	s_waitcnt vmcnt(54)
	v_mov_b32_e32 v18, v132
	v_mov_b32_e32 v19, v133
	ds_write2_b64 v81, v[16:17], v[18:19] offset0:60 offset1:61
	s_waitcnt vmcnt(51)
	v_mov_b32_e32 v16, v194
	v_mov_b32_e32 v17, v195
	s_waitcnt vmcnt(48)
	ds_write2_b64 v81, v[16:17], v[2:3] offset0:62 offset1:63
	ds_read_b64 v[16:17], v80
	s_waitcnt lgkmcnt(0)
	v_cmp_neq_f64_e32 vcc, 0, v[16:17]
	s_and_b64 exec, exec, vcc
	s_cbranch_execz .LBB127_159
; %bb.158:
	v_div_scale_f64 v[18:19], s[6:7], v[16:17], v[16:17], 1.0
	v_rcp_f64_e32 v[20:21], v[18:19]
	v_div_scale_f64 v[22:23], vcc, 1.0, v[16:17], 1.0
	v_fma_f64 v[24:25], -v[18:19], v[20:21], 1.0
	v_fmac_f64_e32 v[20:21], v[20:21], v[24:25]
	v_fma_f64 v[24:25], -v[18:19], v[20:21], 1.0
	v_fmac_f64_e32 v[20:21], v[20:21], v[24:25]
	v_mul_f64 v[24:25], v[22:23], v[20:21]
	v_fma_f64 v[18:19], -v[18:19], v[24:25], v[22:23]
	v_div_fmas_f64 v[18:19], v[18:19], v[20:21], v[24:25]
	v_div_fixup_f64 v[16:17], v[18:19], v[16:17], 1.0
	ds_write_b64 v80, v[16:17]
.LBB127_159:
	s_or_b64 exec, exec, s[2:3]
	s_waitcnt lgkmcnt(0)
	s_barrier
	ds_read_b64 v[16:17], v80
	v_cmp_lt_u32_e32 vcc, 31, v82
	s_and_saveexec_b64 s[2:3], vcc
	s_cbranch_execz .LBB127_161
; %bb.160:
	ds_read2_b64 v[18:21], v81 offset0:32 offset1:33
	s_waitcnt lgkmcnt(1)
	v_mul_f64 v[162:163], v[16:17], v[162:163]
	s_waitcnt lgkmcnt(0)
	v_fma_f64 v[224:225], -v[162:163], v[18:19], v[224:225]
	v_fma_f64 v[160:161], -v[162:163], v[20:21], v[160:161]
	ds_read2_b64 v[18:21], v81 offset0:34 offset1:35
	s_waitcnt lgkmcnt(0)
	v_fma_f64 v[222:223], -v[162:163], v[18:19], v[222:223]
	v_fma_f64 v[158:159], -v[162:163], v[20:21], v[158:159]
	ds_read2_b64 v[18:21], v81 offset0:36 offset1:37
	;; [unrolled: 4-line block ×13, first 2 shown]
	s_waitcnt lgkmcnt(0)
	v_fma_f64 v[198:199], -v[162:163], v[18:19], v[198:199]
	s_waitcnt vmcnt(60)
	v_fma_f64 v[134:135], -v[162:163], v[20:21], v[134:135]
	ds_read2_b64 v[18:21], v81 offset0:60 offset1:61
	s_waitcnt vmcnt(57) lgkmcnt(0)
	v_fma_f64 v[196:197], -v[162:163], v[18:19], v[196:197]
	s_waitcnt vmcnt(54)
	v_fma_f64 v[132:133], -v[162:163], v[20:21], v[132:133]
	ds_read2_b64 v[18:21], v81 offset0:62 offset1:63
	s_waitcnt vmcnt(51) lgkmcnt(0)
	v_fma_f64 v[194:195], -v[162:163], v[18:19], v[194:195]
	s_waitcnt vmcnt(48)
	v_fma_f64 v[2:3], -v[162:163], v[20:21], v[2:3]
.LBB127_161:
	s_or_b64 exec, exec, s[2:3]
	v_cmp_eq_u32_e32 vcc, 32, v82
	s_waitcnt lgkmcnt(0)
	s_barrier
	s_and_saveexec_b64 s[2:3], vcc
	s_cbranch_execz .LBB127_164
; %bb.162:
	ds_write_b64 v80, v[224:225]
	ds_write2_b64 v81, v[160:161], v[222:223] offset0:33 offset1:34
	ds_write2_b64 v81, v[158:159], v[220:221] offset0:35 offset1:36
	;; [unrolled: 1-line block ×13, first 2 shown]
	s_waitcnt vmcnt(57)
	ds_write2_b64 v81, v[134:135], v[196:197] offset0:59 offset1:60
	s_waitcnt vmcnt(51)
	ds_write2_b64 v81, v[132:133], v[194:195] offset0:61 offset1:62
	s_waitcnt vmcnt(48)
	ds_write_b64 v81, v[2:3] offset:504
	ds_read_b64 v[18:19], v80
	s_waitcnt lgkmcnt(0)
	v_cmp_neq_f64_e32 vcc, 0, v[18:19]
	s_and_b64 exec, exec, vcc
	s_cbranch_execz .LBB127_164
; %bb.163:
	v_div_scale_f64 v[20:21], s[6:7], v[18:19], v[18:19], 1.0
	v_rcp_f64_e32 v[22:23], v[20:21]
	v_div_scale_f64 v[24:25], vcc, 1.0, v[18:19], 1.0
	v_fma_f64 v[26:27], -v[20:21], v[22:23], 1.0
	v_fmac_f64_e32 v[22:23], v[22:23], v[26:27]
	v_fma_f64 v[26:27], -v[20:21], v[22:23], 1.0
	v_fmac_f64_e32 v[22:23], v[22:23], v[26:27]
	v_mul_f64 v[26:27], v[24:25], v[22:23]
	v_fma_f64 v[20:21], -v[20:21], v[26:27], v[24:25]
	v_div_fmas_f64 v[20:21], v[20:21], v[22:23], v[26:27]
	v_div_fixup_f64 v[18:19], v[20:21], v[18:19], 1.0
	ds_write_b64 v80, v[18:19]
.LBB127_164:
	s_or_b64 exec, exec, s[2:3]
	s_waitcnt lgkmcnt(0)
	s_barrier
	ds_read_b64 v[18:19], v80
	v_cmp_lt_u32_e32 vcc, 32, v82
	s_and_saveexec_b64 s[2:3], vcc
	s_cbranch_execz .LBB127_166
; %bb.165:
	ds_read2_b64 v[20:23], v81 offset0:33 offset1:34
	s_waitcnt lgkmcnt(1)
	v_mul_f64 v[224:225], v[18:19], v[224:225]
	s_waitcnt lgkmcnt(0)
	v_fma_f64 v[160:161], -v[224:225], v[20:21], v[160:161]
	v_fma_f64 v[222:223], -v[224:225], v[22:23], v[222:223]
	ds_read2_b64 v[20:23], v81 offset0:35 offset1:36
	s_waitcnt lgkmcnt(0)
	v_fma_f64 v[158:159], -v[224:225], v[20:21], v[158:159]
	v_fma_f64 v[220:221], -v[224:225], v[22:23], v[220:221]
	ds_read2_b64 v[20:23], v81 offset0:37 offset1:38
	;; [unrolled: 4-line block ×13, first 2 shown]
	s_waitcnt vmcnt(60) lgkmcnt(0)
	v_fma_f64 v[134:135], -v[224:225], v[20:21], v[134:135]
	s_waitcnt vmcnt(57)
	v_fma_f64 v[196:197], -v[224:225], v[22:23], v[196:197]
	ds_read2_b64 v[20:23], v81 offset0:61 offset1:62
	s_waitcnt vmcnt(54) lgkmcnt(0)
	v_fma_f64 v[132:133], -v[224:225], v[20:21], v[132:133]
	ds_read_b64 v[20:21], v81 offset:504
	s_waitcnt vmcnt(51)
	v_fma_f64 v[194:195], -v[224:225], v[22:23], v[194:195]
	s_waitcnt vmcnt(48) lgkmcnt(0)
	v_fma_f64 v[2:3], -v[224:225], v[20:21], v[2:3]
.LBB127_166:
	s_or_b64 exec, exec, s[2:3]
	v_cmp_eq_u32_e32 vcc, 33, v82
	s_waitcnt lgkmcnt(0)
	s_barrier
	s_and_saveexec_b64 s[2:3], vcc
	s_cbranch_execz .LBB127_169
; %bb.167:
	v_mov_b32_e32 v20, v222
	v_mov_b32_e32 v21, v223
	;; [unrolled: 1-line block ×4, first 2 shown]
	ds_write_b64 v80, v[160:161]
	ds_write2_b64 v81, v[20:21], v[22:23] offset0:34 offset1:35
	v_mov_b32_e32 v20, v220
	v_mov_b32_e32 v21, v221
	v_mov_b32_e32 v22, v156
	v_mov_b32_e32 v23, v157
	ds_write2_b64 v81, v[20:21], v[22:23] offset0:36 offset1:37
	v_mov_b32_e32 v20, v218
	v_mov_b32_e32 v21, v219
	v_mov_b32_e32 v22, v154
	v_mov_b32_e32 v23, v155
	;; [unrolled: 5-line block ×11, first 2 shown]
	ds_write2_b64 v81, v[20:21], v[22:23] offset0:56 offset1:57
	v_mov_b32_e32 v20, v198
	v_mov_b32_e32 v21, v199
	s_waitcnt vmcnt(60)
	v_mov_b32_e32 v22, v134
	v_mov_b32_e32 v23, v135
	ds_write2_b64 v81, v[20:21], v[22:23] offset0:58 offset1:59
	s_waitcnt vmcnt(57)
	v_mov_b32_e32 v20, v196
	v_mov_b32_e32 v21, v197
	s_waitcnt vmcnt(54)
	v_mov_b32_e32 v22, v132
	v_mov_b32_e32 v23, v133
	ds_write2_b64 v81, v[20:21], v[22:23] offset0:60 offset1:61
	s_waitcnt vmcnt(51)
	v_mov_b32_e32 v20, v194
	v_mov_b32_e32 v21, v195
	s_waitcnt vmcnt(48)
	ds_write2_b64 v81, v[20:21], v[2:3] offset0:62 offset1:63
	ds_read_b64 v[20:21], v80
	s_waitcnt lgkmcnt(0)
	v_cmp_neq_f64_e32 vcc, 0, v[20:21]
	s_and_b64 exec, exec, vcc
	s_cbranch_execz .LBB127_169
; %bb.168:
	v_div_scale_f64 v[22:23], s[6:7], v[20:21], v[20:21], 1.0
	v_rcp_f64_e32 v[24:25], v[22:23]
	v_div_scale_f64 v[26:27], vcc, 1.0, v[20:21], 1.0
	v_fma_f64 v[28:29], -v[22:23], v[24:25], 1.0
	v_fmac_f64_e32 v[24:25], v[24:25], v[28:29]
	v_fma_f64 v[28:29], -v[22:23], v[24:25], 1.0
	v_fmac_f64_e32 v[24:25], v[24:25], v[28:29]
	v_mul_f64 v[28:29], v[26:27], v[24:25]
	v_fma_f64 v[22:23], -v[22:23], v[28:29], v[26:27]
	v_div_fmas_f64 v[22:23], v[22:23], v[24:25], v[28:29]
	v_div_fixup_f64 v[20:21], v[22:23], v[20:21], 1.0
	ds_write_b64 v80, v[20:21]
.LBB127_169:
	s_or_b64 exec, exec, s[2:3]
	s_waitcnt lgkmcnt(0)
	s_barrier
	ds_read_b64 v[20:21], v80
	v_cmp_lt_u32_e32 vcc, 33, v82
	s_and_saveexec_b64 s[2:3], vcc
	s_cbranch_execz .LBB127_171
; %bb.170:
	ds_read2_b64 v[22:25], v81 offset0:34 offset1:35
	s_waitcnt lgkmcnt(1)
	v_mul_f64 v[160:161], v[20:21], v[160:161]
	s_waitcnt lgkmcnt(0)
	v_fma_f64 v[222:223], -v[160:161], v[22:23], v[222:223]
	v_fma_f64 v[158:159], -v[160:161], v[24:25], v[158:159]
	ds_read2_b64 v[22:25], v81 offset0:36 offset1:37
	s_waitcnt lgkmcnt(0)
	v_fma_f64 v[220:221], -v[160:161], v[22:23], v[220:221]
	v_fma_f64 v[156:157], -v[160:161], v[24:25], v[156:157]
	ds_read2_b64 v[22:25], v81 offset0:38 offset1:39
	;; [unrolled: 4-line block ×12, first 2 shown]
	s_waitcnt lgkmcnt(0)
	v_fma_f64 v[198:199], -v[160:161], v[22:23], v[198:199]
	s_waitcnt vmcnt(60)
	v_fma_f64 v[134:135], -v[160:161], v[24:25], v[134:135]
	ds_read2_b64 v[22:25], v81 offset0:60 offset1:61
	s_waitcnt vmcnt(57) lgkmcnt(0)
	v_fma_f64 v[196:197], -v[160:161], v[22:23], v[196:197]
	s_waitcnt vmcnt(54)
	v_fma_f64 v[132:133], -v[160:161], v[24:25], v[132:133]
	ds_read2_b64 v[22:25], v81 offset0:62 offset1:63
	s_waitcnt vmcnt(51) lgkmcnt(0)
	v_fma_f64 v[194:195], -v[160:161], v[22:23], v[194:195]
	s_waitcnt vmcnt(48)
	v_fma_f64 v[2:3], -v[160:161], v[24:25], v[2:3]
.LBB127_171:
	s_or_b64 exec, exec, s[2:3]
	v_cmp_eq_u32_e32 vcc, 34, v82
	s_waitcnt lgkmcnt(0)
	s_barrier
	s_and_saveexec_b64 s[2:3], vcc
	s_cbranch_execz .LBB127_174
; %bb.172:
	ds_write_b64 v80, v[222:223]
	ds_write2_b64 v81, v[158:159], v[220:221] offset0:35 offset1:36
	ds_write2_b64 v81, v[156:157], v[218:219] offset0:37 offset1:38
	;; [unrolled: 1-line block ×12, first 2 shown]
	s_waitcnt vmcnt(57)
	ds_write2_b64 v81, v[134:135], v[196:197] offset0:59 offset1:60
	s_waitcnt vmcnt(51)
	ds_write2_b64 v81, v[132:133], v[194:195] offset0:61 offset1:62
	s_waitcnt vmcnt(48)
	ds_write_b64 v81, v[2:3] offset:504
	ds_read_b64 v[22:23], v80
	s_waitcnt lgkmcnt(0)
	v_cmp_neq_f64_e32 vcc, 0, v[22:23]
	s_and_b64 exec, exec, vcc
	s_cbranch_execz .LBB127_174
; %bb.173:
	v_div_scale_f64 v[24:25], s[6:7], v[22:23], v[22:23], 1.0
	v_rcp_f64_e32 v[26:27], v[24:25]
	v_div_scale_f64 v[28:29], vcc, 1.0, v[22:23], 1.0
	v_fma_f64 v[30:31], -v[24:25], v[26:27], 1.0
	v_fmac_f64_e32 v[26:27], v[26:27], v[30:31]
	v_fma_f64 v[30:31], -v[24:25], v[26:27], 1.0
	v_fmac_f64_e32 v[26:27], v[26:27], v[30:31]
	v_mul_f64 v[30:31], v[28:29], v[26:27]
	v_fma_f64 v[24:25], -v[24:25], v[30:31], v[28:29]
	v_div_fmas_f64 v[24:25], v[24:25], v[26:27], v[30:31]
	v_div_fixup_f64 v[22:23], v[24:25], v[22:23], 1.0
	ds_write_b64 v80, v[22:23]
.LBB127_174:
	s_or_b64 exec, exec, s[2:3]
	s_waitcnt lgkmcnt(0)
	s_barrier
	ds_read_b64 v[22:23], v80
	v_cmp_lt_u32_e32 vcc, 34, v82
	s_and_saveexec_b64 s[2:3], vcc
	s_cbranch_execz .LBB127_176
; %bb.175:
	ds_read2_b64 v[24:27], v81 offset0:35 offset1:36
	s_waitcnt lgkmcnt(1)
	v_mul_f64 v[222:223], v[22:23], v[222:223]
	s_waitcnt lgkmcnt(0)
	v_fma_f64 v[158:159], -v[222:223], v[24:25], v[158:159]
	v_fma_f64 v[220:221], -v[222:223], v[26:27], v[220:221]
	ds_read2_b64 v[24:27], v81 offset0:37 offset1:38
	s_waitcnt lgkmcnt(0)
	v_fma_f64 v[156:157], -v[222:223], v[24:25], v[156:157]
	v_fma_f64 v[218:219], -v[222:223], v[26:27], v[218:219]
	ds_read2_b64 v[24:27], v81 offset0:39 offset1:40
	;; [unrolled: 4-line block ×12, first 2 shown]
	s_waitcnt vmcnt(60) lgkmcnt(0)
	v_fma_f64 v[134:135], -v[222:223], v[24:25], v[134:135]
	s_waitcnt vmcnt(57)
	v_fma_f64 v[196:197], -v[222:223], v[26:27], v[196:197]
	ds_read2_b64 v[24:27], v81 offset0:61 offset1:62
	s_waitcnt vmcnt(54) lgkmcnt(0)
	v_fma_f64 v[132:133], -v[222:223], v[24:25], v[132:133]
	ds_read_b64 v[24:25], v81 offset:504
	s_waitcnt vmcnt(51)
	v_fma_f64 v[194:195], -v[222:223], v[26:27], v[194:195]
	s_waitcnt vmcnt(48) lgkmcnt(0)
	v_fma_f64 v[2:3], -v[222:223], v[24:25], v[2:3]
.LBB127_176:
	s_or_b64 exec, exec, s[2:3]
	v_cmp_eq_u32_e32 vcc, 35, v82
	s_waitcnt lgkmcnt(0)
	s_barrier
	s_and_saveexec_b64 s[2:3], vcc
	s_cbranch_execz .LBB127_179
; %bb.177:
	v_mov_b32_e32 v24, v220
	v_mov_b32_e32 v25, v221
	;; [unrolled: 1-line block ×4, first 2 shown]
	ds_write_b64 v80, v[158:159]
	ds_write2_b64 v81, v[24:25], v[26:27] offset0:36 offset1:37
	v_mov_b32_e32 v24, v218
	v_mov_b32_e32 v25, v219
	v_mov_b32_e32 v26, v154
	v_mov_b32_e32 v27, v155
	ds_write2_b64 v81, v[24:25], v[26:27] offset0:38 offset1:39
	v_mov_b32_e32 v24, v216
	v_mov_b32_e32 v25, v217
	v_mov_b32_e32 v26, v152
	v_mov_b32_e32 v27, v153
	;; [unrolled: 5-line block ×10, first 2 shown]
	ds_write2_b64 v81, v[24:25], v[26:27] offset0:56 offset1:57
	v_mov_b32_e32 v24, v198
	v_mov_b32_e32 v25, v199
	s_waitcnt vmcnt(60)
	v_mov_b32_e32 v26, v134
	v_mov_b32_e32 v27, v135
	ds_write2_b64 v81, v[24:25], v[26:27] offset0:58 offset1:59
	s_waitcnt vmcnt(57)
	v_mov_b32_e32 v24, v196
	v_mov_b32_e32 v25, v197
	s_waitcnt vmcnt(54)
	v_mov_b32_e32 v26, v132
	v_mov_b32_e32 v27, v133
	ds_write2_b64 v81, v[24:25], v[26:27] offset0:60 offset1:61
	s_waitcnt vmcnt(51)
	v_mov_b32_e32 v24, v194
	v_mov_b32_e32 v25, v195
	s_waitcnt vmcnt(48)
	ds_write2_b64 v81, v[24:25], v[2:3] offset0:62 offset1:63
	ds_read_b64 v[24:25], v80
	s_waitcnt lgkmcnt(0)
	v_cmp_neq_f64_e32 vcc, 0, v[24:25]
	s_and_b64 exec, exec, vcc
	s_cbranch_execz .LBB127_179
; %bb.178:
	v_div_scale_f64 v[26:27], s[6:7], v[24:25], v[24:25], 1.0
	v_rcp_f64_e32 v[28:29], v[26:27]
	v_div_scale_f64 v[30:31], vcc, 1.0, v[24:25], 1.0
	v_fma_f64 v[32:33], -v[26:27], v[28:29], 1.0
	v_fmac_f64_e32 v[28:29], v[28:29], v[32:33]
	v_fma_f64 v[32:33], -v[26:27], v[28:29], 1.0
	v_fmac_f64_e32 v[28:29], v[28:29], v[32:33]
	v_mul_f64 v[32:33], v[30:31], v[28:29]
	v_fma_f64 v[26:27], -v[26:27], v[32:33], v[30:31]
	v_div_fmas_f64 v[26:27], v[26:27], v[28:29], v[32:33]
	v_div_fixup_f64 v[24:25], v[26:27], v[24:25], 1.0
	ds_write_b64 v80, v[24:25]
.LBB127_179:
	s_or_b64 exec, exec, s[2:3]
	s_waitcnt lgkmcnt(0)
	s_barrier
	ds_read_b64 v[24:25], v80
	v_cmp_lt_u32_e32 vcc, 35, v82
	s_and_saveexec_b64 s[2:3], vcc
	s_cbranch_execz .LBB127_181
; %bb.180:
	ds_read2_b64 v[26:29], v81 offset0:36 offset1:37
	s_waitcnt lgkmcnt(1)
	v_mul_f64 v[158:159], v[24:25], v[158:159]
	s_waitcnt lgkmcnt(0)
	v_fma_f64 v[220:221], -v[158:159], v[26:27], v[220:221]
	v_fma_f64 v[156:157], -v[158:159], v[28:29], v[156:157]
	ds_read2_b64 v[26:29], v81 offset0:38 offset1:39
	s_waitcnt lgkmcnt(0)
	v_fma_f64 v[218:219], -v[158:159], v[26:27], v[218:219]
	v_fma_f64 v[154:155], -v[158:159], v[28:29], v[154:155]
	ds_read2_b64 v[26:29], v81 offset0:40 offset1:41
	;; [unrolled: 4-line block ×11, first 2 shown]
	s_waitcnt lgkmcnt(0)
	v_fma_f64 v[198:199], -v[158:159], v[26:27], v[198:199]
	s_waitcnt vmcnt(60)
	v_fma_f64 v[134:135], -v[158:159], v[28:29], v[134:135]
	ds_read2_b64 v[26:29], v81 offset0:60 offset1:61
	s_waitcnt vmcnt(57) lgkmcnt(0)
	v_fma_f64 v[196:197], -v[158:159], v[26:27], v[196:197]
	s_waitcnt vmcnt(54)
	v_fma_f64 v[132:133], -v[158:159], v[28:29], v[132:133]
	ds_read2_b64 v[26:29], v81 offset0:62 offset1:63
	s_waitcnt vmcnt(51) lgkmcnt(0)
	v_fma_f64 v[194:195], -v[158:159], v[26:27], v[194:195]
	s_waitcnt vmcnt(48)
	v_fma_f64 v[2:3], -v[158:159], v[28:29], v[2:3]
.LBB127_181:
	s_or_b64 exec, exec, s[2:3]
	v_cmp_eq_u32_e32 vcc, 36, v82
	s_waitcnt lgkmcnt(0)
	s_barrier
	s_and_saveexec_b64 s[2:3], vcc
	s_cbranch_execz .LBB127_184
; %bb.182:
	ds_write_b64 v80, v[220:221]
	ds_write2_b64 v81, v[156:157], v[218:219] offset0:37 offset1:38
	ds_write2_b64 v81, v[154:155], v[216:217] offset0:39 offset1:40
	;; [unrolled: 1-line block ×11, first 2 shown]
	s_waitcnt vmcnt(57)
	ds_write2_b64 v81, v[134:135], v[196:197] offset0:59 offset1:60
	s_waitcnt vmcnt(51)
	ds_write2_b64 v81, v[132:133], v[194:195] offset0:61 offset1:62
	s_waitcnt vmcnt(48)
	ds_write_b64 v81, v[2:3] offset:504
	ds_read_b64 v[26:27], v80
	s_waitcnt lgkmcnt(0)
	v_cmp_neq_f64_e32 vcc, 0, v[26:27]
	s_and_b64 exec, exec, vcc
	s_cbranch_execz .LBB127_184
; %bb.183:
	v_div_scale_f64 v[28:29], s[6:7], v[26:27], v[26:27], 1.0
	v_rcp_f64_e32 v[30:31], v[28:29]
	v_div_scale_f64 v[32:33], vcc, 1.0, v[26:27], 1.0
	v_fma_f64 v[34:35], -v[28:29], v[30:31], 1.0
	v_fmac_f64_e32 v[30:31], v[30:31], v[34:35]
	v_fma_f64 v[34:35], -v[28:29], v[30:31], 1.0
	v_fmac_f64_e32 v[30:31], v[30:31], v[34:35]
	v_mul_f64 v[34:35], v[32:33], v[30:31]
	v_fma_f64 v[28:29], -v[28:29], v[34:35], v[32:33]
	v_div_fmas_f64 v[28:29], v[28:29], v[30:31], v[34:35]
	v_div_fixup_f64 v[26:27], v[28:29], v[26:27], 1.0
	ds_write_b64 v80, v[26:27]
.LBB127_184:
	s_or_b64 exec, exec, s[2:3]
	s_waitcnt lgkmcnt(0)
	s_barrier
	ds_read_b64 v[26:27], v80
	v_cmp_lt_u32_e32 vcc, 36, v82
	s_and_saveexec_b64 s[2:3], vcc
	s_cbranch_execz .LBB127_186
; %bb.185:
	ds_read2_b64 v[28:31], v81 offset0:37 offset1:38
	s_waitcnt lgkmcnt(1)
	v_mul_f64 v[220:221], v[26:27], v[220:221]
	s_waitcnt lgkmcnt(0)
	v_fma_f64 v[156:157], -v[220:221], v[28:29], v[156:157]
	v_fma_f64 v[218:219], -v[220:221], v[30:31], v[218:219]
	ds_read2_b64 v[28:31], v81 offset0:39 offset1:40
	s_waitcnt lgkmcnt(0)
	v_fma_f64 v[154:155], -v[220:221], v[28:29], v[154:155]
	v_fma_f64 v[216:217], -v[220:221], v[30:31], v[216:217]
	ds_read2_b64 v[28:31], v81 offset0:41 offset1:42
	;; [unrolled: 4-line block ×11, first 2 shown]
	s_waitcnt vmcnt(60) lgkmcnt(0)
	v_fma_f64 v[134:135], -v[220:221], v[28:29], v[134:135]
	s_waitcnt vmcnt(57)
	v_fma_f64 v[196:197], -v[220:221], v[30:31], v[196:197]
	ds_read2_b64 v[28:31], v81 offset0:61 offset1:62
	s_waitcnt vmcnt(54) lgkmcnt(0)
	v_fma_f64 v[132:133], -v[220:221], v[28:29], v[132:133]
	ds_read_b64 v[28:29], v81 offset:504
	s_waitcnt vmcnt(51)
	v_fma_f64 v[194:195], -v[220:221], v[30:31], v[194:195]
	s_waitcnt vmcnt(48) lgkmcnt(0)
	v_fma_f64 v[2:3], -v[220:221], v[28:29], v[2:3]
.LBB127_186:
	s_or_b64 exec, exec, s[2:3]
	v_cmp_eq_u32_e32 vcc, 37, v82
	s_waitcnt lgkmcnt(0)
	s_barrier
	s_and_saveexec_b64 s[2:3], vcc
	s_cbranch_execz .LBB127_189
; %bb.187:
	v_mov_b32_e32 v28, v218
	v_mov_b32_e32 v29, v219
	;; [unrolled: 1-line block ×4, first 2 shown]
	ds_write_b64 v80, v[156:157]
	ds_write2_b64 v81, v[28:29], v[30:31] offset0:38 offset1:39
	v_mov_b32_e32 v28, v216
	v_mov_b32_e32 v29, v217
	v_mov_b32_e32 v30, v152
	v_mov_b32_e32 v31, v153
	ds_write2_b64 v81, v[28:29], v[30:31] offset0:40 offset1:41
	v_mov_b32_e32 v28, v214
	v_mov_b32_e32 v29, v215
	v_mov_b32_e32 v30, v150
	v_mov_b32_e32 v31, v151
	;; [unrolled: 5-line block ×9, first 2 shown]
	ds_write2_b64 v81, v[28:29], v[30:31] offset0:56 offset1:57
	v_mov_b32_e32 v28, v198
	v_mov_b32_e32 v29, v199
	s_waitcnt vmcnt(60)
	v_mov_b32_e32 v30, v134
	v_mov_b32_e32 v31, v135
	ds_write2_b64 v81, v[28:29], v[30:31] offset0:58 offset1:59
	s_waitcnt vmcnt(57)
	v_mov_b32_e32 v28, v196
	v_mov_b32_e32 v29, v197
	s_waitcnt vmcnt(54)
	v_mov_b32_e32 v30, v132
	v_mov_b32_e32 v31, v133
	ds_write2_b64 v81, v[28:29], v[30:31] offset0:60 offset1:61
	s_waitcnt vmcnt(51)
	v_mov_b32_e32 v28, v194
	v_mov_b32_e32 v29, v195
	s_waitcnt vmcnt(48)
	ds_write2_b64 v81, v[28:29], v[2:3] offset0:62 offset1:63
	ds_read_b64 v[28:29], v80
	s_waitcnt lgkmcnt(0)
	v_cmp_neq_f64_e32 vcc, 0, v[28:29]
	s_and_b64 exec, exec, vcc
	s_cbranch_execz .LBB127_189
; %bb.188:
	v_div_scale_f64 v[30:31], s[6:7], v[28:29], v[28:29], 1.0
	v_rcp_f64_e32 v[32:33], v[30:31]
	v_div_scale_f64 v[34:35], vcc, 1.0, v[28:29], 1.0
	v_fma_f64 v[36:37], -v[30:31], v[32:33], 1.0
	v_fmac_f64_e32 v[32:33], v[32:33], v[36:37]
	v_fma_f64 v[36:37], -v[30:31], v[32:33], 1.0
	v_fmac_f64_e32 v[32:33], v[32:33], v[36:37]
	v_mul_f64 v[36:37], v[34:35], v[32:33]
	v_fma_f64 v[30:31], -v[30:31], v[36:37], v[34:35]
	v_div_fmas_f64 v[30:31], v[30:31], v[32:33], v[36:37]
	v_div_fixup_f64 v[28:29], v[30:31], v[28:29], 1.0
	ds_write_b64 v80, v[28:29]
.LBB127_189:
	s_or_b64 exec, exec, s[2:3]
	s_waitcnt lgkmcnt(0)
	s_barrier
	ds_read_b64 v[28:29], v80
	v_cmp_lt_u32_e32 vcc, 37, v82
	s_and_saveexec_b64 s[2:3], vcc
	s_cbranch_execz .LBB127_191
; %bb.190:
	ds_read2_b64 v[30:33], v81 offset0:38 offset1:39
	s_waitcnt lgkmcnt(1)
	v_mul_f64 v[156:157], v[28:29], v[156:157]
	s_waitcnt lgkmcnt(0)
	v_fma_f64 v[218:219], -v[156:157], v[30:31], v[218:219]
	v_fma_f64 v[154:155], -v[156:157], v[32:33], v[154:155]
	ds_read2_b64 v[30:33], v81 offset0:40 offset1:41
	s_waitcnt lgkmcnt(0)
	v_fma_f64 v[216:217], -v[156:157], v[30:31], v[216:217]
	v_fma_f64 v[152:153], -v[156:157], v[32:33], v[152:153]
	ds_read2_b64 v[30:33], v81 offset0:42 offset1:43
	;; [unrolled: 4-line block ×10, first 2 shown]
	s_waitcnt lgkmcnt(0)
	v_fma_f64 v[198:199], -v[156:157], v[30:31], v[198:199]
	s_waitcnt vmcnt(60)
	v_fma_f64 v[134:135], -v[156:157], v[32:33], v[134:135]
	ds_read2_b64 v[30:33], v81 offset0:60 offset1:61
	s_waitcnt vmcnt(57) lgkmcnt(0)
	v_fma_f64 v[196:197], -v[156:157], v[30:31], v[196:197]
	s_waitcnt vmcnt(54)
	v_fma_f64 v[132:133], -v[156:157], v[32:33], v[132:133]
	ds_read2_b64 v[30:33], v81 offset0:62 offset1:63
	s_waitcnt vmcnt(51) lgkmcnt(0)
	v_fma_f64 v[194:195], -v[156:157], v[30:31], v[194:195]
	s_waitcnt vmcnt(48)
	v_fma_f64 v[2:3], -v[156:157], v[32:33], v[2:3]
.LBB127_191:
	s_or_b64 exec, exec, s[2:3]
	v_cmp_eq_u32_e32 vcc, 38, v82
	s_waitcnt lgkmcnt(0)
	s_barrier
	s_and_saveexec_b64 s[2:3], vcc
	s_cbranch_execz .LBB127_194
; %bb.192:
	ds_write_b64 v80, v[218:219]
	ds_write2_b64 v81, v[154:155], v[216:217] offset0:39 offset1:40
	ds_write2_b64 v81, v[152:153], v[214:215] offset0:41 offset1:42
	ds_write2_b64 v81, v[150:151], v[212:213] offset0:43 offset1:44
	ds_write2_b64 v81, v[148:149], v[210:211] offset0:45 offset1:46
	ds_write2_b64 v81, v[146:147], v[208:209] offset0:47 offset1:48
	ds_write2_b64 v81, v[144:145], v[206:207] offset0:49 offset1:50
	ds_write2_b64 v81, v[142:143], v[204:205] offset0:51 offset1:52
	ds_write2_b64 v81, v[140:141], v[202:203] offset0:53 offset1:54
	ds_write2_b64 v81, v[138:139], v[200:201] offset0:55 offset1:56
	ds_write2_b64 v81, v[136:137], v[198:199] offset0:57 offset1:58
	s_waitcnt vmcnt(57)
	ds_write2_b64 v81, v[134:135], v[196:197] offset0:59 offset1:60
	s_waitcnt vmcnt(51)
	ds_write2_b64 v81, v[132:133], v[194:195] offset0:61 offset1:62
	s_waitcnt vmcnt(48)
	ds_write_b64 v81, v[2:3] offset:504
	ds_read_b64 v[30:31], v80
	s_waitcnt lgkmcnt(0)
	v_cmp_neq_f64_e32 vcc, 0, v[30:31]
	s_and_b64 exec, exec, vcc
	s_cbranch_execz .LBB127_194
; %bb.193:
	v_div_scale_f64 v[32:33], s[6:7], v[30:31], v[30:31], 1.0
	v_rcp_f64_e32 v[34:35], v[32:33]
	v_div_scale_f64 v[36:37], vcc, 1.0, v[30:31], 1.0
	v_fma_f64 v[38:39], -v[32:33], v[34:35], 1.0
	v_fmac_f64_e32 v[34:35], v[34:35], v[38:39]
	v_fma_f64 v[38:39], -v[32:33], v[34:35], 1.0
	v_fmac_f64_e32 v[34:35], v[34:35], v[38:39]
	v_mul_f64 v[38:39], v[36:37], v[34:35]
	v_fma_f64 v[32:33], -v[32:33], v[38:39], v[36:37]
	v_div_fmas_f64 v[32:33], v[32:33], v[34:35], v[38:39]
	v_div_fixup_f64 v[30:31], v[32:33], v[30:31], 1.0
	ds_write_b64 v80, v[30:31]
.LBB127_194:
	s_or_b64 exec, exec, s[2:3]
	s_waitcnt lgkmcnt(0)
	s_barrier
	ds_read_b64 v[30:31], v80
	v_cmp_lt_u32_e32 vcc, 38, v82
	s_and_saveexec_b64 s[2:3], vcc
	s_cbranch_execz .LBB127_196
; %bb.195:
	ds_read2_b64 v[32:35], v81 offset0:39 offset1:40
	s_waitcnt lgkmcnt(1)
	v_mul_f64 v[218:219], v[30:31], v[218:219]
	s_waitcnt lgkmcnt(0)
	v_fma_f64 v[154:155], -v[218:219], v[32:33], v[154:155]
	v_fma_f64 v[216:217], -v[218:219], v[34:35], v[216:217]
	ds_read2_b64 v[32:35], v81 offset0:41 offset1:42
	s_waitcnt lgkmcnt(0)
	v_fma_f64 v[152:153], -v[218:219], v[32:33], v[152:153]
	v_fma_f64 v[214:215], -v[218:219], v[34:35], v[214:215]
	ds_read2_b64 v[32:35], v81 offset0:43 offset1:44
	;; [unrolled: 4-line block ×10, first 2 shown]
	s_waitcnt vmcnt(60) lgkmcnt(0)
	v_fma_f64 v[134:135], -v[218:219], v[32:33], v[134:135]
	s_waitcnt vmcnt(57)
	v_fma_f64 v[196:197], -v[218:219], v[34:35], v[196:197]
	ds_read2_b64 v[32:35], v81 offset0:61 offset1:62
	s_waitcnt vmcnt(54) lgkmcnt(0)
	v_fma_f64 v[132:133], -v[218:219], v[32:33], v[132:133]
	ds_read_b64 v[32:33], v81 offset:504
	s_waitcnt vmcnt(51)
	v_fma_f64 v[194:195], -v[218:219], v[34:35], v[194:195]
	s_waitcnt vmcnt(48) lgkmcnt(0)
	v_fma_f64 v[2:3], -v[218:219], v[32:33], v[2:3]
.LBB127_196:
	s_or_b64 exec, exec, s[2:3]
	v_cmp_eq_u32_e32 vcc, 39, v82
	s_waitcnt lgkmcnt(0)
	s_barrier
	s_and_saveexec_b64 s[2:3], vcc
	s_cbranch_execz .LBB127_199
; %bb.197:
	v_mov_b32_e32 v32, v216
	v_mov_b32_e32 v33, v217
	v_mov_b32_e32 v34, v152
	v_mov_b32_e32 v35, v153
	ds_write_b64 v80, v[154:155]
	ds_write2_b64 v81, v[32:33], v[34:35] offset0:40 offset1:41
	v_mov_b32_e32 v32, v214
	v_mov_b32_e32 v33, v215
	v_mov_b32_e32 v34, v150
	v_mov_b32_e32 v35, v151
	ds_write2_b64 v81, v[32:33], v[34:35] offset0:42 offset1:43
	v_mov_b32_e32 v32, v212
	v_mov_b32_e32 v33, v213
	v_mov_b32_e32 v34, v148
	v_mov_b32_e32 v35, v149
	;; [unrolled: 5-line block ×8, first 2 shown]
	ds_write2_b64 v81, v[32:33], v[34:35] offset0:56 offset1:57
	v_mov_b32_e32 v32, v198
	v_mov_b32_e32 v33, v199
	s_waitcnt vmcnt(60)
	v_mov_b32_e32 v34, v134
	v_mov_b32_e32 v35, v135
	ds_write2_b64 v81, v[32:33], v[34:35] offset0:58 offset1:59
	s_waitcnt vmcnt(57)
	v_mov_b32_e32 v32, v196
	v_mov_b32_e32 v33, v197
	s_waitcnt vmcnt(54)
	v_mov_b32_e32 v34, v132
	v_mov_b32_e32 v35, v133
	ds_write2_b64 v81, v[32:33], v[34:35] offset0:60 offset1:61
	s_waitcnt vmcnt(51)
	v_mov_b32_e32 v32, v194
	v_mov_b32_e32 v33, v195
	s_waitcnt vmcnt(48)
	ds_write2_b64 v81, v[32:33], v[2:3] offset0:62 offset1:63
	ds_read_b64 v[32:33], v80
	s_waitcnt lgkmcnt(0)
	v_cmp_neq_f64_e32 vcc, 0, v[32:33]
	s_and_b64 exec, exec, vcc
	s_cbranch_execz .LBB127_199
; %bb.198:
	v_div_scale_f64 v[34:35], s[6:7], v[32:33], v[32:33], 1.0
	v_rcp_f64_e32 v[36:37], v[34:35]
	v_div_scale_f64 v[38:39], vcc, 1.0, v[32:33], 1.0
	v_fma_f64 v[40:41], -v[34:35], v[36:37], 1.0
	v_fmac_f64_e32 v[36:37], v[36:37], v[40:41]
	v_fma_f64 v[40:41], -v[34:35], v[36:37], 1.0
	v_fmac_f64_e32 v[36:37], v[36:37], v[40:41]
	v_mul_f64 v[40:41], v[38:39], v[36:37]
	v_fma_f64 v[34:35], -v[34:35], v[40:41], v[38:39]
	v_div_fmas_f64 v[34:35], v[34:35], v[36:37], v[40:41]
	v_div_fixup_f64 v[32:33], v[34:35], v[32:33], 1.0
	ds_write_b64 v80, v[32:33]
.LBB127_199:
	s_or_b64 exec, exec, s[2:3]
	s_waitcnt lgkmcnt(0)
	s_barrier
	ds_read_b64 v[32:33], v80
	v_cmp_lt_u32_e32 vcc, 39, v82
	s_and_saveexec_b64 s[2:3], vcc
	s_cbranch_execz .LBB127_201
; %bb.200:
	ds_read2_b64 v[34:37], v81 offset0:40 offset1:41
	s_waitcnt lgkmcnt(1)
	v_mul_f64 v[154:155], v[32:33], v[154:155]
	s_waitcnt lgkmcnt(0)
	v_fma_f64 v[216:217], -v[154:155], v[34:35], v[216:217]
	v_fma_f64 v[152:153], -v[154:155], v[36:37], v[152:153]
	ds_read2_b64 v[34:37], v81 offset0:42 offset1:43
	s_waitcnt lgkmcnt(0)
	v_fma_f64 v[214:215], -v[154:155], v[34:35], v[214:215]
	v_fma_f64 v[150:151], -v[154:155], v[36:37], v[150:151]
	ds_read2_b64 v[34:37], v81 offset0:44 offset1:45
	;; [unrolled: 4-line block ×9, first 2 shown]
	s_waitcnt lgkmcnt(0)
	v_fma_f64 v[198:199], -v[154:155], v[34:35], v[198:199]
	s_waitcnt vmcnt(60)
	v_fma_f64 v[134:135], -v[154:155], v[36:37], v[134:135]
	ds_read2_b64 v[34:37], v81 offset0:60 offset1:61
	s_waitcnt vmcnt(57) lgkmcnt(0)
	v_fma_f64 v[196:197], -v[154:155], v[34:35], v[196:197]
	s_waitcnt vmcnt(54)
	v_fma_f64 v[132:133], -v[154:155], v[36:37], v[132:133]
	ds_read2_b64 v[34:37], v81 offset0:62 offset1:63
	s_waitcnt vmcnt(51) lgkmcnt(0)
	v_fma_f64 v[194:195], -v[154:155], v[34:35], v[194:195]
	s_waitcnt vmcnt(48)
	v_fma_f64 v[2:3], -v[154:155], v[36:37], v[2:3]
.LBB127_201:
	s_or_b64 exec, exec, s[2:3]
	v_cmp_eq_u32_e32 vcc, 40, v82
	s_waitcnt lgkmcnt(0)
	s_barrier
	s_and_saveexec_b64 s[2:3], vcc
	s_cbranch_execz .LBB127_204
; %bb.202:
	ds_write_b64 v80, v[216:217]
	ds_write2_b64 v81, v[152:153], v[214:215] offset0:41 offset1:42
	ds_write2_b64 v81, v[150:151], v[212:213] offset0:43 offset1:44
	;; [unrolled: 1-line block ×9, first 2 shown]
	s_waitcnt vmcnt(57)
	ds_write2_b64 v81, v[134:135], v[196:197] offset0:59 offset1:60
	s_waitcnt vmcnt(51)
	ds_write2_b64 v81, v[132:133], v[194:195] offset0:61 offset1:62
	s_waitcnt vmcnt(48)
	ds_write_b64 v81, v[2:3] offset:504
	ds_read_b64 v[34:35], v80
	s_waitcnt lgkmcnt(0)
	v_cmp_neq_f64_e32 vcc, 0, v[34:35]
	s_and_b64 exec, exec, vcc
	s_cbranch_execz .LBB127_204
; %bb.203:
	v_div_scale_f64 v[36:37], s[6:7], v[34:35], v[34:35], 1.0
	v_rcp_f64_e32 v[38:39], v[36:37]
	v_div_scale_f64 v[40:41], vcc, 1.0, v[34:35], 1.0
	v_fma_f64 v[42:43], -v[36:37], v[38:39], 1.0
	v_fmac_f64_e32 v[38:39], v[38:39], v[42:43]
	v_fma_f64 v[42:43], -v[36:37], v[38:39], 1.0
	v_fmac_f64_e32 v[38:39], v[38:39], v[42:43]
	v_mul_f64 v[42:43], v[40:41], v[38:39]
	v_fma_f64 v[36:37], -v[36:37], v[42:43], v[40:41]
	v_div_fmas_f64 v[36:37], v[36:37], v[38:39], v[42:43]
	v_div_fixup_f64 v[34:35], v[36:37], v[34:35], 1.0
	ds_write_b64 v80, v[34:35]
.LBB127_204:
	s_or_b64 exec, exec, s[2:3]
	s_waitcnt lgkmcnt(0)
	s_barrier
	ds_read_b64 v[34:35], v80
	v_cmp_lt_u32_e32 vcc, 40, v82
	s_and_saveexec_b64 s[2:3], vcc
	s_cbranch_execz .LBB127_206
; %bb.205:
	ds_read2_b64 v[36:39], v81 offset0:41 offset1:42
	s_waitcnt lgkmcnt(1)
	v_mul_f64 v[216:217], v[34:35], v[216:217]
	s_waitcnt lgkmcnt(0)
	v_fma_f64 v[152:153], -v[216:217], v[36:37], v[152:153]
	v_fma_f64 v[214:215], -v[216:217], v[38:39], v[214:215]
	ds_read2_b64 v[36:39], v81 offset0:43 offset1:44
	s_waitcnt lgkmcnt(0)
	v_fma_f64 v[150:151], -v[216:217], v[36:37], v[150:151]
	v_fma_f64 v[212:213], -v[216:217], v[38:39], v[212:213]
	ds_read2_b64 v[36:39], v81 offset0:45 offset1:46
	;; [unrolled: 4-line block ×9, first 2 shown]
	s_waitcnt vmcnt(60) lgkmcnt(0)
	v_fma_f64 v[134:135], -v[216:217], v[36:37], v[134:135]
	s_waitcnt vmcnt(57)
	v_fma_f64 v[196:197], -v[216:217], v[38:39], v[196:197]
	ds_read2_b64 v[36:39], v81 offset0:61 offset1:62
	s_waitcnt vmcnt(54) lgkmcnt(0)
	v_fma_f64 v[132:133], -v[216:217], v[36:37], v[132:133]
	ds_read_b64 v[36:37], v81 offset:504
	s_waitcnt vmcnt(51)
	v_fma_f64 v[194:195], -v[216:217], v[38:39], v[194:195]
	s_waitcnt vmcnt(48) lgkmcnt(0)
	v_fma_f64 v[2:3], -v[216:217], v[36:37], v[2:3]
.LBB127_206:
	s_or_b64 exec, exec, s[2:3]
	v_cmp_eq_u32_e32 vcc, 41, v82
	s_waitcnt lgkmcnt(0)
	s_barrier
	s_and_saveexec_b64 s[2:3], vcc
	s_cbranch_execz .LBB127_209
; %bb.207:
	v_mov_b32_e32 v36, v214
	v_mov_b32_e32 v37, v215
	;; [unrolled: 1-line block ×4, first 2 shown]
	ds_write_b64 v80, v[152:153]
	ds_write2_b64 v81, v[36:37], v[38:39] offset0:42 offset1:43
	v_mov_b32_e32 v36, v212
	v_mov_b32_e32 v37, v213
	v_mov_b32_e32 v38, v148
	v_mov_b32_e32 v39, v149
	ds_write2_b64 v81, v[36:37], v[38:39] offset0:44 offset1:45
	v_mov_b32_e32 v36, v210
	v_mov_b32_e32 v37, v211
	v_mov_b32_e32 v38, v146
	v_mov_b32_e32 v39, v147
	;; [unrolled: 5-line block ×7, first 2 shown]
	ds_write2_b64 v81, v[36:37], v[38:39] offset0:56 offset1:57
	v_mov_b32_e32 v36, v198
	v_mov_b32_e32 v37, v199
	s_waitcnt vmcnt(60)
	v_mov_b32_e32 v38, v134
	v_mov_b32_e32 v39, v135
	ds_write2_b64 v81, v[36:37], v[38:39] offset0:58 offset1:59
	s_waitcnt vmcnt(57)
	v_mov_b32_e32 v36, v196
	v_mov_b32_e32 v37, v197
	s_waitcnt vmcnt(54)
	v_mov_b32_e32 v38, v132
	v_mov_b32_e32 v39, v133
	ds_write2_b64 v81, v[36:37], v[38:39] offset0:60 offset1:61
	s_waitcnt vmcnt(51)
	v_mov_b32_e32 v36, v194
	v_mov_b32_e32 v37, v195
	s_waitcnt vmcnt(48)
	ds_write2_b64 v81, v[36:37], v[2:3] offset0:62 offset1:63
	ds_read_b64 v[36:37], v80
	s_waitcnt lgkmcnt(0)
	v_cmp_neq_f64_e32 vcc, 0, v[36:37]
	s_and_b64 exec, exec, vcc
	s_cbranch_execz .LBB127_209
; %bb.208:
	v_div_scale_f64 v[38:39], s[6:7], v[36:37], v[36:37], 1.0
	v_rcp_f64_e32 v[40:41], v[38:39]
	v_div_scale_f64 v[42:43], vcc, 1.0, v[36:37], 1.0
	v_fma_f64 v[44:45], -v[38:39], v[40:41], 1.0
	v_fmac_f64_e32 v[40:41], v[40:41], v[44:45]
	v_fma_f64 v[44:45], -v[38:39], v[40:41], 1.0
	v_fmac_f64_e32 v[40:41], v[40:41], v[44:45]
	v_mul_f64 v[44:45], v[42:43], v[40:41]
	v_fma_f64 v[38:39], -v[38:39], v[44:45], v[42:43]
	v_div_fmas_f64 v[38:39], v[38:39], v[40:41], v[44:45]
	v_div_fixup_f64 v[36:37], v[38:39], v[36:37], 1.0
	ds_write_b64 v80, v[36:37]
.LBB127_209:
	s_or_b64 exec, exec, s[2:3]
	s_waitcnt lgkmcnt(0)
	s_barrier
	ds_read_b64 v[36:37], v80
	v_cmp_lt_u32_e32 vcc, 41, v82
	s_and_saveexec_b64 s[2:3], vcc
	s_cbranch_execz .LBB127_211
; %bb.210:
	ds_read2_b64 v[38:41], v81 offset0:42 offset1:43
	s_waitcnt lgkmcnt(1)
	v_mul_f64 v[152:153], v[36:37], v[152:153]
	s_waitcnt lgkmcnt(0)
	v_fma_f64 v[214:215], -v[152:153], v[38:39], v[214:215]
	v_fma_f64 v[150:151], -v[152:153], v[40:41], v[150:151]
	ds_read2_b64 v[38:41], v81 offset0:44 offset1:45
	s_waitcnt lgkmcnt(0)
	v_fma_f64 v[212:213], -v[152:153], v[38:39], v[212:213]
	v_fma_f64 v[148:149], -v[152:153], v[40:41], v[148:149]
	ds_read2_b64 v[38:41], v81 offset0:46 offset1:47
	;; [unrolled: 4-line block ×8, first 2 shown]
	s_waitcnt lgkmcnt(0)
	v_fma_f64 v[198:199], -v[152:153], v[38:39], v[198:199]
	s_waitcnt vmcnt(60)
	v_fma_f64 v[134:135], -v[152:153], v[40:41], v[134:135]
	ds_read2_b64 v[38:41], v81 offset0:60 offset1:61
	s_waitcnt vmcnt(57) lgkmcnt(0)
	v_fma_f64 v[196:197], -v[152:153], v[38:39], v[196:197]
	s_waitcnt vmcnt(54)
	v_fma_f64 v[132:133], -v[152:153], v[40:41], v[132:133]
	ds_read2_b64 v[38:41], v81 offset0:62 offset1:63
	s_waitcnt vmcnt(51) lgkmcnt(0)
	v_fma_f64 v[194:195], -v[152:153], v[38:39], v[194:195]
	s_waitcnt vmcnt(48)
	v_fma_f64 v[2:3], -v[152:153], v[40:41], v[2:3]
.LBB127_211:
	s_or_b64 exec, exec, s[2:3]
	v_cmp_eq_u32_e32 vcc, 42, v82
	s_waitcnt lgkmcnt(0)
	s_barrier
	s_and_saveexec_b64 s[2:3], vcc
	s_cbranch_execz .LBB127_214
; %bb.212:
	ds_write_b64 v80, v[214:215]
	ds_write2_b64 v81, v[150:151], v[212:213] offset0:43 offset1:44
	ds_write2_b64 v81, v[148:149], v[210:211] offset0:45 offset1:46
	;; [unrolled: 1-line block ×8, first 2 shown]
	s_waitcnt vmcnt(57)
	ds_write2_b64 v81, v[134:135], v[196:197] offset0:59 offset1:60
	s_waitcnt vmcnt(51)
	ds_write2_b64 v81, v[132:133], v[194:195] offset0:61 offset1:62
	s_waitcnt vmcnt(48)
	ds_write_b64 v81, v[2:3] offset:504
	ds_read_b64 v[38:39], v80
	s_waitcnt lgkmcnt(0)
	v_cmp_neq_f64_e32 vcc, 0, v[38:39]
	s_and_b64 exec, exec, vcc
	s_cbranch_execz .LBB127_214
; %bb.213:
	v_div_scale_f64 v[40:41], s[6:7], v[38:39], v[38:39], 1.0
	v_rcp_f64_e32 v[42:43], v[40:41]
	v_div_scale_f64 v[44:45], vcc, 1.0, v[38:39], 1.0
	v_fma_f64 v[46:47], -v[40:41], v[42:43], 1.0
	v_fmac_f64_e32 v[42:43], v[42:43], v[46:47]
	v_fma_f64 v[46:47], -v[40:41], v[42:43], 1.0
	v_fmac_f64_e32 v[42:43], v[42:43], v[46:47]
	v_mul_f64 v[46:47], v[44:45], v[42:43]
	v_fma_f64 v[40:41], -v[40:41], v[46:47], v[44:45]
	v_div_fmas_f64 v[40:41], v[40:41], v[42:43], v[46:47]
	v_div_fixup_f64 v[38:39], v[40:41], v[38:39], 1.0
	ds_write_b64 v80, v[38:39]
.LBB127_214:
	s_or_b64 exec, exec, s[2:3]
	s_waitcnt lgkmcnt(0)
	s_barrier
	ds_read_b64 v[38:39], v80
	v_cmp_lt_u32_e32 vcc, 42, v82
	s_and_saveexec_b64 s[2:3], vcc
	s_cbranch_execz .LBB127_216
; %bb.215:
	ds_read2_b64 v[40:43], v81 offset0:43 offset1:44
	s_waitcnt lgkmcnt(1)
	v_mul_f64 v[214:215], v[38:39], v[214:215]
	s_waitcnt lgkmcnt(0)
	v_fma_f64 v[150:151], -v[214:215], v[40:41], v[150:151]
	v_fma_f64 v[212:213], -v[214:215], v[42:43], v[212:213]
	ds_read2_b64 v[40:43], v81 offset0:45 offset1:46
	s_waitcnt lgkmcnt(0)
	v_fma_f64 v[148:149], -v[214:215], v[40:41], v[148:149]
	v_fma_f64 v[210:211], -v[214:215], v[42:43], v[210:211]
	ds_read2_b64 v[40:43], v81 offset0:47 offset1:48
	;; [unrolled: 4-line block ×8, first 2 shown]
	s_waitcnt vmcnt(60) lgkmcnt(0)
	v_fma_f64 v[134:135], -v[214:215], v[40:41], v[134:135]
	s_waitcnt vmcnt(57)
	v_fma_f64 v[196:197], -v[214:215], v[42:43], v[196:197]
	ds_read2_b64 v[40:43], v81 offset0:61 offset1:62
	s_waitcnt vmcnt(54) lgkmcnt(0)
	v_fma_f64 v[132:133], -v[214:215], v[40:41], v[132:133]
	ds_read_b64 v[40:41], v81 offset:504
	s_waitcnt vmcnt(51)
	v_fma_f64 v[194:195], -v[214:215], v[42:43], v[194:195]
	s_waitcnt vmcnt(48) lgkmcnt(0)
	v_fma_f64 v[2:3], -v[214:215], v[40:41], v[2:3]
.LBB127_216:
	s_or_b64 exec, exec, s[2:3]
	v_cmp_eq_u32_e32 vcc, 43, v82
	s_waitcnt lgkmcnt(0)
	s_barrier
	s_and_saveexec_b64 s[2:3], vcc
	s_cbranch_execz .LBB127_219
; %bb.217:
	v_mov_b32_e32 v40, v212
	v_mov_b32_e32 v41, v213
	;; [unrolled: 1-line block ×4, first 2 shown]
	ds_write_b64 v80, v[150:151]
	ds_write2_b64 v81, v[40:41], v[42:43] offset0:44 offset1:45
	v_mov_b32_e32 v40, v210
	v_mov_b32_e32 v41, v211
	v_mov_b32_e32 v42, v146
	v_mov_b32_e32 v43, v147
	ds_write2_b64 v81, v[40:41], v[42:43] offset0:46 offset1:47
	v_mov_b32_e32 v40, v208
	v_mov_b32_e32 v41, v209
	v_mov_b32_e32 v42, v144
	v_mov_b32_e32 v43, v145
	;; [unrolled: 5-line block ×6, first 2 shown]
	ds_write2_b64 v81, v[40:41], v[42:43] offset0:56 offset1:57
	v_mov_b32_e32 v40, v198
	v_mov_b32_e32 v41, v199
	s_waitcnt vmcnt(60)
	v_mov_b32_e32 v42, v134
	v_mov_b32_e32 v43, v135
	ds_write2_b64 v81, v[40:41], v[42:43] offset0:58 offset1:59
	s_waitcnt vmcnt(57)
	v_mov_b32_e32 v40, v196
	v_mov_b32_e32 v41, v197
	s_waitcnt vmcnt(54)
	v_mov_b32_e32 v42, v132
	v_mov_b32_e32 v43, v133
	ds_write2_b64 v81, v[40:41], v[42:43] offset0:60 offset1:61
	s_waitcnt vmcnt(51)
	v_mov_b32_e32 v40, v194
	v_mov_b32_e32 v41, v195
	s_waitcnt vmcnt(48)
	ds_write2_b64 v81, v[40:41], v[2:3] offset0:62 offset1:63
	ds_read_b64 v[40:41], v80
	s_waitcnt lgkmcnt(0)
	v_cmp_neq_f64_e32 vcc, 0, v[40:41]
	s_and_b64 exec, exec, vcc
	s_cbranch_execz .LBB127_219
; %bb.218:
	v_div_scale_f64 v[42:43], s[6:7], v[40:41], v[40:41], 1.0
	v_rcp_f64_e32 v[44:45], v[42:43]
	v_div_scale_f64 v[46:47], vcc, 1.0, v[40:41], 1.0
	v_fma_f64 v[48:49], -v[42:43], v[44:45], 1.0
	v_fmac_f64_e32 v[44:45], v[44:45], v[48:49]
	v_fma_f64 v[48:49], -v[42:43], v[44:45], 1.0
	v_fmac_f64_e32 v[44:45], v[44:45], v[48:49]
	v_mul_f64 v[48:49], v[46:47], v[44:45]
	v_fma_f64 v[42:43], -v[42:43], v[48:49], v[46:47]
	v_div_fmas_f64 v[42:43], v[42:43], v[44:45], v[48:49]
	v_div_fixup_f64 v[40:41], v[42:43], v[40:41], 1.0
	ds_write_b64 v80, v[40:41]
.LBB127_219:
	s_or_b64 exec, exec, s[2:3]
	s_waitcnt lgkmcnt(0)
	s_barrier
	ds_read_b64 v[40:41], v80
	v_cmp_lt_u32_e32 vcc, 43, v82
	s_and_saveexec_b64 s[2:3], vcc
	s_cbranch_execz .LBB127_221
; %bb.220:
	ds_read2_b64 v[42:45], v81 offset0:44 offset1:45
	s_waitcnt lgkmcnt(1)
	v_mul_f64 v[150:151], v[40:41], v[150:151]
	s_waitcnt lgkmcnt(0)
	v_fma_f64 v[212:213], -v[150:151], v[42:43], v[212:213]
	v_fma_f64 v[148:149], -v[150:151], v[44:45], v[148:149]
	ds_read2_b64 v[42:45], v81 offset0:46 offset1:47
	s_waitcnt lgkmcnt(0)
	v_fma_f64 v[210:211], -v[150:151], v[42:43], v[210:211]
	v_fma_f64 v[146:147], -v[150:151], v[44:45], v[146:147]
	ds_read2_b64 v[42:45], v81 offset0:48 offset1:49
	;; [unrolled: 4-line block ×7, first 2 shown]
	s_waitcnt lgkmcnt(0)
	v_fma_f64 v[198:199], -v[150:151], v[42:43], v[198:199]
	s_waitcnt vmcnt(60)
	v_fma_f64 v[134:135], -v[150:151], v[44:45], v[134:135]
	ds_read2_b64 v[42:45], v81 offset0:60 offset1:61
	s_waitcnt vmcnt(57) lgkmcnt(0)
	v_fma_f64 v[196:197], -v[150:151], v[42:43], v[196:197]
	s_waitcnt vmcnt(54)
	v_fma_f64 v[132:133], -v[150:151], v[44:45], v[132:133]
	ds_read2_b64 v[42:45], v81 offset0:62 offset1:63
	s_waitcnt vmcnt(51) lgkmcnt(0)
	v_fma_f64 v[194:195], -v[150:151], v[42:43], v[194:195]
	s_waitcnt vmcnt(48)
	v_fma_f64 v[2:3], -v[150:151], v[44:45], v[2:3]
.LBB127_221:
	s_or_b64 exec, exec, s[2:3]
	v_cmp_eq_u32_e32 vcc, 44, v82
	s_waitcnt lgkmcnt(0)
	s_barrier
	s_and_saveexec_b64 s[2:3], vcc
	s_cbranch_execz .LBB127_224
; %bb.222:
	ds_write_b64 v80, v[212:213]
	ds_write2_b64 v81, v[148:149], v[210:211] offset0:45 offset1:46
	ds_write2_b64 v81, v[146:147], v[208:209] offset0:47 offset1:48
	;; [unrolled: 1-line block ×7, first 2 shown]
	s_waitcnt vmcnt(57)
	ds_write2_b64 v81, v[134:135], v[196:197] offset0:59 offset1:60
	s_waitcnt vmcnt(51)
	ds_write2_b64 v81, v[132:133], v[194:195] offset0:61 offset1:62
	s_waitcnt vmcnt(48)
	ds_write_b64 v81, v[2:3] offset:504
	ds_read_b64 v[42:43], v80
	s_waitcnt lgkmcnt(0)
	v_cmp_neq_f64_e32 vcc, 0, v[42:43]
	s_and_b64 exec, exec, vcc
	s_cbranch_execz .LBB127_224
; %bb.223:
	v_div_scale_f64 v[44:45], s[6:7], v[42:43], v[42:43], 1.0
	v_rcp_f64_e32 v[46:47], v[44:45]
	v_div_scale_f64 v[48:49], vcc, 1.0, v[42:43], 1.0
	v_fma_f64 v[50:51], -v[44:45], v[46:47], 1.0
	v_fmac_f64_e32 v[46:47], v[46:47], v[50:51]
	v_fma_f64 v[50:51], -v[44:45], v[46:47], 1.0
	v_fmac_f64_e32 v[46:47], v[46:47], v[50:51]
	v_mul_f64 v[50:51], v[48:49], v[46:47]
	v_fma_f64 v[44:45], -v[44:45], v[50:51], v[48:49]
	v_div_fmas_f64 v[44:45], v[44:45], v[46:47], v[50:51]
	v_div_fixup_f64 v[42:43], v[44:45], v[42:43], 1.0
	ds_write_b64 v80, v[42:43]
.LBB127_224:
	s_or_b64 exec, exec, s[2:3]
	s_waitcnt lgkmcnt(0)
	s_barrier
	ds_read_b64 v[42:43], v80
	v_cmp_lt_u32_e32 vcc, 44, v82
	s_and_saveexec_b64 s[2:3], vcc
	s_cbranch_execz .LBB127_226
; %bb.225:
	ds_read2_b64 v[44:47], v81 offset0:45 offset1:46
	s_waitcnt lgkmcnt(1)
	v_mul_f64 v[212:213], v[42:43], v[212:213]
	s_waitcnt lgkmcnt(0)
	v_fma_f64 v[148:149], -v[212:213], v[44:45], v[148:149]
	v_fma_f64 v[210:211], -v[212:213], v[46:47], v[210:211]
	ds_read2_b64 v[44:47], v81 offset0:47 offset1:48
	s_waitcnt lgkmcnt(0)
	v_fma_f64 v[146:147], -v[212:213], v[44:45], v[146:147]
	v_fma_f64 v[208:209], -v[212:213], v[46:47], v[208:209]
	ds_read2_b64 v[44:47], v81 offset0:49 offset1:50
	;; [unrolled: 4-line block ×7, first 2 shown]
	s_waitcnt vmcnt(60) lgkmcnt(0)
	v_fma_f64 v[134:135], -v[212:213], v[44:45], v[134:135]
	s_waitcnt vmcnt(57)
	v_fma_f64 v[196:197], -v[212:213], v[46:47], v[196:197]
	ds_read2_b64 v[44:47], v81 offset0:61 offset1:62
	s_waitcnt vmcnt(54) lgkmcnt(0)
	v_fma_f64 v[132:133], -v[212:213], v[44:45], v[132:133]
	ds_read_b64 v[44:45], v81 offset:504
	s_waitcnt vmcnt(51)
	v_fma_f64 v[194:195], -v[212:213], v[46:47], v[194:195]
	s_waitcnt vmcnt(48) lgkmcnt(0)
	v_fma_f64 v[2:3], -v[212:213], v[44:45], v[2:3]
.LBB127_226:
	s_or_b64 exec, exec, s[2:3]
	v_cmp_eq_u32_e32 vcc, 45, v82
	s_waitcnt lgkmcnt(0)
	s_barrier
	s_and_saveexec_b64 s[2:3], vcc
	s_cbranch_execz .LBB127_229
; %bb.227:
	v_mov_b32_e32 v44, v210
	v_mov_b32_e32 v45, v211
	;; [unrolled: 1-line block ×4, first 2 shown]
	ds_write_b64 v80, v[148:149]
	ds_write2_b64 v81, v[44:45], v[46:47] offset0:46 offset1:47
	v_mov_b32_e32 v44, v208
	v_mov_b32_e32 v45, v209
	v_mov_b32_e32 v46, v144
	v_mov_b32_e32 v47, v145
	ds_write2_b64 v81, v[44:45], v[46:47] offset0:48 offset1:49
	v_mov_b32_e32 v44, v206
	v_mov_b32_e32 v45, v207
	v_mov_b32_e32 v46, v142
	v_mov_b32_e32 v47, v143
	ds_write2_b64 v81, v[44:45], v[46:47] offset0:50 offset1:51
	v_mov_b32_e32 v44, v204
	v_mov_b32_e32 v45, v205
	v_mov_b32_e32 v46, v140
	v_mov_b32_e32 v47, v141
	ds_write2_b64 v81, v[44:45], v[46:47] offset0:52 offset1:53
	v_mov_b32_e32 v44, v202
	v_mov_b32_e32 v45, v203
	v_mov_b32_e32 v46, v138
	v_mov_b32_e32 v47, v139
	ds_write2_b64 v81, v[44:45], v[46:47] offset0:54 offset1:55
	v_mov_b32_e32 v44, v200
	v_mov_b32_e32 v45, v201
	v_mov_b32_e32 v46, v136
	v_mov_b32_e32 v47, v137
	ds_write2_b64 v81, v[44:45], v[46:47] offset0:56 offset1:57
	v_mov_b32_e32 v44, v198
	v_mov_b32_e32 v45, v199
	s_waitcnt vmcnt(60)
	v_mov_b32_e32 v46, v134
	v_mov_b32_e32 v47, v135
	ds_write2_b64 v81, v[44:45], v[46:47] offset0:58 offset1:59
	s_waitcnt vmcnt(57)
	v_mov_b32_e32 v44, v196
	v_mov_b32_e32 v45, v197
	s_waitcnt vmcnt(54)
	v_mov_b32_e32 v46, v132
	v_mov_b32_e32 v47, v133
	ds_write2_b64 v81, v[44:45], v[46:47] offset0:60 offset1:61
	s_waitcnt vmcnt(51)
	v_mov_b32_e32 v44, v194
	v_mov_b32_e32 v45, v195
	s_waitcnt vmcnt(48)
	ds_write2_b64 v81, v[44:45], v[2:3] offset0:62 offset1:63
	ds_read_b64 v[44:45], v80
	s_waitcnt lgkmcnt(0)
	v_cmp_neq_f64_e32 vcc, 0, v[44:45]
	s_and_b64 exec, exec, vcc
	s_cbranch_execz .LBB127_229
; %bb.228:
	v_div_scale_f64 v[46:47], s[6:7], v[44:45], v[44:45], 1.0
	v_rcp_f64_e32 v[48:49], v[46:47]
	v_div_scale_f64 v[50:51], vcc, 1.0, v[44:45], 1.0
	v_fma_f64 v[52:53], -v[46:47], v[48:49], 1.0
	v_fmac_f64_e32 v[48:49], v[48:49], v[52:53]
	v_fma_f64 v[52:53], -v[46:47], v[48:49], 1.0
	v_fmac_f64_e32 v[48:49], v[48:49], v[52:53]
	v_mul_f64 v[52:53], v[50:51], v[48:49]
	v_fma_f64 v[46:47], -v[46:47], v[52:53], v[50:51]
	v_div_fmas_f64 v[46:47], v[46:47], v[48:49], v[52:53]
	v_div_fixup_f64 v[44:45], v[46:47], v[44:45], 1.0
	ds_write_b64 v80, v[44:45]
.LBB127_229:
	s_or_b64 exec, exec, s[2:3]
	s_waitcnt lgkmcnt(0)
	s_barrier
	ds_read_b64 v[44:45], v80
	v_cmp_lt_u32_e32 vcc, 45, v82
	s_and_saveexec_b64 s[2:3], vcc
	s_cbranch_execz .LBB127_231
; %bb.230:
	ds_read2_b64 v[46:49], v81 offset0:46 offset1:47
	s_waitcnt lgkmcnt(1)
	v_mul_f64 v[148:149], v[44:45], v[148:149]
	s_waitcnt lgkmcnt(0)
	v_fma_f64 v[210:211], -v[148:149], v[46:47], v[210:211]
	v_fma_f64 v[146:147], -v[148:149], v[48:49], v[146:147]
	ds_read2_b64 v[46:49], v81 offset0:48 offset1:49
	s_waitcnt lgkmcnt(0)
	v_fma_f64 v[208:209], -v[148:149], v[46:47], v[208:209]
	v_fma_f64 v[144:145], -v[148:149], v[48:49], v[144:145]
	ds_read2_b64 v[46:49], v81 offset0:50 offset1:51
	s_waitcnt lgkmcnt(0)
	v_fma_f64 v[206:207], -v[148:149], v[46:47], v[206:207]
	v_fma_f64 v[142:143], -v[148:149], v[48:49], v[142:143]
	ds_read2_b64 v[46:49], v81 offset0:52 offset1:53
	s_waitcnt lgkmcnt(0)
	v_fma_f64 v[204:205], -v[148:149], v[46:47], v[204:205]
	v_fma_f64 v[140:141], -v[148:149], v[48:49], v[140:141]
	ds_read2_b64 v[46:49], v81 offset0:54 offset1:55
	s_waitcnt lgkmcnt(0)
	v_fma_f64 v[202:203], -v[148:149], v[46:47], v[202:203]
	v_fma_f64 v[138:139], -v[148:149], v[48:49], v[138:139]
	ds_read2_b64 v[46:49], v81 offset0:56 offset1:57
	s_waitcnt lgkmcnt(0)
	v_fma_f64 v[200:201], -v[148:149], v[46:47], v[200:201]
	v_fma_f64 v[136:137], -v[148:149], v[48:49], v[136:137]
	ds_read2_b64 v[46:49], v81 offset0:58 offset1:59
	s_waitcnt lgkmcnt(0)
	v_fma_f64 v[198:199], -v[148:149], v[46:47], v[198:199]
	s_waitcnt vmcnt(60)
	v_fma_f64 v[134:135], -v[148:149], v[48:49], v[134:135]
	ds_read2_b64 v[46:49], v81 offset0:60 offset1:61
	s_waitcnt vmcnt(57) lgkmcnt(0)
	v_fma_f64 v[196:197], -v[148:149], v[46:47], v[196:197]
	s_waitcnt vmcnt(54)
	v_fma_f64 v[132:133], -v[148:149], v[48:49], v[132:133]
	ds_read2_b64 v[46:49], v81 offset0:62 offset1:63
	s_waitcnt vmcnt(51) lgkmcnt(0)
	v_fma_f64 v[194:195], -v[148:149], v[46:47], v[194:195]
	s_waitcnt vmcnt(48)
	v_fma_f64 v[2:3], -v[148:149], v[48:49], v[2:3]
.LBB127_231:
	s_or_b64 exec, exec, s[2:3]
	v_cmp_eq_u32_e32 vcc, 46, v82
	s_waitcnt lgkmcnt(0)
	s_barrier
	s_and_saveexec_b64 s[2:3], vcc
	s_cbranch_execz .LBB127_234
; %bb.232:
	ds_write_b64 v80, v[210:211]
	ds_write2_b64 v81, v[146:147], v[208:209] offset0:47 offset1:48
	ds_write2_b64 v81, v[144:145], v[206:207] offset0:49 offset1:50
	;; [unrolled: 1-line block ×6, first 2 shown]
	s_waitcnt vmcnt(57)
	ds_write2_b64 v81, v[134:135], v[196:197] offset0:59 offset1:60
	s_waitcnt vmcnt(51)
	ds_write2_b64 v81, v[132:133], v[194:195] offset0:61 offset1:62
	s_waitcnt vmcnt(48)
	ds_write_b64 v81, v[2:3] offset:504
	ds_read_b64 v[46:47], v80
	s_waitcnt lgkmcnt(0)
	v_cmp_neq_f64_e32 vcc, 0, v[46:47]
	s_and_b64 exec, exec, vcc
	s_cbranch_execz .LBB127_234
; %bb.233:
	v_div_scale_f64 v[48:49], s[6:7], v[46:47], v[46:47], 1.0
	v_rcp_f64_e32 v[50:51], v[48:49]
	v_div_scale_f64 v[52:53], vcc, 1.0, v[46:47], 1.0
	v_fma_f64 v[54:55], -v[48:49], v[50:51], 1.0
	v_fmac_f64_e32 v[50:51], v[50:51], v[54:55]
	v_fma_f64 v[54:55], -v[48:49], v[50:51], 1.0
	v_fmac_f64_e32 v[50:51], v[50:51], v[54:55]
	v_mul_f64 v[54:55], v[52:53], v[50:51]
	v_fma_f64 v[48:49], -v[48:49], v[54:55], v[52:53]
	v_div_fmas_f64 v[48:49], v[48:49], v[50:51], v[54:55]
	v_div_fixup_f64 v[46:47], v[48:49], v[46:47], 1.0
	ds_write_b64 v80, v[46:47]
.LBB127_234:
	s_or_b64 exec, exec, s[2:3]
	s_waitcnt lgkmcnt(0)
	s_barrier
	ds_read_b64 v[46:47], v80
	v_cmp_lt_u32_e32 vcc, 46, v82
	s_and_saveexec_b64 s[2:3], vcc
	s_cbranch_execz .LBB127_236
; %bb.235:
	ds_read2_b64 v[48:51], v81 offset0:47 offset1:48
	s_waitcnt lgkmcnt(1)
	v_mul_f64 v[210:211], v[46:47], v[210:211]
	s_waitcnt lgkmcnt(0)
	v_fma_f64 v[146:147], -v[210:211], v[48:49], v[146:147]
	v_fma_f64 v[208:209], -v[210:211], v[50:51], v[208:209]
	ds_read2_b64 v[48:51], v81 offset0:49 offset1:50
	s_waitcnt lgkmcnt(0)
	v_fma_f64 v[144:145], -v[210:211], v[48:49], v[144:145]
	v_fma_f64 v[206:207], -v[210:211], v[50:51], v[206:207]
	ds_read2_b64 v[48:51], v81 offset0:51 offset1:52
	;; [unrolled: 4-line block ×6, first 2 shown]
	s_waitcnt vmcnt(60) lgkmcnt(0)
	v_fma_f64 v[134:135], -v[210:211], v[48:49], v[134:135]
	s_waitcnt vmcnt(57)
	v_fma_f64 v[196:197], -v[210:211], v[50:51], v[196:197]
	ds_read2_b64 v[48:51], v81 offset0:61 offset1:62
	s_waitcnt vmcnt(54) lgkmcnt(0)
	v_fma_f64 v[132:133], -v[210:211], v[48:49], v[132:133]
	ds_read_b64 v[48:49], v81 offset:504
	s_waitcnt vmcnt(51)
	v_fma_f64 v[194:195], -v[210:211], v[50:51], v[194:195]
	s_waitcnt vmcnt(48) lgkmcnt(0)
	v_fma_f64 v[2:3], -v[210:211], v[48:49], v[2:3]
.LBB127_236:
	s_or_b64 exec, exec, s[2:3]
	v_cmp_eq_u32_e32 vcc, 47, v82
	s_waitcnt lgkmcnt(0)
	s_barrier
	s_and_saveexec_b64 s[2:3], vcc
	s_cbranch_execz .LBB127_239
; %bb.237:
	v_mov_b32_e32 v48, v208
	v_mov_b32_e32 v49, v209
	;; [unrolled: 1-line block ×4, first 2 shown]
	ds_write_b64 v80, v[146:147]
	ds_write2_b64 v81, v[48:49], v[50:51] offset0:48 offset1:49
	v_mov_b32_e32 v48, v206
	v_mov_b32_e32 v49, v207
	v_mov_b32_e32 v50, v142
	v_mov_b32_e32 v51, v143
	ds_write2_b64 v81, v[48:49], v[50:51] offset0:50 offset1:51
	v_mov_b32_e32 v48, v204
	v_mov_b32_e32 v49, v205
	v_mov_b32_e32 v50, v140
	v_mov_b32_e32 v51, v141
	ds_write2_b64 v81, v[48:49], v[50:51] offset0:52 offset1:53
	v_mov_b32_e32 v48, v202
	v_mov_b32_e32 v49, v203
	v_mov_b32_e32 v50, v138
	v_mov_b32_e32 v51, v139
	ds_write2_b64 v81, v[48:49], v[50:51] offset0:54 offset1:55
	v_mov_b32_e32 v48, v200
	v_mov_b32_e32 v49, v201
	v_mov_b32_e32 v50, v136
	v_mov_b32_e32 v51, v137
	ds_write2_b64 v81, v[48:49], v[50:51] offset0:56 offset1:57
	v_mov_b32_e32 v48, v198
	v_mov_b32_e32 v49, v199
	s_waitcnt vmcnt(60)
	v_mov_b32_e32 v50, v134
	v_mov_b32_e32 v51, v135
	ds_write2_b64 v81, v[48:49], v[50:51] offset0:58 offset1:59
	s_waitcnt vmcnt(57)
	v_mov_b32_e32 v48, v196
	v_mov_b32_e32 v49, v197
	s_waitcnt vmcnt(54)
	v_mov_b32_e32 v50, v132
	v_mov_b32_e32 v51, v133
	ds_write2_b64 v81, v[48:49], v[50:51] offset0:60 offset1:61
	s_waitcnt vmcnt(51)
	v_mov_b32_e32 v48, v194
	v_mov_b32_e32 v49, v195
	s_waitcnt vmcnt(48)
	ds_write2_b64 v81, v[48:49], v[2:3] offset0:62 offset1:63
	ds_read_b64 v[48:49], v80
	s_waitcnt lgkmcnt(0)
	v_cmp_neq_f64_e32 vcc, 0, v[48:49]
	s_and_b64 exec, exec, vcc
	s_cbranch_execz .LBB127_239
; %bb.238:
	v_div_scale_f64 v[50:51], s[6:7], v[48:49], v[48:49], 1.0
	v_rcp_f64_e32 v[52:53], v[50:51]
	v_div_scale_f64 v[54:55], vcc, 1.0, v[48:49], 1.0
	v_fma_f64 v[56:57], -v[50:51], v[52:53], 1.0
	v_fmac_f64_e32 v[52:53], v[52:53], v[56:57]
	v_fma_f64 v[56:57], -v[50:51], v[52:53], 1.0
	v_fmac_f64_e32 v[52:53], v[52:53], v[56:57]
	v_mul_f64 v[56:57], v[54:55], v[52:53]
	v_fma_f64 v[50:51], -v[50:51], v[56:57], v[54:55]
	v_div_fmas_f64 v[50:51], v[50:51], v[52:53], v[56:57]
	v_div_fixup_f64 v[48:49], v[50:51], v[48:49], 1.0
	ds_write_b64 v80, v[48:49]
.LBB127_239:
	s_or_b64 exec, exec, s[2:3]
	s_waitcnt lgkmcnt(0)
	s_barrier
	ds_read_b64 v[48:49], v80
	v_cmp_lt_u32_e32 vcc, 47, v82
	s_and_saveexec_b64 s[2:3], vcc
	s_cbranch_execz .LBB127_241
; %bb.240:
	ds_read2_b64 v[50:53], v81 offset0:48 offset1:49
	s_waitcnt lgkmcnt(1)
	v_mul_f64 v[146:147], v[48:49], v[146:147]
	s_waitcnt lgkmcnt(0)
	v_fma_f64 v[208:209], -v[146:147], v[50:51], v[208:209]
	v_fma_f64 v[144:145], -v[146:147], v[52:53], v[144:145]
	ds_read2_b64 v[50:53], v81 offset0:50 offset1:51
	s_waitcnt lgkmcnt(0)
	v_fma_f64 v[206:207], -v[146:147], v[50:51], v[206:207]
	v_fma_f64 v[142:143], -v[146:147], v[52:53], v[142:143]
	ds_read2_b64 v[50:53], v81 offset0:52 offset1:53
	;; [unrolled: 4-line block ×5, first 2 shown]
	s_waitcnt lgkmcnt(0)
	v_fma_f64 v[198:199], -v[146:147], v[50:51], v[198:199]
	s_waitcnt vmcnt(60)
	v_fma_f64 v[134:135], -v[146:147], v[52:53], v[134:135]
	ds_read2_b64 v[50:53], v81 offset0:60 offset1:61
	s_waitcnt vmcnt(57) lgkmcnt(0)
	v_fma_f64 v[196:197], -v[146:147], v[50:51], v[196:197]
	s_waitcnt vmcnt(54)
	v_fma_f64 v[132:133], -v[146:147], v[52:53], v[132:133]
	ds_read2_b64 v[50:53], v81 offset0:62 offset1:63
	s_waitcnt vmcnt(51) lgkmcnt(0)
	v_fma_f64 v[194:195], -v[146:147], v[50:51], v[194:195]
	s_waitcnt vmcnt(48)
	v_fma_f64 v[2:3], -v[146:147], v[52:53], v[2:3]
.LBB127_241:
	s_or_b64 exec, exec, s[2:3]
	v_cmp_eq_u32_e32 vcc, 48, v82
	s_waitcnt lgkmcnt(0)
	s_barrier
	s_and_saveexec_b64 s[2:3], vcc
	s_cbranch_execz .LBB127_244
; %bb.242:
	ds_write_b64 v80, v[208:209]
	ds_write2_b64 v81, v[144:145], v[206:207] offset0:49 offset1:50
	ds_write2_b64 v81, v[142:143], v[204:205] offset0:51 offset1:52
	;; [unrolled: 1-line block ×5, first 2 shown]
	s_waitcnt vmcnt(57)
	ds_write2_b64 v81, v[134:135], v[196:197] offset0:59 offset1:60
	s_waitcnt vmcnt(51)
	ds_write2_b64 v81, v[132:133], v[194:195] offset0:61 offset1:62
	s_waitcnt vmcnt(48)
	ds_write_b64 v81, v[2:3] offset:504
	ds_read_b64 v[50:51], v80
	s_waitcnt lgkmcnt(0)
	v_cmp_neq_f64_e32 vcc, 0, v[50:51]
	s_and_b64 exec, exec, vcc
	s_cbranch_execz .LBB127_244
; %bb.243:
	v_div_scale_f64 v[52:53], s[6:7], v[50:51], v[50:51], 1.0
	v_rcp_f64_e32 v[54:55], v[52:53]
	v_div_scale_f64 v[56:57], vcc, 1.0, v[50:51], 1.0
	v_fma_f64 v[58:59], -v[52:53], v[54:55], 1.0
	v_fmac_f64_e32 v[54:55], v[54:55], v[58:59]
	v_fma_f64 v[58:59], -v[52:53], v[54:55], 1.0
	v_fmac_f64_e32 v[54:55], v[54:55], v[58:59]
	v_mul_f64 v[58:59], v[56:57], v[54:55]
	v_fma_f64 v[52:53], -v[52:53], v[58:59], v[56:57]
	v_div_fmas_f64 v[52:53], v[52:53], v[54:55], v[58:59]
	v_div_fixup_f64 v[50:51], v[52:53], v[50:51], 1.0
	ds_write_b64 v80, v[50:51]
.LBB127_244:
	s_or_b64 exec, exec, s[2:3]
	s_waitcnt lgkmcnt(0)
	s_barrier
	ds_read_b64 v[50:51], v80
	v_cmp_lt_u32_e32 vcc, 48, v82
	s_and_saveexec_b64 s[2:3], vcc
	s_cbranch_execz .LBB127_246
; %bb.245:
	ds_read2_b64 v[52:55], v81 offset0:49 offset1:50
	s_waitcnt lgkmcnt(1)
	v_mul_f64 v[208:209], v[50:51], v[208:209]
	s_waitcnt lgkmcnt(0)
	v_fma_f64 v[144:145], -v[208:209], v[52:53], v[144:145]
	v_fma_f64 v[206:207], -v[208:209], v[54:55], v[206:207]
	ds_read2_b64 v[52:55], v81 offset0:51 offset1:52
	s_waitcnt lgkmcnt(0)
	v_fma_f64 v[142:143], -v[208:209], v[52:53], v[142:143]
	v_fma_f64 v[204:205], -v[208:209], v[54:55], v[204:205]
	ds_read2_b64 v[52:55], v81 offset0:53 offset1:54
	;; [unrolled: 4-line block ×5, first 2 shown]
	s_waitcnt vmcnt(60) lgkmcnt(0)
	v_fma_f64 v[134:135], -v[208:209], v[52:53], v[134:135]
	s_waitcnt vmcnt(57)
	v_fma_f64 v[196:197], -v[208:209], v[54:55], v[196:197]
	ds_read2_b64 v[52:55], v81 offset0:61 offset1:62
	s_waitcnt vmcnt(54) lgkmcnt(0)
	v_fma_f64 v[132:133], -v[208:209], v[52:53], v[132:133]
	ds_read_b64 v[52:53], v81 offset:504
	s_waitcnt vmcnt(51)
	v_fma_f64 v[194:195], -v[208:209], v[54:55], v[194:195]
	s_waitcnt vmcnt(48) lgkmcnt(0)
	v_fma_f64 v[2:3], -v[208:209], v[52:53], v[2:3]
.LBB127_246:
	s_or_b64 exec, exec, s[2:3]
	v_cmp_eq_u32_e32 vcc, 49, v82
	s_waitcnt lgkmcnt(0)
	s_barrier
	s_and_saveexec_b64 s[2:3], vcc
	s_cbranch_execz .LBB127_249
; %bb.247:
	v_mov_b32_e32 v52, v206
	v_mov_b32_e32 v53, v207
	;; [unrolled: 1-line block ×4, first 2 shown]
	ds_write_b64 v80, v[144:145]
	ds_write2_b64 v81, v[52:53], v[54:55] offset0:50 offset1:51
	v_mov_b32_e32 v52, v204
	v_mov_b32_e32 v53, v205
	v_mov_b32_e32 v54, v140
	v_mov_b32_e32 v55, v141
	ds_write2_b64 v81, v[52:53], v[54:55] offset0:52 offset1:53
	v_mov_b32_e32 v52, v202
	v_mov_b32_e32 v53, v203
	v_mov_b32_e32 v54, v138
	v_mov_b32_e32 v55, v139
	;; [unrolled: 5-line block ×3, first 2 shown]
	ds_write2_b64 v81, v[52:53], v[54:55] offset0:56 offset1:57
	v_mov_b32_e32 v52, v198
	v_mov_b32_e32 v53, v199
	s_waitcnt vmcnt(60)
	v_mov_b32_e32 v54, v134
	v_mov_b32_e32 v55, v135
	ds_write2_b64 v81, v[52:53], v[54:55] offset0:58 offset1:59
	s_waitcnt vmcnt(57)
	v_mov_b32_e32 v52, v196
	v_mov_b32_e32 v53, v197
	s_waitcnt vmcnt(54)
	v_mov_b32_e32 v54, v132
	v_mov_b32_e32 v55, v133
	ds_write2_b64 v81, v[52:53], v[54:55] offset0:60 offset1:61
	s_waitcnt vmcnt(51)
	v_mov_b32_e32 v52, v194
	v_mov_b32_e32 v53, v195
	s_waitcnt vmcnt(48)
	ds_write2_b64 v81, v[52:53], v[2:3] offset0:62 offset1:63
	ds_read_b64 v[52:53], v80
	s_waitcnt lgkmcnt(0)
	v_cmp_neq_f64_e32 vcc, 0, v[52:53]
	s_and_b64 exec, exec, vcc
	s_cbranch_execz .LBB127_249
; %bb.248:
	v_div_scale_f64 v[54:55], s[6:7], v[52:53], v[52:53], 1.0
	v_rcp_f64_e32 v[56:57], v[54:55]
	v_div_scale_f64 v[58:59], vcc, 1.0, v[52:53], 1.0
	v_fma_f64 v[60:61], -v[54:55], v[56:57], 1.0
	v_fmac_f64_e32 v[56:57], v[56:57], v[60:61]
	v_fma_f64 v[60:61], -v[54:55], v[56:57], 1.0
	v_fmac_f64_e32 v[56:57], v[56:57], v[60:61]
	v_mul_f64 v[60:61], v[58:59], v[56:57]
	v_fma_f64 v[54:55], -v[54:55], v[60:61], v[58:59]
	v_div_fmas_f64 v[54:55], v[54:55], v[56:57], v[60:61]
	v_div_fixup_f64 v[52:53], v[54:55], v[52:53], 1.0
	ds_write_b64 v80, v[52:53]
.LBB127_249:
	s_or_b64 exec, exec, s[2:3]
	s_waitcnt lgkmcnt(0)
	s_barrier
	ds_read_b64 v[52:53], v80
	v_cmp_lt_u32_e32 vcc, 49, v82
	s_and_saveexec_b64 s[2:3], vcc
	s_cbranch_execz .LBB127_251
; %bb.250:
	ds_read2_b64 v[54:57], v81 offset0:50 offset1:51
	s_waitcnt lgkmcnt(1)
	v_mul_f64 v[144:145], v[52:53], v[144:145]
	s_waitcnt lgkmcnt(0)
	v_fma_f64 v[206:207], -v[144:145], v[54:55], v[206:207]
	v_fma_f64 v[142:143], -v[144:145], v[56:57], v[142:143]
	ds_read2_b64 v[54:57], v81 offset0:52 offset1:53
	s_waitcnt lgkmcnt(0)
	v_fma_f64 v[204:205], -v[144:145], v[54:55], v[204:205]
	v_fma_f64 v[140:141], -v[144:145], v[56:57], v[140:141]
	ds_read2_b64 v[54:57], v81 offset0:54 offset1:55
	;; [unrolled: 4-line block ×4, first 2 shown]
	s_waitcnt lgkmcnt(0)
	v_fma_f64 v[198:199], -v[144:145], v[54:55], v[198:199]
	s_waitcnt vmcnt(60)
	v_fma_f64 v[134:135], -v[144:145], v[56:57], v[134:135]
	ds_read2_b64 v[54:57], v81 offset0:60 offset1:61
	s_waitcnt vmcnt(57) lgkmcnt(0)
	v_fma_f64 v[196:197], -v[144:145], v[54:55], v[196:197]
	s_waitcnt vmcnt(54)
	v_fma_f64 v[132:133], -v[144:145], v[56:57], v[132:133]
	ds_read2_b64 v[54:57], v81 offset0:62 offset1:63
	s_waitcnt vmcnt(51) lgkmcnt(0)
	v_fma_f64 v[194:195], -v[144:145], v[54:55], v[194:195]
	s_waitcnt vmcnt(48)
	v_fma_f64 v[2:3], -v[144:145], v[56:57], v[2:3]
.LBB127_251:
	s_or_b64 exec, exec, s[2:3]
	v_cmp_eq_u32_e32 vcc, 50, v82
	s_waitcnt lgkmcnt(0)
	s_barrier
	s_and_saveexec_b64 s[2:3], vcc
	s_cbranch_execz .LBB127_254
; %bb.252:
	ds_write_b64 v80, v[206:207]
	ds_write2_b64 v81, v[142:143], v[204:205] offset0:51 offset1:52
	ds_write2_b64 v81, v[140:141], v[202:203] offset0:53 offset1:54
	;; [unrolled: 1-line block ×4, first 2 shown]
	s_waitcnt vmcnt(57)
	ds_write2_b64 v81, v[134:135], v[196:197] offset0:59 offset1:60
	s_waitcnt vmcnt(51)
	ds_write2_b64 v81, v[132:133], v[194:195] offset0:61 offset1:62
	s_waitcnt vmcnt(48)
	ds_write_b64 v81, v[2:3] offset:504
	ds_read_b64 v[54:55], v80
	s_waitcnt lgkmcnt(0)
	v_cmp_neq_f64_e32 vcc, 0, v[54:55]
	s_and_b64 exec, exec, vcc
	s_cbranch_execz .LBB127_254
; %bb.253:
	v_div_scale_f64 v[56:57], s[6:7], v[54:55], v[54:55], 1.0
	v_rcp_f64_e32 v[58:59], v[56:57]
	v_div_scale_f64 v[60:61], vcc, 1.0, v[54:55], 1.0
	v_fma_f64 v[62:63], -v[56:57], v[58:59], 1.0
	v_fmac_f64_e32 v[58:59], v[58:59], v[62:63]
	v_fma_f64 v[62:63], -v[56:57], v[58:59], 1.0
	v_fmac_f64_e32 v[58:59], v[58:59], v[62:63]
	v_mul_f64 v[62:63], v[60:61], v[58:59]
	v_fma_f64 v[56:57], -v[56:57], v[62:63], v[60:61]
	v_div_fmas_f64 v[56:57], v[56:57], v[58:59], v[62:63]
	v_div_fixup_f64 v[54:55], v[56:57], v[54:55], 1.0
	ds_write_b64 v80, v[54:55]
.LBB127_254:
	s_or_b64 exec, exec, s[2:3]
	s_waitcnt lgkmcnt(0)
	s_barrier
	ds_read_b64 v[54:55], v80
	v_cmp_lt_u32_e32 vcc, 50, v82
	s_and_saveexec_b64 s[2:3], vcc
	s_cbranch_execz .LBB127_256
; %bb.255:
	ds_read2_b64 v[56:59], v81 offset0:51 offset1:52
	s_waitcnt lgkmcnt(1)
	v_mul_f64 v[206:207], v[54:55], v[206:207]
	s_waitcnt lgkmcnt(0)
	v_fma_f64 v[142:143], -v[206:207], v[56:57], v[142:143]
	v_fma_f64 v[204:205], -v[206:207], v[58:59], v[204:205]
	ds_read2_b64 v[56:59], v81 offset0:53 offset1:54
	s_waitcnt lgkmcnt(0)
	v_fma_f64 v[140:141], -v[206:207], v[56:57], v[140:141]
	v_fma_f64 v[202:203], -v[206:207], v[58:59], v[202:203]
	ds_read2_b64 v[56:59], v81 offset0:55 offset1:56
	;; [unrolled: 4-line block ×4, first 2 shown]
	s_waitcnt vmcnt(60) lgkmcnt(0)
	v_fma_f64 v[134:135], -v[206:207], v[56:57], v[134:135]
	s_waitcnt vmcnt(57)
	v_fma_f64 v[196:197], -v[206:207], v[58:59], v[196:197]
	ds_read2_b64 v[56:59], v81 offset0:61 offset1:62
	s_waitcnt vmcnt(54) lgkmcnt(0)
	v_fma_f64 v[132:133], -v[206:207], v[56:57], v[132:133]
	ds_read_b64 v[56:57], v81 offset:504
	s_waitcnt vmcnt(51)
	v_fma_f64 v[194:195], -v[206:207], v[58:59], v[194:195]
	s_waitcnt vmcnt(48) lgkmcnt(0)
	v_fma_f64 v[2:3], -v[206:207], v[56:57], v[2:3]
.LBB127_256:
	s_or_b64 exec, exec, s[2:3]
	v_cmp_eq_u32_e32 vcc, 51, v82
	s_waitcnt lgkmcnt(0)
	s_barrier
	s_and_saveexec_b64 s[2:3], vcc
	s_cbranch_execz .LBB127_259
; %bb.257:
	v_mov_b32_e32 v56, v204
	v_mov_b32_e32 v57, v205
	;; [unrolled: 1-line block ×4, first 2 shown]
	ds_write_b64 v80, v[142:143]
	ds_write2_b64 v81, v[56:57], v[58:59] offset0:52 offset1:53
	v_mov_b32_e32 v56, v202
	v_mov_b32_e32 v57, v203
	;; [unrolled: 1-line block ×4, first 2 shown]
	ds_write2_b64 v81, v[56:57], v[58:59] offset0:54 offset1:55
	v_mov_b32_e32 v56, v200
	v_mov_b32_e32 v57, v201
	;; [unrolled: 1-line block ×4, first 2 shown]
	ds_write2_b64 v81, v[56:57], v[58:59] offset0:56 offset1:57
	v_mov_b32_e32 v56, v198
	v_mov_b32_e32 v57, v199
	s_waitcnt vmcnt(60)
	v_mov_b32_e32 v58, v134
	v_mov_b32_e32 v59, v135
	ds_write2_b64 v81, v[56:57], v[58:59] offset0:58 offset1:59
	s_waitcnt vmcnt(57)
	v_mov_b32_e32 v56, v196
	v_mov_b32_e32 v57, v197
	s_waitcnt vmcnt(54)
	v_mov_b32_e32 v58, v132
	v_mov_b32_e32 v59, v133
	ds_write2_b64 v81, v[56:57], v[58:59] offset0:60 offset1:61
	s_waitcnt vmcnt(51)
	v_mov_b32_e32 v56, v194
	v_mov_b32_e32 v57, v195
	s_waitcnt vmcnt(48)
	ds_write2_b64 v81, v[56:57], v[2:3] offset0:62 offset1:63
	ds_read_b64 v[56:57], v80
	s_waitcnt lgkmcnt(0)
	v_cmp_neq_f64_e32 vcc, 0, v[56:57]
	s_and_b64 exec, exec, vcc
	s_cbranch_execz .LBB127_259
; %bb.258:
	v_div_scale_f64 v[58:59], s[6:7], v[56:57], v[56:57], 1.0
	v_rcp_f64_e32 v[60:61], v[58:59]
	v_div_scale_f64 v[62:63], vcc, 1.0, v[56:57], 1.0
	v_fma_f64 v[64:65], -v[58:59], v[60:61], 1.0
	v_fmac_f64_e32 v[60:61], v[60:61], v[64:65]
	v_fma_f64 v[64:65], -v[58:59], v[60:61], 1.0
	v_fmac_f64_e32 v[60:61], v[60:61], v[64:65]
	v_mul_f64 v[64:65], v[62:63], v[60:61]
	v_fma_f64 v[58:59], -v[58:59], v[64:65], v[62:63]
	v_div_fmas_f64 v[58:59], v[58:59], v[60:61], v[64:65]
	v_div_fixup_f64 v[56:57], v[58:59], v[56:57], 1.0
	ds_write_b64 v80, v[56:57]
.LBB127_259:
	s_or_b64 exec, exec, s[2:3]
	s_waitcnt lgkmcnt(0)
	s_barrier
	ds_read_b64 v[56:57], v80
	v_cmp_lt_u32_e32 vcc, 51, v82
	s_and_saveexec_b64 s[2:3], vcc
	s_cbranch_execz .LBB127_261
; %bb.260:
	ds_read2_b64 v[58:61], v81 offset0:52 offset1:53
	s_waitcnt lgkmcnt(1)
	v_mul_f64 v[142:143], v[56:57], v[142:143]
	s_waitcnt lgkmcnt(0)
	v_fma_f64 v[204:205], -v[142:143], v[58:59], v[204:205]
	v_fma_f64 v[140:141], -v[142:143], v[60:61], v[140:141]
	ds_read2_b64 v[58:61], v81 offset0:54 offset1:55
	s_waitcnt lgkmcnt(0)
	v_fma_f64 v[202:203], -v[142:143], v[58:59], v[202:203]
	v_fma_f64 v[138:139], -v[142:143], v[60:61], v[138:139]
	ds_read2_b64 v[58:61], v81 offset0:56 offset1:57
	;; [unrolled: 4-line block ×3, first 2 shown]
	s_waitcnt lgkmcnt(0)
	v_fma_f64 v[198:199], -v[142:143], v[58:59], v[198:199]
	s_waitcnt vmcnt(60)
	v_fma_f64 v[134:135], -v[142:143], v[60:61], v[134:135]
	ds_read2_b64 v[58:61], v81 offset0:60 offset1:61
	s_waitcnt vmcnt(57) lgkmcnt(0)
	v_fma_f64 v[196:197], -v[142:143], v[58:59], v[196:197]
	s_waitcnt vmcnt(54)
	v_fma_f64 v[132:133], -v[142:143], v[60:61], v[132:133]
	ds_read2_b64 v[58:61], v81 offset0:62 offset1:63
	s_waitcnt vmcnt(51) lgkmcnt(0)
	v_fma_f64 v[194:195], -v[142:143], v[58:59], v[194:195]
	s_waitcnt vmcnt(48)
	v_fma_f64 v[2:3], -v[142:143], v[60:61], v[2:3]
.LBB127_261:
	s_or_b64 exec, exec, s[2:3]
	v_cmp_eq_u32_e32 vcc, 52, v82
	s_waitcnt lgkmcnt(0)
	s_barrier
	s_and_saveexec_b64 s[2:3], vcc
	s_cbranch_execz .LBB127_264
; %bb.262:
	ds_write_b64 v80, v[204:205]
	ds_write2_b64 v81, v[140:141], v[202:203] offset0:53 offset1:54
	ds_write2_b64 v81, v[138:139], v[200:201] offset0:55 offset1:56
	;; [unrolled: 1-line block ×3, first 2 shown]
	s_waitcnt vmcnt(57)
	ds_write2_b64 v81, v[134:135], v[196:197] offset0:59 offset1:60
	s_waitcnt vmcnt(51)
	ds_write2_b64 v81, v[132:133], v[194:195] offset0:61 offset1:62
	s_waitcnt vmcnt(48)
	ds_write_b64 v81, v[2:3] offset:504
	ds_read_b64 v[58:59], v80
	s_waitcnt lgkmcnt(0)
	v_cmp_neq_f64_e32 vcc, 0, v[58:59]
	s_and_b64 exec, exec, vcc
	s_cbranch_execz .LBB127_264
; %bb.263:
	v_div_scale_f64 v[60:61], s[6:7], v[58:59], v[58:59], 1.0
	v_rcp_f64_e32 v[62:63], v[60:61]
	v_div_scale_f64 v[64:65], vcc, 1.0, v[58:59], 1.0
	v_fma_f64 v[66:67], -v[60:61], v[62:63], 1.0
	v_fmac_f64_e32 v[62:63], v[62:63], v[66:67]
	v_fma_f64 v[66:67], -v[60:61], v[62:63], 1.0
	v_fmac_f64_e32 v[62:63], v[62:63], v[66:67]
	v_mul_f64 v[66:67], v[64:65], v[62:63]
	v_fma_f64 v[60:61], -v[60:61], v[66:67], v[64:65]
	v_div_fmas_f64 v[60:61], v[60:61], v[62:63], v[66:67]
	v_div_fixup_f64 v[58:59], v[60:61], v[58:59], 1.0
	ds_write_b64 v80, v[58:59]
.LBB127_264:
	s_or_b64 exec, exec, s[2:3]
	s_waitcnt lgkmcnt(0)
	s_barrier
	ds_read_b64 v[58:59], v80
	v_cmp_lt_u32_e32 vcc, 52, v82
	s_and_saveexec_b64 s[2:3], vcc
	s_cbranch_execz .LBB127_266
; %bb.265:
	ds_read2_b64 v[60:63], v81 offset0:53 offset1:54
	s_waitcnt lgkmcnt(1)
	v_mul_f64 v[204:205], v[58:59], v[204:205]
	s_waitcnt lgkmcnt(0)
	v_fma_f64 v[140:141], -v[204:205], v[60:61], v[140:141]
	v_fma_f64 v[202:203], -v[204:205], v[62:63], v[202:203]
	ds_read2_b64 v[60:63], v81 offset0:55 offset1:56
	s_waitcnt lgkmcnt(0)
	v_fma_f64 v[138:139], -v[204:205], v[60:61], v[138:139]
	v_fma_f64 v[200:201], -v[204:205], v[62:63], v[200:201]
	ds_read2_b64 v[60:63], v81 offset0:57 offset1:58
	;; [unrolled: 4-line block ×3, first 2 shown]
	s_waitcnt vmcnt(60) lgkmcnt(0)
	v_fma_f64 v[134:135], -v[204:205], v[60:61], v[134:135]
	s_waitcnt vmcnt(57)
	v_fma_f64 v[196:197], -v[204:205], v[62:63], v[196:197]
	ds_read2_b64 v[60:63], v81 offset0:61 offset1:62
	s_waitcnt vmcnt(54) lgkmcnt(0)
	v_fma_f64 v[132:133], -v[204:205], v[60:61], v[132:133]
	ds_read_b64 v[60:61], v81 offset:504
	s_waitcnt vmcnt(51)
	v_fma_f64 v[194:195], -v[204:205], v[62:63], v[194:195]
	s_waitcnt vmcnt(48) lgkmcnt(0)
	v_fma_f64 v[2:3], -v[204:205], v[60:61], v[2:3]
.LBB127_266:
	s_or_b64 exec, exec, s[2:3]
	v_cmp_eq_u32_e32 vcc, 53, v82
	s_waitcnt lgkmcnt(0)
	s_barrier
	s_and_saveexec_b64 s[2:3], vcc
	s_cbranch_execz .LBB127_269
; %bb.267:
	v_mov_b32_e32 v60, v202
	v_mov_b32_e32 v61, v203
	;; [unrolled: 1-line block ×4, first 2 shown]
	ds_write_b64 v80, v[140:141]
	ds_write2_b64 v81, v[60:61], v[62:63] offset0:54 offset1:55
	v_mov_b32_e32 v60, v200
	v_mov_b32_e32 v61, v201
	;; [unrolled: 1-line block ×4, first 2 shown]
	ds_write2_b64 v81, v[60:61], v[62:63] offset0:56 offset1:57
	v_mov_b32_e32 v60, v198
	v_mov_b32_e32 v61, v199
	s_waitcnt vmcnt(60)
	v_mov_b32_e32 v62, v134
	v_mov_b32_e32 v63, v135
	ds_write2_b64 v81, v[60:61], v[62:63] offset0:58 offset1:59
	s_waitcnt vmcnt(57)
	v_mov_b32_e32 v60, v196
	v_mov_b32_e32 v61, v197
	s_waitcnt vmcnt(54)
	v_mov_b32_e32 v62, v132
	v_mov_b32_e32 v63, v133
	ds_write2_b64 v81, v[60:61], v[62:63] offset0:60 offset1:61
	s_waitcnt vmcnt(51)
	v_mov_b32_e32 v60, v194
	v_mov_b32_e32 v61, v195
	s_waitcnt vmcnt(48)
	ds_write2_b64 v81, v[60:61], v[2:3] offset0:62 offset1:63
	ds_read_b64 v[60:61], v80
	s_waitcnt lgkmcnt(0)
	v_cmp_neq_f64_e32 vcc, 0, v[60:61]
	s_and_b64 exec, exec, vcc
	s_cbranch_execz .LBB127_269
; %bb.268:
	v_div_scale_f64 v[62:63], s[6:7], v[60:61], v[60:61], 1.0
	v_rcp_f64_e32 v[64:65], v[62:63]
	v_div_scale_f64 v[66:67], vcc, 1.0, v[60:61], 1.0
	v_fma_f64 v[68:69], -v[62:63], v[64:65], 1.0
	v_fmac_f64_e32 v[64:65], v[64:65], v[68:69]
	v_fma_f64 v[68:69], -v[62:63], v[64:65], 1.0
	v_fmac_f64_e32 v[64:65], v[64:65], v[68:69]
	v_mul_f64 v[68:69], v[66:67], v[64:65]
	v_fma_f64 v[62:63], -v[62:63], v[68:69], v[66:67]
	v_div_fmas_f64 v[62:63], v[62:63], v[64:65], v[68:69]
	v_div_fixup_f64 v[60:61], v[62:63], v[60:61], 1.0
	ds_write_b64 v80, v[60:61]
.LBB127_269:
	s_or_b64 exec, exec, s[2:3]
	s_waitcnt lgkmcnt(0)
	s_barrier
	ds_read_b64 v[60:61], v80
	v_cmp_lt_u32_e32 vcc, 53, v82
	s_and_saveexec_b64 s[2:3], vcc
	s_cbranch_execz .LBB127_271
; %bb.270:
	ds_read2_b64 v[62:65], v81 offset0:54 offset1:55
	s_waitcnt lgkmcnt(1)
	v_mul_f64 v[140:141], v[60:61], v[140:141]
	s_waitcnt lgkmcnt(0)
	v_fma_f64 v[202:203], -v[140:141], v[62:63], v[202:203]
	v_fma_f64 v[138:139], -v[140:141], v[64:65], v[138:139]
	ds_read2_b64 v[62:65], v81 offset0:56 offset1:57
	s_waitcnt lgkmcnt(0)
	v_fma_f64 v[200:201], -v[140:141], v[62:63], v[200:201]
	v_fma_f64 v[136:137], -v[140:141], v[64:65], v[136:137]
	ds_read2_b64 v[62:65], v81 offset0:58 offset1:59
	s_waitcnt lgkmcnt(0)
	v_fma_f64 v[198:199], -v[140:141], v[62:63], v[198:199]
	s_waitcnt vmcnt(60)
	v_fma_f64 v[134:135], -v[140:141], v[64:65], v[134:135]
	ds_read2_b64 v[62:65], v81 offset0:60 offset1:61
	s_waitcnt vmcnt(57) lgkmcnt(0)
	v_fma_f64 v[196:197], -v[140:141], v[62:63], v[196:197]
	s_waitcnt vmcnt(54)
	v_fma_f64 v[132:133], -v[140:141], v[64:65], v[132:133]
	ds_read2_b64 v[62:65], v81 offset0:62 offset1:63
	s_waitcnt vmcnt(51) lgkmcnt(0)
	v_fma_f64 v[194:195], -v[140:141], v[62:63], v[194:195]
	s_waitcnt vmcnt(48)
	v_fma_f64 v[2:3], -v[140:141], v[64:65], v[2:3]
.LBB127_271:
	s_or_b64 exec, exec, s[2:3]
	v_cmp_eq_u32_e32 vcc, 54, v82
	s_waitcnt lgkmcnt(0)
	s_barrier
	s_and_saveexec_b64 s[2:3], vcc
	s_cbranch_execz .LBB127_274
; %bb.272:
	ds_write_b64 v80, v[202:203]
	ds_write2_b64 v81, v[138:139], v[200:201] offset0:55 offset1:56
	ds_write2_b64 v81, v[136:137], v[198:199] offset0:57 offset1:58
	s_waitcnt vmcnt(57)
	ds_write2_b64 v81, v[134:135], v[196:197] offset0:59 offset1:60
	s_waitcnt vmcnt(51)
	;; [unrolled: 2-line block ×3, first 2 shown]
	ds_write_b64 v81, v[2:3] offset:504
	ds_read_b64 v[62:63], v80
	s_waitcnt lgkmcnt(0)
	v_cmp_neq_f64_e32 vcc, 0, v[62:63]
	s_and_b64 exec, exec, vcc
	s_cbranch_execz .LBB127_274
; %bb.273:
	v_div_scale_f64 v[64:65], s[6:7], v[62:63], v[62:63], 1.0
	v_rcp_f64_e32 v[66:67], v[64:65]
	v_div_scale_f64 v[68:69], vcc, 1.0, v[62:63], 1.0
	v_fma_f64 v[70:71], -v[64:65], v[66:67], 1.0
	v_fmac_f64_e32 v[66:67], v[66:67], v[70:71]
	v_fma_f64 v[70:71], -v[64:65], v[66:67], 1.0
	v_fmac_f64_e32 v[66:67], v[66:67], v[70:71]
	v_mul_f64 v[70:71], v[68:69], v[66:67]
	v_fma_f64 v[64:65], -v[64:65], v[70:71], v[68:69]
	v_div_fmas_f64 v[64:65], v[64:65], v[66:67], v[70:71]
	v_div_fixup_f64 v[62:63], v[64:65], v[62:63], 1.0
	ds_write_b64 v80, v[62:63]
.LBB127_274:
	s_or_b64 exec, exec, s[2:3]
	s_waitcnt lgkmcnt(0)
	s_barrier
	ds_read_b64 v[62:63], v80
	v_cmp_lt_u32_e32 vcc, 54, v82
	s_and_saveexec_b64 s[2:3], vcc
	s_cbranch_execz .LBB127_276
; %bb.275:
	ds_read2_b64 v[64:67], v81 offset0:55 offset1:56
	s_waitcnt lgkmcnt(1)
	v_mul_f64 v[202:203], v[62:63], v[202:203]
	s_waitcnt lgkmcnt(0)
	v_fma_f64 v[138:139], -v[202:203], v[64:65], v[138:139]
	v_fma_f64 v[200:201], -v[202:203], v[66:67], v[200:201]
	ds_read2_b64 v[64:67], v81 offset0:57 offset1:58
	s_waitcnt lgkmcnt(0)
	v_fma_f64 v[136:137], -v[202:203], v[64:65], v[136:137]
	v_fma_f64 v[198:199], -v[202:203], v[66:67], v[198:199]
	ds_read2_b64 v[64:67], v81 offset0:59 offset1:60
	s_waitcnt vmcnt(60) lgkmcnt(0)
	v_fma_f64 v[134:135], -v[202:203], v[64:65], v[134:135]
	s_waitcnt vmcnt(57)
	v_fma_f64 v[196:197], -v[202:203], v[66:67], v[196:197]
	ds_read2_b64 v[64:67], v81 offset0:61 offset1:62
	s_waitcnt vmcnt(54) lgkmcnt(0)
	v_fma_f64 v[132:133], -v[202:203], v[64:65], v[132:133]
	ds_read_b64 v[64:65], v81 offset:504
	s_waitcnt vmcnt(51)
	v_fma_f64 v[194:195], -v[202:203], v[66:67], v[194:195]
	s_waitcnt vmcnt(48) lgkmcnt(0)
	v_fma_f64 v[2:3], -v[202:203], v[64:65], v[2:3]
.LBB127_276:
	s_or_b64 exec, exec, s[2:3]
	v_cmp_eq_u32_e32 vcc, 55, v82
	s_waitcnt lgkmcnt(0)
	s_barrier
	s_and_saveexec_b64 s[2:3], vcc
	s_cbranch_execz .LBB127_279
; %bb.277:
	v_mov_b32_e32 v64, v200
	v_mov_b32_e32 v65, v201
	;; [unrolled: 1-line block ×4, first 2 shown]
	ds_write_b64 v80, v[138:139]
	ds_write2_b64 v81, v[64:65], v[66:67] offset0:56 offset1:57
	v_mov_b32_e32 v64, v198
	v_mov_b32_e32 v65, v199
	s_waitcnt vmcnt(60)
	v_mov_b32_e32 v66, v134
	v_mov_b32_e32 v67, v135
	ds_write2_b64 v81, v[64:65], v[66:67] offset0:58 offset1:59
	s_waitcnt vmcnt(57)
	v_mov_b32_e32 v64, v196
	v_mov_b32_e32 v65, v197
	s_waitcnt vmcnt(54)
	v_mov_b32_e32 v66, v132
	v_mov_b32_e32 v67, v133
	ds_write2_b64 v81, v[64:65], v[66:67] offset0:60 offset1:61
	s_waitcnt vmcnt(51)
	v_mov_b32_e32 v64, v194
	v_mov_b32_e32 v65, v195
	s_waitcnt vmcnt(48)
	ds_write2_b64 v81, v[64:65], v[2:3] offset0:62 offset1:63
	ds_read_b64 v[64:65], v80
	s_waitcnt lgkmcnt(0)
	v_cmp_neq_f64_e32 vcc, 0, v[64:65]
	s_and_b64 exec, exec, vcc
	s_cbranch_execz .LBB127_279
; %bb.278:
	v_div_scale_f64 v[66:67], s[6:7], v[64:65], v[64:65], 1.0
	v_rcp_f64_e32 v[68:69], v[66:67]
	v_div_scale_f64 v[70:71], vcc, 1.0, v[64:65], 1.0
	v_fma_f64 v[72:73], -v[66:67], v[68:69], 1.0
	v_fmac_f64_e32 v[68:69], v[68:69], v[72:73]
	v_fma_f64 v[72:73], -v[66:67], v[68:69], 1.0
	v_fmac_f64_e32 v[68:69], v[68:69], v[72:73]
	v_mul_f64 v[72:73], v[70:71], v[68:69]
	v_fma_f64 v[66:67], -v[66:67], v[72:73], v[70:71]
	v_div_fmas_f64 v[66:67], v[66:67], v[68:69], v[72:73]
	v_div_fixup_f64 v[64:65], v[66:67], v[64:65], 1.0
	ds_write_b64 v80, v[64:65]
.LBB127_279:
	s_or_b64 exec, exec, s[2:3]
	s_waitcnt lgkmcnt(0)
	s_barrier
	ds_read_b64 v[64:65], v80
	v_cmp_lt_u32_e32 vcc, 55, v82
	s_and_saveexec_b64 s[2:3], vcc
	s_cbranch_execz .LBB127_281
; %bb.280:
	ds_read2_b64 v[66:69], v81 offset0:56 offset1:57
	s_waitcnt lgkmcnt(1)
	v_mul_f64 v[138:139], v[64:65], v[138:139]
	s_waitcnt lgkmcnt(0)
	v_fma_f64 v[200:201], -v[138:139], v[66:67], v[200:201]
	v_fma_f64 v[136:137], -v[138:139], v[68:69], v[136:137]
	ds_read2_b64 v[66:69], v81 offset0:58 offset1:59
	s_waitcnt lgkmcnt(0)
	v_fma_f64 v[198:199], -v[138:139], v[66:67], v[198:199]
	s_waitcnt vmcnt(60)
	v_fma_f64 v[134:135], -v[138:139], v[68:69], v[134:135]
	ds_read2_b64 v[66:69], v81 offset0:60 offset1:61
	s_waitcnt vmcnt(57) lgkmcnt(0)
	v_fma_f64 v[196:197], -v[138:139], v[66:67], v[196:197]
	s_waitcnt vmcnt(54)
	v_fma_f64 v[132:133], -v[138:139], v[68:69], v[132:133]
	ds_read2_b64 v[66:69], v81 offset0:62 offset1:63
	s_waitcnt vmcnt(51) lgkmcnt(0)
	v_fma_f64 v[194:195], -v[138:139], v[66:67], v[194:195]
	s_waitcnt vmcnt(48)
	v_fma_f64 v[2:3], -v[138:139], v[68:69], v[2:3]
.LBB127_281:
	s_or_b64 exec, exec, s[2:3]
	v_cmp_eq_u32_e32 vcc, 56, v82
	s_waitcnt lgkmcnt(0)
	s_barrier
	s_and_saveexec_b64 s[2:3], vcc
	s_cbranch_execz .LBB127_284
; %bb.282:
	ds_write_b64 v80, v[200:201]
	ds_write2_b64 v81, v[136:137], v[198:199] offset0:57 offset1:58
	s_waitcnt vmcnt(57)
	ds_write2_b64 v81, v[134:135], v[196:197] offset0:59 offset1:60
	s_waitcnt vmcnt(51)
	;; [unrolled: 2-line block ×3, first 2 shown]
	ds_write_b64 v81, v[2:3] offset:504
	ds_read_b64 v[66:67], v80
	s_waitcnt lgkmcnt(0)
	v_cmp_neq_f64_e32 vcc, 0, v[66:67]
	s_and_b64 exec, exec, vcc
	s_cbranch_execz .LBB127_284
; %bb.283:
	v_div_scale_f64 v[68:69], s[6:7], v[66:67], v[66:67], 1.0
	v_rcp_f64_e32 v[70:71], v[68:69]
	v_div_scale_f64 v[72:73], vcc, 1.0, v[66:67], 1.0
	v_fma_f64 v[74:75], -v[68:69], v[70:71], 1.0
	v_fmac_f64_e32 v[70:71], v[70:71], v[74:75]
	v_fma_f64 v[74:75], -v[68:69], v[70:71], 1.0
	v_fmac_f64_e32 v[70:71], v[70:71], v[74:75]
	v_mul_f64 v[74:75], v[72:73], v[70:71]
	v_fma_f64 v[68:69], -v[68:69], v[74:75], v[72:73]
	v_div_fmas_f64 v[68:69], v[68:69], v[70:71], v[74:75]
	v_div_fixup_f64 v[66:67], v[68:69], v[66:67], 1.0
	ds_write_b64 v80, v[66:67]
.LBB127_284:
	s_or_b64 exec, exec, s[2:3]
	s_waitcnt lgkmcnt(0)
	s_barrier
	ds_read_b64 v[66:67], v80
	v_cmp_lt_u32_e32 vcc, 56, v82
	s_and_saveexec_b64 s[2:3], vcc
	s_cbranch_execz .LBB127_286
; %bb.285:
	ds_read2_b64 v[68:71], v81 offset0:57 offset1:58
	s_waitcnt lgkmcnt(1)
	v_mul_f64 v[200:201], v[66:67], v[200:201]
	s_waitcnt lgkmcnt(0)
	v_fma_f64 v[136:137], -v[200:201], v[68:69], v[136:137]
	v_fma_f64 v[198:199], -v[200:201], v[70:71], v[198:199]
	ds_read2_b64 v[68:71], v81 offset0:59 offset1:60
	s_waitcnt vmcnt(60) lgkmcnt(0)
	v_fma_f64 v[134:135], -v[200:201], v[68:69], v[134:135]
	s_waitcnt vmcnt(57)
	v_fma_f64 v[196:197], -v[200:201], v[70:71], v[196:197]
	ds_read2_b64 v[68:71], v81 offset0:61 offset1:62
	s_waitcnt vmcnt(54) lgkmcnt(0)
	v_fma_f64 v[132:133], -v[200:201], v[68:69], v[132:133]
	ds_read_b64 v[68:69], v81 offset:504
	s_waitcnt vmcnt(51)
	v_fma_f64 v[194:195], -v[200:201], v[70:71], v[194:195]
	s_waitcnt vmcnt(48) lgkmcnt(0)
	v_fma_f64 v[2:3], -v[200:201], v[68:69], v[2:3]
.LBB127_286:
	s_or_b64 exec, exec, s[2:3]
	v_cmp_eq_u32_e32 vcc, 57, v82
	s_waitcnt lgkmcnt(0)
	s_barrier
	s_and_saveexec_b64 s[2:3], vcc
	s_cbranch_execz .LBB127_289
; %bb.287:
	v_mov_b32_e32 v68, v198
	v_mov_b32_e32 v69, v199
	s_waitcnt vmcnt(60)
	v_mov_b32_e32 v70, v134
	v_mov_b32_e32 v71, v135
	ds_write_b64 v80, v[136:137]
	ds_write2_b64 v81, v[68:69], v[70:71] offset0:58 offset1:59
	s_waitcnt vmcnt(57)
	v_mov_b32_e32 v68, v196
	v_mov_b32_e32 v69, v197
	s_waitcnt vmcnt(54)
	v_mov_b32_e32 v70, v132
	v_mov_b32_e32 v71, v133
	ds_write2_b64 v81, v[68:69], v[70:71] offset0:60 offset1:61
	s_waitcnt vmcnt(51)
	v_mov_b32_e32 v68, v194
	v_mov_b32_e32 v69, v195
	s_waitcnt vmcnt(48)
	ds_write2_b64 v81, v[68:69], v[2:3] offset0:62 offset1:63
	ds_read_b64 v[68:69], v80
	s_waitcnt lgkmcnt(0)
	v_cmp_neq_f64_e32 vcc, 0, v[68:69]
	s_and_b64 exec, exec, vcc
	s_cbranch_execz .LBB127_289
; %bb.288:
	v_div_scale_f64 v[70:71], s[6:7], v[68:69], v[68:69], 1.0
	v_rcp_f64_e32 v[72:73], v[70:71]
	v_div_scale_f64 v[74:75], vcc, 1.0, v[68:69], 1.0
	v_fma_f64 v[76:77], -v[70:71], v[72:73], 1.0
	v_fmac_f64_e32 v[72:73], v[72:73], v[76:77]
	v_fma_f64 v[76:77], -v[70:71], v[72:73], 1.0
	v_fmac_f64_e32 v[72:73], v[72:73], v[76:77]
	v_mul_f64 v[76:77], v[74:75], v[72:73]
	v_fma_f64 v[70:71], -v[70:71], v[76:77], v[74:75]
	v_div_fmas_f64 v[70:71], v[70:71], v[72:73], v[76:77]
	v_div_fixup_f64 v[68:69], v[70:71], v[68:69], 1.0
	ds_write_b64 v80, v[68:69]
.LBB127_289:
	s_or_b64 exec, exec, s[2:3]
	s_waitcnt lgkmcnt(0)
	s_barrier
	ds_read_b64 v[68:69], v80
	v_cmp_lt_u32_e32 vcc, 57, v82
	s_and_saveexec_b64 s[2:3], vcc
	s_cbranch_execz .LBB127_291
; %bb.290:
	ds_read2_b64 v[70:73], v81 offset0:58 offset1:59
	s_waitcnt lgkmcnt(1)
	v_mul_f64 v[136:137], v[68:69], v[136:137]
	s_waitcnt lgkmcnt(0)
	v_fma_f64 v[198:199], -v[136:137], v[70:71], v[198:199]
	s_waitcnt vmcnt(60)
	v_fma_f64 v[134:135], -v[136:137], v[72:73], v[134:135]
	ds_read2_b64 v[70:73], v81 offset0:60 offset1:61
	s_waitcnt vmcnt(57) lgkmcnt(0)
	v_fma_f64 v[196:197], -v[136:137], v[70:71], v[196:197]
	s_waitcnt vmcnt(54)
	v_fma_f64 v[132:133], -v[136:137], v[72:73], v[132:133]
	ds_read2_b64 v[70:73], v81 offset0:62 offset1:63
	s_waitcnt vmcnt(51) lgkmcnt(0)
	v_fma_f64 v[194:195], -v[136:137], v[70:71], v[194:195]
	s_waitcnt vmcnt(48)
	v_fma_f64 v[2:3], -v[136:137], v[72:73], v[2:3]
.LBB127_291:
	s_or_b64 exec, exec, s[2:3]
	v_cmp_eq_u32_e32 vcc, 58, v82
	s_waitcnt lgkmcnt(0)
	s_barrier
	s_and_saveexec_b64 s[2:3], vcc
	s_cbranch_execz .LBB127_294
; %bb.292:
	ds_write_b64 v80, v[198:199]
	s_waitcnt vmcnt(57)
	ds_write2_b64 v81, v[134:135], v[196:197] offset0:59 offset1:60
	s_waitcnt vmcnt(51)
	ds_write2_b64 v81, v[132:133], v[194:195] offset0:61 offset1:62
	s_waitcnt vmcnt(48)
	ds_write_b64 v81, v[2:3] offset:504
	ds_read_b64 v[70:71], v80
	s_waitcnt lgkmcnt(0)
	v_cmp_neq_f64_e32 vcc, 0, v[70:71]
	s_and_b64 exec, exec, vcc
	s_cbranch_execz .LBB127_294
; %bb.293:
	v_div_scale_f64 v[72:73], s[6:7], v[70:71], v[70:71], 1.0
	v_rcp_f64_e32 v[74:75], v[72:73]
	v_div_scale_f64 v[76:77], vcc, 1.0, v[70:71], 1.0
	v_fma_f64 v[78:79], -v[72:73], v[74:75], 1.0
	v_fmac_f64_e32 v[74:75], v[74:75], v[78:79]
	v_fma_f64 v[78:79], -v[72:73], v[74:75], 1.0
	v_fmac_f64_e32 v[74:75], v[74:75], v[78:79]
	v_mul_f64 v[78:79], v[76:77], v[74:75]
	v_fma_f64 v[72:73], -v[72:73], v[78:79], v[76:77]
	v_div_fmas_f64 v[72:73], v[72:73], v[74:75], v[78:79]
	v_div_fixup_f64 v[70:71], v[72:73], v[70:71], 1.0
	ds_write_b64 v80, v[70:71]
.LBB127_294:
	s_or_b64 exec, exec, s[2:3]
	s_waitcnt lgkmcnt(0)
	s_barrier
	ds_read_b64 v[70:71], v80
	v_cmp_lt_u32_e32 vcc, 58, v82
	s_and_saveexec_b64 s[2:3], vcc
	s_cbranch_execz .LBB127_296
; %bb.295:
	ds_read2_b64 v[72:75], v81 offset0:59 offset1:60
	s_waitcnt lgkmcnt(1)
	v_mul_f64 v[198:199], v[70:71], v[198:199]
	s_waitcnt vmcnt(60) lgkmcnt(0)
	v_fma_f64 v[134:135], -v[198:199], v[72:73], v[134:135]
	s_waitcnt vmcnt(57)
	v_fma_f64 v[196:197], -v[198:199], v[74:75], v[196:197]
	ds_read2_b64 v[72:75], v81 offset0:61 offset1:62
	s_waitcnt vmcnt(54) lgkmcnt(0)
	v_fma_f64 v[132:133], -v[198:199], v[72:73], v[132:133]
	ds_read_b64 v[72:73], v81 offset:504
	s_waitcnt vmcnt(51)
	v_fma_f64 v[194:195], -v[198:199], v[74:75], v[194:195]
	s_waitcnt vmcnt(48) lgkmcnt(0)
	v_fma_f64 v[2:3], -v[198:199], v[72:73], v[2:3]
.LBB127_296:
	s_or_b64 exec, exec, s[2:3]
	v_cmp_eq_u32_e32 vcc, 59, v82
	s_waitcnt lgkmcnt(0)
	s_barrier
	s_and_saveexec_b64 s[2:3], vcc
	s_cbranch_execz .LBB127_299
; %bb.297:
	s_waitcnt vmcnt(57)
	v_mov_b32_e32 v72, v196
	v_mov_b32_e32 v73, v197
	s_waitcnt vmcnt(54)
	v_mov_b32_e32 v74, v132
	v_mov_b32_e32 v75, v133
	ds_write_b64 v80, v[134:135]
	ds_write2_b64 v81, v[72:73], v[74:75] offset0:60 offset1:61
	s_waitcnt vmcnt(51)
	v_mov_b32_e32 v72, v194
	v_mov_b32_e32 v73, v195
	s_waitcnt vmcnt(48)
	ds_write2_b64 v81, v[72:73], v[2:3] offset0:62 offset1:63
	ds_read_b64 v[72:73], v80
	s_waitcnt lgkmcnt(0)
	v_cmp_neq_f64_e32 vcc, 0, v[72:73]
	s_and_b64 exec, exec, vcc
	s_cbranch_execz .LBB127_299
; %bb.298:
	v_div_scale_f64 v[74:75], s[6:7], v[72:73], v[72:73], 1.0
	v_rcp_f64_e32 v[76:77], v[74:75]
	v_div_scale_f64 v[78:79], vcc, 1.0, v[72:73], 1.0
	v_fma_f64 v[84:85], -v[74:75], v[76:77], 1.0
	v_fmac_f64_e32 v[76:77], v[76:77], v[84:85]
	v_fma_f64 v[84:85], -v[74:75], v[76:77], 1.0
	v_fmac_f64_e32 v[76:77], v[76:77], v[84:85]
	v_mul_f64 v[84:85], v[78:79], v[76:77]
	v_fma_f64 v[74:75], -v[74:75], v[84:85], v[78:79]
	v_div_fmas_f64 v[74:75], v[74:75], v[76:77], v[84:85]
	v_div_fixup_f64 v[72:73], v[74:75], v[72:73], 1.0
	ds_write_b64 v80, v[72:73]
.LBB127_299:
	s_or_b64 exec, exec, s[2:3]
	s_waitcnt lgkmcnt(0)
	s_barrier
	ds_read_b64 v[72:73], v80
	v_cmp_lt_u32_e32 vcc, 59, v82
	s_and_saveexec_b64 s[2:3], vcc
	s_cbranch_execz .LBB127_301
; %bb.300:
	ds_read2_b64 v[74:77], v81 offset0:60 offset1:61
	s_waitcnt vmcnt(60) lgkmcnt(1)
	v_mul_f64 v[134:135], v[72:73], v[134:135]
	s_waitcnt vmcnt(57) lgkmcnt(0)
	v_fma_f64 v[196:197], -v[134:135], v[74:75], v[196:197]
	s_waitcnt vmcnt(54)
	v_fma_f64 v[132:133], -v[134:135], v[76:77], v[132:133]
	ds_read2_b64 v[74:77], v81 offset0:62 offset1:63
	s_waitcnt vmcnt(51) lgkmcnt(0)
	v_fma_f64 v[194:195], -v[134:135], v[74:75], v[194:195]
	s_waitcnt vmcnt(48)
	v_fma_f64 v[2:3], -v[134:135], v[76:77], v[2:3]
.LBB127_301:
	s_or_b64 exec, exec, s[2:3]
	v_cmp_eq_u32_e32 vcc, 60, v82
	s_waitcnt lgkmcnt(0)
	s_barrier
	s_and_saveexec_b64 s[2:3], vcc
	s_cbranch_execz .LBB127_304
; %bb.302:
	s_waitcnt vmcnt(57)
	ds_write_b64 v80, v[196:197]
	s_waitcnt vmcnt(51)
	ds_write2_b64 v81, v[132:133], v[194:195] offset0:61 offset1:62
	s_waitcnt vmcnt(48)
	ds_write_b64 v81, v[2:3] offset:504
	ds_read_b64 v[74:75], v80
	s_waitcnt lgkmcnt(0)
	v_cmp_neq_f64_e32 vcc, 0, v[74:75]
	s_and_b64 exec, exec, vcc
	s_cbranch_execz .LBB127_304
; %bb.303:
	v_div_scale_f64 v[76:77], s[6:7], v[74:75], v[74:75], 1.0
	v_rcp_f64_e32 v[78:79], v[76:77]
	v_div_scale_f64 v[84:85], vcc, 1.0, v[74:75], 1.0
	v_fma_f64 v[86:87], -v[76:77], v[78:79], 1.0
	v_fmac_f64_e32 v[78:79], v[78:79], v[86:87]
	v_fma_f64 v[86:87], -v[76:77], v[78:79], 1.0
	v_fmac_f64_e32 v[78:79], v[78:79], v[86:87]
	v_mul_f64 v[86:87], v[84:85], v[78:79]
	v_fma_f64 v[76:77], -v[76:77], v[86:87], v[84:85]
	v_div_fmas_f64 v[76:77], v[76:77], v[78:79], v[86:87]
	v_div_fixup_f64 v[74:75], v[76:77], v[74:75], 1.0
	ds_write_b64 v80, v[74:75]
.LBB127_304:
	s_or_b64 exec, exec, s[2:3]
	s_waitcnt lgkmcnt(0)
	s_barrier
	ds_read_b64 v[74:75], v80
	v_cmp_lt_u32_e32 vcc, 60, v82
	s_and_saveexec_b64 s[2:3], vcc
	s_cbranch_execz .LBB127_306
; %bb.305:
	ds_read2_b64 v[76:79], v81 offset0:61 offset1:62
	s_waitcnt vmcnt(57) lgkmcnt(1)
	v_mul_f64 v[196:197], v[74:75], v[196:197]
	s_waitcnt vmcnt(54) lgkmcnt(0)
	v_fma_f64 v[132:133], -v[196:197], v[76:77], v[132:133]
	ds_read_b64 v[76:77], v81 offset:504
	s_waitcnt vmcnt(51)
	v_fma_f64 v[194:195], -v[196:197], v[78:79], v[194:195]
	s_waitcnt vmcnt(48) lgkmcnt(0)
	v_fma_f64 v[2:3], -v[196:197], v[76:77], v[2:3]
.LBB127_306:
	s_or_b64 exec, exec, s[2:3]
	v_cmp_eq_u32_e32 vcc, 61, v82
	s_waitcnt lgkmcnt(0)
	s_barrier
	s_and_saveexec_b64 s[2:3], vcc
	s_cbranch_execz .LBB127_309
; %bb.307:
	s_waitcnt vmcnt(51)
	v_mov_b32_e32 v76, v194
	v_mov_b32_e32 v77, v195
	ds_write_b64 v80, v[132:133]
	s_waitcnt vmcnt(48)
	ds_write2_b64 v81, v[76:77], v[2:3] offset0:62 offset1:63
	ds_read_b64 v[76:77], v80
	s_waitcnt lgkmcnt(0)
	v_cmp_neq_f64_e32 vcc, 0, v[76:77]
	s_and_b64 exec, exec, vcc
	s_cbranch_execz .LBB127_309
; %bb.308:
	v_div_scale_f64 v[78:79], s[6:7], v[76:77], v[76:77], 1.0
	v_rcp_f64_e32 v[84:85], v[78:79]
	v_pk_mov_b32 v[0:1], v[88:89], v[88:89] op_sel:[0,1]
	v_div_scale_f64 v[86:87], vcc, 1.0, v[76:77], 1.0
	v_fma_f64 v[88:89], -v[78:79], v[84:85], 1.0
	v_fmac_f64_e32 v[84:85], v[84:85], v[88:89]
	v_fma_f64 v[88:89], -v[78:79], v[84:85], 1.0
	v_fmac_f64_e32 v[84:85], v[84:85], v[88:89]
	v_mul_f64 v[88:89], v[86:87], v[84:85]
	v_fma_f64 v[78:79], -v[78:79], v[88:89], v[86:87]
	v_div_fmas_f64 v[78:79], v[78:79], v[84:85], v[88:89]
	v_pk_mov_b32 v[88:89], v[0:1], v[0:1] op_sel:[0,1]
	v_div_fixup_f64 v[76:77], v[78:79], v[76:77], 1.0
	ds_write_b64 v80, v[76:77]
.LBB127_309:
	s_or_b64 exec, exec, s[2:3]
	s_waitcnt lgkmcnt(0)
	s_barrier
	ds_read_b64 v[76:77], v80
	v_cmp_lt_u32_e32 vcc, 61, v82
	s_and_saveexec_b64 s[2:3], vcc
	s_cbranch_execz .LBB127_311
; %bb.310:
	ds_read2_b64 v[84:87], v81 offset0:62 offset1:63
	s_waitcnt vmcnt(54) lgkmcnt(1)
	v_mul_f64 v[132:133], v[76:77], v[132:133]
	s_waitcnt vmcnt(51) lgkmcnt(0)
	v_fma_f64 v[194:195], -v[132:133], v[84:85], v[194:195]
	s_waitcnt vmcnt(48)
	v_fma_f64 v[2:3], -v[132:133], v[86:87], v[2:3]
.LBB127_311:
	s_or_b64 exec, exec, s[2:3]
	v_cmp_eq_u32_e32 vcc, 62, v82
	s_waitcnt lgkmcnt(0)
	s_barrier
	s_and_saveexec_b64 s[2:3], vcc
	s_cbranch_execz .LBB127_314
; %bb.312:
	s_waitcnt vmcnt(51)
	ds_write_b64 v80, v[194:195]
	s_waitcnt vmcnt(48)
	ds_write_b64 v81, v[2:3] offset:504
	ds_read_b64 v[78:79], v80
	s_waitcnt lgkmcnt(0)
	v_cmp_neq_f64_e32 vcc, 0, v[78:79]
	s_and_b64 exec, exec, vcc
	s_cbranch_execz .LBB127_314
; %bb.313:
	v_div_scale_f64 v[84:85], s[6:7], v[78:79], v[78:79], 1.0
	v_rcp_f64_e32 v[86:87], v[84:85]
	v_pk_mov_b32 v[0:1], v[128:129], v[128:129] op_sel:[0,1]
	v_pk_mov_b32 v[128:129], v[124:125], v[124:125] op_sel:[0,1]
	v_pk_mov_b32 v[124:125], v[122:123], v[122:123] op_sel:[0,1]
	v_pk_mov_b32 v[122:123], v[120:121], v[120:121] op_sel:[0,1]
	v_pk_mov_b32 v[120:121], v[118:119], v[118:119] op_sel:[0,1]
	v_pk_mov_b32 v[118:119], v[116:117], v[116:117] op_sel:[0,1]
	v_pk_mov_b32 v[116:117], v[114:115], v[114:115] op_sel:[0,1]
	v_pk_mov_b32 v[114:115], v[112:113], v[112:113] op_sel:[0,1]
	v_pk_mov_b32 v[112:113], v[110:111], v[110:111] op_sel:[0,1]
	v_pk_mov_b32 v[110:111], v[108:109], v[108:109] op_sel:[0,1]
	v_pk_mov_b32 v[108:109], v[106:107], v[106:107] op_sel:[0,1]
	v_pk_mov_b32 v[106:107], v[104:105], v[104:105] op_sel:[0,1]
	v_pk_mov_b32 v[104:105], v[102:103], v[102:103] op_sel:[0,1]
	v_pk_mov_b32 v[102:103], v[100:101], v[100:101] op_sel:[0,1]
	v_pk_mov_b32 v[100:101], v[98:99], v[98:99] op_sel:[0,1]
	v_pk_mov_b32 v[98:99], v[96:97], v[96:97] op_sel:[0,1]
	v_pk_mov_b32 v[96:97], v[94:95], v[94:95] op_sel:[0,1]
	v_pk_mov_b32 v[94:95], v[90:91], v[90:91] op_sel:[0,1]
	v_fma_f64 v[90:91], -v[84:85], v[86:87], 1.0
	v_fmac_f64_e32 v[86:87], v[86:87], v[90:91]
	v_fma_f64 v[90:91], -v[84:85], v[86:87], 1.0
	buffer_store_dword v80, off, s[16:19], 0 offset:552 ; 4-byte Folded Spill
	v_mov_b32_e32 v80, v82
	v_pk_mov_b32 v[82:83], v[170:171], v[170:171] op_sel:[0,1]
	v_pk_mov_b32 v[170:171], v[234:235], v[234:235] op_sel:[0,1]
	;; [unrolled: 1-line block ×57, first 2 shown]
	v_div_scale_f64 v[88:89], vcc, 1.0, v[78:79], 1.0
	v_fmac_f64_e32 v[86:87], v[86:87], v[90:91]
	v_mul_f64 v[90:91], v[88:89], v[86:87]
	v_fma_f64 v[84:85], -v[84:85], v[90:91], v[88:89]
	v_pk_mov_b32 v[88:89], v[4:5], v[4:5] op_sel:[0,1]
	v_pk_mov_b32 v[4:5], v[6:7], v[6:7] op_sel:[0,1]
	;; [unrolled: 1-line block ×57, first 2 shown]
	v_mov_b32_e32 v82, v80
	buffer_load_dword v80, off, s[16:19], 0 offset:552 ; 4-byte Folded Reload
	v_div_fmas_f64 v[84:85], v[84:85], v[86:87], v[90:91]
	v_pk_mov_b32 v[90:91], v[94:95], v[94:95] op_sel:[0,1]
	v_pk_mov_b32 v[94:95], v[96:97], v[96:97] op_sel:[0,1]
	;; [unrolled: 1-line block ×18, first 2 shown]
	v_div_fixup_f64 v[78:79], v[84:85], v[78:79], 1.0
	s_waitcnt vmcnt(0)
	ds_write_b64 v80, v[78:79]
.LBB127_314:
	s_or_b64 exec, exec, s[2:3]
	s_waitcnt lgkmcnt(0)
	s_barrier
	ds_read_b64 v[78:79], v80
	v_cmp_lt_u32_e32 vcc, 62, v82
	s_and_saveexec_b64 s[2:3], vcc
	s_cbranch_execz .LBB127_316
; %bb.315:
	ds_read_b64 v[84:85], v81 offset:504
	s_waitcnt vmcnt(51) lgkmcnt(1)
	v_mul_f64 v[194:195], v[78:79], v[194:195]
	s_waitcnt vmcnt(48) lgkmcnt(0)
	v_fma_f64 v[2:3], -v[194:195], v[84:85], v[2:3]
.LBB127_316:
	s_or_b64 exec, exec, s[2:3]
	v_cmp_eq_u32_e32 vcc, 63, v82
	s_waitcnt lgkmcnt(0)
	s_barrier
	s_and_saveexec_b64 s[2:3], vcc
	s_cbranch_execz .LBB127_319
; %bb.317:
	s_waitcnt vmcnt(48)
	v_cmp_neq_f64_e32 vcc, 0, v[2:3]
	ds_write_b64 v80, v[2:3]
	s_and_b64 exec, exec, vcc
	s_cbranch_execz .LBB127_319
; %bb.318:
	v_div_scale_f64 v[84:85], s[6:7], v[2:3], v[2:3], 1.0
	v_rcp_f64_e32 v[86:87], v[84:85]
	v_pk_mov_b32 v[0:1], v[128:129], v[128:129] op_sel:[0,1]
	v_pk_mov_b32 v[128:129], v[124:125], v[124:125] op_sel:[0,1]
	;; [unrolled: 1-line block ×19, first 2 shown]
	v_fma_f64 v[90:91], -v[84:85], v[86:87], 1.0
	v_fmac_f64_e32 v[86:87], v[86:87], v[90:91]
	v_fma_f64 v[90:91], -v[84:85], v[86:87], 1.0
	v_mov_b32_e32 v81, v82
	v_pk_mov_b32 v[82:83], v[170:171], v[170:171] op_sel:[0,1]
	v_pk_mov_b32 v[170:171], v[234:235], v[234:235] op_sel:[0,1]
	v_pk_mov_b32 v[234:235], v[172:173], v[172:173] op_sel:[0,1]
	v_pk_mov_b32 v[172:173], v[64:65], v[64:65] op_sel:[0,1]
	v_pk_mov_b32 v[64:65], v[236:237], v[236:237] op_sel:[0,1]
	v_pk_mov_b32 v[236:237], v[174:175], v[174:175] op_sel:[0,1]
	v_pk_mov_b32 v[174:175], v[238:239], v[238:239] op_sel:[0,1]
	v_pk_mov_b32 v[238:239], v[176:177], v[176:177] op_sel:[0,1]
	v_pk_mov_b32 v[176:177], v[240:241], v[240:241] op_sel:[0,1]
	v_pk_mov_b32 v[240:241], v[178:179], v[178:179] op_sel:[0,1]
	v_pk_mov_b32 v[178:179], v[242:243], v[242:243] op_sel:[0,1]
	v_pk_mov_b32 v[242:243], v[62:63], v[62:63] op_sel:[0,1]
	v_pk_mov_b32 v[62:63], v[180:181], v[180:181] op_sel:[0,1]
	v_pk_mov_b32 v[180:181], v[244:245], v[244:245] op_sel:[0,1]
	v_pk_mov_b32 v[244:245], v[182:183], v[182:183] op_sel:[0,1]
	v_pk_mov_b32 v[182:183], v[246:247], v[246:247] op_sel:[0,1]
	v_pk_mov_b32 v[246:247], v[184:185], v[184:185] op_sel:[0,1]
	v_pk_mov_b32 v[184:185], v[60:61], v[60:61] op_sel:[0,1]
	v_pk_mov_b32 v[60:61], v[248:249], v[248:249] op_sel:[0,1]
	v_pk_mov_b32 v[248:249], v[186:187], v[186:187] op_sel:[0,1]
	v_pk_mov_b32 v[186:187], v[250:251], v[250:251] op_sel:[0,1]
	v_pk_mov_b32 v[250:251], v[188:189], v[188:189] op_sel:[0,1]
	v_pk_mov_b32 v[188:189], v[252:253], v[252:253] op_sel:[0,1]
	v_pk_mov_b32 v[252:253], v[58:59], v[58:59] op_sel:[0,1]
	v_pk_mov_b32 v[58:59], v[190:191], v[190:191] op_sel:[0,1]
	v_pk_mov_b32 v[190:191], v[254:255], v[254:255] op_sel:[0,1]
	v_pk_mov_b32 v[254:255], v[192:193], v[192:193] op_sel:[0,1]
	v_pk_mov_b32 v[192:193], v[56:57], v[56:57] op_sel:[0,1]
	v_pk_mov_b32 v[56:57], v[130:131], v[130:131] op_sel:[0,1]
	v_pk_mov_b32 v[130:131], v[54:55], v[54:55] op_sel:[0,1]
	v_pk_mov_b32 v[54:55], v[52:53], v[52:53] op_sel:[0,1]
	v_pk_mov_b32 v[52:53], v[50:51], v[50:51] op_sel:[0,1]
	v_pk_mov_b32 v[50:51], v[48:49], v[48:49] op_sel:[0,1]
	v_pk_mov_b32 v[48:49], v[46:47], v[46:47] op_sel:[0,1]
	v_pk_mov_b32 v[46:47], v[44:45], v[44:45] op_sel:[0,1]
	v_pk_mov_b32 v[44:45], v[42:43], v[42:43] op_sel:[0,1]
	v_pk_mov_b32 v[42:43], v[40:41], v[40:41] op_sel:[0,1]
	v_pk_mov_b32 v[40:41], v[38:39], v[38:39] op_sel:[0,1]
	v_pk_mov_b32 v[38:39], v[36:37], v[36:37] op_sel:[0,1]
	v_pk_mov_b32 v[36:37], v[34:35], v[34:35] op_sel:[0,1]
	v_pk_mov_b32 v[34:35], v[32:33], v[32:33] op_sel:[0,1]
	v_pk_mov_b32 v[32:33], v[30:31], v[30:31] op_sel:[0,1]
	v_pk_mov_b32 v[30:31], v[28:29], v[28:29] op_sel:[0,1]
	v_pk_mov_b32 v[28:29], v[26:27], v[26:27] op_sel:[0,1]
	v_pk_mov_b32 v[26:27], v[24:25], v[24:25] op_sel:[0,1]
	v_pk_mov_b32 v[24:25], v[22:23], v[22:23] op_sel:[0,1]
	v_pk_mov_b32 v[22:23], v[20:21], v[20:21] op_sel:[0,1]
	v_pk_mov_b32 v[20:21], v[18:19], v[18:19] op_sel:[0,1]
	v_pk_mov_b32 v[18:19], v[16:17], v[16:17] op_sel:[0,1]
	v_pk_mov_b32 v[16:17], v[126:127], v[126:127] op_sel:[0,1]
	v_pk_mov_b32 v[126:127], v[14:15], v[14:15] op_sel:[0,1]
	v_pk_mov_b32 v[14:15], v[12:13], v[12:13] op_sel:[0,1]
	v_pk_mov_b32 v[12:13], v[10:11], v[10:11] op_sel:[0,1]
	v_pk_mov_b32 v[10:11], v[8:9], v[8:9] op_sel:[0,1]
	v_pk_mov_b32 v[8:9], v[6:7], v[6:7] op_sel:[0,1]
	v_pk_mov_b32 v[6:7], v[4:5], v[4:5] op_sel:[0,1]
	v_pk_mov_b32 v[4:5], v[88:89], v[88:89] op_sel:[0,1]
	v_div_scale_f64 v[88:89], vcc, 1.0, v[2:3], 1.0
	v_fmac_f64_e32 v[86:87], v[86:87], v[90:91]
	v_mul_f64 v[90:91], v[88:89], v[86:87]
	v_fma_f64 v[84:85], -v[84:85], v[90:91], v[88:89]
	s_nop 0
	v_div_fmas_f64 v[84:85], v[84:85], v[86:87], v[90:91]
	v_pk_mov_b32 v[88:89], v[4:5], v[4:5] op_sel:[0,1]
	v_pk_mov_b32 v[4:5], v[6:7], v[6:7] op_sel:[0,1]
	;; [unrolled: 1-line block ×57, first 2 shown]
	v_mov_b32_e32 v82, v81
	v_pk_mov_b32 v[90:91], v[92:93], v[92:93] op_sel:[0,1]
	v_pk_mov_b32 v[92:93], v[94:95], v[94:95] op_sel:[0,1]
	;; [unrolled: 1-line block ×19, first 2 shown]
	v_div_fixup_f64 v[84:85], v[84:85], v[2:3], 1.0
	ds_write_b64 v80, v[84:85]
.LBB127_319:
	s_or_b64 exec, exec, s[2:3]
	s_waitcnt lgkmcnt(0)
	s_barrier
	ds_read_b64 v[80:81], v80
	s_waitcnt lgkmcnt(0)
	s_barrier
	s_and_saveexec_b64 s[2:3], s[0:1]
	s_cbranch_execz .LBB127_322
; %bb.320:
	buffer_load_dword v0, off, s[16:19], 0 offset:360 ; 4-byte Folded Reload
	buffer_load_dword v1, off, s[16:19], 0 offset:364 ; 4-byte Folded Reload
	v_cmp_eq_f64_e32 vcc, 0, v[94:95]
	v_cndmask_b32_e64 v83, 0, 1, vcc
	s_load_dwordx2 s[4:5], s[4:5], 0x28
	s_waitcnt vmcnt(0)
	v_cmp_neq_f64_e64 s[0:1], 0, v[0:1]
	buffer_load_dword v0, off, s[16:19], 0 offset:368 ; 4-byte Folded Reload
	buffer_load_dword v1, off, s[16:19], 0 offset:372 ; 4-byte Folded Reload
	s_or_b64 vcc, s[0:1], vcc
	v_cndmask_b32_e32 v83, 2, v83, vcc
	v_cmp_eq_u32_e64 s[0:1], 0, v83
	s_waitcnt vmcnt(0)
	v_cmp_eq_f64_e32 vcc, 0, v[0:1]
	buffer_load_dword v0, off, s[16:19], 0 offset:464 ; 4-byte Folded Reload
	buffer_load_dword v1, off, s[16:19], 0 offset:468 ; 4-byte Folded Reload
	s_and_b64 s[0:1], vcc, s[0:1]
	v_cndmask_b32_e64 v83, v83, 3, s[0:1]
	v_cmp_eq_u32_e64 s[0:1], 0, v83
	s_waitcnt vmcnt(0)
	v_cmp_eq_f64_e32 vcc, 0, v[0:1]
	buffer_load_dword v0, off, s[16:19], 0 offset:376 ; 4-byte Folded Reload
	buffer_load_dword v1, off, s[16:19], 0 offset:380 ; 4-byte Folded Reload
	s_and_b64 s[0:1], vcc, s[0:1]
	v_cndmask_b32_e64 v83, v83, 4, s[0:1]
	;; [unrolled: 7-line block ×22, first 2 shown]
	v_cmp_eq_u32_e64 s[0:1], 0, v83
	s_waitcnt vmcnt(0)
	v_cmp_eq_f64_e32 vcc, 0, v[0:1]
	s_and_b64 s[0:1], vcc, s[0:1]
	v_cndmask_b32_e64 v0, v83, 25, s[0:1]
	v_cmp_eq_f64_e32 vcc, 0, v[4:5]
	v_cmp_eq_u32_e64 s[0:1], 0, v0
	s_and_b64 s[0:1], vcc, s[0:1]
	v_cndmask_b32_e64 v0, v0, 26, s[0:1]
	v_cmp_eq_f64_e32 vcc, 0, v[6:7]
	v_cmp_eq_u32_e64 s[0:1], 0, v0
	;; [unrolled: 4-line block ×19, first 2 shown]
	s_and_b64 s[0:1], vcc, s[0:1]
	v_cndmask_b32_e64 v4, v0, 44, s[0:1]
	v_lshlrev_b64 v[0:1], 2, v[90:91]
	s_waitcnt lgkmcnt(0)
	v_mov_b32_e32 v5, s5
	v_add_co_u32_e64 v0, s[0:1], s4, v0
	v_addc_co_u32_e64 v1, s[0:1], v5, v1, s[0:1]
	global_load_dword v5, v[0:1], off
	v_cmp_eq_f64_e32 vcc, 0, v[42:43]
	v_cmp_eq_u32_e64 s[0:1], 0, v4
	s_and_b64 s[0:1], vcc, s[0:1]
	v_cndmask_b32_e64 v4, v4, 45, s[0:1]
	v_cmp_eq_f64_e32 vcc, 0, v[44:45]
	v_cmp_eq_u32_e64 s[0:1], 0, v4
	s_and_b64 s[0:1], vcc, s[0:1]
	v_cndmask_b32_e64 v4, v4, 46, s[0:1]
	;; [unrolled: 4-line block ×20, first 2 shown]
	s_waitcnt vmcnt(0)
	v_cmp_eq_u32_e32 vcc, 0, v5
	v_cmp_ne_u32_e64 s[0:1], 0, v4
	s_and_b64 s[0:1], vcc, s[0:1]
	s_and_b64 exec, exec, s[0:1]
	s_cbranch_execz .LBB127_322
; %bb.321:
	v_add_u32_e32 v4, s9, v4
	global_store_dword v[0:1], v4, off
.LBB127_322:
	s_or_b64 exec, exec, s[2:3]
	v_cmp_lt_u32_e32 vcc, 63, v82
	s_waitcnt vmcnt(48)
	v_mul_f64 v[0:1], v[80:81], v[2:3]
	global_store_dwordx2 v[126:127], v[130:131], off
	v_cndmask_b32_e32 v1, v3, v1, vcc
	v_cndmask_b32_e32 v0, v2, v0, vcc
	buffer_load_dword v2, off, s[16:19], 0 offset:352 ; 4-byte Folded Reload
	buffer_load_dword v3, off, s[16:19], 0 offset:356 ; 4-byte Folded Reload
	s_waitcnt vmcnt(0)
	global_store_dwordx2 v[2:3], v[192:193], off
	global_store_dwordx2 v[92:93], v[254:255], off
	buffer_load_dword v2, off, s[16:19], 0 offset:328 ; 4-byte Folded Reload
	s_nop 0
	buffer_load_dword v3, off, s[16:19], 0 offset:332 ; 4-byte Folded Reload
	s_waitcnt vmcnt(0)
	global_store_dwordx2 v[2:3], v[190:191], off
	global_store_dwordx2 v[96:97], v[252:253], off
	;; [unrolled: 1-line block ×18, first 2 shown]
	buffer_load_dword v2, off, s[16:19], 0  ; 4-byte Folded Reload
	buffer_load_dword v3, off, s[16:19], 0 offset:4 ; 4-byte Folded Reload
	s_waitcnt vmcnt(0)
	global_store_dwordx2 v[2:3], v[172:173], off
	buffer_load_dword v2, off, s[16:19], 0 offset:8 ; 4-byte Folded Reload
	s_nop 0
	buffer_load_dword v3, off, s[16:19], 0 offset:12 ; 4-byte Folded Reload
	s_waitcnt vmcnt(0)
	global_store_dwordx2 v[2:3], v[234:235], off
	buffer_load_dword v2, off, s[16:19], 0 offset:16 ; 4-byte Folded Reload
	s_nop 0
	;; [unrolled: 5-line block ×42, first 2 shown]
	buffer_load_dword v3, off, s[16:19], 0 offset:348 ; 4-byte Folded Reload
	s_waitcnt vmcnt(0)
	global_store_dwordx2 v[2:3], v[0:1], off
.LBB127_323:
	s_endpgm
	.section	.rodata,"a",@progbits
	.p2align	6, 0x0
	.amdhsa_kernel _ZN9rocsolver6v33100L23getf2_npvt_small_kernelILi64EdiiPKPdEEvT1_T3_lS5_lPT2_S5_S5_
		.amdhsa_group_segment_fixed_size 0
		.amdhsa_private_segment_fixed_size 560
		.amdhsa_kernarg_size 312
		.amdhsa_user_sgpr_count 6
		.amdhsa_user_sgpr_private_segment_buffer 1
		.amdhsa_user_sgpr_dispatch_ptr 0
		.amdhsa_user_sgpr_queue_ptr 0
		.amdhsa_user_sgpr_kernarg_segment_ptr 1
		.amdhsa_user_sgpr_dispatch_id 0
		.amdhsa_user_sgpr_flat_scratch_init 0
		.amdhsa_user_sgpr_kernarg_preload_length 0
		.amdhsa_user_sgpr_kernarg_preload_offset 0
		.amdhsa_user_sgpr_private_segment_size 0
		.amdhsa_uses_dynamic_stack 0
		.amdhsa_system_sgpr_private_segment_wavefront_offset 1
		.amdhsa_system_sgpr_workgroup_id_x 1
		.amdhsa_system_sgpr_workgroup_id_y 1
		.amdhsa_system_sgpr_workgroup_id_z 0
		.amdhsa_system_sgpr_workgroup_info 0
		.amdhsa_system_vgpr_workitem_id 1
		.amdhsa_next_free_vgpr 256
		.amdhsa_next_free_sgpr 20
		.amdhsa_accum_offset 256
		.amdhsa_reserve_vcc 1
		.amdhsa_reserve_flat_scratch 0
		.amdhsa_float_round_mode_32 0
		.amdhsa_float_round_mode_16_64 0
		.amdhsa_float_denorm_mode_32 3
		.amdhsa_float_denorm_mode_16_64 3
		.amdhsa_dx10_clamp 1
		.amdhsa_ieee_mode 1
		.amdhsa_fp16_overflow 0
		.amdhsa_tg_split 0
		.amdhsa_exception_fp_ieee_invalid_op 0
		.amdhsa_exception_fp_denorm_src 0
		.amdhsa_exception_fp_ieee_div_zero 0
		.amdhsa_exception_fp_ieee_overflow 0
		.amdhsa_exception_fp_ieee_underflow 0
		.amdhsa_exception_fp_ieee_inexact 0
		.amdhsa_exception_int_div_zero 0
	.end_amdhsa_kernel
	.section	.text._ZN9rocsolver6v33100L23getf2_npvt_small_kernelILi64EdiiPKPdEEvT1_T3_lS5_lPT2_S5_S5_,"axG",@progbits,_ZN9rocsolver6v33100L23getf2_npvt_small_kernelILi64EdiiPKPdEEvT1_T3_lS5_lPT2_S5_S5_,comdat
.Lfunc_end127:
	.size	_ZN9rocsolver6v33100L23getf2_npvt_small_kernelILi64EdiiPKPdEEvT1_T3_lS5_lPT2_S5_S5_, .Lfunc_end127-_ZN9rocsolver6v33100L23getf2_npvt_small_kernelILi64EdiiPKPdEEvT1_T3_lS5_lPT2_S5_S5_
                                        ; -- End function
	.section	.AMDGPU.csdata,"",@progbits
; Kernel info:
; codeLenInByte = 68620
; NumSgprs: 24
; NumVgprs: 256
; NumAgprs: 0
; TotalNumVgprs: 256
; ScratchSize: 560
; MemoryBound: 0
; FloatMode: 240
; IeeeMode: 1
; LDSByteSize: 0 bytes/workgroup (compile time only)
; SGPRBlocks: 2
; VGPRBlocks: 31
; NumSGPRsForWavesPerEU: 24
; NumVGPRsForWavesPerEU: 256
; AccumOffset: 256
; Occupancy: 2
; WaveLimiterHint : 1
; COMPUTE_PGM_RSRC2:SCRATCH_EN: 1
; COMPUTE_PGM_RSRC2:USER_SGPR: 6
; COMPUTE_PGM_RSRC2:TRAP_HANDLER: 0
; COMPUTE_PGM_RSRC2:TGID_X_EN: 1
; COMPUTE_PGM_RSRC2:TGID_Y_EN: 1
; COMPUTE_PGM_RSRC2:TGID_Z_EN: 0
; COMPUTE_PGM_RSRC2:TIDIG_COMP_CNT: 1
; COMPUTE_PGM_RSRC3_GFX90A:ACCUM_OFFSET: 63
; COMPUTE_PGM_RSRC3_GFX90A:TG_SPLIT: 0
	.text
	.p2alignl 6, 3212836864
	.fill 256, 4, 3212836864
	.type	__hip_cuid_9ad92ee25242b641,@object ; @__hip_cuid_9ad92ee25242b641
	.section	.bss,"aw",@nobits
	.globl	__hip_cuid_9ad92ee25242b641
__hip_cuid_9ad92ee25242b641:
	.byte	0                               ; 0x0
	.size	__hip_cuid_9ad92ee25242b641, 1

	.ident	"AMD clang version 19.0.0git (https://github.com/RadeonOpenCompute/llvm-project roc-6.4.0 25133 c7fe45cf4b819c5991fe208aaa96edf142730f1d)"
	.section	".note.GNU-stack","",@progbits
	.addrsig
	.addrsig_sym __hip_cuid_9ad92ee25242b641
	.amdgpu_metadata
---
amdhsa.kernels:
  - .agpr_count:     0
    .args:
      - .offset:         0
        .size:           4
        .value_kind:     by_value
      - .address_space:  global
        .offset:         8
        .size:           8
        .value_kind:     global_buffer
      - .offset:         16
        .size:           8
        .value_kind:     by_value
      - .offset:         24
        .size:           4
        .value_kind:     by_value
      - .offset:         32
        .size:           8
        .value_kind:     by_value
      - .address_space:  global
        .offset:         40
        .size:           8
        .value_kind:     global_buffer
      - .offset:         48
        .size:           8
        .value_kind:     by_value
      - .offset:         56
        .size:           8
        .value_kind:     by_value
      - .address_space:  global
        .offset:         64
        .size:           8
        .value_kind:     global_buffer
      - .offset:         72
        .size:           4
        .value_kind:     by_value
      - .offset:         76
        .size:           4
        .value_kind:     by_value
      - .address_space:  global
        .offset:         80
        .size:           8
        .value_kind:     global_buffer
      - .offset:         88
        .size:           8
        .value_kind:     by_value
      - .offset:         96
        .size:           4
        .value_kind:     hidden_block_count_x
      - .offset:         100
        .size:           4
        .value_kind:     hidden_block_count_y
      - .offset:         104
        .size:           4
        .value_kind:     hidden_block_count_z
      - .offset:         108
        .size:           2
        .value_kind:     hidden_group_size_x
      - .offset:         110
        .size:           2
        .value_kind:     hidden_group_size_y
      - .offset:         112
        .size:           2
        .value_kind:     hidden_group_size_z
      - .offset:         114
        .size:           2
        .value_kind:     hidden_remainder_x
      - .offset:         116
        .size:           2
        .value_kind:     hidden_remainder_y
      - .offset:         118
        .size:           2
        .value_kind:     hidden_remainder_z
      - .offset:         136
        .size:           8
        .value_kind:     hidden_global_offset_x
      - .offset:         144
        .size:           8
        .value_kind:     hidden_global_offset_y
      - .offset:         152
        .size:           8
        .value_kind:     hidden_global_offset_z
      - .offset:         160
        .size:           2
        .value_kind:     hidden_grid_dims
      - .offset:         216
        .size:           4
        .value_kind:     hidden_dynamic_lds_size
    .group_segment_fixed_size: 0
    .kernarg_segment_align: 8
    .kernarg_segment_size: 352
    .language:       OpenCL C
    .language_version:
      - 2
      - 0
    .max_flat_workgroup_size: 512
    .name:           _ZN9rocsolver6v33100L18getf2_small_kernelILi1EdiiPKPdEEvT1_T3_lS5_lPS5_llPT2_S5_S5_S7_l
    .private_segment_fixed_size: 0
    .sgpr_count:     18
    .sgpr_spill_count: 0
    .symbol:         _ZN9rocsolver6v33100L18getf2_small_kernelILi1EdiiPKPdEEvT1_T3_lS5_lPS5_llPT2_S5_S5_S7_l.kd
    .uniform_work_group_size: 1
    .uses_dynamic_stack: false
    .vgpr_count:     18
    .vgpr_spill_count: 0
    .wavefront_size: 64
  - .agpr_count:     0
    .args:
      - .offset:         0
        .size:           4
        .value_kind:     by_value
      - .address_space:  global
        .offset:         8
        .size:           8
        .value_kind:     global_buffer
      - .offset:         16
        .size:           8
        .value_kind:     by_value
      - .offset:         24
        .size:           4
        .value_kind:     by_value
      - .offset:         32
        .size:           8
        .value_kind:     by_value
      - .address_space:  global
        .offset:         40
        .size:           8
        .value_kind:     global_buffer
      - .offset:         48
        .size:           4
        .value_kind:     by_value
      - .offset:         52
        .size:           4
        .value_kind:     by_value
      - .offset:         56
        .size:           4
        .value_kind:     hidden_block_count_x
      - .offset:         60
        .size:           4
        .value_kind:     hidden_block_count_y
      - .offset:         64
        .size:           4
        .value_kind:     hidden_block_count_z
      - .offset:         68
        .size:           2
        .value_kind:     hidden_group_size_x
      - .offset:         70
        .size:           2
        .value_kind:     hidden_group_size_y
      - .offset:         72
        .size:           2
        .value_kind:     hidden_group_size_z
      - .offset:         74
        .size:           2
        .value_kind:     hidden_remainder_x
      - .offset:         76
        .size:           2
        .value_kind:     hidden_remainder_y
      - .offset:         78
        .size:           2
        .value_kind:     hidden_remainder_z
      - .offset:         96
        .size:           8
        .value_kind:     hidden_global_offset_x
      - .offset:         104
        .size:           8
        .value_kind:     hidden_global_offset_y
      - .offset:         112
        .size:           8
        .value_kind:     hidden_global_offset_z
      - .offset:         120
        .size:           2
        .value_kind:     hidden_grid_dims
      - .offset:         176
        .size:           4
        .value_kind:     hidden_dynamic_lds_size
    .group_segment_fixed_size: 0
    .kernarg_segment_align: 8
    .kernarg_segment_size: 312
    .language:       OpenCL C
    .language_version:
      - 2
      - 0
    .max_flat_workgroup_size: 512
    .name:           _ZN9rocsolver6v33100L23getf2_npvt_small_kernelILi1EdiiPKPdEEvT1_T3_lS5_lPT2_S5_S5_
    .private_segment_fixed_size: 0
    .sgpr_count:     20
    .sgpr_spill_count: 0
    .symbol:         _ZN9rocsolver6v33100L23getf2_npvt_small_kernelILi1EdiiPKPdEEvT1_T3_lS5_lPT2_S5_S5_.kd
    .uniform_work_group_size: 1
    .uses_dynamic_stack: false
    .vgpr_count:     16
    .vgpr_spill_count: 0
    .wavefront_size: 64
  - .agpr_count:     0
    .args:
      - .offset:         0
        .size:           4
        .value_kind:     by_value
      - .address_space:  global
        .offset:         8
        .size:           8
        .value_kind:     global_buffer
      - .offset:         16
        .size:           8
        .value_kind:     by_value
      - .offset:         24
        .size:           4
        .value_kind:     by_value
      - .offset:         32
        .size:           8
        .value_kind:     by_value
      - .address_space:  global
        .offset:         40
        .size:           8
        .value_kind:     global_buffer
      - .offset:         48
        .size:           8
        .value_kind:     by_value
      - .offset:         56
        .size:           8
        .value_kind:     by_value
      - .address_space:  global
        .offset:         64
        .size:           8
        .value_kind:     global_buffer
      - .offset:         72
        .size:           4
        .value_kind:     by_value
      - .offset:         76
        .size:           4
        .value_kind:     by_value
      - .address_space:  global
        .offset:         80
        .size:           8
        .value_kind:     global_buffer
      - .offset:         88
        .size:           8
        .value_kind:     by_value
      - .offset:         96
        .size:           4
        .value_kind:     hidden_block_count_x
      - .offset:         100
        .size:           4
        .value_kind:     hidden_block_count_y
      - .offset:         104
        .size:           4
        .value_kind:     hidden_block_count_z
      - .offset:         108
        .size:           2
        .value_kind:     hidden_group_size_x
      - .offset:         110
        .size:           2
        .value_kind:     hidden_group_size_y
      - .offset:         112
        .size:           2
        .value_kind:     hidden_group_size_z
      - .offset:         114
        .size:           2
        .value_kind:     hidden_remainder_x
      - .offset:         116
        .size:           2
        .value_kind:     hidden_remainder_y
      - .offset:         118
        .size:           2
        .value_kind:     hidden_remainder_z
      - .offset:         136
        .size:           8
        .value_kind:     hidden_global_offset_x
      - .offset:         144
        .size:           8
        .value_kind:     hidden_global_offset_y
      - .offset:         152
        .size:           8
        .value_kind:     hidden_global_offset_z
      - .offset:         160
        .size:           2
        .value_kind:     hidden_grid_dims
      - .offset:         216
        .size:           4
        .value_kind:     hidden_dynamic_lds_size
    .group_segment_fixed_size: 0
    .kernarg_segment_align: 8
    .kernarg_segment_size: 352
    .language:       OpenCL C
    .language_version:
      - 2
      - 0
    .max_flat_workgroup_size: 512
    .name:           _ZN9rocsolver6v33100L18getf2_small_kernelILi2EdiiPKPdEEvT1_T3_lS5_lPS5_llPT2_S5_S5_S7_l
    .private_segment_fixed_size: 0
    .sgpr_count:     22
    .sgpr_spill_count: 0
    .symbol:         _ZN9rocsolver6v33100L18getf2_small_kernelILi2EdiiPKPdEEvT1_T3_lS5_lPS5_llPT2_S5_S5_S7_l.kd
    .uniform_work_group_size: 1
    .uses_dynamic_stack: false
    .vgpr_count:     26
    .vgpr_spill_count: 0
    .wavefront_size: 64
  - .agpr_count:     0
    .args:
      - .offset:         0
        .size:           4
        .value_kind:     by_value
      - .address_space:  global
        .offset:         8
        .size:           8
        .value_kind:     global_buffer
      - .offset:         16
        .size:           8
        .value_kind:     by_value
      - .offset:         24
        .size:           4
        .value_kind:     by_value
      - .offset:         32
        .size:           8
        .value_kind:     by_value
      - .address_space:  global
        .offset:         40
        .size:           8
        .value_kind:     global_buffer
      - .offset:         48
        .size:           4
        .value_kind:     by_value
      - .offset:         52
        .size:           4
        .value_kind:     by_value
      - .offset:         56
        .size:           4
        .value_kind:     hidden_block_count_x
      - .offset:         60
        .size:           4
        .value_kind:     hidden_block_count_y
      - .offset:         64
        .size:           4
        .value_kind:     hidden_block_count_z
      - .offset:         68
        .size:           2
        .value_kind:     hidden_group_size_x
      - .offset:         70
        .size:           2
        .value_kind:     hidden_group_size_y
      - .offset:         72
        .size:           2
        .value_kind:     hidden_group_size_z
      - .offset:         74
        .size:           2
        .value_kind:     hidden_remainder_x
      - .offset:         76
        .size:           2
        .value_kind:     hidden_remainder_y
      - .offset:         78
        .size:           2
        .value_kind:     hidden_remainder_z
      - .offset:         96
        .size:           8
        .value_kind:     hidden_global_offset_x
      - .offset:         104
        .size:           8
        .value_kind:     hidden_global_offset_y
      - .offset:         112
        .size:           8
        .value_kind:     hidden_global_offset_z
      - .offset:         120
        .size:           2
        .value_kind:     hidden_grid_dims
      - .offset:         176
        .size:           4
        .value_kind:     hidden_dynamic_lds_size
    .group_segment_fixed_size: 0
    .kernarg_segment_align: 8
    .kernarg_segment_size: 312
    .language:       OpenCL C
    .language_version:
      - 2
      - 0
    .max_flat_workgroup_size: 512
    .name:           _ZN9rocsolver6v33100L23getf2_npvt_small_kernelILi2EdiiPKPdEEvT1_T3_lS5_lPT2_S5_S5_
    .private_segment_fixed_size: 0
    .sgpr_count:     20
    .sgpr_spill_count: 0
    .symbol:         _ZN9rocsolver6v33100L23getf2_npvt_small_kernelILi2EdiiPKPdEEvT1_T3_lS5_lPT2_S5_S5_.kd
    .uniform_work_group_size: 1
    .uses_dynamic_stack: false
    .vgpr_count:     24
    .vgpr_spill_count: 0
    .wavefront_size: 64
  - .agpr_count:     0
    .args:
      - .offset:         0
        .size:           4
        .value_kind:     by_value
      - .address_space:  global
        .offset:         8
        .size:           8
        .value_kind:     global_buffer
      - .offset:         16
        .size:           8
        .value_kind:     by_value
      - .offset:         24
        .size:           4
        .value_kind:     by_value
      - .offset:         32
        .size:           8
        .value_kind:     by_value
      - .address_space:  global
        .offset:         40
        .size:           8
        .value_kind:     global_buffer
      - .offset:         48
        .size:           8
        .value_kind:     by_value
      - .offset:         56
        .size:           8
        .value_kind:     by_value
      - .address_space:  global
        .offset:         64
        .size:           8
        .value_kind:     global_buffer
      - .offset:         72
        .size:           4
        .value_kind:     by_value
      - .offset:         76
        .size:           4
        .value_kind:     by_value
      - .address_space:  global
        .offset:         80
        .size:           8
        .value_kind:     global_buffer
      - .offset:         88
        .size:           8
        .value_kind:     by_value
      - .offset:         96
        .size:           4
        .value_kind:     hidden_block_count_x
      - .offset:         100
        .size:           4
        .value_kind:     hidden_block_count_y
      - .offset:         104
        .size:           4
        .value_kind:     hidden_block_count_z
      - .offset:         108
        .size:           2
        .value_kind:     hidden_group_size_x
      - .offset:         110
        .size:           2
        .value_kind:     hidden_group_size_y
      - .offset:         112
        .size:           2
        .value_kind:     hidden_group_size_z
      - .offset:         114
        .size:           2
        .value_kind:     hidden_remainder_x
      - .offset:         116
        .size:           2
        .value_kind:     hidden_remainder_y
      - .offset:         118
        .size:           2
        .value_kind:     hidden_remainder_z
      - .offset:         136
        .size:           8
        .value_kind:     hidden_global_offset_x
      - .offset:         144
        .size:           8
        .value_kind:     hidden_global_offset_y
      - .offset:         152
        .size:           8
        .value_kind:     hidden_global_offset_z
      - .offset:         160
        .size:           2
        .value_kind:     hidden_grid_dims
      - .offset:         216
        .size:           4
        .value_kind:     hidden_dynamic_lds_size
    .group_segment_fixed_size: 0
    .kernarg_segment_align: 8
    .kernarg_segment_size: 352
    .language:       OpenCL C
    .language_version:
      - 2
      - 0
    .max_flat_workgroup_size: 512
    .name:           _ZN9rocsolver6v33100L18getf2_small_kernelILi3EdiiPKPdEEvT1_T3_lS5_lPS5_llPT2_S5_S5_S7_l
    .private_segment_fixed_size: 0
    .sgpr_count:     24
    .sgpr_spill_count: 0
    .symbol:         _ZN9rocsolver6v33100L18getf2_small_kernelILi3EdiiPKPdEEvT1_T3_lS5_lPS5_llPT2_S5_S5_S7_l.kd
    .uniform_work_group_size: 1
    .uses_dynamic_stack: false
    .vgpr_count:     28
    .vgpr_spill_count: 0
    .wavefront_size: 64
  - .agpr_count:     0
    .args:
      - .offset:         0
        .size:           4
        .value_kind:     by_value
      - .address_space:  global
        .offset:         8
        .size:           8
        .value_kind:     global_buffer
      - .offset:         16
        .size:           8
        .value_kind:     by_value
      - .offset:         24
        .size:           4
        .value_kind:     by_value
      - .offset:         32
        .size:           8
        .value_kind:     by_value
      - .address_space:  global
        .offset:         40
        .size:           8
        .value_kind:     global_buffer
      - .offset:         48
        .size:           4
        .value_kind:     by_value
      - .offset:         52
        .size:           4
        .value_kind:     by_value
      - .offset:         56
        .size:           4
        .value_kind:     hidden_block_count_x
      - .offset:         60
        .size:           4
        .value_kind:     hidden_block_count_y
      - .offset:         64
        .size:           4
        .value_kind:     hidden_block_count_z
      - .offset:         68
        .size:           2
        .value_kind:     hidden_group_size_x
      - .offset:         70
        .size:           2
        .value_kind:     hidden_group_size_y
      - .offset:         72
        .size:           2
        .value_kind:     hidden_group_size_z
      - .offset:         74
        .size:           2
        .value_kind:     hidden_remainder_x
      - .offset:         76
        .size:           2
        .value_kind:     hidden_remainder_y
      - .offset:         78
        .size:           2
        .value_kind:     hidden_remainder_z
      - .offset:         96
        .size:           8
        .value_kind:     hidden_global_offset_x
      - .offset:         104
        .size:           8
        .value_kind:     hidden_global_offset_y
      - .offset:         112
        .size:           8
        .value_kind:     hidden_global_offset_z
      - .offset:         120
        .size:           2
        .value_kind:     hidden_grid_dims
      - .offset:         176
        .size:           4
        .value_kind:     hidden_dynamic_lds_size
    .group_segment_fixed_size: 0
    .kernarg_segment_align: 8
    .kernarg_segment_size: 312
    .language:       OpenCL C
    .language_version:
      - 2
      - 0
    .max_flat_workgroup_size: 512
    .name:           _ZN9rocsolver6v33100L23getf2_npvt_small_kernelILi3EdiiPKPdEEvT1_T3_lS5_lPT2_S5_S5_
    .private_segment_fixed_size: 0
    .sgpr_count:     20
    .sgpr_spill_count: 0
    .symbol:         _ZN9rocsolver6v33100L23getf2_npvt_small_kernelILi3EdiiPKPdEEvT1_T3_lS5_lPT2_S5_S5_.kd
    .uniform_work_group_size: 1
    .uses_dynamic_stack: false
    .vgpr_count:     30
    .vgpr_spill_count: 0
    .wavefront_size: 64
  - .agpr_count:     0
    .args:
      - .offset:         0
        .size:           4
        .value_kind:     by_value
      - .address_space:  global
        .offset:         8
        .size:           8
        .value_kind:     global_buffer
      - .offset:         16
        .size:           8
        .value_kind:     by_value
      - .offset:         24
        .size:           4
        .value_kind:     by_value
      - .offset:         32
        .size:           8
        .value_kind:     by_value
      - .address_space:  global
        .offset:         40
        .size:           8
        .value_kind:     global_buffer
      - .offset:         48
        .size:           8
        .value_kind:     by_value
      - .offset:         56
        .size:           8
        .value_kind:     by_value
      - .address_space:  global
        .offset:         64
        .size:           8
        .value_kind:     global_buffer
      - .offset:         72
        .size:           4
        .value_kind:     by_value
      - .offset:         76
        .size:           4
        .value_kind:     by_value
      - .address_space:  global
        .offset:         80
        .size:           8
        .value_kind:     global_buffer
      - .offset:         88
        .size:           8
        .value_kind:     by_value
      - .offset:         96
        .size:           4
        .value_kind:     hidden_block_count_x
      - .offset:         100
        .size:           4
        .value_kind:     hidden_block_count_y
      - .offset:         104
        .size:           4
        .value_kind:     hidden_block_count_z
      - .offset:         108
        .size:           2
        .value_kind:     hidden_group_size_x
      - .offset:         110
        .size:           2
        .value_kind:     hidden_group_size_y
      - .offset:         112
        .size:           2
        .value_kind:     hidden_group_size_z
      - .offset:         114
        .size:           2
        .value_kind:     hidden_remainder_x
      - .offset:         116
        .size:           2
        .value_kind:     hidden_remainder_y
      - .offset:         118
        .size:           2
        .value_kind:     hidden_remainder_z
      - .offset:         136
        .size:           8
        .value_kind:     hidden_global_offset_x
      - .offset:         144
        .size:           8
        .value_kind:     hidden_global_offset_y
      - .offset:         152
        .size:           8
        .value_kind:     hidden_global_offset_z
      - .offset:         160
        .size:           2
        .value_kind:     hidden_grid_dims
      - .offset:         216
        .size:           4
        .value_kind:     hidden_dynamic_lds_size
    .group_segment_fixed_size: 0
    .kernarg_segment_align: 8
    .kernarg_segment_size: 352
    .language:       OpenCL C
    .language_version:
      - 2
      - 0
    .max_flat_workgroup_size: 512
    .name:           _ZN9rocsolver6v33100L18getf2_small_kernelILi4EdiiPKPdEEvT1_T3_lS5_lPS5_llPT2_S5_S5_S7_l
    .private_segment_fixed_size: 0
    .sgpr_count:     24
    .sgpr_spill_count: 0
    .symbol:         _ZN9rocsolver6v33100L18getf2_small_kernelILi4EdiiPKPdEEvT1_T3_lS5_lPS5_llPT2_S5_S5_S7_l.kd
    .uniform_work_group_size: 1
    .uses_dynamic_stack: false
    .vgpr_count:     30
    .vgpr_spill_count: 0
    .wavefront_size: 64
  - .agpr_count:     0
    .args:
      - .offset:         0
        .size:           4
        .value_kind:     by_value
      - .address_space:  global
        .offset:         8
        .size:           8
        .value_kind:     global_buffer
      - .offset:         16
        .size:           8
        .value_kind:     by_value
      - .offset:         24
        .size:           4
        .value_kind:     by_value
      - .offset:         32
        .size:           8
        .value_kind:     by_value
      - .address_space:  global
        .offset:         40
        .size:           8
        .value_kind:     global_buffer
      - .offset:         48
        .size:           4
        .value_kind:     by_value
      - .offset:         52
        .size:           4
        .value_kind:     by_value
      - .offset:         56
        .size:           4
        .value_kind:     hidden_block_count_x
      - .offset:         60
        .size:           4
        .value_kind:     hidden_block_count_y
      - .offset:         64
        .size:           4
        .value_kind:     hidden_block_count_z
      - .offset:         68
        .size:           2
        .value_kind:     hidden_group_size_x
      - .offset:         70
        .size:           2
        .value_kind:     hidden_group_size_y
      - .offset:         72
        .size:           2
        .value_kind:     hidden_group_size_z
      - .offset:         74
        .size:           2
        .value_kind:     hidden_remainder_x
      - .offset:         76
        .size:           2
        .value_kind:     hidden_remainder_y
      - .offset:         78
        .size:           2
        .value_kind:     hidden_remainder_z
      - .offset:         96
        .size:           8
        .value_kind:     hidden_global_offset_x
      - .offset:         104
        .size:           8
        .value_kind:     hidden_global_offset_y
      - .offset:         112
        .size:           8
        .value_kind:     hidden_global_offset_z
      - .offset:         120
        .size:           2
        .value_kind:     hidden_grid_dims
      - .offset:         176
        .size:           4
        .value_kind:     hidden_dynamic_lds_size
    .group_segment_fixed_size: 0
    .kernarg_segment_align: 8
    .kernarg_segment_size: 312
    .language:       OpenCL C
    .language_version:
      - 2
      - 0
    .max_flat_workgroup_size: 512
    .name:           _ZN9rocsolver6v33100L23getf2_npvt_small_kernelILi4EdiiPKPdEEvT1_T3_lS5_lPT2_S5_S5_
    .private_segment_fixed_size: 0
    .sgpr_count:     20
    .sgpr_spill_count: 0
    .symbol:         _ZN9rocsolver6v33100L23getf2_npvt_small_kernelILi4EdiiPKPdEEvT1_T3_lS5_lPT2_S5_S5_.kd
    .uniform_work_group_size: 1
    .uses_dynamic_stack: false
    .vgpr_count:     36
    .vgpr_spill_count: 0
    .wavefront_size: 64
  - .agpr_count:     0
    .args:
      - .offset:         0
        .size:           4
        .value_kind:     by_value
      - .address_space:  global
        .offset:         8
        .size:           8
        .value_kind:     global_buffer
      - .offset:         16
        .size:           8
        .value_kind:     by_value
      - .offset:         24
        .size:           4
        .value_kind:     by_value
      - .offset:         32
        .size:           8
        .value_kind:     by_value
      - .address_space:  global
        .offset:         40
        .size:           8
        .value_kind:     global_buffer
      - .offset:         48
        .size:           8
        .value_kind:     by_value
      - .offset:         56
        .size:           8
        .value_kind:     by_value
      - .address_space:  global
        .offset:         64
        .size:           8
        .value_kind:     global_buffer
      - .offset:         72
        .size:           4
        .value_kind:     by_value
      - .offset:         76
        .size:           4
        .value_kind:     by_value
      - .address_space:  global
        .offset:         80
        .size:           8
        .value_kind:     global_buffer
      - .offset:         88
        .size:           8
        .value_kind:     by_value
      - .offset:         96
        .size:           4
        .value_kind:     hidden_block_count_x
      - .offset:         100
        .size:           4
        .value_kind:     hidden_block_count_y
      - .offset:         104
        .size:           4
        .value_kind:     hidden_block_count_z
      - .offset:         108
        .size:           2
        .value_kind:     hidden_group_size_x
      - .offset:         110
        .size:           2
        .value_kind:     hidden_group_size_y
      - .offset:         112
        .size:           2
        .value_kind:     hidden_group_size_z
      - .offset:         114
        .size:           2
        .value_kind:     hidden_remainder_x
      - .offset:         116
        .size:           2
        .value_kind:     hidden_remainder_y
      - .offset:         118
        .size:           2
        .value_kind:     hidden_remainder_z
      - .offset:         136
        .size:           8
        .value_kind:     hidden_global_offset_x
      - .offset:         144
        .size:           8
        .value_kind:     hidden_global_offset_y
      - .offset:         152
        .size:           8
        .value_kind:     hidden_global_offset_z
      - .offset:         160
        .size:           2
        .value_kind:     hidden_grid_dims
      - .offset:         216
        .size:           4
        .value_kind:     hidden_dynamic_lds_size
    .group_segment_fixed_size: 0
    .kernarg_segment_align: 8
    .kernarg_segment_size: 352
    .language:       OpenCL C
    .language_version:
      - 2
      - 0
    .max_flat_workgroup_size: 512
    .name:           _ZN9rocsolver6v33100L18getf2_small_kernelILi5EdiiPKPdEEvT1_T3_lS5_lPS5_llPT2_S5_S5_S7_l
    .private_segment_fixed_size: 0
    .sgpr_count:     24
    .sgpr_spill_count: 0
    .symbol:         _ZN9rocsolver6v33100L18getf2_small_kernelILi5EdiiPKPdEEvT1_T3_lS5_lPS5_llPT2_S5_S5_S7_l.kd
    .uniform_work_group_size: 1
    .uses_dynamic_stack: false
    .vgpr_count:     34
    .vgpr_spill_count: 0
    .wavefront_size: 64
  - .agpr_count:     0
    .args:
      - .offset:         0
        .size:           4
        .value_kind:     by_value
      - .address_space:  global
        .offset:         8
        .size:           8
        .value_kind:     global_buffer
      - .offset:         16
        .size:           8
        .value_kind:     by_value
      - .offset:         24
        .size:           4
        .value_kind:     by_value
      - .offset:         32
        .size:           8
        .value_kind:     by_value
      - .address_space:  global
        .offset:         40
        .size:           8
        .value_kind:     global_buffer
      - .offset:         48
        .size:           4
        .value_kind:     by_value
      - .offset:         52
        .size:           4
        .value_kind:     by_value
      - .offset:         56
        .size:           4
        .value_kind:     hidden_block_count_x
      - .offset:         60
        .size:           4
        .value_kind:     hidden_block_count_y
      - .offset:         64
        .size:           4
        .value_kind:     hidden_block_count_z
      - .offset:         68
        .size:           2
        .value_kind:     hidden_group_size_x
      - .offset:         70
        .size:           2
        .value_kind:     hidden_group_size_y
      - .offset:         72
        .size:           2
        .value_kind:     hidden_group_size_z
      - .offset:         74
        .size:           2
        .value_kind:     hidden_remainder_x
      - .offset:         76
        .size:           2
        .value_kind:     hidden_remainder_y
      - .offset:         78
        .size:           2
        .value_kind:     hidden_remainder_z
      - .offset:         96
        .size:           8
        .value_kind:     hidden_global_offset_x
      - .offset:         104
        .size:           8
        .value_kind:     hidden_global_offset_y
      - .offset:         112
        .size:           8
        .value_kind:     hidden_global_offset_z
      - .offset:         120
        .size:           2
        .value_kind:     hidden_grid_dims
      - .offset:         176
        .size:           4
        .value_kind:     hidden_dynamic_lds_size
    .group_segment_fixed_size: 0
    .kernarg_segment_align: 8
    .kernarg_segment_size: 312
    .language:       OpenCL C
    .language_version:
      - 2
      - 0
    .max_flat_workgroup_size: 512
    .name:           _ZN9rocsolver6v33100L23getf2_npvt_small_kernelILi5EdiiPKPdEEvT1_T3_lS5_lPT2_S5_S5_
    .private_segment_fixed_size: 0
    .sgpr_count:     20
    .sgpr_spill_count: 0
    .symbol:         _ZN9rocsolver6v33100L23getf2_npvt_small_kernelILi5EdiiPKPdEEvT1_T3_lS5_lPT2_S5_S5_.kd
    .uniform_work_group_size: 1
    .uses_dynamic_stack: false
    .vgpr_count:     42
    .vgpr_spill_count: 0
    .wavefront_size: 64
  - .agpr_count:     0
    .args:
      - .offset:         0
        .size:           4
        .value_kind:     by_value
      - .address_space:  global
        .offset:         8
        .size:           8
        .value_kind:     global_buffer
      - .offset:         16
        .size:           8
        .value_kind:     by_value
      - .offset:         24
        .size:           4
        .value_kind:     by_value
      - .offset:         32
        .size:           8
        .value_kind:     by_value
      - .address_space:  global
        .offset:         40
        .size:           8
        .value_kind:     global_buffer
      - .offset:         48
        .size:           8
        .value_kind:     by_value
      - .offset:         56
        .size:           8
        .value_kind:     by_value
      - .address_space:  global
        .offset:         64
        .size:           8
        .value_kind:     global_buffer
      - .offset:         72
        .size:           4
        .value_kind:     by_value
      - .offset:         76
        .size:           4
        .value_kind:     by_value
      - .address_space:  global
        .offset:         80
        .size:           8
        .value_kind:     global_buffer
      - .offset:         88
        .size:           8
        .value_kind:     by_value
      - .offset:         96
        .size:           4
        .value_kind:     hidden_block_count_x
      - .offset:         100
        .size:           4
        .value_kind:     hidden_block_count_y
      - .offset:         104
        .size:           4
        .value_kind:     hidden_block_count_z
      - .offset:         108
        .size:           2
        .value_kind:     hidden_group_size_x
      - .offset:         110
        .size:           2
        .value_kind:     hidden_group_size_y
      - .offset:         112
        .size:           2
        .value_kind:     hidden_group_size_z
      - .offset:         114
        .size:           2
        .value_kind:     hidden_remainder_x
      - .offset:         116
        .size:           2
        .value_kind:     hidden_remainder_y
      - .offset:         118
        .size:           2
        .value_kind:     hidden_remainder_z
      - .offset:         136
        .size:           8
        .value_kind:     hidden_global_offset_x
      - .offset:         144
        .size:           8
        .value_kind:     hidden_global_offset_y
      - .offset:         152
        .size:           8
        .value_kind:     hidden_global_offset_z
      - .offset:         160
        .size:           2
        .value_kind:     hidden_grid_dims
      - .offset:         216
        .size:           4
        .value_kind:     hidden_dynamic_lds_size
    .group_segment_fixed_size: 0
    .kernarg_segment_align: 8
    .kernarg_segment_size: 352
    .language:       OpenCL C
    .language_version:
      - 2
      - 0
    .max_flat_workgroup_size: 512
    .name:           _ZN9rocsolver6v33100L18getf2_small_kernelILi6EdiiPKPdEEvT1_T3_lS5_lPS5_llPT2_S5_S5_S7_l
    .private_segment_fixed_size: 0
    .sgpr_count:     24
    .sgpr_spill_count: 0
    .symbol:         _ZN9rocsolver6v33100L18getf2_small_kernelILi6EdiiPKPdEEvT1_T3_lS5_lPS5_llPT2_S5_S5_S7_l.kd
    .uniform_work_group_size: 1
    .uses_dynamic_stack: false
    .vgpr_count:     36
    .vgpr_spill_count: 0
    .wavefront_size: 64
  - .agpr_count:     0
    .args:
      - .offset:         0
        .size:           4
        .value_kind:     by_value
      - .address_space:  global
        .offset:         8
        .size:           8
        .value_kind:     global_buffer
      - .offset:         16
        .size:           8
        .value_kind:     by_value
      - .offset:         24
        .size:           4
        .value_kind:     by_value
      - .offset:         32
        .size:           8
        .value_kind:     by_value
      - .address_space:  global
        .offset:         40
        .size:           8
        .value_kind:     global_buffer
      - .offset:         48
        .size:           4
        .value_kind:     by_value
      - .offset:         52
        .size:           4
        .value_kind:     by_value
      - .offset:         56
        .size:           4
        .value_kind:     hidden_block_count_x
      - .offset:         60
        .size:           4
        .value_kind:     hidden_block_count_y
      - .offset:         64
        .size:           4
        .value_kind:     hidden_block_count_z
      - .offset:         68
        .size:           2
        .value_kind:     hidden_group_size_x
      - .offset:         70
        .size:           2
        .value_kind:     hidden_group_size_y
      - .offset:         72
        .size:           2
        .value_kind:     hidden_group_size_z
      - .offset:         74
        .size:           2
        .value_kind:     hidden_remainder_x
      - .offset:         76
        .size:           2
        .value_kind:     hidden_remainder_y
      - .offset:         78
        .size:           2
        .value_kind:     hidden_remainder_z
      - .offset:         96
        .size:           8
        .value_kind:     hidden_global_offset_x
      - .offset:         104
        .size:           8
        .value_kind:     hidden_global_offset_y
      - .offset:         112
        .size:           8
        .value_kind:     hidden_global_offset_z
      - .offset:         120
        .size:           2
        .value_kind:     hidden_grid_dims
      - .offset:         176
        .size:           4
        .value_kind:     hidden_dynamic_lds_size
    .group_segment_fixed_size: 0
    .kernarg_segment_align: 8
    .kernarg_segment_size: 312
    .language:       OpenCL C
    .language_version:
      - 2
      - 0
    .max_flat_workgroup_size: 512
    .name:           _ZN9rocsolver6v33100L23getf2_npvt_small_kernelILi6EdiiPKPdEEvT1_T3_lS5_lPT2_S5_S5_
    .private_segment_fixed_size: 0
    .sgpr_count:     20
    .sgpr_spill_count: 0
    .symbol:         _ZN9rocsolver6v33100L23getf2_npvt_small_kernelILi6EdiiPKPdEEvT1_T3_lS5_lPT2_S5_S5_.kd
    .uniform_work_group_size: 1
    .uses_dynamic_stack: false
    .vgpr_count:     48
    .vgpr_spill_count: 0
    .wavefront_size: 64
  - .agpr_count:     0
    .args:
      - .offset:         0
        .size:           4
        .value_kind:     by_value
      - .address_space:  global
        .offset:         8
        .size:           8
        .value_kind:     global_buffer
      - .offset:         16
        .size:           8
        .value_kind:     by_value
      - .offset:         24
        .size:           4
        .value_kind:     by_value
      - .offset:         32
        .size:           8
        .value_kind:     by_value
      - .address_space:  global
        .offset:         40
        .size:           8
        .value_kind:     global_buffer
      - .offset:         48
        .size:           8
        .value_kind:     by_value
      - .offset:         56
        .size:           8
        .value_kind:     by_value
      - .address_space:  global
        .offset:         64
        .size:           8
        .value_kind:     global_buffer
      - .offset:         72
        .size:           4
        .value_kind:     by_value
      - .offset:         76
        .size:           4
        .value_kind:     by_value
      - .address_space:  global
        .offset:         80
        .size:           8
        .value_kind:     global_buffer
      - .offset:         88
        .size:           8
        .value_kind:     by_value
      - .offset:         96
        .size:           4
        .value_kind:     hidden_block_count_x
      - .offset:         100
        .size:           4
        .value_kind:     hidden_block_count_y
      - .offset:         104
        .size:           4
        .value_kind:     hidden_block_count_z
      - .offset:         108
        .size:           2
        .value_kind:     hidden_group_size_x
      - .offset:         110
        .size:           2
        .value_kind:     hidden_group_size_y
      - .offset:         112
        .size:           2
        .value_kind:     hidden_group_size_z
      - .offset:         114
        .size:           2
        .value_kind:     hidden_remainder_x
      - .offset:         116
        .size:           2
        .value_kind:     hidden_remainder_y
      - .offset:         118
        .size:           2
        .value_kind:     hidden_remainder_z
      - .offset:         136
        .size:           8
        .value_kind:     hidden_global_offset_x
      - .offset:         144
        .size:           8
        .value_kind:     hidden_global_offset_y
      - .offset:         152
        .size:           8
        .value_kind:     hidden_global_offset_z
      - .offset:         160
        .size:           2
        .value_kind:     hidden_grid_dims
      - .offset:         216
        .size:           4
        .value_kind:     hidden_dynamic_lds_size
    .group_segment_fixed_size: 0
    .kernarg_segment_align: 8
    .kernarg_segment_size: 352
    .language:       OpenCL C
    .language_version:
      - 2
      - 0
    .max_flat_workgroup_size: 512
    .name:           _ZN9rocsolver6v33100L18getf2_small_kernelILi7EdiiPKPdEEvT1_T3_lS5_lPS5_llPT2_S5_S5_S7_l
    .private_segment_fixed_size: 0
    .sgpr_count:     24
    .sgpr_spill_count: 0
    .symbol:         _ZN9rocsolver6v33100L18getf2_small_kernelILi7EdiiPKPdEEvT1_T3_lS5_lPS5_llPT2_S5_S5_S7_l.kd
    .uniform_work_group_size: 1
    .uses_dynamic_stack: false
    .vgpr_count:     40
    .vgpr_spill_count: 0
    .wavefront_size: 64
  - .agpr_count:     0
    .args:
      - .offset:         0
        .size:           4
        .value_kind:     by_value
      - .address_space:  global
        .offset:         8
        .size:           8
        .value_kind:     global_buffer
      - .offset:         16
        .size:           8
        .value_kind:     by_value
      - .offset:         24
        .size:           4
        .value_kind:     by_value
      - .offset:         32
        .size:           8
        .value_kind:     by_value
      - .address_space:  global
        .offset:         40
        .size:           8
        .value_kind:     global_buffer
      - .offset:         48
        .size:           4
        .value_kind:     by_value
      - .offset:         52
        .size:           4
        .value_kind:     by_value
      - .offset:         56
        .size:           4
        .value_kind:     hidden_block_count_x
      - .offset:         60
        .size:           4
        .value_kind:     hidden_block_count_y
      - .offset:         64
        .size:           4
        .value_kind:     hidden_block_count_z
      - .offset:         68
        .size:           2
        .value_kind:     hidden_group_size_x
      - .offset:         70
        .size:           2
        .value_kind:     hidden_group_size_y
      - .offset:         72
        .size:           2
        .value_kind:     hidden_group_size_z
      - .offset:         74
        .size:           2
        .value_kind:     hidden_remainder_x
      - .offset:         76
        .size:           2
        .value_kind:     hidden_remainder_y
      - .offset:         78
        .size:           2
        .value_kind:     hidden_remainder_z
      - .offset:         96
        .size:           8
        .value_kind:     hidden_global_offset_x
      - .offset:         104
        .size:           8
        .value_kind:     hidden_global_offset_y
      - .offset:         112
        .size:           8
        .value_kind:     hidden_global_offset_z
      - .offset:         120
        .size:           2
        .value_kind:     hidden_grid_dims
      - .offset:         176
        .size:           4
        .value_kind:     hidden_dynamic_lds_size
    .group_segment_fixed_size: 0
    .kernarg_segment_align: 8
    .kernarg_segment_size: 312
    .language:       OpenCL C
    .language_version:
      - 2
      - 0
    .max_flat_workgroup_size: 512
    .name:           _ZN9rocsolver6v33100L23getf2_npvt_small_kernelILi7EdiiPKPdEEvT1_T3_lS5_lPT2_S5_S5_
    .private_segment_fixed_size: 0
    .sgpr_count:     20
    .sgpr_spill_count: 0
    .symbol:         _ZN9rocsolver6v33100L23getf2_npvt_small_kernelILi7EdiiPKPdEEvT1_T3_lS5_lPT2_S5_S5_.kd
    .uniform_work_group_size: 1
    .uses_dynamic_stack: false
    .vgpr_count:     54
    .vgpr_spill_count: 0
    .wavefront_size: 64
  - .agpr_count:     0
    .args:
      - .offset:         0
        .size:           4
        .value_kind:     by_value
      - .address_space:  global
        .offset:         8
        .size:           8
        .value_kind:     global_buffer
      - .offset:         16
        .size:           8
        .value_kind:     by_value
      - .offset:         24
        .size:           4
        .value_kind:     by_value
      - .offset:         32
        .size:           8
        .value_kind:     by_value
      - .address_space:  global
        .offset:         40
        .size:           8
        .value_kind:     global_buffer
      - .offset:         48
        .size:           8
        .value_kind:     by_value
      - .offset:         56
        .size:           8
        .value_kind:     by_value
      - .address_space:  global
        .offset:         64
        .size:           8
        .value_kind:     global_buffer
      - .offset:         72
        .size:           4
        .value_kind:     by_value
      - .offset:         76
        .size:           4
        .value_kind:     by_value
      - .address_space:  global
        .offset:         80
        .size:           8
        .value_kind:     global_buffer
      - .offset:         88
        .size:           8
        .value_kind:     by_value
      - .offset:         96
        .size:           4
        .value_kind:     hidden_block_count_x
      - .offset:         100
        .size:           4
        .value_kind:     hidden_block_count_y
      - .offset:         104
        .size:           4
        .value_kind:     hidden_block_count_z
      - .offset:         108
        .size:           2
        .value_kind:     hidden_group_size_x
      - .offset:         110
        .size:           2
        .value_kind:     hidden_group_size_y
      - .offset:         112
        .size:           2
        .value_kind:     hidden_group_size_z
      - .offset:         114
        .size:           2
        .value_kind:     hidden_remainder_x
      - .offset:         116
        .size:           2
        .value_kind:     hidden_remainder_y
      - .offset:         118
        .size:           2
        .value_kind:     hidden_remainder_z
      - .offset:         136
        .size:           8
        .value_kind:     hidden_global_offset_x
      - .offset:         144
        .size:           8
        .value_kind:     hidden_global_offset_y
      - .offset:         152
        .size:           8
        .value_kind:     hidden_global_offset_z
      - .offset:         160
        .size:           2
        .value_kind:     hidden_grid_dims
      - .offset:         216
        .size:           4
        .value_kind:     hidden_dynamic_lds_size
    .group_segment_fixed_size: 0
    .kernarg_segment_align: 8
    .kernarg_segment_size: 352
    .language:       OpenCL C
    .language_version:
      - 2
      - 0
    .max_flat_workgroup_size: 512
    .name:           _ZN9rocsolver6v33100L18getf2_small_kernelILi8EdiiPKPdEEvT1_T3_lS5_lPS5_llPT2_S5_S5_S7_l
    .private_segment_fixed_size: 0
    .sgpr_count:     24
    .sgpr_spill_count: 0
    .symbol:         _ZN9rocsolver6v33100L18getf2_small_kernelILi8EdiiPKPdEEvT1_T3_lS5_lPS5_llPT2_S5_S5_S7_l.kd
    .uniform_work_group_size: 1
    .uses_dynamic_stack: false
    .vgpr_count:     42
    .vgpr_spill_count: 0
    .wavefront_size: 64
  - .agpr_count:     0
    .args:
      - .offset:         0
        .size:           4
        .value_kind:     by_value
      - .address_space:  global
        .offset:         8
        .size:           8
        .value_kind:     global_buffer
      - .offset:         16
        .size:           8
        .value_kind:     by_value
      - .offset:         24
        .size:           4
        .value_kind:     by_value
      - .offset:         32
        .size:           8
        .value_kind:     by_value
      - .address_space:  global
        .offset:         40
        .size:           8
        .value_kind:     global_buffer
      - .offset:         48
        .size:           4
        .value_kind:     by_value
      - .offset:         52
        .size:           4
        .value_kind:     by_value
      - .offset:         56
        .size:           4
        .value_kind:     hidden_block_count_x
      - .offset:         60
        .size:           4
        .value_kind:     hidden_block_count_y
      - .offset:         64
        .size:           4
        .value_kind:     hidden_block_count_z
      - .offset:         68
        .size:           2
        .value_kind:     hidden_group_size_x
      - .offset:         70
        .size:           2
        .value_kind:     hidden_group_size_y
      - .offset:         72
        .size:           2
        .value_kind:     hidden_group_size_z
      - .offset:         74
        .size:           2
        .value_kind:     hidden_remainder_x
      - .offset:         76
        .size:           2
        .value_kind:     hidden_remainder_y
      - .offset:         78
        .size:           2
        .value_kind:     hidden_remainder_z
      - .offset:         96
        .size:           8
        .value_kind:     hidden_global_offset_x
      - .offset:         104
        .size:           8
        .value_kind:     hidden_global_offset_y
      - .offset:         112
        .size:           8
        .value_kind:     hidden_global_offset_z
      - .offset:         120
        .size:           2
        .value_kind:     hidden_grid_dims
      - .offset:         176
        .size:           4
        .value_kind:     hidden_dynamic_lds_size
    .group_segment_fixed_size: 0
    .kernarg_segment_align: 8
    .kernarg_segment_size: 312
    .language:       OpenCL C
    .language_version:
      - 2
      - 0
    .max_flat_workgroup_size: 512
    .name:           _ZN9rocsolver6v33100L23getf2_npvt_small_kernelILi8EdiiPKPdEEvT1_T3_lS5_lPT2_S5_S5_
    .private_segment_fixed_size: 0
    .sgpr_count:     22
    .sgpr_spill_count: 0
    .symbol:         _ZN9rocsolver6v33100L23getf2_npvt_small_kernelILi8EdiiPKPdEEvT1_T3_lS5_lPT2_S5_S5_.kd
    .uniform_work_group_size: 1
    .uses_dynamic_stack: false
    .vgpr_count:     60
    .vgpr_spill_count: 0
    .wavefront_size: 64
  - .agpr_count:     0
    .args:
      - .offset:         0
        .size:           4
        .value_kind:     by_value
      - .address_space:  global
        .offset:         8
        .size:           8
        .value_kind:     global_buffer
      - .offset:         16
        .size:           8
        .value_kind:     by_value
      - .offset:         24
        .size:           4
        .value_kind:     by_value
      - .offset:         32
        .size:           8
        .value_kind:     by_value
      - .address_space:  global
        .offset:         40
        .size:           8
        .value_kind:     global_buffer
      - .offset:         48
        .size:           8
        .value_kind:     by_value
      - .offset:         56
        .size:           8
        .value_kind:     by_value
      - .address_space:  global
        .offset:         64
        .size:           8
        .value_kind:     global_buffer
      - .offset:         72
        .size:           4
        .value_kind:     by_value
      - .offset:         76
        .size:           4
        .value_kind:     by_value
      - .address_space:  global
        .offset:         80
        .size:           8
        .value_kind:     global_buffer
      - .offset:         88
        .size:           8
        .value_kind:     by_value
      - .offset:         96
        .size:           4
        .value_kind:     hidden_block_count_x
      - .offset:         100
        .size:           4
        .value_kind:     hidden_block_count_y
      - .offset:         104
        .size:           4
        .value_kind:     hidden_block_count_z
      - .offset:         108
        .size:           2
        .value_kind:     hidden_group_size_x
      - .offset:         110
        .size:           2
        .value_kind:     hidden_group_size_y
      - .offset:         112
        .size:           2
        .value_kind:     hidden_group_size_z
      - .offset:         114
        .size:           2
        .value_kind:     hidden_remainder_x
      - .offset:         116
        .size:           2
        .value_kind:     hidden_remainder_y
      - .offset:         118
        .size:           2
        .value_kind:     hidden_remainder_z
      - .offset:         136
        .size:           8
        .value_kind:     hidden_global_offset_x
      - .offset:         144
        .size:           8
        .value_kind:     hidden_global_offset_y
      - .offset:         152
        .size:           8
        .value_kind:     hidden_global_offset_z
      - .offset:         160
        .size:           2
        .value_kind:     hidden_grid_dims
      - .offset:         216
        .size:           4
        .value_kind:     hidden_dynamic_lds_size
    .group_segment_fixed_size: 0
    .kernarg_segment_align: 8
    .kernarg_segment_size: 352
    .language:       OpenCL C
    .language_version:
      - 2
      - 0
    .max_flat_workgroup_size: 512
    .name:           _ZN9rocsolver6v33100L18getf2_small_kernelILi9EdiiPKPdEEvT1_T3_lS5_lPS5_llPT2_S5_S5_S7_l
    .private_segment_fixed_size: 0
    .sgpr_count:     24
    .sgpr_spill_count: 0
    .symbol:         _ZN9rocsolver6v33100L18getf2_small_kernelILi9EdiiPKPdEEvT1_T3_lS5_lPS5_llPT2_S5_S5_S7_l.kd
    .uniform_work_group_size: 1
    .uses_dynamic_stack: false
    .vgpr_count:     44
    .vgpr_spill_count: 0
    .wavefront_size: 64
  - .agpr_count:     0
    .args:
      - .offset:         0
        .size:           4
        .value_kind:     by_value
      - .address_space:  global
        .offset:         8
        .size:           8
        .value_kind:     global_buffer
      - .offset:         16
        .size:           8
        .value_kind:     by_value
      - .offset:         24
        .size:           4
        .value_kind:     by_value
      - .offset:         32
        .size:           8
        .value_kind:     by_value
      - .address_space:  global
        .offset:         40
        .size:           8
        .value_kind:     global_buffer
      - .offset:         48
        .size:           4
        .value_kind:     by_value
      - .offset:         52
        .size:           4
        .value_kind:     by_value
      - .offset:         56
        .size:           4
        .value_kind:     hidden_block_count_x
      - .offset:         60
        .size:           4
        .value_kind:     hidden_block_count_y
      - .offset:         64
        .size:           4
        .value_kind:     hidden_block_count_z
      - .offset:         68
        .size:           2
        .value_kind:     hidden_group_size_x
      - .offset:         70
        .size:           2
        .value_kind:     hidden_group_size_y
      - .offset:         72
        .size:           2
        .value_kind:     hidden_group_size_z
      - .offset:         74
        .size:           2
        .value_kind:     hidden_remainder_x
      - .offset:         76
        .size:           2
        .value_kind:     hidden_remainder_y
      - .offset:         78
        .size:           2
        .value_kind:     hidden_remainder_z
      - .offset:         96
        .size:           8
        .value_kind:     hidden_global_offset_x
      - .offset:         104
        .size:           8
        .value_kind:     hidden_global_offset_y
      - .offset:         112
        .size:           8
        .value_kind:     hidden_global_offset_z
      - .offset:         120
        .size:           2
        .value_kind:     hidden_grid_dims
      - .offset:         176
        .size:           4
        .value_kind:     hidden_dynamic_lds_size
    .group_segment_fixed_size: 0
    .kernarg_segment_align: 8
    .kernarg_segment_size: 312
    .language:       OpenCL C
    .language_version:
      - 2
      - 0
    .max_flat_workgroup_size: 512
    .name:           _ZN9rocsolver6v33100L23getf2_npvt_small_kernelILi9EdiiPKPdEEvT1_T3_lS5_lPT2_S5_S5_
    .private_segment_fixed_size: 0
    .sgpr_count:     24
    .sgpr_spill_count: 0
    .symbol:         _ZN9rocsolver6v33100L23getf2_npvt_small_kernelILi9EdiiPKPdEEvT1_T3_lS5_lPT2_S5_S5_.kd
    .uniform_work_group_size: 1
    .uses_dynamic_stack: false
    .vgpr_count:     66
    .vgpr_spill_count: 0
    .wavefront_size: 64
  - .agpr_count:     0
    .args:
      - .offset:         0
        .size:           4
        .value_kind:     by_value
      - .address_space:  global
        .offset:         8
        .size:           8
        .value_kind:     global_buffer
      - .offset:         16
        .size:           8
        .value_kind:     by_value
      - .offset:         24
        .size:           4
        .value_kind:     by_value
      - .offset:         32
        .size:           8
        .value_kind:     by_value
      - .address_space:  global
        .offset:         40
        .size:           8
        .value_kind:     global_buffer
      - .offset:         48
        .size:           8
        .value_kind:     by_value
      - .offset:         56
        .size:           8
        .value_kind:     by_value
      - .address_space:  global
        .offset:         64
        .size:           8
        .value_kind:     global_buffer
      - .offset:         72
        .size:           4
        .value_kind:     by_value
      - .offset:         76
        .size:           4
        .value_kind:     by_value
      - .address_space:  global
        .offset:         80
        .size:           8
        .value_kind:     global_buffer
      - .offset:         88
        .size:           8
        .value_kind:     by_value
      - .offset:         96
        .size:           4
        .value_kind:     hidden_block_count_x
      - .offset:         100
        .size:           4
        .value_kind:     hidden_block_count_y
      - .offset:         104
        .size:           4
        .value_kind:     hidden_block_count_z
      - .offset:         108
        .size:           2
        .value_kind:     hidden_group_size_x
      - .offset:         110
        .size:           2
        .value_kind:     hidden_group_size_y
      - .offset:         112
        .size:           2
        .value_kind:     hidden_group_size_z
      - .offset:         114
        .size:           2
        .value_kind:     hidden_remainder_x
      - .offset:         116
        .size:           2
        .value_kind:     hidden_remainder_y
      - .offset:         118
        .size:           2
        .value_kind:     hidden_remainder_z
      - .offset:         136
        .size:           8
        .value_kind:     hidden_global_offset_x
      - .offset:         144
        .size:           8
        .value_kind:     hidden_global_offset_y
      - .offset:         152
        .size:           8
        .value_kind:     hidden_global_offset_z
      - .offset:         160
        .size:           2
        .value_kind:     hidden_grid_dims
      - .offset:         216
        .size:           4
        .value_kind:     hidden_dynamic_lds_size
    .group_segment_fixed_size: 0
    .kernarg_segment_align: 8
    .kernarg_segment_size: 352
    .language:       OpenCL C
    .language_version:
      - 2
      - 0
    .max_flat_workgroup_size: 512
    .name:           _ZN9rocsolver6v33100L18getf2_small_kernelILi10EdiiPKPdEEvT1_T3_lS5_lPS5_llPT2_S5_S5_S7_l
    .private_segment_fixed_size: 0
    .sgpr_count:     24
    .sgpr_spill_count: 0
    .symbol:         _ZN9rocsolver6v33100L18getf2_small_kernelILi10EdiiPKPdEEvT1_T3_lS5_lPS5_llPT2_S5_S5_S7_l.kd
    .uniform_work_group_size: 1
    .uses_dynamic_stack: false
    .vgpr_count:     46
    .vgpr_spill_count: 0
    .wavefront_size: 64
  - .agpr_count:     0
    .args:
      - .offset:         0
        .size:           4
        .value_kind:     by_value
      - .address_space:  global
        .offset:         8
        .size:           8
        .value_kind:     global_buffer
      - .offset:         16
        .size:           8
        .value_kind:     by_value
      - .offset:         24
        .size:           4
        .value_kind:     by_value
      - .offset:         32
        .size:           8
        .value_kind:     by_value
      - .address_space:  global
        .offset:         40
        .size:           8
        .value_kind:     global_buffer
      - .offset:         48
        .size:           4
        .value_kind:     by_value
      - .offset:         52
        .size:           4
        .value_kind:     by_value
      - .offset:         56
        .size:           4
        .value_kind:     hidden_block_count_x
      - .offset:         60
        .size:           4
        .value_kind:     hidden_block_count_y
      - .offset:         64
        .size:           4
        .value_kind:     hidden_block_count_z
      - .offset:         68
        .size:           2
        .value_kind:     hidden_group_size_x
      - .offset:         70
        .size:           2
        .value_kind:     hidden_group_size_y
      - .offset:         72
        .size:           2
        .value_kind:     hidden_group_size_z
      - .offset:         74
        .size:           2
        .value_kind:     hidden_remainder_x
      - .offset:         76
        .size:           2
        .value_kind:     hidden_remainder_y
      - .offset:         78
        .size:           2
        .value_kind:     hidden_remainder_z
      - .offset:         96
        .size:           8
        .value_kind:     hidden_global_offset_x
      - .offset:         104
        .size:           8
        .value_kind:     hidden_global_offset_y
      - .offset:         112
        .size:           8
        .value_kind:     hidden_global_offset_z
      - .offset:         120
        .size:           2
        .value_kind:     hidden_grid_dims
      - .offset:         176
        .size:           4
        .value_kind:     hidden_dynamic_lds_size
    .group_segment_fixed_size: 0
    .kernarg_segment_align: 8
    .kernarg_segment_size: 312
    .language:       OpenCL C
    .language_version:
      - 2
      - 0
    .max_flat_workgroup_size: 512
    .name:           _ZN9rocsolver6v33100L23getf2_npvt_small_kernelILi10EdiiPKPdEEvT1_T3_lS5_lPT2_S5_S5_
    .private_segment_fixed_size: 0
    .sgpr_count:     26
    .sgpr_spill_count: 0
    .symbol:         _ZN9rocsolver6v33100L23getf2_npvt_small_kernelILi10EdiiPKPdEEvT1_T3_lS5_lPT2_S5_S5_.kd
    .uniform_work_group_size: 1
    .uses_dynamic_stack: false
    .vgpr_count:     72
    .vgpr_spill_count: 0
    .wavefront_size: 64
  - .agpr_count:     0
    .args:
      - .offset:         0
        .size:           4
        .value_kind:     by_value
      - .address_space:  global
        .offset:         8
        .size:           8
        .value_kind:     global_buffer
      - .offset:         16
        .size:           8
        .value_kind:     by_value
      - .offset:         24
        .size:           4
        .value_kind:     by_value
      - .offset:         32
        .size:           8
        .value_kind:     by_value
      - .address_space:  global
        .offset:         40
        .size:           8
        .value_kind:     global_buffer
      - .offset:         48
        .size:           8
        .value_kind:     by_value
      - .offset:         56
        .size:           8
        .value_kind:     by_value
      - .address_space:  global
        .offset:         64
        .size:           8
        .value_kind:     global_buffer
      - .offset:         72
        .size:           4
        .value_kind:     by_value
      - .offset:         76
        .size:           4
        .value_kind:     by_value
      - .address_space:  global
        .offset:         80
        .size:           8
        .value_kind:     global_buffer
      - .offset:         88
        .size:           8
        .value_kind:     by_value
      - .offset:         96
        .size:           4
        .value_kind:     hidden_block_count_x
      - .offset:         100
        .size:           4
        .value_kind:     hidden_block_count_y
      - .offset:         104
        .size:           4
        .value_kind:     hidden_block_count_z
      - .offset:         108
        .size:           2
        .value_kind:     hidden_group_size_x
      - .offset:         110
        .size:           2
        .value_kind:     hidden_group_size_y
      - .offset:         112
        .size:           2
        .value_kind:     hidden_group_size_z
      - .offset:         114
        .size:           2
        .value_kind:     hidden_remainder_x
      - .offset:         116
        .size:           2
        .value_kind:     hidden_remainder_y
      - .offset:         118
        .size:           2
        .value_kind:     hidden_remainder_z
      - .offset:         136
        .size:           8
        .value_kind:     hidden_global_offset_x
      - .offset:         144
        .size:           8
        .value_kind:     hidden_global_offset_y
      - .offset:         152
        .size:           8
        .value_kind:     hidden_global_offset_z
      - .offset:         160
        .size:           2
        .value_kind:     hidden_grid_dims
      - .offset:         216
        .size:           4
        .value_kind:     hidden_dynamic_lds_size
    .group_segment_fixed_size: 0
    .kernarg_segment_align: 8
    .kernarg_segment_size: 352
    .language:       OpenCL C
    .language_version:
      - 2
      - 0
    .max_flat_workgroup_size: 512
    .name:           _ZN9rocsolver6v33100L18getf2_small_kernelILi11EdiiPKPdEEvT1_T3_lS5_lPS5_llPT2_S5_S5_S7_l
    .private_segment_fixed_size: 0
    .sgpr_count:     24
    .sgpr_spill_count: 0
    .symbol:         _ZN9rocsolver6v33100L18getf2_small_kernelILi11EdiiPKPdEEvT1_T3_lS5_lPS5_llPT2_S5_S5_S7_l.kd
    .uniform_work_group_size: 1
    .uses_dynamic_stack: false
    .vgpr_count:     48
    .vgpr_spill_count: 0
    .wavefront_size: 64
  - .agpr_count:     0
    .args:
      - .offset:         0
        .size:           4
        .value_kind:     by_value
      - .address_space:  global
        .offset:         8
        .size:           8
        .value_kind:     global_buffer
      - .offset:         16
        .size:           8
        .value_kind:     by_value
      - .offset:         24
        .size:           4
        .value_kind:     by_value
      - .offset:         32
        .size:           8
        .value_kind:     by_value
      - .address_space:  global
        .offset:         40
        .size:           8
        .value_kind:     global_buffer
      - .offset:         48
        .size:           4
        .value_kind:     by_value
      - .offset:         52
        .size:           4
        .value_kind:     by_value
      - .offset:         56
        .size:           4
        .value_kind:     hidden_block_count_x
      - .offset:         60
        .size:           4
        .value_kind:     hidden_block_count_y
      - .offset:         64
        .size:           4
        .value_kind:     hidden_block_count_z
      - .offset:         68
        .size:           2
        .value_kind:     hidden_group_size_x
      - .offset:         70
        .size:           2
        .value_kind:     hidden_group_size_y
      - .offset:         72
        .size:           2
        .value_kind:     hidden_group_size_z
      - .offset:         74
        .size:           2
        .value_kind:     hidden_remainder_x
      - .offset:         76
        .size:           2
        .value_kind:     hidden_remainder_y
      - .offset:         78
        .size:           2
        .value_kind:     hidden_remainder_z
      - .offset:         96
        .size:           8
        .value_kind:     hidden_global_offset_x
      - .offset:         104
        .size:           8
        .value_kind:     hidden_global_offset_y
      - .offset:         112
        .size:           8
        .value_kind:     hidden_global_offset_z
      - .offset:         120
        .size:           2
        .value_kind:     hidden_grid_dims
      - .offset:         176
        .size:           4
        .value_kind:     hidden_dynamic_lds_size
    .group_segment_fixed_size: 0
    .kernarg_segment_align: 8
    .kernarg_segment_size: 312
    .language:       OpenCL C
    .language_version:
      - 2
      - 0
    .max_flat_workgroup_size: 512
    .name:           _ZN9rocsolver6v33100L23getf2_npvt_small_kernelILi11EdiiPKPdEEvT1_T3_lS5_lPT2_S5_S5_
    .private_segment_fixed_size: 0
    .sgpr_count:     28
    .sgpr_spill_count: 0
    .symbol:         _ZN9rocsolver6v33100L23getf2_npvt_small_kernelILi11EdiiPKPdEEvT1_T3_lS5_lPT2_S5_S5_.kd
    .uniform_work_group_size: 1
    .uses_dynamic_stack: false
    .vgpr_count:     78
    .vgpr_spill_count: 0
    .wavefront_size: 64
  - .agpr_count:     0
    .args:
      - .offset:         0
        .size:           4
        .value_kind:     by_value
      - .address_space:  global
        .offset:         8
        .size:           8
        .value_kind:     global_buffer
      - .offset:         16
        .size:           8
        .value_kind:     by_value
      - .offset:         24
        .size:           4
        .value_kind:     by_value
      - .offset:         32
        .size:           8
        .value_kind:     by_value
      - .address_space:  global
        .offset:         40
        .size:           8
        .value_kind:     global_buffer
      - .offset:         48
        .size:           8
        .value_kind:     by_value
      - .offset:         56
        .size:           8
        .value_kind:     by_value
      - .address_space:  global
        .offset:         64
        .size:           8
        .value_kind:     global_buffer
      - .offset:         72
        .size:           4
        .value_kind:     by_value
      - .offset:         76
        .size:           4
        .value_kind:     by_value
      - .address_space:  global
        .offset:         80
        .size:           8
        .value_kind:     global_buffer
      - .offset:         88
        .size:           8
        .value_kind:     by_value
      - .offset:         96
        .size:           4
        .value_kind:     hidden_block_count_x
      - .offset:         100
        .size:           4
        .value_kind:     hidden_block_count_y
      - .offset:         104
        .size:           4
        .value_kind:     hidden_block_count_z
      - .offset:         108
        .size:           2
        .value_kind:     hidden_group_size_x
      - .offset:         110
        .size:           2
        .value_kind:     hidden_group_size_y
      - .offset:         112
        .size:           2
        .value_kind:     hidden_group_size_z
      - .offset:         114
        .size:           2
        .value_kind:     hidden_remainder_x
      - .offset:         116
        .size:           2
        .value_kind:     hidden_remainder_y
      - .offset:         118
        .size:           2
        .value_kind:     hidden_remainder_z
      - .offset:         136
        .size:           8
        .value_kind:     hidden_global_offset_x
      - .offset:         144
        .size:           8
        .value_kind:     hidden_global_offset_y
      - .offset:         152
        .size:           8
        .value_kind:     hidden_global_offset_z
      - .offset:         160
        .size:           2
        .value_kind:     hidden_grid_dims
      - .offset:         216
        .size:           4
        .value_kind:     hidden_dynamic_lds_size
    .group_segment_fixed_size: 0
    .kernarg_segment_align: 8
    .kernarg_segment_size: 352
    .language:       OpenCL C
    .language_version:
      - 2
      - 0
    .max_flat_workgroup_size: 512
    .name:           _ZN9rocsolver6v33100L18getf2_small_kernelILi12EdiiPKPdEEvT1_T3_lS5_lPS5_llPT2_S5_S5_S7_l
    .private_segment_fixed_size: 0
    .sgpr_count:     24
    .sgpr_spill_count: 0
    .symbol:         _ZN9rocsolver6v33100L18getf2_small_kernelILi12EdiiPKPdEEvT1_T3_lS5_lPS5_llPT2_S5_S5_S7_l.kd
    .uniform_work_group_size: 1
    .uses_dynamic_stack: false
    .vgpr_count:     50
    .vgpr_spill_count: 0
    .wavefront_size: 64
  - .agpr_count:     0
    .args:
      - .offset:         0
        .size:           4
        .value_kind:     by_value
      - .address_space:  global
        .offset:         8
        .size:           8
        .value_kind:     global_buffer
      - .offset:         16
        .size:           8
        .value_kind:     by_value
      - .offset:         24
        .size:           4
        .value_kind:     by_value
      - .offset:         32
        .size:           8
        .value_kind:     by_value
      - .address_space:  global
        .offset:         40
        .size:           8
        .value_kind:     global_buffer
      - .offset:         48
        .size:           4
        .value_kind:     by_value
      - .offset:         52
        .size:           4
        .value_kind:     by_value
      - .offset:         56
        .size:           4
        .value_kind:     hidden_block_count_x
      - .offset:         60
        .size:           4
        .value_kind:     hidden_block_count_y
      - .offset:         64
        .size:           4
        .value_kind:     hidden_block_count_z
      - .offset:         68
        .size:           2
        .value_kind:     hidden_group_size_x
      - .offset:         70
        .size:           2
        .value_kind:     hidden_group_size_y
      - .offset:         72
        .size:           2
        .value_kind:     hidden_group_size_z
      - .offset:         74
        .size:           2
        .value_kind:     hidden_remainder_x
      - .offset:         76
        .size:           2
        .value_kind:     hidden_remainder_y
      - .offset:         78
        .size:           2
        .value_kind:     hidden_remainder_z
      - .offset:         96
        .size:           8
        .value_kind:     hidden_global_offset_x
      - .offset:         104
        .size:           8
        .value_kind:     hidden_global_offset_y
      - .offset:         112
        .size:           8
        .value_kind:     hidden_global_offset_z
      - .offset:         120
        .size:           2
        .value_kind:     hidden_grid_dims
      - .offset:         176
        .size:           4
        .value_kind:     hidden_dynamic_lds_size
    .group_segment_fixed_size: 0
    .kernarg_segment_align: 8
    .kernarg_segment_size: 312
    .language:       OpenCL C
    .language_version:
      - 2
      - 0
    .max_flat_workgroup_size: 512
    .name:           _ZN9rocsolver6v33100L23getf2_npvt_small_kernelILi12EdiiPKPdEEvT1_T3_lS5_lPT2_S5_S5_
    .private_segment_fixed_size: 0
    .sgpr_count:     30
    .sgpr_spill_count: 0
    .symbol:         _ZN9rocsolver6v33100L23getf2_npvt_small_kernelILi12EdiiPKPdEEvT1_T3_lS5_lPT2_S5_S5_.kd
    .uniform_work_group_size: 1
    .uses_dynamic_stack: false
    .vgpr_count:     84
    .vgpr_spill_count: 0
    .wavefront_size: 64
  - .agpr_count:     0
    .args:
      - .offset:         0
        .size:           4
        .value_kind:     by_value
      - .address_space:  global
        .offset:         8
        .size:           8
        .value_kind:     global_buffer
      - .offset:         16
        .size:           8
        .value_kind:     by_value
      - .offset:         24
        .size:           4
        .value_kind:     by_value
      - .offset:         32
        .size:           8
        .value_kind:     by_value
      - .address_space:  global
        .offset:         40
        .size:           8
        .value_kind:     global_buffer
      - .offset:         48
        .size:           8
        .value_kind:     by_value
      - .offset:         56
        .size:           8
        .value_kind:     by_value
      - .address_space:  global
        .offset:         64
        .size:           8
        .value_kind:     global_buffer
      - .offset:         72
        .size:           4
        .value_kind:     by_value
      - .offset:         76
        .size:           4
        .value_kind:     by_value
      - .address_space:  global
        .offset:         80
        .size:           8
        .value_kind:     global_buffer
      - .offset:         88
        .size:           8
        .value_kind:     by_value
      - .offset:         96
        .size:           4
        .value_kind:     hidden_block_count_x
      - .offset:         100
        .size:           4
        .value_kind:     hidden_block_count_y
      - .offset:         104
        .size:           4
        .value_kind:     hidden_block_count_z
      - .offset:         108
        .size:           2
        .value_kind:     hidden_group_size_x
      - .offset:         110
        .size:           2
        .value_kind:     hidden_group_size_y
      - .offset:         112
        .size:           2
        .value_kind:     hidden_group_size_z
      - .offset:         114
        .size:           2
        .value_kind:     hidden_remainder_x
      - .offset:         116
        .size:           2
        .value_kind:     hidden_remainder_y
      - .offset:         118
        .size:           2
        .value_kind:     hidden_remainder_z
      - .offset:         136
        .size:           8
        .value_kind:     hidden_global_offset_x
      - .offset:         144
        .size:           8
        .value_kind:     hidden_global_offset_y
      - .offset:         152
        .size:           8
        .value_kind:     hidden_global_offset_z
      - .offset:         160
        .size:           2
        .value_kind:     hidden_grid_dims
      - .offset:         216
        .size:           4
        .value_kind:     hidden_dynamic_lds_size
    .group_segment_fixed_size: 0
    .kernarg_segment_align: 8
    .kernarg_segment_size: 352
    .language:       OpenCL C
    .language_version:
      - 2
      - 0
    .max_flat_workgroup_size: 512
    .name:           _ZN9rocsolver6v33100L18getf2_small_kernelILi13EdiiPKPdEEvT1_T3_lS5_lPS5_llPT2_S5_S5_S7_l
    .private_segment_fixed_size: 0
    .sgpr_count:     24
    .sgpr_spill_count: 0
    .symbol:         _ZN9rocsolver6v33100L18getf2_small_kernelILi13EdiiPKPdEEvT1_T3_lS5_lPS5_llPT2_S5_S5_S7_l.kd
    .uniform_work_group_size: 1
    .uses_dynamic_stack: false
    .vgpr_count:     52
    .vgpr_spill_count: 0
    .wavefront_size: 64
  - .agpr_count:     0
    .args:
      - .offset:         0
        .size:           4
        .value_kind:     by_value
      - .address_space:  global
        .offset:         8
        .size:           8
        .value_kind:     global_buffer
      - .offset:         16
        .size:           8
        .value_kind:     by_value
      - .offset:         24
        .size:           4
        .value_kind:     by_value
      - .offset:         32
        .size:           8
        .value_kind:     by_value
      - .address_space:  global
        .offset:         40
        .size:           8
        .value_kind:     global_buffer
      - .offset:         48
        .size:           4
        .value_kind:     by_value
      - .offset:         52
        .size:           4
        .value_kind:     by_value
      - .offset:         56
        .size:           4
        .value_kind:     hidden_block_count_x
      - .offset:         60
        .size:           4
        .value_kind:     hidden_block_count_y
      - .offset:         64
        .size:           4
        .value_kind:     hidden_block_count_z
      - .offset:         68
        .size:           2
        .value_kind:     hidden_group_size_x
      - .offset:         70
        .size:           2
        .value_kind:     hidden_group_size_y
      - .offset:         72
        .size:           2
        .value_kind:     hidden_group_size_z
      - .offset:         74
        .size:           2
        .value_kind:     hidden_remainder_x
      - .offset:         76
        .size:           2
        .value_kind:     hidden_remainder_y
      - .offset:         78
        .size:           2
        .value_kind:     hidden_remainder_z
      - .offset:         96
        .size:           8
        .value_kind:     hidden_global_offset_x
      - .offset:         104
        .size:           8
        .value_kind:     hidden_global_offset_y
      - .offset:         112
        .size:           8
        .value_kind:     hidden_global_offset_z
      - .offset:         120
        .size:           2
        .value_kind:     hidden_grid_dims
      - .offset:         176
        .size:           4
        .value_kind:     hidden_dynamic_lds_size
    .group_segment_fixed_size: 0
    .kernarg_segment_align: 8
    .kernarg_segment_size: 312
    .language:       OpenCL C
    .language_version:
      - 2
      - 0
    .max_flat_workgroup_size: 512
    .name:           _ZN9rocsolver6v33100L23getf2_npvt_small_kernelILi13EdiiPKPdEEvT1_T3_lS5_lPT2_S5_S5_
    .private_segment_fixed_size: 0
    .sgpr_count:     32
    .sgpr_spill_count: 0
    .symbol:         _ZN9rocsolver6v33100L23getf2_npvt_small_kernelILi13EdiiPKPdEEvT1_T3_lS5_lPT2_S5_S5_.kd
    .uniform_work_group_size: 1
    .uses_dynamic_stack: false
    .vgpr_count:     90
    .vgpr_spill_count: 0
    .wavefront_size: 64
  - .agpr_count:     0
    .args:
      - .offset:         0
        .size:           4
        .value_kind:     by_value
      - .address_space:  global
        .offset:         8
        .size:           8
        .value_kind:     global_buffer
      - .offset:         16
        .size:           8
        .value_kind:     by_value
      - .offset:         24
        .size:           4
        .value_kind:     by_value
      - .offset:         32
        .size:           8
        .value_kind:     by_value
      - .address_space:  global
        .offset:         40
        .size:           8
        .value_kind:     global_buffer
      - .offset:         48
        .size:           8
        .value_kind:     by_value
      - .offset:         56
        .size:           8
        .value_kind:     by_value
      - .address_space:  global
        .offset:         64
        .size:           8
        .value_kind:     global_buffer
      - .offset:         72
        .size:           4
        .value_kind:     by_value
      - .offset:         76
        .size:           4
        .value_kind:     by_value
      - .address_space:  global
        .offset:         80
        .size:           8
        .value_kind:     global_buffer
      - .offset:         88
        .size:           8
        .value_kind:     by_value
      - .offset:         96
        .size:           4
        .value_kind:     hidden_block_count_x
      - .offset:         100
        .size:           4
        .value_kind:     hidden_block_count_y
      - .offset:         104
        .size:           4
        .value_kind:     hidden_block_count_z
      - .offset:         108
        .size:           2
        .value_kind:     hidden_group_size_x
      - .offset:         110
        .size:           2
        .value_kind:     hidden_group_size_y
      - .offset:         112
        .size:           2
        .value_kind:     hidden_group_size_z
      - .offset:         114
        .size:           2
        .value_kind:     hidden_remainder_x
      - .offset:         116
        .size:           2
        .value_kind:     hidden_remainder_y
      - .offset:         118
        .size:           2
        .value_kind:     hidden_remainder_z
      - .offset:         136
        .size:           8
        .value_kind:     hidden_global_offset_x
      - .offset:         144
        .size:           8
        .value_kind:     hidden_global_offset_y
      - .offset:         152
        .size:           8
        .value_kind:     hidden_global_offset_z
      - .offset:         160
        .size:           2
        .value_kind:     hidden_grid_dims
      - .offset:         216
        .size:           4
        .value_kind:     hidden_dynamic_lds_size
    .group_segment_fixed_size: 0
    .kernarg_segment_align: 8
    .kernarg_segment_size: 352
    .language:       OpenCL C
    .language_version:
      - 2
      - 0
    .max_flat_workgroup_size: 512
    .name:           _ZN9rocsolver6v33100L18getf2_small_kernelILi14EdiiPKPdEEvT1_T3_lS5_lPS5_llPT2_S5_S5_S7_l
    .private_segment_fixed_size: 0
    .sgpr_count:     24
    .sgpr_spill_count: 0
    .symbol:         _ZN9rocsolver6v33100L18getf2_small_kernelILi14EdiiPKPdEEvT1_T3_lS5_lPS5_llPT2_S5_S5_S7_l.kd
    .uniform_work_group_size: 1
    .uses_dynamic_stack: false
    .vgpr_count:     54
    .vgpr_spill_count: 0
    .wavefront_size: 64
  - .agpr_count:     0
    .args:
      - .offset:         0
        .size:           4
        .value_kind:     by_value
      - .address_space:  global
        .offset:         8
        .size:           8
        .value_kind:     global_buffer
      - .offset:         16
        .size:           8
        .value_kind:     by_value
      - .offset:         24
        .size:           4
        .value_kind:     by_value
      - .offset:         32
        .size:           8
        .value_kind:     by_value
      - .address_space:  global
        .offset:         40
        .size:           8
        .value_kind:     global_buffer
      - .offset:         48
        .size:           4
        .value_kind:     by_value
      - .offset:         52
        .size:           4
        .value_kind:     by_value
      - .offset:         56
        .size:           4
        .value_kind:     hidden_block_count_x
      - .offset:         60
        .size:           4
        .value_kind:     hidden_block_count_y
      - .offset:         64
        .size:           4
        .value_kind:     hidden_block_count_z
      - .offset:         68
        .size:           2
        .value_kind:     hidden_group_size_x
      - .offset:         70
        .size:           2
        .value_kind:     hidden_group_size_y
      - .offset:         72
        .size:           2
        .value_kind:     hidden_group_size_z
      - .offset:         74
        .size:           2
        .value_kind:     hidden_remainder_x
      - .offset:         76
        .size:           2
        .value_kind:     hidden_remainder_y
      - .offset:         78
        .size:           2
        .value_kind:     hidden_remainder_z
      - .offset:         96
        .size:           8
        .value_kind:     hidden_global_offset_x
      - .offset:         104
        .size:           8
        .value_kind:     hidden_global_offset_y
      - .offset:         112
        .size:           8
        .value_kind:     hidden_global_offset_z
      - .offset:         120
        .size:           2
        .value_kind:     hidden_grid_dims
      - .offset:         176
        .size:           4
        .value_kind:     hidden_dynamic_lds_size
    .group_segment_fixed_size: 0
    .kernarg_segment_align: 8
    .kernarg_segment_size: 312
    .language:       OpenCL C
    .language_version:
      - 2
      - 0
    .max_flat_workgroup_size: 512
    .name:           _ZN9rocsolver6v33100L23getf2_npvt_small_kernelILi14EdiiPKPdEEvT1_T3_lS5_lPT2_S5_S5_
    .private_segment_fixed_size: 0
    .sgpr_count:     34
    .sgpr_spill_count: 0
    .symbol:         _ZN9rocsolver6v33100L23getf2_npvt_small_kernelILi14EdiiPKPdEEvT1_T3_lS5_lPT2_S5_S5_.kd
    .uniform_work_group_size: 1
    .uses_dynamic_stack: false
    .vgpr_count:     96
    .vgpr_spill_count: 0
    .wavefront_size: 64
  - .agpr_count:     0
    .args:
      - .offset:         0
        .size:           4
        .value_kind:     by_value
      - .address_space:  global
        .offset:         8
        .size:           8
        .value_kind:     global_buffer
      - .offset:         16
        .size:           8
        .value_kind:     by_value
      - .offset:         24
        .size:           4
        .value_kind:     by_value
      - .offset:         32
        .size:           8
        .value_kind:     by_value
      - .address_space:  global
        .offset:         40
        .size:           8
        .value_kind:     global_buffer
      - .offset:         48
        .size:           8
        .value_kind:     by_value
      - .offset:         56
        .size:           8
        .value_kind:     by_value
      - .address_space:  global
        .offset:         64
        .size:           8
        .value_kind:     global_buffer
      - .offset:         72
        .size:           4
        .value_kind:     by_value
      - .offset:         76
        .size:           4
        .value_kind:     by_value
      - .address_space:  global
        .offset:         80
        .size:           8
        .value_kind:     global_buffer
      - .offset:         88
        .size:           8
        .value_kind:     by_value
      - .offset:         96
        .size:           4
        .value_kind:     hidden_block_count_x
      - .offset:         100
        .size:           4
        .value_kind:     hidden_block_count_y
      - .offset:         104
        .size:           4
        .value_kind:     hidden_block_count_z
      - .offset:         108
        .size:           2
        .value_kind:     hidden_group_size_x
      - .offset:         110
        .size:           2
        .value_kind:     hidden_group_size_y
      - .offset:         112
        .size:           2
        .value_kind:     hidden_group_size_z
      - .offset:         114
        .size:           2
        .value_kind:     hidden_remainder_x
      - .offset:         116
        .size:           2
        .value_kind:     hidden_remainder_y
      - .offset:         118
        .size:           2
        .value_kind:     hidden_remainder_z
      - .offset:         136
        .size:           8
        .value_kind:     hidden_global_offset_x
      - .offset:         144
        .size:           8
        .value_kind:     hidden_global_offset_y
      - .offset:         152
        .size:           8
        .value_kind:     hidden_global_offset_z
      - .offset:         160
        .size:           2
        .value_kind:     hidden_grid_dims
      - .offset:         216
        .size:           4
        .value_kind:     hidden_dynamic_lds_size
    .group_segment_fixed_size: 0
    .kernarg_segment_align: 8
    .kernarg_segment_size: 352
    .language:       OpenCL C
    .language_version:
      - 2
      - 0
    .max_flat_workgroup_size: 512
    .name:           _ZN9rocsolver6v33100L18getf2_small_kernelILi15EdiiPKPdEEvT1_T3_lS5_lPS5_llPT2_S5_S5_S7_l
    .private_segment_fixed_size: 0
    .sgpr_count:     24
    .sgpr_spill_count: 0
    .symbol:         _ZN9rocsolver6v33100L18getf2_small_kernelILi15EdiiPKPdEEvT1_T3_lS5_lPS5_llPT2_S5_S5_S7_l.kd
    .uniform_work_group_size: 1
    .uses_dynamic_stack: false
    .vgpr_count:     56
    .vgpr_spill_count: 0
    .wavefront_size: 64
  - .agpr_count:     0
    .args:
      - .offset:         0
        .size:           4
        .value_kind:     by_value
      - .address_space:  global
        .offset:         8
        .size:           8
        .value_kind:     global_buffer
      - .offset:         16
        .size:           8
        .value_kind:     by_value
      - .offset:         24
        .size:           4
        .value_kind:     by_value
      - .offset:         32
        .size:           8
        .value_kind:     by_value
      - .address_space:  global
        .offset:         40
        .size:           8
        .value_kind:     global_buffer
      - .offset:         48
        .size:           4
        .value_kind:     by_value
      - .offset:         52
        .size:           4
        .value_kind:     by_value
      - .offset:         56
        .size:           4
        .value_kind:     hidden_block_count_x
      - .offset:         60
        .size:           4
        .value_kind:     hidden_block_count_y
      - .offset:         64
        .size:           4
        .value_kind:     hidden_block_count_z
      - .offset:         68
        .size:           2
        .value_kind:     hidden_group_size_x
      - .offset:         70
        .size:           2
        .value_kind:     hidden_group_size_y
      - .offset:         72
        .size:           2
        .value_kind:     hidden_group_size_z
      - .offset:         74
        .size:           2
        .value_kind:     hidden_remainder_x
      - .offset:         76
        .size:           2
        .value_kind:     hidden_remainder_y
      - .offset:         78
        .size:           2
        .value_kind:     hidden_remainder_z
      - .offset:         96
        .size:           8
        .value_kind:     hidden_global_offset_x
      - .offset:         104
        .size:           8
        .value_kind:     hidden_global_offset_y
      - .offset:         112
        .size:           8
        .value_kind:     hidden_global_offset_z
      - .offset:         120
        .size:           2
        .value_kind:     hidden_grid_dims
      - .offset:         176
        .size:           4
        .value_kind:     hidden_dynamic_lds_size
    .group_segment_fixed_size: 0
    .kernarg_segment_align: 8
    .kernarg_segment_size: 312
    .language:       OpenCL C
    .language_version:
      - 2
      - 0
    .max_flat_workgroup_size: 512
    .name:           _ZN9rocsolver6v33100L23getf2_npvt_small_kernelILi15EdiiPKPdEEvT1_T3_lS5_lPT2_S5_S5_
    .private_segment_fixed_size: 0
    .sgpr_count:     36
    .sgpr_spill_count: 0
    .symbol:         _ZN9rocsolver6v33100L23getf2_npvt_small_kernelILi15EdiiPKPdEEvT1_T3_lS5_lPT2_S5_S5_.kd
    .uniform_work_group_size: 1
    .uses_dynamic_stack: false
    .vgpr_count:     102
    .vgpr_spill_count: 0
    .wavefront_size: 64
  - .agpr_count:     0
    .args:
      - .offset:         0
        .size:           4
        .value_kind:     by_value
      - .address_space:  global
        .offset:         8
        .size:           8
        .value_kind:     global_buffer
      - .offset:         16
        .size:           8
        .value_kind:     by_value
      - .offset:         24
        .size:           4
        .value_kind:     by_value
      - .offset:         32
        .size:           8
        .value_kind:     by_value
      - .address_space:  global
        .offset:         40
        .size:           8
        .value_kind:     global_buffer
      - .offset:         48
        .size:           8
        .value_kind:     by_value
      - .offset:         56
        .size:           8
        .value_kind:     by_value
      - .address_space:  global
        .offset:         64
        .size:           8
        .value_kind:     global_buffer
      - .offset:         72
        .size:           4
        .value_kind:     by_value
      - .offset:         76
        .size:           4
        .value_kind:     by_value
      - .address_space:  global
        .offset:         80
        .size:           8
        .value_kind:     global_buffer
      - .offset:         88
        .size:           8
        .value_kind:     by_value
      - .offset:         96
        .size:           4
        .value_kind:     hidden_block_count_x
      - .offset:         100
        .size:           4
        .value_kind:     hidden_block_count_y
      - .offset:         104
        .size:           4
        .value_kind:     hidden_block_count_z
      - .offset:         108
        .size:           2
        .value_kind:     hidden_group_size_x
      - .offset:         110
        .size:           2
        .value_kind:     hidden_group_size_y
      - .offset:         112
        .size:           2
        .value_kind:     hidden_group_size_z
      - .offset:         114
        .size:           2
        .value_kind:     hidden_remainder_x
      - .offset:         116
        .size:           2
        .value_kind:     hidden_remainder_y
      - .offset:         118
        .size:           2
        .value_kind:     hidden_remainder_z
      - .offset:         136
        .size:           8
        .value_kind:     hidden_global_offset_x
      - .offset:         144
        .size:           8
        .value_kind:     hidden_global_offset_y
      - .offset:         152
        .size:           8
        .value_kind:     hidden_global_offset_z
      - .offset:         160
        .size:           2
        .value_kind:     hidden_grid_dims
      - .offset:         216
        .size:           4
        .value_kind:     hidden_dynamic_lds_size
    .group_segment_fixed_size: 0
    .kernarg_segment_align: 8
    .kernarg_segment_size: 352
    .language:       OpenCL C
    .language_version:
      - 2
      - 0
    .max_flat_workgroup_size: 512
    .name:           _ZN9rocsolver6v33100L18getf2_small_kernelILi16EdiiPKPdEEvT1_T3_lS5_lPS5_llPT2_S5_S5_S7_l
    .private_segment_fixed_size: 0
    .sgpr_count:     24
    .sgpr_spill_count: 0
    .symbol:         _ZN9rocsolver6v33100L18getf2_small_kernelILi16EdiiPKPdEEvT1_T3_lS5_lPS5_llPT2_S5_S5_S7_l.kd
    .uniform_work_group_size: 1
    .uses_dynamic_stack: false
    .vgpr_count:     86
    .vgpr_spill_count: 0
    .wavefront_size: 64
  - .agpr_count:     0
    .args:
      - .offset:         0
        .size:           4
        .value_kind:     by_value
      - .address_space:  global
        .offset:         8
        .size:           8
        .value_kind:     global_buffer
      - .offset:         16
        .size:           8
        .value_kind:     by_value
      - .offset:         24
        .size:           4
        .value_kind:     by_value
      - .offset:         32
        .size:           8
        .value_kind:     by_value
      - .address_space:  global
        .offset:         40
        .size:           8
        .value_kind:     global_buffer
      - .offset:         48
        .size:           4
        .value_kind:     by_value
      - .offset:         52
        .size:           4
        .value_kind:     by_value
      - .offset:         56
        .size:           4
        .value_kind:     hidden_block_count_x
      - .offset:         60
        .size:           4
        .value_kind:     hidden_block_count_y
      - .offset:         64
        .size:           4
        .value_kind:     hidden_block_count_z
      - .offset:         68
        .size:           2
        .value_kind:     hidden_group_size_x
      - .offset:         70
        .size:           2
        .value_kind:     hidden_group_size_y
      - .offset:         72
        .size:           2
        .value_kind:     hidden_group_size_z
      - .offset:         74
        .size:           2
        .value_kind:     hidden_remainder_x
      - .offset:         76
        .size:           2
        .value_kind:     hidden_remainder_y
      - .offset:         78
        .size:           2
        .value_kind:     hidden_remainder_z
      - .offset:         96
        .size:           8
        .value_kind:     hidden_global_offset_x
      - .offset:         104
        .size:           8
        .value_kind:     hidden_global_offset_y
      - .offset:         112
        .size:           8
        .value_kind:     hidden_global_offset_z
      - .offset:         120
        .size:           2
        .value_kind:     hidden_grid_dims
      - .offset:         176
        .size:           4
        .value_kind:     hidden_dynamic_lds_size
    .group_segment_fixed_size: 0
    .kernarg_segment_align: 8
    .kernarg_segment_size: 312
    .language:       OpenCL C
    .language_version:
      - 2
      - 0
    .max_flat_workgroup_size: 512
    .name:           _ZN9rocsolver6v33100L23getf2_npvt_small_kernelILi16EdiiPKPdEEvT1_T3_lS5_lPT2_S5_S5_
    .private_segment_fixed_size: 0
    .sgpr_count:     40
    .sgpr_spill_count: 0
    .symbol:         _ZN9rocsolver6v33100L23getf2_npvt_small_kernelILi16EdiiPKPdEEvT1_T3_lS5_lPT2_S5_S5_.kd
    .uniform_work_group_size: 1
    .uses_dynamic_stack: false
    .vgpr_count:     134
    .vgpr_spill_count: 0
    .wavefront_size: 64
  - .agpr_count:     0
    .args:
      - .offset:         0
        .size:           4
        .value_kind:     by_value
      - .address_space:  global
        .offset:         8
        .size:           8
        .value_kind:     global_buffer
      - .offset:         16
        .size:           8
        .value_kind:     by_value
      - .offset:         24
        .size:           4
        .value_kind:     by_value
      - .offset:         32
        .size:           8
        .value_kind:     by_value
      - .address_space:  global
        .offset:         40
        .size:           8
        .value_kind:     global_buffer
      - .offset:         48
        .size:           8
        .value_kind:     by_value
      - .offset:         56
        .size:           8
        .value_kind:     by_value
      - .address_space:  global
        .offset:         64
        .size:           8
        .value_kind:     global_buffer
      - .offset:         72
        .size:           4
        .value_kind:     by_value
      - .offset:         76
        .size:           4
        .value_kind:     by_value
      - .address_space:  global
        .offset:         80
        .size:           8
        .value_kind:     global_buffer
      - .offset:         88
        .size:           8
        .value_kind:     by_value
      - .offset:         96
        .size:           4
        .value_kind:     hidden_block_count_x
      - .offset:         100
        .size:           4
        .value_kind:     hidden_block_count_y
      - .offset:         104
        .size:           4
        .value_kind:     hidden_block_count_z
      - .offset:         108
        .size:           2
        .value_kind:     hidden_group_size_x
      - .offset:         110
        .size:           2
        .value_kind:     hidden_group_size_y
      - .offset:         112
        .size:           2
        .value_kind:     hidden_group_size_z
      - .offset:         114
        .size:           2
        .value_kind:     hidden_remainder_x
      - .offset:         116
        .size:           2
        .value_kind:     hidden_remainder_y
      - .offset:         118
        .size:           2
        .value_kind:     hidden_remainder_z
      - .offset:         136
        .size:           8
        .value_kind:     hidden_global_offset_x
      - .offset:         144
        .size:           8
        .value_kind:     hidden_global_offset_y
      - .offset:         152
        .size:           8
        .value_kind:     hidden_global_offset_z
      - .offset:         160
        .size:           2
        .value_kind:     hidden_grid_dims
      - .offset:         216
        .size:           4
        .value_kind:     hidden_dynamic_lds_size
    .group_segment_fixed_size: 0
    .kernarg_segment_align: 8
    .kernarg_segment_size: 352
    .language:       OpenCL C
    .language_version:
      - 2
      - 0
    .max_flat_workgroup_size: 512
    .name:           _ZN9rocsolver6v33100L18getf2_small_kernelILi17EdiiPKPdEEvT1_T3_lS5_lPS5_llPT2_S5_S5_S7_l
    .private_segment_fixed_size: 0
    .sgpr_count:     24
    .sgpr_spill_count: 0
    .symbol:         _ZN9rocsolver6v33100L18getf2_small_kernelILi17EdiiPKPdEEvT1_T3_lS5_lPS5_llPT2_S5_S5_S7_l.kd
    .uniform_work_group_size: 1
    .uses_dynamic_stack: false
    .vgpr_count:     60
    .vgpr_spill_count: 0
    .wavefront_size: 64
  - .agpr_count:     0
    .args:
      - .offset:         0
        .size:           4
        .value_kind:     by_value
      - .address_space:  global
        .offset:         8
        .size:           8
        .value_kind:     global_buffer
      - .offset:         16
        .size:           8
        .value_kind:     by_value
      - .offset:         24
        .size:           4
        .value_kind:     by_value
      - .offset:         32
        .size:           8
        .value_kind:     by_value
      - .address_space:  global
        .offset:         40
        .size:           8
        .value_kind:     global_buffer
      - .offset:         48
        .size:           4
        .value_kind:     by_value
      - .offset:         52
        .size:           4
        .value_kind:     by_value
      - .offset:         56
        .size:           4
        .value_kind:     hidden_block_count_x
      - .offset:         60
        .size:           4
        .value_kind:     hidden_block_count_y
      - .offset:         64
        .size:           4
        .value_kind:     hidden_block_count_z
      - .offset:         68
        .size:           2
        .value_kind:     hidden_group_size_x
      - .offset:         70
        .size:           2
        .value_kind:     hidden_group_size_y
      - .offset:         72
        .size:           2
        .value_kind:     hidden_group_size_z
      - .offset:         74
        .size:           2
        .value_kind:     hidden_remainder_x
      - .offset:         76
        .size:           2
        .value_kind:     hidden_remainder_y
      - .offset:         78
        .size:           2
        .value_kind:     hidden_remainder_z
      - .offset:         96
        .size:           8
        .value_kind:     hidden_global_offset_x
      - .offset:         104
        .size:           8
        .value_kind:     hidden_global_offset_y
      - .offset:         112
        .size:           8
        .value_kind:     hidden_global_offset_z
      - .offset:         120
        .size:           2
        .value_kind:     hidden_grid_dims
      - .offset:         176
        .size:           4
        .value_kind:     hidden_dynamic_lds_size
    .group_segment_fixed_size: 0
    .kernarg_segment_align: 8
    .kernarg_segment_size: 312
    .language:       OpenCL C
    .language_version:
      - 2
      - 0
    .max_flat_workgroup_size: 512
    .name:           _ZN9rocsolver6v33100L23getf2_npvt_small_kernelILi17EdiiPKPdEEvT1_T3_lS5_lPT2_S5_S5_
    .private_segment_fixed_size: 0
    .sgpr_count:     42
    .sgpr_spill_count: 0
    .symbol:         _ZN9rocsolver6v33100L23getf2_npvt_small_kernelILi17EdiiPKPdEEvT1_T3_lS5_lPT2_S5_S5_.kd
    .uniform_work_group_size: 1
    .uses_dynamic_stack: false
    .vgpr_count:     114
    .vgpr_spill_count: 0
    .wavefront_size: 64
  - .agpr_count:     0
    .args:
      - .offset:         0
        .size:           4
        .value_kind:     by_value
      - .address_space:  global
        .offset:         8
        .size:           8
        .value_kind:     global_buffer
      - .offset:         16
        .size:           8
        .value_kind:     by_value
      - .offset:         24
        .size:           4
        .value_kind:     by_value
      - .offset:         32
        .size:           8
        .value_kind:     by_value
      - .address_space:  global
        .offset:         40
        .size:           8
        .value_kind:     global_buffer
      - .offset:         48
        .size:           8
        .value_kind:     by_value
      - .offset:         56
        .size:           8
        .value_kind:     by_value
      - .address_space:  global
        .offset:         64
        .size:           8
        .value_kind:     global_buffer
      - .offset:         72
        .size:           4
        .value_kind:     by_value
      - .offset:         76
        .size:           4
        .value_kind:     by_value
      - .address_space:  global
        .offset:         80
        .size:           8
        .value_kind:     global_buffer
      - .offset:         88
        .size:           8
        .value_kind:     by_value
      - .offset:         96
        .size:           4
        .value_kind:     hidden_block_count_x
      - .offset:         100
        .size:           4
        .value_kind:     hidden_block_count_y
      - .offset:         104
        .size:           4
        .value_kind:     hidden_block_count_z
      - .offset:         108
        .size:           2
        .value_kind:     hidden_group_size_x
      - .offset:         110
        .size:           2
        .value_kind:     hidden_group_size_y
      - .offset:         112
        .size:           2
        .value_kind:     hidden_group_size_z
      - .offset:         114
        .size:           2
        .value_kind:     hidden_remainder_x
      - .offset:         116
        .size:           2
        .value_kind:     hidden_remainder_y
      - .offset:         118
        .size:           2
        .value_kind:     hidden_remainder_z
      - .offset:         136
        .size:           8
        .value_kind:     hidden_global_offset_x
      - .offset:         144
        .size:           8
        .value_kind:     hidden_global_offset_y
      - .offset:         152
        .size:           8
        .value_kind:     hidden_global_offset_z
      - .offset:         160
        .size:           2
        .value_kind:     hidden_grid_dims
      - .offset:         216
        .size:           4
        .value_kind:     hidden_dynamic_lds_size
    .group_segment_fixed_size: 0
    .kernarg_segment_align: 8
    .kernarg_segment_size: 352
    .language:       OpenCL C
    .language_version:
      - 2
      - 0
    .max_flat_workgroup_size: 512
    .name:           _ZN9rocsolver6v33100L18getf2_small_kernelILi18EdiiPKPdEEvT1_T3_lS5_lPS5_llPT2_S5_S5_S7_l
    .private_segment_fixed_size: 0
    .sgpr_count:     24
    .sgpr_spill_count: 0
    .symbol:         _ZN9rocsolver6v33100L18getf2_small_kernelILi18EdiiPKPdEEvT1_T3_lS5_lPS5_llPT2_S5_S5_S7_l.kd
    .uniform_work_group_size: 1
    .uses_dynamic_stack: false
    .vgpr_count:     62
    .vgpr_spill_count: 0
    .wavefront_size: 64
  - .agpr_count:     0
    .args:
      - .offset:         0
        .size:           4
        .value_kind:     by_value
      - .address_space:  global
        .offset:         8
        .size:           8
        .value_kind:     global_buffer
      - .offset:         16
        .size:           8
        .value_kind:     by_value
      - .offset:         24
        .size:           4
        .value_kind:     by_value
      - .offset:         32
        .size:           8
        .value_kind:     by_value
      - .address_space:  global
        .offset:         40
        .size:           8
        .value_kind:     global_buffer
      - .offset:         48
        .size:           4
        .value_kind:     by_value
      - .offset:         52
        .size:           4
        .value_kind:     by_value
      - .offset:         56
        .size:           4
        .value_kind:     hidden_block_count_x
      - .offset:         60
        .size:           4
        .value_kind:     hidden_block_count_y
      - .offset:         64
        .size:           4
        .value_kind:     hidden_block_count_z
      - .offset:         68
        .size:           2
        .value_kind:     hidden_group_size_x
      - .offset:         70
        .size:           2
        .value_kind:     hidden_group_size_y
      - .offset:         72
        .size:           2
        .value_kind:     hidden_group_size_z
      - .offset:         74
        .size:           2
        .value_kind:     hidden_remainder_x
      - .offset:         76
        .size:           2
        .value_kind:     hidden_remainder_y
      - .offset:         78
        .size:           2
        .value_kind:     hidden_remainder_z
      - .offset:         96
        .size:           8
        .value_kind:     hidden_global_offset_x
      - .offset:         104
        .size:           8
        .value_kind:     hidden_global_offset_y
      - .offset:         112
        .size:           8
        .value_kind:     hidden_global_offset_z
      - .offset:         120
        .size:           2
        .value_kind:     hidden_grid_dims
      - .offset:         176
        .size:           4
        .value_kind:     hidden_dynamic_lds_size
    .group_segment_fixed_size: 0
    .kernarg_segment_align: 8
    .kernarg_segment_size: 312
    .language:       OpenCL C
    .language_version:
      - 2
      - 0
    .max_flat_workgroup_size: 512
    .name:           _ZN9rocsolver6v33100L23getf2_npvt_small_kernelILi18EdiiPKPdEEvT1_T3_lS5_lPT2_S5_S5_
    .private_segment_fixed_size: 0
    .sgpr_count:     44
    .sgpr_spill_count: 0
    .symbol:         _ZN9rocsolver6v33100L23getf2_npvt_small_kernelILi18EdiiPKPdEEvT1_T3_lS5_lPT2_S5_S5_.kd
    .uniform_work_group_size: 1
    .uses_dynamic_stack: false
    .vgpr_count:     120
    .vgpr_spill_count: 0
    .wavefront_size: 64
  - .agpr_count:     0
    .args:
      - .offset:         0
        .size:           4
        .value_kind:     by_value
      - .address_space:  global
        .offset:         8
        .size:           8
        .value_kind:     global_buffer
      - .offset:         16
        .size:           8
        .value_kind:     by_value
      - .offset:         24
        .size:           4
        .value_kind:     by_value
      - .offset:         32
        .size:           8
        .value_kind:     by_value
      - .address_space:  global
        .offset:         40
        .size:           8
        .value_kind:     global_buffer
      - .offset:         48
        .size:           8
        .value_kind:     by_value
      - .offset:         56
        .size:           8
        .value_kind:     by_value
      - .address_space:  global
        .offset:         64
        .size:           8
        .value_kind:     global_buffer
      - .offset:         72
        .size:           4
        .value_kind:     by_value
      - .offset:         76
        .size:           4
        .value_kind:     by_value
      - .address_space:  global
        .offset:         80
        .size:           8
        .value_kind:     global_buffer
      - .offset:         88
        .size:           8
        .value_kind:     by_value
      - .offset:         96
        .size:           4
        .value_kind:     hidden_block_count_x
      - .offset:         100
        .size:           4
        .value_kind:     hidden_block_count_y
      - .offset:         104
        .size:           4
        .value_kind:     hidden_block_count_z
      - .offset:         108
        .size:           2
        .value_kind:     hidden_group_size_x
      - .offset:         110
        .size:           2
        .value_kind:     hidden_group_size_y
      - .offset:         112
        .size:           2
        .value_kind:     hidden_group_size_z
      - .offset:         114
        .size:           2
        .value_kind:     hidden_remainder_x
      - .offset:         116
        .size:           2
        .value_kind:     hidden_remainder_y
      - .offset:         118
        .size:           2
        .value_kind:     hidden_remainder_z
      - .offset:         136
        .size:           8
        .value_kind:     hidden_global_offset_x
      - .offset:         144
        .size:           8
        .value_kind:     hidden_global_offset_y
      - .offset:         152
        .size:           8
        .value_kind:     hidden_global_offset_z
      - .offset:         160
        .size:           2
        .value_kind:     hidden_grid_dims
      - .offset:         216
        .size:           4
        .value_kind:     hidden_dynamic_lds_size
    .group_segment_fixed_size: 0
    .kernarg_segment_align: 8
    .kernarg_segment_size: 352
    .language:       OpenCL C
    .language_version:
      - 2
      - 0
    .max_flat_workgroup_size: 512
    .name:           _ZN9rocsolver6v33100L18getf2_small_kernelILi19EdiiPKPdEEvT1_T3_lS5_lPS5_llPT2_S5_S5_S7_l
    .private_segment_fixed_size: 0
    .sgpr_count:     24
    .sgpr_spill_count: 0
    .symbol:         _ZN9rocsolver6v33100L18getf2_small_kernelILi19EdiiPKPdEEvT1_T3_lS5_lPS5_llPT2_S5_S5_S7_l.kd
    .uniform_work_group_size: 1
    .uses_dynamic_stack: false
    .vgpr_count:     64
    .vgpr_spill_count: 0
    .wavefront_size: 64
  - .agpr_count:     0
    .args:
      - .offset:         0
        .size:           4
        .value_kind:     by_value
      - .address_space:  global
        .offset:         8
        .size:           8
        .value_kind:     global_buffer
      - .offset:         16
        .size:           8
        .value_kind:     by_value
      - .offset:         24
        .size:           4
        .value_kind:     by_value
      - .offset:         32
        .size:           8
        .value_kind:     by_value
      - .address_space:  global
        .offset:         40
        .size:           8
        .value_kind:     global_buffer
      - .offset:         48
        .size:           4
        .value_kind:     by_value
      - .offset:         52
        .size:           4
        .value_kind:     by_value
      - .offset:         56
        .size:           4
        .value_kind:     hidden_block_count_x
      - .offset:         60
        .size:           4
        .value_kind:     hidden_block_count_y
      - .offset:         64
        .size:           4
        .value_kind:     hidden_block_count_z
      - .offset:         68
        .size:           2
        .value_kind:     hidden_group_size_x
      - .offset:         70
        .size:           2
        .value_kind:     hidden_group_size_y
      - .offset:         72
        .size:           2
        .value_kind:     hidden_group_size_z
      - .offset:         74
        .size:           2
        .value_kind:     hidden_remainder_x
      - .offset:         76
        .size:           2
        .value_kind:     hidden_remainder_y
      - .offset:         78
        .size:           2
        .value_kind:     hidden_remainder_z
      - .offset:         96
        .size:           8
        .value_kind:     hidden_global_offset_x
      - .offset:         104
        .size:           8
        .value_kind:     hidden_global_offset_y
      - .offset:         112
        .size:           8
        .value_kind:     hidden_global_offset_z
      - .offset:         120
        .size:           2
        .value_kind:     hidden_grid_dims
      - .offset:         176
        .size:           4
        .value_kind:     hidden_dynamic_lds_size
    .group_segment_fixed_size: 0
    .kernarg_segment_align: 8
    .kernarg_segment_size: 312
    .language:       OpenCL C
    .language_version:
      - 2
      - 0
    .max_flat_workgroup_size: 512
    .name:           _ZN9rocsolver6v33100L23getf2_npvt_small_kernelILi19EdiiPKPdEEvT1_T3_lS5_lPT2_S5_S5_
    .private_segment_fixed_size: 0
    .sgpr_count:     46
    .sgpr_spill_count: 0
    .symbol:         _ZN9rocsolver6v33100L23getf2_npvt_small_kernelILi19EdiiPKPdEEvT1_T3_lS5_lPT2_S5_S5_.kd
    .uniform_work_group_size: 1
    .uses_dynamic_stack: false
    .vgpr_count:     126
    .vgpr_spill_count: 0
    .wavefront_size: 64
  - .agpr_count:     0
    .args:
      - .offset:         0
        .size:           4
        .value_kind:     by_value
      - .address_space:  global
        .offset:         8
        .size:           8
        .value_kind:     global_buffer
      - .offset:         16
        .size:           8
        .value_kind:     by_value
      - .offset:         24
        .size:           4
        .value_kind:     by_value
      - .offset:         32
        .size:           8
        .value_kind:     by_value
      - .address_space:  global
        .offset:         40
        .size:           8
        .value_kind:     global_buffer
      - .offset:         48
        .size:           8
        .value_kind:     by_value
      - .offset:         56
        .size:           8
        .value_kind:     by_value
      - .address_space:  global
        .offset:         64
        .size:           8
        .value_kind:     global_buffer
      - .offset:         72
        .size:           4
        .value_kind:     by_value
      - .offset:         76
        .size:           4
        .value_kind:     by_value
      - .address_space:  global
        .offset:         80
        .size:           8
        .value_kind:     global_buffer
      - .offset:         88
        .size:           8
        .value_kind:     by_value
      - .offset:         96
        .size:           4
        .value_kind:     hidden_block_count_x
      - .offset:         100
        .size:           4
        .value_kind:     hidden_block_count_y
      - .offset:         104
        .size:           4
        .value_kind:     hidden_block_count_z
      - .offset:         108
        .size:           2
        .value_kind:     hidden_group_size_x
      - .offset:         110
        .size:           2
        .value_kind:     hidden_group_size_y
      - .offset:         112
        .size:           2
        .value_kind:     hidden_group_size_z
      - .offset:         114
        .size:           2
        .value_kind:     hidden_remainder_x
      - .offset:         116
        .size:           2
        .value_kind:     hidden_remainder_y
      - .offset:         118
        .size:           2
        .value_kind:     hidden_remainder_z
      - .offset:         136
        .size:           8
        .value_kind:     hidden_global_offset_x
      - .offset:         144
        .size:           8
        .value_kind:     hidden_global_offset_y
      - .offset:         152
        .size:           8
        .value_kind:     hidden_global_offset_z
      - .offset:         160
        .size:           2
        .value_kind:     hidden_grid_dims
      - .offset:         216
        .size:           4
        .value_kind:     hidden_dynamic_lds_size
    .group_segment_fixed_size: 0
    .kernarg_segment_align: 8
    .kernarg_segment_size: 352
    .language:       OpenCL C
    .language_version:
      - 2
      - 0
    .max_flat_workgroup_size: 512
    .name:           _ZN9rocsolver6v33100L18getf2_small_kernelILi20EdiiPKPdEEvT1_T3_lS5_lPS5_llPT2_S5_S5_S7_l
    .private_segment_fixed_size: 0
    .sgpr_count:     24
    .sgpr_spill_count: 0
    .symbol:         _ZN9rocsolver6v33100L18getf2_small_kernelILi20EdiiPKPdEEvT1_T3_lS5_lPS5_llPT2_S5_S5_S7_l.kd
    .uniform_work_group_size: 1
    .uses_dynamic_stack: false
    .vgpr_count:     66
    .vgpr_spill_count: 0
    .wavefront_size: 64
  - .agpr_count:     0
    .args:
      - .offset:         0
        .size:           4
        .value_kind:     by_value
      - .address_space:  global
        .offset:         8
        .size:           8
        .value_kind:     global_buffer
      - .offset:         16
        .size:           8
        .value_kind:     by_value
      - .offset:         24
        .size:           4
        .value_kind:     by_value
      - .offset:         32
        .size:           8
        .value_kind:     by_value
      - .address_space:  global
        .offset:         40
        .size:           8
        .value_kind:     global_buffer
      - .offset:         48
        .size:           4
        .value_kind:     by_value
      - .offset:         52
        .size:           4
        .value_kind:     by_value
      - .offset:         56
        .size:           4
        .value_kind:     hidden_block_count_x
      - .offset:         60
        .size:           4
        .value_kind:     hidden_block_count_y
      - .offset:         64
        .size:           4
        .value_kind:     hidden_block_count_z
      - .offset:         68
        .size:           2
        .value_kind:     hidden_group_size_x
      - .offset:         70
        .size:           2
        .value_kind:     hidden_group_size_y
      - .offset:         72
        .size:           2
        .value_kind:     hidden_group_size_z
      - .offset:         74
        .size:           2
        .value_kind:     hidden_remainder_x
      - .offset:         76
        .size:           2
        .value_kind:     hidden_remainder_y
      - .offset:         78
        .size:           2
        .value_kind:     hidden_remainder_z
      - .offset:         96
        .size:           8
        .value_kind:     hidden_global_offset_x
      - .offset:         104
        .size:           8
        .value_kind:     hidden_global_offset_y
      - .offset:         112
        .size:           8
        .value_kind:     hidden_global_offset_z
      - .offset:         120
        .size:           2
        .value_kind:     hidden_grid_dims
      - .offset:         176
        .size:           4
        .value_kind:     hidden_dynamic_lds_size
    .group_segment_fixed_size: 0
    .kernarg_segment_align: 8
    .kernarg_segment_size: 312
    .language:       OpenCL C
    .language_version:
      - 2
      - 0
    .max_flat_workgroup_size: 512
    .name:           _ZN9rocsolver6v33100L23getf2_npvt_small_kernelILi20EdiiPKPdEEvT1_T3_lS5_lPT2_S5_S5_
    .private_segment_fixed_size: 0
    .sgpr_count:     48
    .sgpr_spill_count: 0
    .symbol:         _ZN9rocsolver6v33100L23getf2_npvt_small_kernelILi20EdiiPKPdEEvT1_T3_lS5_lPT2_S5_S5_.kd
    .uniform_work_group_size: 1
    .uses_dynamic_stack: false
    .vgpr_count:     132
    .vgpr_spill_count: 0
    .wavefront_size: 64
  - .agpr_count:     0
    .args:
      - .offset:         0
        .size:           4
        .value_kind:     by_value
      - .address_space:  global
        .offset:         8
        .size:           8
        .value_kind:     global_buffer
      - .offset:         16
        .size:           8
        .value_kind:     by_value
      - .offset:         24
        .size:           4
        .value_kind:     by_value
      - .offset:         32
        .size:           8
        .value_kind:     by_value
      - .address_space:  global
        .offset:         40
        .size:           8
        .value_kind:     global_buffer
      - .offset:         48
        .size:           8
        .value_kind:     by_value
      - .offset:         56
        .size:           8
        .value_kind:     by_value
      - .address_space:  global
        .offset:         64
        .size:           8
        .value_kind:     global_buffer
      - .offset:         72
        .size:           4
        .value_kind:     by_value
      - .offset:         76
        .size:           4
        .value_kind:     by_value
      - .address_space:  global
        .offset:         80
        .size:           8
        .value_kind:     global_buffer
      - .offset:         88
        .size:           8
        .value_kind:     by_value
      - .offset:         96
        .size:           4
        .value_kind:     hidden_block_count_x
      - .offset:         100
        .size:           4
        .value_kind:     hidden_block_count_y
      - .offset:         104
        .size:           4
        .value_kind:     hidden_block_count_z
      - .offset:         108
        .size:           2
        .value_kind:     hidden_group_size_x
      - .offset:         110
        .size:           2
        .value_kind:     hidden_group_size_y
      - .offset:         112
        .size:           2
        .value_kind:     hidden_group_size_z
      - .offset:         114
        .size:           2
        .value_kind:     hidden_remainder_x
      - .offset:         116
        .size:           2
        .value_kind:     hidden_remainder_y
      - .offset:         118
        .size:           2
        .value_kind:     hidden_remainder_z
      - .offset:         136
        .size:           8
        .value_kind:     hidden_global_offset_x
      - .offset:         144
        .size:           8
        .value_kind:     hidden_global_offset_y
      - .offset:         152
        .size:           8
        .value_kind:     hidden_global_offset_z
      - .offset:         160
        .size:           2
        .value_kind:     hidden_grid_dims
      - .offset:         216
        .size:           4
        .value_kind:     hidden_dynamic_lds_size
    .group_segment_fixed_size: 0
    .kernarg_segment_align: 8
    .kernarg_segment_size: 352
    .language:       OpenCL C
    .language_version:
      - 2
      - 0
    .max_flat_workgroup_size: 512
    .name:           _ZN9rocsolver6v33100L18getf2_small_kernelILi21EdiiPKPdEEvT1_T3_lS5_lPS5_llPT2_S5_S5_S7_l
    .private_segment_fixed_size: 0
    .sgpr_count:     24
    .sgpr_spill_count: 0
    .symbol:         _ZN9rocsolver6v33100L18getf2_small_kernelILi21EdiiPKPdEEvT1_T3_lS5_lPS5_llPT2_S5_S5_S7_l.kd
    .uniform_work_group_size: 1
    .uses_dynamic_stack: false
    .vgpr_count:     68
    .vgpr_spill_count: 0
    .wavefront_size: 64
  - .agpr_count:     0
    .args:
      - .offset:         0
        .size:           4
        .value_kind:     by_value
      - .address_space:  global
        .offset:         8
        .size:           8
        .value_kind:     global_buffer
      - .offset:         16
        .size:           8
        .value_kind:     by_value
      - .offset:         24
        .size:           4
        .value_kind:     by_value
      - .offset:         32
        .size:           8
        .value_kind:     by_value
      - .address_space:  global
        .offset:         40
        .size:           8
        .value_kind:     global_buffer
      - .offset:         48
        .size:           4
        .value_kind:     by_value
      - .offset:         52
        .size:           4
        .value_kind:     by_value
      - .offset:         56
        .size:           4
        .value_kind:     hidden_block_count_x
      - .offset:         60
        .size:           4
        .value_kind:     hidden_block_count_y
      - .offset:         64
        .size:           4
        .value_kind:     hidden_block_count_z
      - .offset:         68
        .size:           2
        .value_kind:     hidden_group_size_x
      - .offset:         70
        .size:           2
        .value_kind:     hidden_group_size_y
      - .offset:         72
        .size:           2
        .value_kind:     hidden_group_size_z
      - .offset:         74
        .size:           2
        .value_kind:     hidden_remainder_x
      - .offset:         76
        .size:           2
        .value_kind:     hidden_remainder_y
      - .offset:         78
        .size:           2
        .value_kind:     hidden_remainder_z
      - .offset:         96
        .size:           8
        .value_kind:     hidden_global_offset_x
      - .offset:         104
        .size:           8
        .value_kind:     hidden_global_offset_y
      - .offset:         112
        .size:           8
        .value_kind:     hidden_global_offset_z
      - .offset:         120
        .size:           2
        .value_kind:     hidden_grid_dims
      - .offset:         176
        .size:           4
        .value_kind:     hidden_dynamic_lds_size
    .group_segment_fixed_size: 0
    .kernarg_segment_align: 8
    .kernarg_segment_size: 312
    .language:       OpenCL C
    .language_version:
      - 2
      - 0
    .max_flat_workgroup_size: 512
    .name:           _ZN9rocsolver6v33100L23getf2_npvt_small_kernelILi21EdiiPKPdEEvT1_T3_lS5_lPT2_S5_S5_
    .private_segment_fixed_size: 0
    .sgpr_count:     20
    .sgpr_spill_count: 0
    .symbol:         _ZN9rocsolver6v33100L23getf2_npvt_small_kernelILi21EdiiPKPdEEvT1_T3_lS5_lPT2_S5_S5_.kd
    .uniform_work_group_size: 1
    .uses_dynamic_stack: false
    .vgpr_count:     138
    .vgpr_spill_count: 0
    .wavefront_size: 64
  - .agpr_count:     0
    .args:
      - .offset:         0
        .size:           4
        .value_kind:     by_value
      - .address_space:  global
        .offset:         8
        .size:           8
        .value_kind:     global_buffer
      - .offset:         16
        .size:           8
        .value_kind:     by_value
      - .offset:         24
        .size:           4
        .value_kind:     by_value
      - .offset:         32
        .size:           8
        .value_kind:     by_value
      - .address_space:  global
        .offset:         40
        .size:           8
        .value_kind:     global_buffer
      - .offset:         48
        .size:           8
        .value_kind:     by_value
      - .offset:         56
        .size:           8
        .value_kind:     by_value
      - .address_space:  global
        .offset:         64
        .size:           8
        .value_kind:     global_buffer
      - .offset:         72
        .size:           4
        .value_kind:     by_value
      - .offset:         76
        .size:           4
        .value_kind:     by_value
      - .address_space:  global
        .offset:         80
        .size:           8
        .value_kind:     global_buffer
      - .offset:         88
        .size:           8
        .value_kind:     by_value
      - .offset:         96
        .size:           4
        .value_kind:     hidden_block_count_x
      - .offset:         100
        .size:           4
        .value_kind:     hidden_block_count_y
      - .offset:         104
        .size:           4
        .value_kind:     hidden_block_count_z
      - .offset:         108
        .size:           2
        .value_kind:     hidden_group_size_x
      - .offset:         110
        .size:           2
        .value_kind:     hidden_group_size_y
      - .offset:         112
        .size:           2
        .value_kind:     hidden_group_size_z
      - .offset:         114
        .size:           2
        .value_kind:     hidden_remainder_x
      - .offset:         116
        .size:           2
        .value_kind:     hidden_remainder_y
      - .offset:         118
        .size:           2
        .value_kind:     hidden_remainder_z
      - .offset:         136
        .size:           8
        .value_kind:     hidden_global_offset_x
      - .offset:         144
        .size:           8
        .value_kind:     hidden_global_offset_y
      - .offset:         152
        .size:           8
        .value_kind:     hidden_global_offset_z
      - .offset:         160
        .size:           2
        .value_kind:     hidden_grid_dims
      - .offset:         216
        .size:           4
        .value_kind:     hidden_dynamic_lds_size
    .group_segment_fixed_size: 0
    .kernarg_segment_align: 8
    .kernarg_segment_size: 352
    .language:       OpenCL C
    .language_version:
      - 2
      - 0
    .max_flat_workgroup_size: 512
    .name:           _ZN9rocsolver6v33100L18getf2_small_kernelILi22EdiiPKPdEEvT1_T3_lS5_lPS5_llPT2_S5_S5_S7_l
    .private_segment_fixed_size: 0
    .sgpr_count:     24
    .sgpr_spill_count: 0
    .symbol:         _ZN9rocsolver6v33100L18getf2_small_kernelILi22EdiiPKPdEEvT1_T3_lS5_lPS5_llPT2_S5_S5_S7_l.kd
    .uniform_work_group_size: 1
    .uses_dynamic_stack: false
    .vgpr_count:     70
    .vgpr_spill_count: 0
    .wavefront_size: 64
  - .agpr_count:     0
    .args:
      - .offset:         0
        .size:           4
        .value_kind:     by_value
      - .address_space:  global
        .offset:         8
        .size:           8
        .value_kind:     global_buffer
      - .offset:         16
        .size:           8
        .value_kind:     by_value
      - .offset:         24
        .size:           4
        .value_kind:     by_value
      - .offset:         32
        .size:           8
        .value_kind:     by_value
      - .address_space:  global
        .offset:         40
        .size:           8
        .value_kind:     global_buffer
      - .offset:         48
        .size:           4
        .value_kind:     by_value
      - .offset:         52
        .size:           4
        .value_kind:     by_value
      - .offset:         56
        .size:           4
        .value_kind:     hidden_block_count_x
      - .offset:         60
        .size:           4
        .value_kind:     hidden_block_count_y
      - .offset:         64
        .size:           4
        .value_kind:     hidden_block_count_z
      - .offset:         68
        .size:           2
        .value_kind:     hidden_group_size_x
      - .offset:         70
        .size:           2
        .value_kind:     hidden_group_size_y
      - .offset:         72
        .size:           2
        .value_kind:     hidden_group_size_z
      - .offset:         74
        .size:           2
        .value_kind:     hidden_remainder_x
      - .offset:         76
        .size:           2
        .value_kind:     hidden_remainder_y
      - .offset:         78
        .size:           2
        .value_kind:     hidden_remainder_z
      - .offset:         96
        .size:           8
        .value_kind:     hidden_global_offset_x
      - .offset:         104
        .size:           8
        .value_kind:     hidden_global_offset_y
      - .offset:         112
        .size:           8
        .value_kind:     hidden_global_offset_z
      - .offset:         120
        .size:           2
        .value_kind:     hidden_grid_dims
      - .offset:         176
        .size:           4
        .value_kind:     hidden_dynamic_lds_size
    .group_segment_fixed_size: 0
    .kernarg_segment_align: 8
    .kernarg_segment_size: 312
    .language:       OpenCL C
    .language_version:
      - 2
      - 0
    .max_flat_workgroup_size: 512
    .name:           _ZN9rocsolver6v33100L23getf2_npvt_small_kernelILi22EdiiPKPdEEvT1_T3_lS5_lPT2_S5_S5_
    .private_segment_fixed_size: 0
    .sgpr_count:     20
    .sgpr_spill_count: 0
    .symbol:         _ZN9rocsolver6v33100L23getf2_npvt_small_kernelILi22EdiiPKPdEEvT1_T3_lS5_lPT2_S5_S5_.kd
    .uniform_work_group_size: 1
    .uses_dynamic_stack: false
    .vgpr_count:     144
    .vgpr_spill_count: 0
    .wavefront_size: 64
  - .agpr_count:     0
    .args:
      - .offset:         0
        .size:           4
        .value_kind:     by_value
      - .address_space:  global
        .offset:         8
        .size:           8
        .value_kind:     global_buffer
      - .offset:         16
        .size:           8
        .value_kind:     by_value
      - .offset:         24
        .size:           4
        .value_kind:     by_value
      - .offset:         32
        .size:           8
        .value_kind:     by_value
      - .address_space:  global
        .offset:         40
        .size:           8
        .value_kind:     global_buffer
      - .offset:         48
        .size:           8
        .value_kind:     by_value
      - .offset:         56
        .size:           8
        .value_kind:     by_value
      - .address_space:  global
        .offset:         64
        .size:           8
        .value_kind:     global_buffer
      - .offset:         72
        .size:           4
        .value_kind:     by_value
      - .offset:         76
        .size:           4
        .value_kind:     by_value
      - .address_space:  global
        .offset:         80
        .size:           8
        .value_kind:     global_buffer
      - .offset:         88
        .size:           8
        .value_kind:     by_value
      - .offset:         96
        .size:           4
        .value_kind:     hidden_block_count_x
      - .offset:         100
        .size:           4
        .value_kind:     hidden_block_count_y
      - .offset:         104
        .size:           4
        .value_kind:     hidden_block_count_z
      - .offset:         108
        .size:           2
        .value_kind:     hidden_group_size_x
      - .offset:         110
        .size:           2
        .value_kind:     hidden_group_size_y
      - .offset:         112
        .size:           2
        .value_kind:     hidden_group_size_z
      - .offset:         114
        .size:           2
        .value_kind:     hidden_remainder_x
      - .offset:         116
        .size:           2
        .value_kind:     hidden_remainder_y
      - .offset:         118
        .size:           2
        .value_kind:     hidden_remainder_z
      - .offset:         136
        .size:           8
        .value_kind:     hidden_global_offset_x
      - .offset:         144
        .size:           8
        .value_kind:     hidden_global_offset_y
      - .offset:         152
        .size:           8
        .value_kind:     hidden_global_offset_z
      - .offset:         160
        .size:           2
        .value_kind:     hidden_grid_dims
      - .offset:         216
        .size:           4
        .value_kind:     hidden_dynamic_lds_size
    .group_segment_fixed_size: 0
    .kernarg_segment_align: 8
    .kernarg_segment_size: 352
    .language:       OpenCL C
    .language_version:
      - 2
      - 0
    .max_flat_workgroup_size: 512
    .name:           _ZN9rocsolver6v33100L18getf2_small_kernelILi23EdiiPKPdEEvT1_T3_lS5_lPS5_llPT2_S5_S5_S7_l
    .private_segment_fixed_size: 0
    .sgpr_count:     24
    .sgpr_spill_count: 0
    .symbol:         _ZN9rocsolver6v33100L18getf2_small_kernelILi23EdiiPKPdEEvT1_T3_lS5_lPS5_llPT2_S5_S5_S7_l.kd
    .uniform_work_group_size: 1
    .uses_dynamic_stack: false
    .vgpr_count:     72
    .vgpr_spill_count: 0
    .wavefront_size: 64
  - .agpr_count:     0
    .args:
      - .offset:         0
        .size:           4
        .value_kind:     by_value
      - .address_space:  global
        .offset:         8
        .size:           8
        .value_kind:     global_buffer
      - .offset:         16
        .size:           8
        .value_kind:     by_value
      - .offset:         24
        .size:           4
        .value_kind:     by_value
      - .offset:         32
        .size:           8
        .value_kind:     by_value
      - .address_space:  global
        .offset:         40
        .size:           8
        .value_kind:     global_buffer
      - .offset:         48
        .size:           4
        .value_kind:     by_value
      - .offset:         52
        .size:           4
        .value_kind:     by_value
      - .offset:         56
        .size:           4
        .value_kind:     hidden_block_count_x
      - .offset:         60
        .size:           4
        .value_kind:     hidden_block_count_y
      - .offset:         64
        .size:           4
        .value_kind:     hidden_block_count_z
      - .offset:         68
        .size:           2
        .value_kind:     hidden_group_size_x
      - .offset:         70
        .size:           2
        .value_kind:     hidden_group_size_y
      - .offset:         72
        .size:           2
        .value_kind:     hidden_group_size_z
      - .offset:         74
        .size:           2
        .value_kind:     hidden_remainder_x
      - .offset:         76
        .size:           2
        .value_kind:     hidden_remainder_y
      - .offset:         78
        .size:           2
        .value_kind:     hidden_remainder_z
      - .offset:         96
        .size:           8
        .value_kind:     hidden_global_offset_x
      - .offset:         104
        .size:           8
        .value_kind:     hidden_global_offset_y
      - .offset:         112
        .size:           8
        .value_kind:     hidden_global_offset_z
      - .offset:         120
        .size:           2
        .value_kind:     hidden_grid_dims
      - .offset:         176
        .size:           4
        .value_kind:     hidden_dynamic_lds_size
    .group_segment_fixed_size: 0
    .kernarg_segment_align: 8
    .kernarg_segment_size: 312
    .language:       OpenCL C
    .language_version:
      - 2
      - 0
    .max_flat_workgroup_size: 512
    .name:           _ZN9rocsolver6v33100L23getf2_npvt_small_kernelILi23EdiiPKPdEEvT1_T3_lS5_lPT2_S5_S5_
    .private_segment_fixed_size: 0
    .sgpr_count:     20
    .sgpr_spill_count: 0
    .symbol:         _ZN9rocsolver6v33100L23getf2_npvt_small_kernelILi23EdiiPKPdEEvT1_T3_lS5_lPT2_S5_S5_.kd
    .uniform_work_group_size: 1
    .uses_dynamic_stack: false
    .vgpr_count:     150
    .vgpr_spill_count: 0
    .wavefront_size: 64
  - .agpr_count:     0
    .args:
      - .offset:         0
        .size:           4
        .value_kind:     by_value
      - .address_space:  global
        .offset:         8
        .size:           8
        .value_kind:     global_buffer
      - .offset:         16
        .size:           8
        .value_kind:     by_value
      - .offset:         24
        .size:           4
        .value_kind:     by_value
      - .offset:         32
        .size:           8
        .value_kind:     by_value
      - .address_space:  global
        .offset:         40
        .size:           8
        .value_kind:     global_buffer
      - .offset:         48
        .size:           8
        .value_kind:     by_value
      - .offset:         56
        .size:           8
        .value_kind:     by_value
      - .address_space:  global
        .offset:         64
        .size:           8
        .value_kind:     global_buffer
      - .offset:         72
        .size:           4
        .value_kind:     by_value
      - .offset:         76
        .size:           4
        .value_kind:     by_value
      - .address_space:  global
        .offset:         80
        .size:           8
        .value_kind:     global_buffer
      - .offset:         88
        .size:           8
        .value_kind:     by_value
      - .offset:         96
        .size:           4
        .value_kind:     hidden_block_count_x
      - .offset:         100
        .size:           4
        .value_kind:     hidden_block_count_y
      - .offset:         104
        .size:           4
        .value_kind:     hidden_block_count_z
      - .offset:         108
        .size:           2
        .value_kind:     hidden_group_size_x
      - .offset:         110
        .size:           2
        .value_kind:     hidden_group_size_y
      - .offset:         112
        .size:           2
        .value_kind:     hidden_group_size_z
      - .offset:         114
        .size:           2
        .value_kind:     hidden_remainder_x
      - .offset:         116
        .size:           2
        .value_kind:     hidden_remainder_y
      - .offset:         118
        .size:           2
        .value_kind:     hidden_remainder_z
      - .offset:         136
        .size:           8
        .value_kind:     hidden_global_offset_x
      - .offset:         144
        .size:           8
        .value_kind:     hidden_global_offset_y
      - .offset:         152
        .size:           8
        .value_kind:     hidden_global_offset_z
      - .offset:         160
        .size:           2
        .value_kind:     hidden_grid_dims
      - .offset:         216
        .size:           4
        .value_kind:     hidden_dynamic_lds_size
    .group_segment_fixed_size: 0
    .kernarg_segment_align: 8
    .kernarg_segment_size: 352
    .language:       OpenCL C
    .language_version:
      - 2
      - 0
    .max_flat_workgroup_size: 512
    .name:           _ZN9rocsolver6v33100L18getf2_small_kernelILi24EdiiPKPdEEvT1_T3_lS5_lPS5_llPT2_S5_S5_S7_l
    .private_segment_fixed_size: 0
    .sgpr_count:     24
    .sgpr_spill_count: 0
    .symbol:         _ZN9rocsolver6v33100L18getf2_small_kernelILi24EdiiPKPdEEvT1_T3_lS5_lPS5_llPT2_S5_S5_S7_l.kd
    .uniform_work_group_size: 1
    .uses_dynamic_stack: false
    .vgpr_count:     74
    .vgpr_spill_count: 0
    .wavefront_size: 64
  - .agpr_count:     0
    .args:
      - .offset:         0
        .size:           4
        .value_kind:     by_value
      - .address_space:  global
        .offset:         8
        .size:           8
        .value_kind:     global_buffer
      - .offset:         16
        .size:           8
        .value_kind:     by_value
      - .offset:         24
        .size:           4
        .value_kind:     by_value
      - .offset:         32
        .size:           8
        .value_kind:     by_value
      - .address_space:  global
        .offset:         40
        .size:           8
        .value_kind:     global_buffer
      - .offset:         48
        .size:           4
        .value_kind:     by_value
      - .offset:         52
        .size:           4
        .value_kind:     by_value
      - .offset:         56
        .size:           4
        .value_kind:     hidden_block_count_x
      - .offset:         60
        .size:           4
        .value_kind:     hidden_block_count_y
      - .offset:         64
        .size:           4
        .value_kind:     hidden_block_count_z
      - .offset:         68
        .size:           2
        .value_kind:     hidden_group_size_x
      - .offset:         70
        .size:           2
        .value_kind:     hidden_group_size_y
      - .offset:         72
        .size:           2
        .value_kind:     hidden_group_size_z
      - .offset:         74
        .size:           2
        .value_kind:     hidden_remainder_x
      - .offset:         76
        .size:           2
        .value_kind:     hidden_remainder_y
      - .offset:         78
        .size:           2
        .value_kind:     hidden_remainder_z
      - .offset:         96
        .size:           8
        .value_kind:     hidden_global_offset_x
      - .offset:         104
        .size:           8
        .value_kind:     hidden_global_offset_y
      - .offset:         112
        .size:           8
        .value_kind:     hidden_global_offset_z
      - .offset:         120
        .size:           2
        .value_kind:     hidden_grid_dims
      - .offset:         176
        .size:           4
        .value_kind:     hidden_dynamic_lds_size
    .group_segment_fixed_size: 0
    .kernarg_segment_align: 8
    .kernarg_segment_size: 312
    .language:       OpenCL C
    .language_version:
      - 2
      - 0
    .max_flat_workgroup_size: 512
    .name:           _ZN9rocsolver6v33100L23getf2_npvt_small_kernelILi24EdiiPKPdEEvT1_T3_lS5_lPT2_S5_S5_
    .private_segment_fixed_size: 0
    .sgpr_count:     20
    .sgpr_spill_count: 0
    .symbol:         _ZN9rocsolver6v33100L23getf2_npvt_small_kernelILi24EdiiPKPdEEvT1_T3_lS5_lPT2_S5_S5_.kd
    .uniform_work_group_size: 1
    .uses_dynamic_stack: false
    .vgpr_count:     156
    .vgpr_spill_count: 0
    .wavefront_size: 64
  - .agpr_count:     0
    .args:
      - .offset:         0
        .size:           4
        .value_kind:     by_value
      - .address_space:  global
        .offset:         8
        .size:           8
        .value_kind:     global_buffer
      - .offset:         16
        .size:           8
        .value_kind:     by_value
      - .offset:         24
        .size:           4
        .value_kind:     by_value
      - .offset:         32
        .size:           8
        .value_kind:     by_value
      - .address_space:  global
        .offset:         40
        .size:           8
        .value_kind:     global_buffer
      - .offset:         48
        .size:           8
        .value_kind:     by_value
      - .offset:         56
        .size:           8
        .value_kind:     by_value
      - .address_space:  global
        .offset:         64
        .size:           8
        .value_kind:     global_buffer
      - .offset:         72
        .size:           4
        .value_kind:     by_value
      - .offset:         76
        .size:           4
        .value_kind:     by_value
      - .address_space:  global
        .offset:         80
        .size:           8
        .value_kind:     global_buffer
      - .offset:         88
        .size:           8
        .value_kind:     by_value
      - .offset:         96
        .size:           4
        .value_kind:     hidden_block_count_x
      - .offset:         100
        .size:           4
        .value_kind:     hidden_block_count_y
      - .offset:         104
        .size:           4
        .value_kind:     hidden_block_count_z
      - .offset:         108
        .size:           2
        .value_kind:     hidden_group_size_x
      - .offset:         110
        .size:           2
        .value_kind:     hidden_group_size_y
      - .offset:         112
        .size:           2
        .value_kind:     hidden_group_size_z
      - .offset:         114
        .size:           2
        .value_kind:     hidden_remainder_x
      - .offset:         116
        .size:           2
        .value_kind:     hidden_remainder_y
      - .offset:         118
        .size:           2
        .value_kind:     hidden_remainder_z
      - .offset:         136
        .size:           8
        .value_kind:     hidden_global_offset_x
      - .offset:         144
        .size:           8
        .value_kind:     hidden_global_offset_y
      - .offset:         152
        .size:           8
        .value_kind:     hidden_global_offset_z
      - .offset:         160
        .size:           2
        .value_kind:     hidden_grid_dims
      - .offset:         216
        .size:           4
        .value_kind:     hidden_dynamic_lds_size
    .group_segment_fixed_size: 0
    .kernarg_segment_align: 8
    .kernarg_segment_size: 352
    .language:       OpenCL C
    .language_version:
      - 2
      - 0
    .max_flat_workgroup_size: 512
    .name:           _ZN9rocsolver6v33100L18getf2_small_kernelILi25EdiiPKPdEEvT1_T3_lS5_lPS5_llPT2_S5_S5_S7_l
    .private_segment_fixed_size: 0
    .sgpr_count:     24
    .sgpr_spill_count: 0
    .symbol:         _ZN9rocsolver6v33100L18getf2_small_kernelILi25EdiiPKPdEEvT1_T3_lS5_lPS5_llPT2_S5_S5_S7_l.kd
    .uniform_work_group_size: 1
    .uses_dynamic_stack: false
    .vgpr_count:     76
    .vgpr_spill_count: 0
    .wavefront_size: 64
  - .agpr_count:     0
    .args:
      - .offset:         0
        .size:           4
        .value_kind:     by_value
      - .address_space:  global
        .offset:         8
        .size:           8
        .value_kind:     global_buffer
      - .offset:         16
        .size:           8
        .value_kind:     by_value
      - .offset:         24
        .size:           4
        .value_kind:     by_value
      - .offset:         32
        .size:           8
        .value_kind:     by_value
      - .address_space:  global
        .offset:         40
        .size:           8
        .value_kind:     global_buffer
      - .offset:         48
        .size:           4
        .value_kind:     by_value
      - .offset:         52
        .size:           4
        .value_kind:     by_value
      - .offset:         56
        .size:           4
        .value_kind:     hidden_block_count_x
      - .offset:         60
        .size:           4
        .value_kind:     hidden_block_count_y
      - .offset:         64
        .size:           4
        .value_kind:     hidden_block_count_z
      - .offset:         68
        .size:           2
        .value_kind:     hidden_group_size_x
      - .offset:         70
        .size:           2
        .value_kind:     hidden_group_size_y
      - .offset:         72
        .size:           2
        .value_kind:     hidden_group_size_z
      - .offset:         74
        .size:           2
        .value_kind:     hidden_remainder_x
      - .offset:         76
        .size:           2
        .value_kind:     hidden_remainder_y
      - .offset:         78
        .size:           2
        .value_kind:     hidden_remainder_z
      - .offset:         96
        .size:           8
        .value_kind:     hidden_global_offset_x
      - .offset:         104
        .size:           8
        .value_kind:     hidden_global_offset_y
      - .offset:         112
        .size:           8
        .value_kind:     hidden_global_offset_z
      - .offset:         120
        .size:           2
        .value_kind:     hidden_grid_dims
      - .offset:         176
        .size:           4
        .value_kind:     hidden_dynamic_lds_size
    .group_segment_fixed_size: 0
    .kernarg_segment_align: 8
    .kernarg_segment_size: 312
    .language:       OpenCL C
    .language_version:
      - 2
      - 0
    .max_flat_workgroup_size: 512
    .name:           _ZN9rocsolver6v33100L23getf2_npvt_small_kernelILi25EdiiPKPdEEvT1_T3_lS5_lPT2_S5_S5_
    .private_segment_fixed_size: 0
    .sgpr_count:     20
    .sgpr_spill_count: 0
    .symbol:         _ZN9rocsolver6v33100L23getf2_npvt_small_kernelILi25EdiiPKPdEEvT1_T3_lS5_lPT2_S5_S5_.kd
    .uniform_work_group_size: 1
    .uses_dynamic_stack: false
    .vgpr_count:     162
    .vgpr_spill_count: 0
    .wavefront_size: 64
  - .agpr_count:     0
    .args:
      - .offset:         0
        .size:           4
        .value_kind:     by_value
      - .address_space:  global
        .offset:         8
        .size:           8
        .value_kind:     global_buffer
      - .offset:         16
        .size:           8
        .value_kind:     by_value
      - .offset:         24
        .size:           4
        .value_kind:     by_value
      - .offset:         32
        .size:           8
        .value_kind:     by_value
      - .address_space:  global
        .offset:         40
        .size:           8
        .value_kind:     global_buffer
      - .offset:         48
        .size:           8
        .value_kind:     by_value
      - .offset:         56
        .size:           8
        .value_kind:     by_value
      - .address_space:  global
        .offset:         64
        .size:           8
        .value_kind:     global_buffer
      - .offset:         72
        .size:           4
        .value_kind:     by_value
      - .offset:         76
        .size:           4
        .value_kind:     by_value
      - .address_space:  global
        .offset:         80
        .size:           8
        .value_kind:     global_buffer
      - .offset:         88
        .size:           8
        .value_kind:     by_value
      - .offset:         96
        .size:           4
        .value_kind:     hidden_block_count_x
      - .offset:         100
        .size:           4
        .value_kind:     hidden_block_count_y
      - .offset:         104
        .size:           4
        .value_kind:     hidden_block_count_z
      - .offset:         108
        .size:           2
        .value_kind:     hidden_group_size_x
      - .offset:         110
        .size:           2
        .value_kind:     hidden_group_size_y
      - .offset:         112
        .size:           2
        .value_kind:     hidden_group_size_z
      - .offset:         114
        .size:           2
        .value_kind:     hidden_remainder_x
      - .offset:         116
        .size:           2
        .value_kind:     hidden_remainder_y
      - .offset:         118
        .size:           2
        .value_kind:     hidden_remainder_z
      - .offset:         136
        .size:           8
        .value_kind:     hidden_global_offset_x
      - .offset:         144
        .size:           8
        .value_kind:     hidden_global_offset_y
      - .offset:         152
        .size:           8
        .value_kind:     hidden_global_offset_z
      - .offset:         160
        .size:           2
        .value_kind:     hidden_grid_dims
      - .offset:         216
        .size:           4
        .value_kind:     hidden_dynamic_lds_size
    .group_segment_fixed_size: 0
    .kernarg_segment_align: 8
    .kernarg_segment_size: 352
    .language:       OpenCL C
    .language_version:
      - 2
      - 0
    .max_flat_workgroup_size: 512
    .name:           _ZN9rocsolver6v33100L18getf2_small_kernelILi26EdiiPKPdEEvT1_T3_lS5_lPS5_llPT2_S5_S5_S7_l
    .private_segment_fixed_size: 0
    .sgpr_count:     24
    .sgpr_spill_count: 0
    .symbol:         _ZN9rocsolver6v33100L18getf2_small_kernelILi26EdiiPKPdEEvT1_T3_lS5_lPS5_llPT2_S5_S5_S7_l.kd
    .uniform_work_group_size: 1
    .uses_dynamic_stack: false
    .vgpr_count:     78
    .vgpr_spill_count: 0
    .wavefront_size: 64
  - .agpr_count:     0
    .args:
      - .offset:         0
        .size:           4
        .value_kind:     by_value
      - .address_space:  global
        .offset:         8
        .size:           8
        .value_kind:     global_buffer
      - .offset:         16
        .size:           8
        .value_kind:     by_value
      - .offset:         24
        .size:           4
        .value_kind:     by_value
      - .offset:         32
        .size:           8
        .value_kind:     by_value
      - .address_space:  global
        .offset:         40
        .size:           8
        .value_kind:     global_buffer
      - .offset:         48
        .size:           4
        .value_kind:     by_value
      - .offset:         52
        .size:           4
        .value_kind:     by_value
      - .offset:         56
        .size:           4
        .value_kind:     hidden_block_count_x
      - .offset:         60
        .size:           4
        .value_kind:     hidden_block_count_y
      - .offset:         64
        .size:           4
        .value_kind:     hidden_block_count_z
      - .offset:         68
        .size:           2
        .value_kind:     hidden_group_size_x
      - .offset:         70
        .size:           2
        .value_kind:     hidden_group_size_y
      - .offset:         72
        .size:           2
        .value_kind:     hidden_group_size_z
      - .offset:         74
        .size:           2
        .value_kind:     hidden_remainder_x
      - .offset:         76
        .size:           2
        .value_kind:     hidden_remainder_y
      - .offset:         78
        .size:           2
        .value_kind:     hidden_remainder_z
      - .offset:         96
        .size:           8
        .value_kind:     hidden_global_offset_x
      - .offset:         104
        .size:           8
        .value_kind:     hidden_global_offset_y
      - .offset:         112
        .size:           8
        .value_kind:     hidden_global_offset_z
      - .offset:         120
        .size:           2
        .value_kind:     hidden_grid_dims
      - .offset:         176
        .size:           4
        .value_kind:     hidden_dynamic_lds_size
    .group_segment_fixed_size: 0
    .kernarg_segment_align: 8
    .kernarg_segment_size: 312
    .language:       OpenCL C
    .language_version:
      - 2
      - 0
    .max_flat_workgroup_size: 512
    .name:           _ZN9rocsolver6v33100L23getf2_npvt_small_kernelILi26EdiiPKPdEEvT1_T3_lS5_lPT2_S5_S5_
    .private_segment_fixed_size: 0
    .sgpr_count:     20
    .sgpr_spill_count: 0
    .symbol:         _ZN9rocsolver6v33100L23getf2_npvt_small_kernelILi26EdiiPKPdEEvT1_T3_lS5_lPT2_S5_S5_.kd
    .uniform_work_group_size: 1
    .uses_dynamic_stack: false
    .vgpr_count:     168
    .vgpr_spill_count: 0
    .wavefront_size: 64
  - .agpr_count:     0
    .args:
      - .offset:         0
        .size:           4
        .value_kind:     by_value
      - .address_space:  global
        .offset:         8
        .size:           8
        .value_kind:     global_buffer
      - .offset:         16
        .size:           8
        .value_kind:     by_value
      - .offset:         24
        .size:           4
        .value_kind:     by_value
      - .offset:         32
        .size:           8
        .value_kind:     by_value
      - .address_space:  global
        .offset:         40
        .size:           8
        .value_kind:     global_buffer
      - .offset:         48
        .size:           8
        .value_kind:     by_value
      - .offset:         56
        .size:           8
        .value_kind:     by_value
      - .address_space:  global
        .offset:         64
        .size:           8
        .value_kind:     global_buffer
      - .offset:         72
        .size:           4
        .value_kind:     by_value
      - .offset:         76
        .size:           4
        .value_kind:     by_value
      - .address_space:  global
        .offset:         80
        .size:           8
        .value_kind:     global_buffer
      - .offset:         88
        .size:           8
        .value_kind:     by_value
      - .offset:         96
        .size:           4
        .value_kind:     hidden_block_count_x
      - .offset:         100
        .size:           4
        .value_kind:     hidden_block_count_y
      - .offset:         104
        .size:           4
        .value_kind:     hidden_block_count_z
      - .offset:         108
        .size:           2
        .value_kind:     hidden_group_size_x
      - .offset:         110
        .size:           2
        .value_kind:     hidden_group_size_y
      - .offset:         112
        .size:           2
        .value_kind:     hidden_group_size_z
      - .offset:         114
        .size:           2
        .value_kind:     hidden_remainder_x
      - .offset:         116
        .size:           2
        .value_kind:     hidden_remainder_y
      - .offset:         118
        .size:           2
        .value_kind:     hidden_remainder_z
      - .offset:         136
        .size:           8
        .value_kind:     hidden_global_offset_x
      - .offset:         144
        .size:           8
        .value_kind:     hidden_global_offset_y
      - .offset:         152
        .size:           8
        .value_kind:     hidden_global_offset_z
      - .offset:         160
        .size:           2
        .value_kind:     hidden_grid_dims
      - .offset:         216
        .size:           4
        .value_kind:     hidden_dynamic_lds_size
    .group_segment_fixed_size: 0
    .kernarg_segment_align: 8
    .kernarg_segment_size: 352
    .language:       OpenCL C
    .language_version:
      - 2
      - 0
    .max_flat_workgroup_size: 512
    .name:           _ZN9rocsolver6v33100L18getf2_small_kernelILi27EdiiPKPdEEvT1_T3_lS5_lPS5_llPT2_S5_S5_S7_l
    .private_segment_fixed_size: 0
    .sgpr_count:     24
    .sgpr_spill_count: 0
    .symbol:         _ZN9rocsolver6v33100L18getf2_small_kernelILi27EdiiPKPdEEvT1_T3_lS5_lPS5_llPT2_S5_S5_S7_l.kd
    .uniform_work_group_size: 1
    .uses_dynamic_stack: false
    .vgpr_count:     94
    .vgpr_spill_count: 0
    .wavefront_size: 64
  - .agpr_count:     0
    .args:
      - .offset:         0
        .size:           4
        .value_kind:     by_value
      - .address_space:  global
        .offset:         8
        .size:           8
        .value_kind:     global_buffer
      - .offset:         16
        .size:           8
        .value_kind:     by_value
      - .offset:         24
        .size:           4
        .value_kind:     by_value
      - .offset:         32
        .size:           8
        .value_kind:     by_value
      - .address_space:  global
        .offset:         40
        .size:           8
        .value_kind:     global_buffer
      - .offset:         48
        .size:           4
        .value_kind:     by_value
      - .offset:         52
        .size:           4
        .value_kind:     by_value
      - .offset:         56
        .size:           4
        .value_kind:     hidden_block_count_x
      - .offset:         60
        .size:           4
        .value_kind:     hidden_block_count_y
      - .offset:         64
        .size:           4
        .value_kind:     hidden_block_count_z
      - .offset:         68
        .size:           2
        .value_kind:     hidden_group_size_x
      - .offset:         70
        .size:           2
        .value_kind:     hidden_group_size_y
      - .offset:         72
        .size:           2
        .value_kind:     hidden_group_size_z
      - .offset:         74
        .size:           2
        .value_kind:     hidden_remainder_x
      - .offset:         76
        .size:           2
        .value_kind:     hidden_remainder_y
      - .offset:         78
        .size:           2
        .value_kind:     hidden_remainder_z
      - .offset:         96
        .size:           8
        .value_kind:     hidden_global_offset_x
      - .offset:         104
        .size:           8
        .value_kind:     hidden_global_offset_y
      - .offset:         112
        .size:           8
        .value_kind:     hidden_global_offset_z
      - .offset:         120
        .size:           2
        .value_kind:     hidden_grid_dims
      - .offset:         176
        .size:           4
        .value_kind:     hidden_dynamic_lds_size
    .group_segment_fixed_size: 0
    .kernarg_segment_align: 8
    .kernarg_segment_size: 312
    .language:       OpenCL C
    .language_version:
      - 2
      - 0
    .max_flat_workgroup_size: 512
    .name:           _ZN9rocsolver6v33100L23getf2_npvt_small_kernelILi27EdiiPKPdEEvT1_T3_lS5_lPT2_S5_S5_
    .private_segment_fixed_size: 0
    .sgpr_count:     20
    .sgpr_spill_count: 0
    .symbol:         _ZN9rocsolver6v33100L23getf2_npvt_small_kernelILi27EdiiPKPdEEvT1_T3_lS5_lPT2_S5_S5_.kd
    .uniform_work_group_size: 1
    .uses_dynamic_stack: false
    .vgpr_count:     174
    .vgpr_spill_count: 0
    .wavefront_size: 64
  - .agpr_count:     0
    .args:
      - .offset:         0
        .size:           4
        .value_kind:     by_value
      - .address_space:  global
        .offset:         8
        .size:           8
        .value_kind:     global_buffer
      - .offset:         16
        .size:           8
        .value_kind:     by_value
      - .offset:         24
        .size:           4
        .value_kind:     by_value
      - .offset:         32
        .size:           8
        .value_kind:     by_value
      - .address_space:  global
        .offset:         40
        .size:           8
        .value_kind:     global_buffer
      - .offset:         48
        .size:           8
        .value_kind:     by_value
      - .offset:         56
        .size:           8
        .value_kind:     by_value
      - .address_space:  global
        .offset:         64
        .size:           8
        .value_kind:     global_buffer
      - .offset:         72
        .size:           4
        .value_kind:     by_value
      - .offset:         76
        .size:           4
        .value_kind:     by_value
      - .address_space:  global
        .offset:         80
        .size:           8
        .value_kind:     global_buffer
      - .offset:         88
        .size:           8
        .value_kind:     by_value
      - .offset:         96
        .size:           4
        .value_kind:     hidden_block_count_x
      - .offset:         100
        .size:           4
        .value_kind:     hidden_block_count_y
      - .offset:         104
        .size:           4
        .value_kind:     hidden_block_count_z
      - .offset:         108
        .size:           2
        .value_kind:     hidden_group_size_x
      - .offset:         110
        .size:           2
        .value_kind:     hidden_group_size_y
      - .offset:         112
        .size:           2
        .value_kind:     hidden_group_size_z
      - .offset:         114
        .size:           2
        .value_kind:     hidden_remainder_x
      - .offset:         116
        .size:           2
        .value_kind:     hidden_remainder_y
      - .offset:         118
        .size:           2
        .value_kind:     hidden_remainder_z
      - .offset:         136
        .size:           8
        .value_kind:     hidden_global_offset_x
      - .offset:         144
        .size:           8
        .value_kind:     hidden_global_offset_y
      - .offset:         152
        .size:           8
        .value_kind:     hidden_global_offset_z
      - .offset:         160
        .size:           2
        .value_kind:     hidden_grid_dims
      - .offset:         216
        .size:           4
        .value_kind:     hidden_dynamic_lds_size
    .group_segment_fixed_size: 0
    .kernarg_segment_align: 8
    .kernarg_segment_size: 352
    .language:       OpenCL C
    .language_version:
      - 2
      - 0
    .max_flat_workgroup_size: 512
    .name:           _ZN9rocsolver6v33100L18getf2_small_kernelILi28EdiiPKPdEEvT1_T3_lS5_lPS5_llPT2_S5_S5_S7_l
    .private_segment_fixed_size: 0
    .sgpr_count:     26
    .sgpr_spill_count: 0
    .symbol:         _ZN9rocsolver6v33100L18getf2_small_kernelILi28EdiiPKPdEEvT1_T3_lS5_lPS5_llPT2_S5_S5_S7_l.kd
    .uniform_work_group_size: 1
    .uses_dynamic_stack: false
    .vgpr_count:     96
    .vgpr_spill_count: 0
    .wavefront_size: 64
  - .agpr_count:     0
    .args:
      - .offset:         0
        .size:           4
        .value_kind:     by_value
      - .address_space:  global
        .offset:         8
        .size:           8
        .value_kind:     global_buffer
      - .offset:         16
        .size:           8
        .value_kind:     by_value
      - .offset:         24
        .size:           4
        .value_kind:     by_value
      - .offset:         32
        .size:           8
        .value_kind:     by_value
      - .address_space:  global
        .offset:         40
        .size:           8
        .value_kind:     global_buffer
      - .offset:         48
        .size:           4
        .value_kind:     by_value
      - .offset:         52
        .size:           4
        .value_kind:     by_value
      - .offset:         56
        .size:           4
        .value_kind:     hidden_block_count_x
      - .offset:         60
        .size:           4
        .value_kind:     hidden_block_count_y
      - .offset:         64
        .size:           4
        .value_kind:     hidden_block_count_z
      - .offset:         68
        .size:           2
        .value_kind:     hidden_group_size_x
      - .offset:         70
        .size:           2
        .value_kind:     hidden_group_size_y
      - .offset:         72
        .size:           2
        .value_kind:     hidden_group_size_z
      - .offset:         74
        .size:           2
        .value_kind:     hidden_remainder_x
      - .offset:         76
        .size:           2
        .value_kind:     hidden_remainder_y
      - .offset:         78
        .size:           2
        .value_kind:     hidden_remainder_z
      - .offset:         96
        .size:           8
        .value_kind:     hidden_global_offset_x
      - .offset:         104
        .size:           8
        .value_kind:     hidden_global_offset_y
      - .offset:         112
        .size:           8
        .value_kind:     hidden_global_offset_z
      - .offset:         120
        .size:           2
        .value_kind:     hidden_grid_dims
      - .offset:         176
        .size:           4
        .value_kind:     hidden_dynamic_lds_size
    .group_segment_fixed_size: 0
    .kernarg_segment_align: 8
    .kernarg_segment_size: 312
    .language:       OpenCL C
    .language_version:
      - 2
      - 0
    .max_flat_workgroup_size: 512
    .name:           _ZN9rocsolver6v33100L23getf2_npvt_small_kernelILi28EdiiPKPdEEvT1_T3_lS5_lPT2_S5_S5_
    .private_segment_fixed_size: 0
    .sgpr_count:     20
    .sgpr_spill_count: 0
    .symbol:         _ZN9rocsolver6v33100L23getf2_npvt_small_kernelILi28EdiiPKPdEEvT1_T3_lS5_lPT2_S5_S5_.kd
    .uniform_work_group_size: 1
    .uses_dynamic_stack: false
    .vgpr_count:     180
    .vgpr_spill_count: 0
    .wavefront_size: 64
  - .agpr_count:     0
    .args:
      - .offset:         0
        .size:           4
        .value_kind:     by_value
      - .address_space:  global
        .offset:         8
        .size:           8
        .value_kind:     global_buffer
      - .offset:         16
        .size:           8
        .value_kind:     by_value
      - .offset:         24
        .size:           4
        .value_kind:     by_value
      - .offset:         32
        .size:           8
        .value_kind:     by_value
      - .address_space:  global
        .offset:         40
        .size:           8
        .value_kind:     global_buffer
      - .offset:         48
        .size:           8
        .value_kind:     by_value
      - .offset:         56
        .size:           8
        .value_kind:     by_value
      - .address_space:  global
        .offset:         64
        .size:           8
        .value_kind:     global_buffer
      - .offset:         72
        .size:           4
        .value_kind:     by_value
      - .offset:         76
        .size:           4
        .value_kind:     by_value
      - .address_space:  global
        .offset:         80
        .size:           8
        .value_kind:     global_buffer
      - .offset:         88
        .size:           8
        .value_kind:     by_value
      - .offset:         96
        .size:           4
        .value_kind:     hidden_block_count_x
      - .offset:         100
        .size:           4
        .value_kind:     hidden_block_count_y
      - .offset:         104
        .size:           4
        .value_kind:     hidden_block_count_z
      - .offset:         108
        .size:           2
        .value_kind:     hidden_group_size_x
      - .offset:         110
        .size:           2
        .value_kind:     hidden_group_size_y
      - .offset:         112
        .size:           2
        .value_kind:     hidden_group_size_z
      - .offset:         114
        .size:           2
        .value_kind:     hidden_remainder_x
      - .offset:         116
        .size:           2
        .value_kind:     hidden_remainder_y
      - .offset:         118
        .size:           2
        .value_kind:     hidden_remainder_z
      - .offset:         136
        .size:           8
        .value_kind:     hidden_global_offset_x
      - .offset:         144
        .size:           8
        .value_kind:     hidden_global_offset_y
      - .offset:         152
        .size:           8
        .value_kind:     hidden_global_offset_z
      - .offset:         160
        .size:           2
        .value_kind:     hidden_grid_dims
      - .offset:         216
        .size:           4
        .value_kind:     hidden_dynamic_lds_size
    .group_segment_fixed_size: 0
    .kernarg_segment_align: 8
    .kernarg_segment_size: 352
    .language:       OpenCL C
    .language_version:
      - 2
      - 0
    .max_flat_workgroup_size: 512
    .name:           _ZN9rocsolver6v33100L18getf2_small_kernelILi29EdiiPKPdEEvT1_T3_lS5_lPS5_llPT2_S5_S5_S7_l
    .private_segment_fixed_size: 0
    .sgpr_count:     26
    .sgpr_spill_count: 0
    .symbol:         _ZN9rocsolver6v33100L18getf2_small_kernelILi29EdiiPKPdEEvT1_T3_lS5_lPS5_llPT2_S5_S5_S7_l.kd
    .uniform_work_group_size: 1
    .uses_dynamic_stack: false
    .vgpr_count:     98
    .vgpr_spill_count: 0
    .wavefront_size: 64
  - .agpr_count:     0
    .args:
      - .offset:         0
        .size:           4
        .value_kind:     by_value
      - .address_space:  global
        .offset:         8
        .size:           8
        .value_kind:     global_buffer
      - .offset:         16
        .size:           8
        .value_kind:     by_value
      - .offset:         24
        .size:           4
        .value_kind:     by_value
      - .offset:         32
        .size:           8
        .value_kind:     by_value
      - .address_space:  global
        .offset:         40
        .size:           8
        .value_kind:     global_buffer
      - .offset:         48
        .size:           4
        .value_kind:     by_value
      - .offset:         52
        .size:           4
        .value_kind:     by_value
      - .offset:         56
        .size:           4
        .value_kind:     hidden_block_count_x
      - .offset:         60
        .size:           4
        .value_kind:     hidden_block_count_y
      - .offset:         64
        .size:           4
        .value_kind:     hidden_block_count_z
      - .offset:         68
        .size:           2
        .value_kind:     hidden_group_size_x
      - .offset:         70
        .size:           2
        .value_kind:     hidden_group_size_y
      - .offset:         72
        .size:           2
        .value_kind:     hidden_group_size_z
      - .offset:         74
        .size:           2
        .value_kind:     hidden_remainder_x
      - .offset:         76
        .size:           2
        .value_kind:     hidden_remainder_y
      - .offset:         78
        .size:           2
        .value_kind:     hidden_remainder_z
      - .offset:         96
        .size:           8
        .value_kind:     hidden_global_offset_x
      - .offset:         104
        .size:           8
        .value_kind:     hidden_global_offset_y
      - .offset:         112
        .size:           8
        .value_kind:     hidden_global_offset_z
      - .offset:         120
        .size:           2
        .value_kind:     hidden_grid_dims
      - .offset:         176
        .size:           4
        .value_kind:     hidden_dynamic_lds_size
    .group_segment_fixed_size: 0
    .kernarg_segment_align: 8
    .kernarg_segment_size: 312
    .language:       OpenCL C
    .language_version:
      - 2
      - 0
    .max_flat_workgroup_size: 512
    .name:           _ZN9rocsolver6v33100L23getf2_npvt_small_kernelILi29EdiiPKPdEEvT1_T3_lS5_lPT2_S5_S5_
    .private_segment_fixed_size: 0
    .sgpr_count:     20
    .sgpr_spill_count: 0
    .symbol:         _ZN9rocsolver6v33100L23getf2_npvt_small_kernelILi29EdiiPKPdEEvT1_T3_lS5_lPT2_S5_S5_.kd
    .uniform_work_group_size: 1
    .uses_dynamic_stack: false
    .vgpr_count:     186
    .vgpr_spill_count: 0
    .wavefront_size: 64
  - .agpr_count:     0
    .args:
      - .offset:         0
        .size:           4
        .value_kind:     by_value
      - .address_space:  global
        .offset:         8
        .size:           8
        .value_kind:     global_buffer
      - .offset:         16
        .size:           8
        .value_kind:     by_value
      - .offset:         24
        .size:           4
        .value_kind:     by_value
      - .offset:         32
        .size:           8
        .value_kind:     by_value
      - .address_space:  global
        .offset:         40
        .size:           8
        .value_kind:     global_buffer
      - .offset:         48
        .size:           8
        .value_kind:     by_value
      - .offset:         56
        .size:           8
        .value_kind:     by_value
      - .address_space:  global
        .offset:         64
        .size:           8
        .value_kind:     global_buffer
      - .offset:         72
        .size:           4
        .value_kind:     by_value
      - .offset:         76
        .size:           4
        .value_kind:     by_value
      - .address_space:  global
        .offset:         80
        .size:           8
        .value_kind:     global_buffer
      - .offset:         88
        .size:           8
        .value_kind:     by_value
      - .offset:         96
        .size:           4
        .value_kind:     hidden_block_count_x
      - .offset:         100
        .size:           4
        .value_kind:     hidden_block_count_y
      - .offset:         104
        .size:           4
        .value_kind:     hidden_block_count_z
      - .offset:         108
        .size:           2
        .value_kind:     hidden_group_size_x
      - .offset:         110
        .size:           2
        .value_kind:     hidden_group_size_y
      - .offset:         112
        .size:           2
        .value_kind:     hidden_group_size_z
      - .offset:         114
        .size:           2
        .value_kind:     hidden_remainder_x
      - .offset:         116
        .size:           2
        .value_kind:     hidden_remainder_y
      - .offset:         118
        .size:           2
        .value_kind:     hidden_remainder_z
      - .offset:         136
        .size:           8
        .value_kind:     hidden_global_offset_x
      - .offset:         144
        .size:           8
        .value_kind:     hidden_global_offset_y
      - .offset:         152
        .size:           8
        .value_kind:     hidden_global_offset_z
      - .offset:         160
        .size:           2
        .value_kind:     hidden_grid_dims
      - .offset:         216
        .size:           4
        .value_kind:     hidden_dynamic_lds_size
    .group_segment_fixed_size: 0
    .kernarg_segment_align: 8
    .kernarg_segment_size: 352
    .language:       OpenCL C
    .language_version:
      - 2
      - 0
    .max_flat_workgroup_size: 512
    .name:           _ZN9rocsolver6v33100L18getf2_small_kernelILi30EdiiPKPdEEvT1_T3_lS5_lPS5_llPT2_S5_S5_S7_l
    .private_segment_fixed_size: 0
    .sgpr_count:     26
    .sgpr_spill_count: 0
    .symbol:         _ZN9rocsolver6v33100L18getf2_small_kernelILi30EdiiPKPdEEvT1_T3_lS5_lPS5_llPT2_S5_S5_S7_l.kd
    .uniform_work_group_size: 1
    .uses_dynamic_stack: false
    .vgpr_count:     100
    .vgpr_spill_count: 0
    .wavefront_size: 64
  - .agpr_count:     0
    .args:
      - .offset:         0
        .size:           4
        .value_kind:     by_value
      - .address_space:  global
        .offset:         8
        .size:           8
        .value_kind:     global_buffer
      - .offset:         16
        .size:           8
        .value_kind:     by_value
      - .offset:         24
        .size:           4
        .value_kind:     by_value
      - .offset:         32
        .size:           8
        .value_kind:     by_value
      - .address_space:  global
        .offset:         40
        .size:           8
        .value_kind:     global_buffer
      - .offset:         48
        .size:           4
        .value_kind:     by_value
      - .offset:         52
        .size:           4
        .value_kind:     by_value
      - .offset:         56
        .size:           4
        .value_kind:     hidden_block_count_x
      - .offset:         60
        .size:           4
        .value_kind:     hidden_block_count_y
      - .offset:         64
        .size:           4
        .value_kind:     hidden_block_count_z
      - .offset:         68
        .size:           2
        .value_kind:     hidden_group_size_x
      - .offset:         70
        .size:           2
        .value_kind:     hidden_group_size_y
      - .offset:         72
        .size:           2
        .value_kind:     hidden_group_size_z
      - .offset:         74
        .size:           2
        .value_kind:     hidden_remainder_x
      - .offset:         76
        .size:           2
        .value_kind:     hidden_remainder_y
      - .offset:         78
        .size:           2
        .value_kind:     hidden_remainder_z
      - .offset:         96
        .size:           8
        .value_kind:     hidden_global_offset_x
      - .offset:         104
        .size:           8
        .value_kind:     hidden_global_offset_y
      - .offset:         112
        .size:           8
        .value_kind:     hidden_global_offset_z
      - .offset:         120
        .size:           2
        .value_kind:     hidden_grid_dims
      - .offset:         176
        .size:           4
        .value_kind:     hidden_dynamic_lds_size
    .group_segment_fixed_size: 0
    .kernarg_segment_align: 8
    .kernarg_segment_size: 312
    .language:       OpenCL C
    .language_version:
      - 2
      - 0
    .max_flat_workgroup_size: 512
    .name:           _ZN9rocsolver6v33100L23getf2_npvt_small_kernelILi30EdiiPKPdEEvT1_T3_lS5_lPT2_S5_S5_
    .private_segment_fixed_size: 0
    .sgpr_count:     20
    .sgpr_spill_count: 0
    .symbol:         _ZN9rocsolver6v33100L23getf2_npvt_small_kernelILi30EdiiPKPdEEvT1_T3_lS5_lPT2_S5_S5_.kd
    .uniform_work_group_size: 1
    .uses_dynamic_stack: false
    .vgpr_count:     192
    .vgpr_spill_count: 0
    .wavefront_size: 64
  - .agpr_count:     0
    .args:
      - .offset:         0
        .size:           4
        .value_kind:     by_value
      - .address_space:  global
        .offset:         8
        .size:           8
        .value_kind:     global_buffer
      - .offset:         16
        .size:           8
        .value_kind:     by_value
      - .offset:         24
        .size:           4
        .value_kind:     by_value
      - .offset:         32
        .size:           8
        .value_kind:     by_value
      - .address_space:  global
        .offset:         40
        .size:           8
        .value_kind:     global_buffer
      - .offset:         48
        .size:           8
        .value_kind:     by_value
      - .offset:         56
        .size:           8
        .value_kind:     by_value
      - .address_space:  global
        .offset:         64
        .size:           8
        .value_kind:     global_buffer
      - .offset:         72
        .size:           4
        .value_kind:     by_value
      - .offset:         76
        .size:           4
        .value_kind:     by_value
      - .address_space:  global
        .offset:         80
        .size:           8
        .value_kind:     global_buffer
      - .offset:         88
        .size:           8
        .value_kind:     by_value
      - .offset:         96
        .size:           4
        .value_kind:     hidden_block_count_x
      - .offset:         100
        .size:           4
        .value_kind:     hidden_block_count_y
      - .offset:         104
        .size:           4
        .value_kind:     hidden_block_count_z
      - .offset:         108
        .size:           2
        .value_kind:     hidden_group_size_x
      - .offset:         110
        .size:           2
        .value_kind:     hidden_group_size_y
      - .offset:         112
        .size:           2
        .value_kind:     hidden_group_size_z
      - .offset:         114
        .size:           2
        .value_kind:     hidden_remainder_x
      - .offset:         116
        .size:           2
        .value_kind:     hidden_remainder_y
      - .offset:         118
        .size:           2
        .value_kind:     hidden_remainder_z
      - .offset:         136
        .size:           8
        .value_kind:     hidden_global_offset_x
      - .offset:         144
        .size:           8
        .value_kind:     hidden_global_offset_y
      - .offset:         152
        .size:           8
        .value_kind:     hidden_global_offset_z
      - .offset:         160
        .size:           2
        .value_kind:     hidden_grid_dims
      - .offset:         216
        .size:           4
        .value_kind:     hidden_dynamic_lds_size
    .group_segment_fixed_size: 0
    .kernarg_segment_align: 8
    .kernarg_segment_size: 352
    .language:       OpenCL C
    .language_version:
      - 2
      - 0
    .max_flat_workgroup_size: 512
    .name:           _ZN9rocsolver6v33100L18getf2_small_kernelILi31EdiiPKPdEEvT1_T3_lS5_lPS5_llPT2_S5_S5_S7_l
    .private_segment_fixed_size: 0
    .sgpr_count:     26
    .sgpr_spill_count: 0
    .symbol:         _ZN9rocsolver6v33100L18getf2_small_kernelILi31EdiiPKPdEEvT1_T3_lS5_lPS5_llPT2_S5_S5_S7_l.kd
    .uniform_work_group_size: 1
    .uses_dynamic_stack: false
    .vgpr_count:     102
    .vgpr_spill_count: 0
    .wavefront_size: 64
  - .agpr_count:     0
    .args:
      - .offset:         0
        .size:           4
        .value_kind:     by_value
      - .address_space:  global
        .offset:         8
        .size:           8
        .value_kind:     global_buffer
      - .offset:         16
        .size:           8
        .value_kind:     by_value
      - .offset:         24
        .size:           4
        .value_kind:     by_value
      - .offset:         32
        .size:           8
        .value_kind:     by_value
      - .address_space:  global
        .offset:         40
        .size:           8
        .value_kind:     global_buffer
      - .offset:         48
        .size:           4
        .value_kind:     by_value
      - .offset:         52
        .size:           4
        .value_kind:     by_value
      - .offset:         56
        .size:           4
        .value_kind:     hidden_block_count_x
      - .offset:         60
        .size:           4
        .value_kind:     hidden_block_count_y
      - .offset:         64
        .size:           4
        .value_kind:     hidden_block_count_z
      - .offset:         68
        .size:           2
        .value_kind:     hidden_group_size_x
      - .offset:         70
        .size:           2
        .value_kind:     hidden_group_size_y
      - .offset:         72
        .size:           2
        .value_kind:     hidden_group_size_z
      - .offset:         74
        .size:           2
        .value_kind:     hidden_remainder_x
      - .offset:         76
        .size:           2
        .value_kind:     hidden_remainder_y
      - .offset:         78
        .size:           2
        .value_kind:     hidden_remainder_z
      - .offset:         96
        .size:           8
        .value_kind:     hidden_global_offset_x
      - .offset:         104
        .size:           8
        .value_kind:     hidden_global_offset_y
      - .offset:         112
        .size:           8
        .value_kind:     hidden_global_offset_z
      - .offset:         120
        .size:           2
        .value_kind:     hidden_grid_dims
      - .offset:         176
        .size:           4
        .value_kind:     hidden_dynamic_lds_size
    .group_segment_fixed_size: 0
    .kernarg_segment_align: 8
    .kernarg_segment_size: 312
    .language:       OpenCL C
    .language_version:
      - 2
      - 0
    .max_flat_workgroup_size: 512
    .name:           _ZN9rocsolver6v33100L23getf2_npvt_small_kernelILi31EdiiPKPdEEvT1_T3_lS5_lPT2_S5_S5_
    .private_segment_fixed_size: 0
    .sgpr_count:     20
    .sgpr_spill_count: 0
    .symbol:         _ZN9rocsolver6v33100L23getf2_npvt_small_kernelILi31EdiiPKPdEEvT1_T3_lS5_lPT2_S5_S5_.kd
    .uniform_work_group_size: 1
    .uses_dynamic_stack: false
    .vgpr_count:     198
    .vgpr_spill_count: 0
    .wavefront_size: 64
  - .agpr_count:     0
    .args:
      - .offset:         0
        .size:           4
        .value_kind:     by_value
      - .address_space:  global
        .offset:         8
        .size:           8
        .value_kind:     global_buffer
      - .offset:         16
        .size:           8
        .value_kind:     by_value
      - .offset:         24
        .size:           4
        .value_kind:     by_value
      - .offset:         32
        .size:           8
        .value_kind:     by_value
      - .address_space:  global
        .offset:         40
        .size:           8
        .value_kind:     global_buffer
      - .offset:         48
        .size:           8
        .value_kind:     by_value
      - .offset:         56
        .size:           8
        .value_kind:     by_value
      - .address_space:  global
        .offset:         64
        .size:           8
        .value_kind:     global_buffer
      - .offset:         72
        .size:           4
        .value_kind:     by_value
      - .offset:         76
        .size:           4
        .value_kind:     by_value
      - .address_space:  global
        .offset:         80
        .size:           8
        .value_kind:     global_buffer
      - .offset:         88
        .size:           8
        .value_kind:     by_value
      - .offset:         96
        .size:           4
        .value_kind:     hidden_block_count_x
      - .offset:         100
        .size:           4
        .value_kind:     hidden_block_count_y
      - .offset:         104
        .size:           4
        .value_kind:     hidden_block_count_z
      - .offset:         108
        .size:           2
        .value_kind:     hidden_group_size_x
      - .offset:         110
        .size:           2
        .value_kind:     hidden_group_size_y
      - .offset:         112
        .size:           2
        .value_kind:     hidden_group_size_z
      - .offset:         114
        .size:           2
        .value_kind:     hidden_remainder_x
      - .offset:         116
        .size:           2
        .value_kind:     hidden_remainder_y
      - .offset:         118
        .size:           2
        .value_kind:     hidden_remainder_z
      - .offset:         136
        .size:           8
        .value_kind:     hidden_global_offset_x
      - .offset:         144
        .size:           8
        .value_kind:     hidden_global_offset_y
      - .offset:         152
        .size:           8
        .value_kind:     hidden_global_offset_z
      - .offset:         160
        .size:           2
        .value_kind:     hidden_grid_dims
      - .offset:         216
        .size:           4
        .value_kind:     hidden_dynamic_lds_size
    .group_segment_fixed_size: 0
    .kernarg_segment_align: 8
    .kernarg_segment_size: 352
    .language:       OpenCL C
    .language_version:
      - 2
      - 0
    .max_flat_workgroup_size: 512
    .name:           _ZN9rocsolver6v33100L18getf2_small_kernelILi32EdiiPKPdEEvT1_T3_lS5_lPS5_llPT2_S5_S5_S7_l
    .private_segment_fixed_size: 0
    .sgpr_count:     26
    .sgpr_spill_count: 0
    .symbol:         _ZN9rocsolver6v33100L18getf2_small_kernelILi32EdiiPKPdEEvT1_T3_lS5_lPS5_llPT2_S5_S5_S7_l.kd
    .uniform_work_group_size: 1
    .uses_dynamic_stack: false
    .vgpr_count:     106
    .vgpr_spill_count: 0
    .wavefront_size: 64
  - .agpr_count:     0
    .args:
      - .offset:         0
        .size:           4
        .value_kind:     by_value
      - .address_space:  global
        .offset:         8
        .size:           8
        .value_kind:     global_buffer
      - .offset:         16
        .size:           8
        .value_kind:     by_value
      - .offset:         24
        .size:           4
        .value_kind:     by_value
      - .offset:         32
        .size:           8
        .value_kind:     by_value
      - .address_space:  global
        .offset:         40
        .size:           8
        .value_kind:     global_buffer
      - .offset:         48
        .size:           4
        .value_kind:     by_value
      - .offset:         52
        .size:           4
        .value_kind:     by_value
      - .offset:         56
        .size:           4
        .value_kind:     hidden_block_count_x
      - .offset:         60
        .size:           4
        .value_kind:     hidden_block_count_y
      - .offset:         64
        .size:           4
        .value_kind:     hidden_block_count_z
      - .offset:         68
        .size:           2
        .value_kind:     hidden_group_size_x
      - .offset:         70
        .size:           2
        .value_kind:     hidden_group_size_y
      - .offset:         72
        .size:           2
        .value_kind:     hidden_group_size_z
      - .offset:         74
        .size:           2
        .value_kind:     hidden_remainder_x
      - .offset:         76
        .size:           2
        .value_kind:     hidden_remainder_y
      - .offset:         78
        .size:           2
        .value_kind:     hidden_remainder_z
      - .offset:         96
        .size:           8
        .value_kind:     hidden_global_offset_x
      - .offset:         104
        .size:           8
        .value_kind:     hidden_global_offset_y
      - .offset:         112
        .size:           8
        .value_kind:     hidden_global_offset_z
      - .offset:         120
        .size:           2
        .value_kind:     hidden_grid_dims
      - .offset:         176
        .size:           4
        .value_kind:     hidden_dynamic_lds_size
    .group_segment_fixed_size: 0
    .kernarg_segment_align: 8
    .kernarg_segment_size: 312
    .language:       OpenCL C
    .language_version:
      - 2
      - 0
    .max_flat_workgroup_size: 512
    .name:           _ZN9rocsolver6v33100L23getf2_npvt_small_kernelILi32EdiiPKPdEEvT1_T3_lS5_lPT2_S5_S5_
    .private_segment_fixed_size: 0
    .sgpr_count:     20
    .sgpr_spill_count: 0
    .symbol:         _ZN9rocsolver6v33100L23getf2_npvt_small_kernelILi32EdiiPKPdEEvT1_T3_lS5_lPT2_S5_S5_.kd
    .uniform_work_group_size: 1
    .uses_dynamic_stack: false
    .vgpr_count:     204
    .vgpr_spill_count: 0
    .wavefront_size: 64
  - .agpr_count:     0
    .args:
      - .offset:         0
        .size:           4
        .value_kind:     by_value
      - .address_space:  global
        .offset:         8
        .size:           8
        .value_kind:     global_buffer
      - .offset:         16
        .size:           8
        .value_kind:     by_value
      - .offset:         24
        .size:           4
        .value_kind:     by_value
      - .offset:         32
        .size:           8
        .value_kind:     by_value
      - .address_space:  global
        .offset:         40
        .size:           8
        .value_kind:     global_buffer
      - .offset:         48
        .size:           8
        .value_kind:     by_value
      - .offset:         56
        .size:           8
        .value_kind:     by_value
      - .address_space:  global
        .offset:         64
        .size:           8
        .value_kind:     global_buffer
      - .offset:         72
        .size:           4
        .value_kind:     by_value
      - .offset:         76
        .size:           4
        .value_kind:     by_value
      - .address_space:  global
        .offset:         80
        .size:           8
        .value_kind:     global_buffer
      - .offset:         88
        .size:           8
        .value_kind:     by_value
      - .offset:         96
        .size:           4
        .value_kind:     hidden_block_count_x
      - .offset:         100
        .size:           4
        .value_kind:     hidden_block_count_y
      - .offset:         104
        .size:           4
        .value_kind:     hidden_block_count_z
      - .offset:         108
        .size:           2
        .value_kind:     hidden_group_size_x
      - .offset:         110
        .size:           2
        .value_kind:     hidden_group_size_y
      - .offset:         112
        .size:           2
        .value_kind:     hidden_group_size_z
      - .offset:         114
        .size:           2
        .value_kind:     hidden_remainder_x
      - .offset:         116
        .size:           2
        .value_kind:     hidden_remainder_y
      - .offset:         118
        .size:           2
        .value_kind:     hidden_remainder_z
      - .offset:         136
        .size:           8
        .value_kind:     hidden_global_offset_x
      - .offset:         144
        .size:           8
        .value_kind:     hidden_global_offset_y
      - .offset:         152
        .size:           8
        .value_kind:     hidden_global_offset_z
      - .offset:         160
        .size:           2
        .value_kind:     hidden_grid_dims
      - .offset:         216
        .size:           4
        .value_kind:     hidden_dynamic_lds_size
    .group_segment_fixed_size: 0
    .kernarg_segment_align: 8
    .kernarg_segment_size: 352
    .language:       OpenCL C
    .language_version:
      - 2
      - 0
    .max_flat_workgroup_size: 512
    .name:           _ZN9rocsolver6v33100L18getf2_small_kernelILi33EdiiPKPdEEvT1_T3_lS5_lPS5_llPT2_S5_S5_S7_l
    .private_segment_fixed_size: 0
    .sgpr_count:     26
    .sgpr_spill_count: 0
    .symbol:         _ZN9rocsolver6v33100L18getf2_small_kernelILi33EdiiPKPdEEvT1_T3_lS5_lPS5_llPT2_S5_S5_S7_l.kd
    .uniform_work_group_size: 1
    .uses_dynamic_stack: false
    .vgpr_count:     110
    .vgpr_spill_count: 0
    .wavefront_size: 64
  - .agpr_count:     0
    .args:
      - .offset:         0
        .size:           4
        .value_kind:     by_value
      - .address_space:  global
        .offset:         8
        .size:           8
        .value_kind:     global_buffer
      - .offset:         16
        .size:           8
        .value_kind:     by_value
      - .offset:         24
        .size:           4
        .value_kind:     by_value
      - .offset:         32
        .size:           8
        .value_kind:     by_value
      - .address_space:  global
        .offset:         40
        .size:           8
        .value_kind:     global_buffer
      - .offset:         48
        .size:           4
        .value_kind:     by_value
      - .offset:         52
        .size:           4
        .value_kind:     by_value
      - .offset:         56
        .size:           4
        .value_kind:     hidden_block_count_x
      - .offset:         60
        .size:           4
        .value_kind:     hidden_block_count_y
      - .offset:         64
        .size:           4
        .value_kind:     hidden_block_count_z
      - .offset:         68
        .size:           2
        .value_kind:     hidden_group_size_x
      - .offset:         70
        .size:           2
        .value_kind:     hidden_group_size_y
      - .offset:         72
        .size:           2
        .value_kind:     hidden_group_size_z
      - .offset:         74
        .size:           2
        .value_kind:     hidden_remainder_x
      - .offset:         76
        .size:           2
        .value_kind:     hidden_remainder_y
      - .offset:         78
        .size:           2
        .value_kind:     hidden_remainder_z
      - .offset:         96
        .size:           8
        .value_kind:     hidden_global_offset_x
      - .offset:         104
        .size:           8
        .value_kind:     hidden_global_offset_y
      - .offset:         112
        .size:           8
        .value_kind:     hidden_global_offset_z
      - .offset:         120
        .size:           2
        .value_kind:     hidden_grid_dims
      - .offset:         176
        .size:           4
        .value_kind:     hidden_dynamic_lds_size
    .group_segment_fixed_size: 0
    .kernarg_segment_align: 8
    .kernarg_segment_size: 312
    .language:       OpenCL C
    .language_version:
      - 2
      - 0
    .max_flat_workgroup_size: 512
    .name:           _ZN9rocsolver6v33100L23getf2_npvt_small_kernelILi33EdiiPKPdEEvT1_T3_lS5_lPT2_S5_S5_
    .private_segment_fixed_size: 0
    .sgpr_count:     20
    .sgpr_spill_count: 0
    .symbol:         _ZN9rocsolver6v33100L23getf2_npvt_small_kernelILi33EdiiPKPdEEvT1_T3_lS5_lPT2_S5_S5_.kd
    .uniform_work_group_size: 1
    .uses_dynamic_stack: false
    .vgpr_count:     210
    .vgpr_spill_count: 0
    .wavefront_size: 64
  - .agpr_count:     0
    .args:
      - .offset:         0
        .size:           4
        .value_kind:     by_value
      - .address_space:  global
        .offset:         8
        .size:           8
        .value_kind:     global_buffer
      - .offset:         16
        .size:           8
        .value_kind:     by_value
      - .offset:         24
        .size:           4
        .value_kind:     by_value
      - .offset:         32
        .size:           8
        .value_kind:     by_value
      - .address_space:  global
        .offset:         40
        .size:           8
        .value_kind:     global_buffer
      - .offset:         48
        .size:           8
        .value_kind:     by_value
      - .offset:         56
        .size:           8
        .value_kind:     by_value
      - .address_space:  global
        .offset:         64
        .size:           8
        .value_kind:     global_buffer
      - .offset:         72
        .size:           4
        .value_kind:     by_value
      - .offset:         76
        .size:           4
        .value_kind:     by_value
      - .address_space:  global
        .offset:         80
        .size:           8
        .value_kind:     global_buffer
      - .offset:         88
        .size:           8
        .value_kind:     by_value
      - .offset:         96
        .size:           4
        .value_kind:     hidden_block_count_x
      - .offset:         100
        .size:           4
        .value_kind:     hidden_block_count_y
      - .offset:         104
        .size:           4
        .value_kind:     hidden_block_count_z
      - .offset:         108
        .size:           2
        .value_kind:     hidden_group_size_x
      - .offset:         110
        .size:           2
        .value_kind:     hidden_group_size_y
      - .offset:         112
        .size:           2
        .value_kind:     hidden_group_size_z
      - .offset:         114
        .size:           2
        .value_kind:     hidden_remainder_x
      - .offset:         116
        .size:           2
        .value_kind:     hidden_remainder_y
      - .offset:         118
        .size:           2
        .value_kind:     hidden_remainder_z
      - .offset:         136
        .size:           8
        .value_kind:     hidden_global_offset_x
      - .offset:         144
        .size:           8
        .value_kind:     hidden_global_offset_y
      - .offset:         152
        .size:           8
        .value_kind:     hidden_global_offset_z
      - .offset:         160
        .size:           2
        .value_kind:     hidden_grid_dims
      - .offset:         216
        .size:           4
        .value_kind:     hidden_dynamic_lds_size
    .group_segment_fixed_size: 0
    .kernarg_segment_align: 8
    .kernarg_segment_size: 352
    .language:       OpenCL C
    .language_version:
      - 2
      - 0
    .max_flat_workgroup_size: 512
    .name:           _ZN9rocsolver6v33100L18getf2_small_kernelILi34EdiiPKPdEEvT1_T3_lS5_lPS5_llPT2_S5_S5_S7_l
    .private_segment_fixed_size: 0
    .sgpr_count:     26
    .sgpr_spill_count: 0
    .symbol:         _ZN9rocsolver6v33100L18getf2_small_kernelILi34EdiiPKPdEEvT1_T3_lS5_lPS5_llPT2_S5_S5_S7_l.kd
    .uniform_work_group_size: 1
    .uses_dynamic_stack: false
    .vgpr_count:     114
    .vgpr_spill_count: 0
    .wavefront_size: 64
  - .agpr_count:     0
    .args:
      - .offset:         0
        .size:           4
        .value_kind:     by_value
      - .address_space:  global
        .offset:         8
        .size:           8
        .value_kind:     global_buffer
      - .offset:         16
        .size:           8
        .value_kind:     by_value
      - .offset:         24
        .size:           4
        .value_kind:     by_value
      - .offset:         32
        .size:           8
        .value_kind:     by_value
      - .address_space:  global
        .offset:         40
        .size:           8
        .value_kind:     global_buffer
      - .offset:         48
        .size:           4
        .value_kind:     by_value
      - .offset:         52
        .size:           4
        .value_kind:     by_value
      - .offset:         56
        .size:           4
        .value_kind:     hidden_block_count_x
      - .offset:         60
        .size:           4
        .value_kind:     hidden_block_count_y
      - .offset:         64
        .size:           4
        .value_kind:     hidden_block_count_z
      - .offset:         68
        .size:           2
        .value_kind:     hidden_group_size_x
      - .offset:         70
        .size:           2
        .value_kind:     hidden_group_size_y
      - .offset:         72
        .size:           2
        .value_kind:     hidden_group_size_z
      - .offset:         74
        .size:           2
        .value_kind:     hidden_remainder_x
      - .offset:         76
        .size:           2
        .value_kind:     hidden_remainder_y
      - .offset:         78
        .size:           2
        .value_kind:     hidden_remainder_z
      - .offset:         96
        .size:           8
        .value_kind:     hidden_global_offset_x
      - .offset:         104
        .size:           8
        .value_kind:     hidden_global_offset_y
      - .offset:         112
        .size:           8
        .value_kind:     hidden_global_offset_z
      - .offset:         120
        .size:           2
        .value_kind:     hidden_grid_dims
      - .offset:         176
        .size:           4
        .value_kind:     hidden_dynamic_lds_size
    .group_segment_fixed_size: 0
    .kernarg_segment_align: 8
    .kernarg_segment_size: 312
    .language:       OpenCL C
    .language_version:
      - 2
      - 0
    .max_flat_workgroup_size: 512
    .name:           _ZN9rocsolver6v33100L23getf2_npvt_small_kernelILi34EdiiPKPdEEvT1_T3_lS5_lPT2_S5_S5_
    .private_segment_fixed_size: 0
    .sgpr_count:     20
    .sgpr_spill_count: 0
    .symbol:         _ZN9rocsolver6v33100L23getf2_npvt_small_kernelILi34EdiiPKPdEEvT1_T3_lS5_lPT2_S5_S5_.kd
    .uniform_work_group_size: 1
    .uses_dynamic_stack: false
    .vgpr_count:     216
    .vgpr_spill_count: 0
    .wavefront_size: 64
  - .agpr_count:     0
    .args:
      - .offset:         0
        .size:           4
        .value_kind:     by_value
      - .address_space:  global
        .offset:         8
        .size:           8
        .value_kind:     global_buffer
      - .offset:         16
        .size:           8
        .value_kind:     by_value
      - .offset:         24
        .size:           4
        .value_kind:     by_value
      - .offset:         32
        .size:           8
        .value_kind:     by_value
      - .address_space:  global
        .offset:         40
        .size:           8
        .value_kind:     global_buffer
      - .offset:         48
        .size:           8
        .value_kind:     by_value
      - .offset:         56
        .size:           8
        .value_kind:     by_value
      - .address_space:  global
        .offset:         64
        .size:           8
        .value_kind:     global_buffer
      - .offset:         72
        .size:           4
        .value_kind:     by_value
      - .offset:         76
        .size:           4
        .value_kind:     by_value
      - .address_space:  global
        .offset:         80
        .size:           8
        .value_kind:     global_buffer
      - .offset:         88
        .size:           8
        .value_kind:     by_value
      - .offset:         96
        .size:           4
        .value_kind:     hidden_block_count_x
      - .offset:         100
        .size:           4
        .value_kind:     hidden_block_count_y
      - .offset:         104
        .size:           4
        .value_kind:     hidden_block_count_z
      - .offset:         108
        .size:           2
        .value_kind:     hidden_group_size_x
      - .offset:         110
        .size:           2
        .value_kind:     hidden_group_size_y
      - .offset:         112
        .size:           2
        .value_kind:     hidden_group_size_z
      - .offset:         114
        .size:           2
        .value_kind:     hidden_remainder_x
      - .offset:         116
        .size:           2
        .value_kind:     hidden_remainder_y
      - .offset:         118
        .size:           2
        .value_kind:     hidden_remainder_z
      - .offset:         136
        .size:           8
        .value_kind:     hidden_global_offset_x
      - .offset:         144
        .size:           8
        .value_kind:     hidden_global_offset_y
      - .offset:         152
        .size:           8
        .value_kind:     hidden_global_offset_z
      - .offset:         160
        .size:           2
        .value_kind:     hidden_grid_dims
      - .offset:         216
        .size:           4
        .value_kind:     hidden_dynamic_lds_size
    .group_segment_fixed_size: 0
    .kernarg_segment_align: 8
    .kernarg_segment_size: 352
    .language:       OpenCL C
    .language_version:
      - 2
      - 0
    .max_flat_workgroup_size: 512
    .name:           _ZN9rocsolver6v33100L18getf2_small_kernelILi35EdiiPKPdEEvT1_T3_lS5_lPS5_llPT2_S5_S5_S7_l
    .private_segment_fixed_size: 0
    .sgpr_count:     26
    .sgpr_spill_count: 0
    .symbol:         _ZN9rocsolver6v33100L18getf2_small_kernelILi35EdiiPKPdEEvT1_T3_lS5_lPS5_llPT2_S5_S5_S7_l.kd
    .uniform_work_group_size: 1
    .uses_dynamic_stack: false
    .vgpr_count:     118
    .vgpr_spill_count: 0
    .wavefront_size: 64
  - .agpr_count:     0
    .args:
      - .offset:         0
        .size:           4
        .value_kind:     by_value
      - .address_space:  global
        .offset:         8
        .size:           8
        .value_kind:     global_buffer
      - .offset:         16
        .size:           8
        .value_kind:     by_value
      - .offset:         24
        .size:           4
        .value_kind:     by_value
      - .offset:         32
        .size:           8
        .value_kind:     by_value
      - .address_space:  global
        .offset:         40
        .size:           8
        .value_kind:     global_buffer
      - .offset:         48
        .size:           4
        .value_kind:     by_value
      - .offset:         52
        .size:           4
        .value_kind:     by_value
      - .offset:         56
        .size:           4
        .value_kind:     hidden_block_count_x
      - .offset:         60
        .size:           4
        .value_kind:     hidden_block_count_y
      - .offset:         64
        .size:           4
        .value_kind:     hidden_block_count_z
      - .offset:         68
        .size:           2
        .value_kind:     hidden_group_size_x
      - .offset:         70
        .size:           2
        .value_kind:     hidden_group_size_y
      - .offset:         72
        .size:           2
        .value_kind:     hidden_group_size_z
      - .offset:         74
        .size:           2
        .value_kind:     hidden_remainder_x
      - .offset:         76
        .size:           2
        .value_kind:     hidden_remainder_y
      - .offset:         78
        .size:           2
        .value_kind:     hidden_remainder_z
      - .offset:         96
        .size:           8
        .value_kind:     hidden_global_offset_x
      - .offset:         104
        .size:           8
        .value_kind:     hidden_global_offset_y
      - .offset:         112
        .size:           8
        .value_kind:     hidden_global_offset_z
      - .offset:         120
        .size:           2
        .value_kind:     hidden_grid_dims
      - .offset:         176
        .size:           4
        .value_kind:     hidden_dynamic_lds_size
    .group_segment_fixed_size: 0
    .kernarg_segment_align: 8
    .kernarg_segment_size: 312
    .language:       OpenCL C
    .language_version:
      - 2
      - 0
    .max_flat_workgroup_size: 512
    .name:           _ZN9rocsolver6v33100L23getf2_npvt_small_kernelILi35EdiiPKPdEEvT1_T3_lS5_lPT2_S5_S5_
    .private_segment_fixed_size: 0
    .sgpr_count:     20
    .sgpr_spill_count: 0
    .symbol:         _ZN9rocsolver6v33100L23getf2_npvt_small_kernelILi35EdiiPKPdEEvT1_T3_lS5_lPT2_S5_S5_.kd
    .uniform_work_group_size: 1
    .uses_dynamic_stack: false
    .vgpr_count:     222
    .vgpr_spill_count: 0
    .wavefront_size: 64
  - .agpr_count:     0
    .args:
      - .offset:         0
        .size:           4
        .value_kind:     by_value
      - .address_space:  global
        .offset:         8
        .size:           8
        .value_kind:     global_buffer
      - .offset:         16
        .size:           8
        .value_kind:     by_value
      - .offset:         24
        .size:           4
        .value_kind:     by_value
      - .offset:         32
        .size:           8
        .value_kind:     by_value
      - .address_space:  global
        .offset:         40
        .size:           8
        .value_kind:     global_buffer
      - .offset:         48
        .size:           8
        .value_kind:     by_value
      - .offset:         56
        .size:           8
        .value_kind:     by_value
      - .address_space:  global
        .offset:         64
        .size:           8
        .value_kind:     global_buffer
      - .offset:         72
        .size:           4
        .value_kind:     by_value
      - .offset:         76
        .size:           4
        .value_kind:     by_value
      - .address_space:  global
        .offset:         80
        .size:           8
        .value_kind:     global_buffer
      - .offset:         88
        .size:           8
        .value_kind:     by_value
      - .offset:         96
        .size:           4
        .value_kind:     hidden_block_count_x
      - .offset:         100
        .size:           4
        .value_kind:     hidden_block_count_y
      - .offset:         104
        .size:           4
        .value_kind:     hidden_block_count_z
      - .offset:         108
        .size:           2
        .value_kind:     hidden_group_size_x
      - .offset:         110
        .size:           2
        .value_kind:     hidden_group_size_y
      - .offset:         112
        .size:           2
        .value_kind:     hidden_group_size_z
      - .offset:         114
        .size:           2
        .value_kind:     hidden_remainder_x
      - .offset:         116
        .size:           2
        .value_kind:     hidden_remainder_y
      - .offset:         118
        .size:           2
        .value_kind:     hidden_remainder_z
      - .offset:         136
        .size:           8
        .value_kind:     hidden_global_offset_x
      - .offset:         144
        .size:           8
        .value_kind:     hidden_global_offset_y
      - .offset:         152
        .size:           8
        .value_kind:     hidden_global_offset_z
      - .offset:         160
        .size:           2
        .value_kind:     hidden_grid_dims
      - .offset:         216
        .size:           4
        .value_kind:     hidden_dynamic_lds_size
    .group_segment_fixed_size: 0
    .kernarg_segment_align: 8
    .kernarg_segment_size: 352
    .language:       OpenCL C
    .language_version:
      - 2
      - 0
    .max_flat_workgroup_size: 512
    .name:           _ZN9rocsolver6v33100L18getf2_small_kernelILi36EdiiPKPdEEvT1_T3_lS5_lPS5_llPT2_S5_S5_S7_l
    .private_segment_fixed_size: 0
    .sgpr_count:     26
    .sgpr_spill_count: 0
    .symbol:         _ZN9rocsolver6v33100L18getf2_small_kernelILi36EdiiPKPdEEvT1_T3_lS5_lPS5_llPT2_S5_S5_S7_l.kd
    .uniform_work_group_size: 1
    .uses_dynamic_stack: false
    .vgpr_count:     122
    .vgpr_spill_count: 0
    .wavefront_size: 64
  - .agpr_count:     0
    .args:
      - .offset:         0
        .size:           4
        .value_kind:     by_value
      - .address_space:  global
        .offset:         8
        .size:           8
        .value_kind:     global_buffer
      - .offset:         16
        .size:           8
        .value_kind:     by_value
      - .offset:         24
        .size:           4
        .value_kind:     by_value
      - .offset:         32
        .size:           8
        .value_kind:     by_value
      - .address_space:  global
        .offset:         40
        .size:           8
        .value_kind:     global_buffer
      - .offset:         48
        .size:           4
        .value_kind:     by_value
      - .offset:         52
        .size:           4
        .value_kind:     by_value
      - .offset:         56
        .size:           4
        .value_kind:     hidden_block_count_x
      - .offset:         60
        .size:           4
        .value_kind:     hidden_block_count_y
      - .offset:         64
        .size:           4
        .value_kind:     hidden_block_count_z
      - .offset:         68
        .size:           2
        .value_kind:     hidden_group_size_x
      - .offset:         70
        .size:           2
        .value_kind:     hidden_group_size_y
      - .offset:         72
        .size:           2
        .value_kind:     hidden_group_size_z
      - .offset:         74
        .size:           2
        .value_kind:     hidden_remainder_x
      - .offset:         76
        .size:           2
        .value_kind:     hidden_remainder_y
      - .offset:         78
        .size:           2
        .value_kind:     hidden_remainder_z
      - .offset:         96
        .size:           8
        .value_kind:     hidden_global_offset_x
      - .offset:         104
        .size:           8
        .value_kind:     hidden_global_offset_y
      - .offset:         112
        .size:           8
        .value_kind:     hidden_global_offset_z
      - .offset:         120
        .size:           2
        .value_kind:     hidden_grid_dims
      - .offset:         176
        .size:           4
        .value_kind:     hidden_dynamic_lds_size
    .group_segment_fixed_size: 0
    .kernarg_segment_align: 8
    .kernarg_segment_size: 312
    .language:       OpenCL C
    .language_version:
      - 2
      - 0
    .max_flat_workgroup_size: 512
    .name:           _ZN9rocsolver6v33100L23getf2_npvt_small_kernelILi36EdiiPKPdEEvT1_T3_lS5_lPT2_S5_S5_
    .private_segment_fixed_size: 0
    .sgpr_count:     20
    .sgpr_spill_count: 0
    .symbol:         _ZN9rocsolver6v33100L23getf2_npvt_small_kernelILi36EdiiPKPdEEvT1_T3_lS5_lPT2_S5_S5_.kd
    .uniform_work_group_size: 1
    .uses_dynamic_stack: false
    .vgpr_count:     228
    .vgpr_spill_count: 0
    .wavefront_size: 64
  - .agpr_count:     0
    .args:
      - .offset:         0
        .size:           4
        .value_kind:     by_value
      - .address_space:  global
        .offset:         8
        .size:           8
        .value_kind:     global_buffer
      - .offset:         16
        .size:           8
        .value_kind:     by_value
      - .offset:         24
        .size:           4
        .value_kind:     by_value
      - .offset:         32
        .size:           8
        .value_kind:     by_value
      - .address_space:  global
        .offset:         40
        .size:           8
        .value_kind:     global_buffer
      - .offset:         48
        .size:           8
        .value_kind:     by_value
      - .offset:         56
        .size:           8
        .value_kind:     by_value
      - .address_space:  global
        .offset:         64
        .size:           8
        .value_kind:     global_buffer
      - .offset:         72
        .size:           4
        .value_kind:     by_value
      - .offset:         76
        .size:           4
        .value_kind:     by_value
      - .address_space:  global
        .offset:         80
        .size:           8
        .value_kind:     global_buffer
      - .offset:         88
        .size:           8
        .value_kind:     by_value
      - .offset:         96
        .size:           4
        .value_kind:     hidden_block_count_x
      - .offset:         100
        .size:           4
        .value_kind:     hidden_block_count_y
      - .offset:         104
        .size:           4
        .value_kind:     hidden_block_count_z
      - .offset:         108
        .size:           2
        .value_kind:     hidden_group_size_x
      - .offset:         110
        .size:           2
        .value_kind:     hidden_group_size_y
      - .offset:         112
        .size:           2
        .value_kind:     hidden_group_size_z
      - .offset:         114
        .size:           2
        .value_kind:     hidden_remainder_x
      - .offset:         116
        .size:           2
        .value_kind:     hidden_remainder_y
      - .offset:         118
        .size:           2
        .value_kind:     hidden_remainder_z
      - .offset:         136
        .size:           8
        .value_kind:     hidden_global_offset_x
      - .offset:         144
        .size:           8
        .value_kind:     hidden_global_offset_y
      - .offset:         152
        .size:           8
        .value_kind:     hidden_global_offset_z
      - .offset:         160
        .size:           2
        .value_kind:     hidden_grid_dims
      - .offset:         216
        .size:           4
        .value_kind:     hidden_dynamic_lds_size
    .group_segment_fixed_size: 0
    .kernarg_segment_align: 8
    .kernarg_segment_size: 352
    .language:       OpenCL C
    .language_version:
      - 2
      - 0
    .max_flat_workgroup_size: 512
    .name:           _ZN9rocsolver6v33100L18getf2_small_kernelILi37EdiiPKPdEEvT1_T3_lS5_lPS5_llPT2_S5_S5_S7_l
    .private_segment_fixed_size: 0
    .sgpr_count:     26
    .sgpr_spill_count: 0
    .symbol:         _ZN9rocsolver6v33100L18getf2_small_kernelILi37EdiiPKPdEEvT1_T3_lS5_lPS5_llPT2_S5_S5_S7_l.kd
    .uniform_work_group_size: 1
    .uses_dynamic_stack: false
    .vgpr_count:     126
    .vgpr_spill_count: 0
    .wavefront_size: 64
  - .agpr_count:     0
    .args:
      - .offset:         0
        .size:           4
        .value_kind:     by_value
      - .address_space:  global
        .offset:         8
        .size:           8
        .value_kind:     global_buffer
      - .offset:         16
        .size:           8
        .value_kind:     by_value
      - .offset:         24
        .size:           4
        .value_kind:     by_value
      - .offset:         32
        .size:           8
        .value_kind:     by_value
      - .address_space:  global
        .offset:         40
        .size:           8
        .value_kind:     global_buffer
      - .offset:         48
        .size:           4
        .value_kind:     by_value
      - .offset:         52
        .size:           4
        .value_kind:     by_value
      - .offset:         56
        .size:           4
        .value_kind:     hidden_block_count_x
      - .offset:         60
        .size:           4
        .value_kind:     hidden_block_count_y
      - .offset:         64
        .size:           4
        .value_kind:     hidden_block_count_z
      - .offset:         68
        .size:           2
        .value_kind:     hidden_group_size_x
      - .offset:         70
        .size:           2
        .value_kind:     hidden_group_size_y
      - .offset:         72
        .size:           2
        .value_kind:     hidden_group_size_z
      - .offset:         74
        .size:           2
        .value_kind:     hidden_remainder_x
      - .offset:         76
        .size:           2
        .value_kind:     hidden_remainder_y
      - .offset:         78
        .size:           2
        .value_kind:     hidden_remainder_z
      - .offset:         96
        .size:           8
        .value_kind:     hidden_global_offset_x
      - .offset:         104
        .size:           8
        .value_kind:     hidden_global_offset_y
      - .offset:         112
        .size:           8
        .value_kind:     hidden_global_offset_z
      - .offset:         120
        .size:           2
        .value_kind:     hidden_grid_dims
      - .offset:         176
        .size:           4
        .value_kind:     hidden_dynamic_lds_size
    .group_segment_fixed_size: 0
    .kernarg_segment_align: 8
    .kernarg_segment_size: 312
    .language:       OpenCL C
    .language_version:
      - 2
      - 0
    .max_flat_workgroup_size: 512
    .name:           _ZN9rocsolver6v33100L23getf2_npvt_small_kernelILi37EdiiPKPdEEvT1_T3_lS5_lPT2_S5_S5_
    .private_segment_fixed_size: 0
    .sgpr_count:     20
    .sgpr_spill_count: 0
    .symbol:         _ZN9rocsolver6v33100L23getf2_npvt_small_kernelILi37EdiiPKPdEEvT1_T3_lS5_lPT2_S5_S5_.kd
    .uniform_work_group_size: 1
    .uses_dynamic_stack: false
    .vgpr_count:     234
    .vgpr_spill_count: 0
    .wavefront_size: 64
  - .agpr_count:     0
    .args:
      - .offset:         0
        .size:           4
        .value_kind:     by_value
      - .address_space:  global
        .offset:         8
        .size:           8
        .value_kind:     global_buffer
      - .offset:         16
        .size:           8
        .value_kind:     by_value
      - .offset:         24
        .size:           4
        .value_kind:     by_value
      - .offset:         32
        .size:           8
        .value_kind:     by_value
      - .address_space:  global
        .offset:         40
        .size:           8
        .value_kind:     global_buffer
      - .offset:         48
        .size:           8
        .value_kind:     by_value
      - .offset:         56
        .size:           8
        .value_kind:     by_value
      - .address_space:  global
        .offset:         64
        .size:           8
        .value_kind:     global_buffer
      - .offset:         72
        .size:           4
        .value_kind:     by_value
      - .offset:         76
        .size:           4
        .value_kind:     by_value
      - .address_space:  global
        .offset:         80
        .size:           8
        .value_kind:     global_buffer
      - .offset:         88
        .size:           8
        .value_kind:     by_value
      - .offset:         96
        .size:           4
        .value_kind:     hidden_block_count_x
      - .offset:         100
        .size:           4
        .value_kind:     hidden_block_count_y
      - .offset:         104
        .size:           4
        .value_kind:     hidden_block_count_z
      - .offset:         108
        .size:           2
        .value_kind:     hidden_group_size_x
      - .offset:         110
        .size:           2
        .value_kind:     hidden_group_size_y
      - .offset:         112
        .size:           2
        .value_kind:     hidden_group_size_z
      - .offset:         114
        .size:           2
        .value_kind:     hidden_remainder_x
      - .offset:         116
        .size:           2
        .value_kind:     hidden_remainder_y
      - .offset:         118
        .size:           2
        .value_kind:     hidden_remainder_z
      - .offset:         136
        .size:           8
        .value_kind:     hidden_global_offset_x
      - .offset:         144
        .size:           8
        .value_kind:     hidden_global_offset_y
      - .offset:         152
        .size:           8
        .value_kind:     hidden_global_offset_z
      - .offset:         160
        .size:           2
        .value_kind:     hidden_grid_dims
      - .offset:         216
        .size:           4
        .value_kind:     hidden_dynamic_lds_size
    .group_segment_fixed_size: 0
    .kernarg_segment_align: 8
    .kernarg_segment_size: 352
    .language:       OpenCL C
    .language_version:
      - 2
      - 0
    .max_flat_workgroup_size: 512
    .name:           _ZN9rocsolver6v33100L18getf2_small_kernelILi38EdiiPKPdEEvT1_T3_lS5_lPS5_llPT2_S5_S5_S7_l
    .private_segment_fixed_size: 0
    .sgpr_count:     26
    .sgpr_spill_count: 0
    .symbol:         _ZN9rocsolver6v33100L18getf2_small_kernelILi38EdiiPKPdEEvT1_T3_lS5_lPS5_llPT2_S5_S5_S7_l.kd
    .uniform_work_group_size: 1
    .uses_dynamic_stack: false
    .vgpr_count:     130
    .vgpr_spill_count: 0
    .wavefront_size: 64
  - .agpr_count:     0
    .args:
      - .offset:         0
        .size:           4
        .value_kind:     by_value
      - .address_space:  global
        .offset:         8
        .size:           8
        .value_kind:     global_buffer
      - .offset:         16
        .size:           8
        .value_kind:     by_value
      - .offset:         24
        .size:           4
        .value_kind:     by_value
      - .offset:         32
        .size:           8
        .value_kind:     by_value
      - .address_space:  global
        .offset:         40
        .size:           8
        .value_kind:     global_buffer
      - .offset:         48
        .size:           4
        .value_kind:     by_value
      - .offset:         52
        .size:           4
        .value_kind:     by_value
      - .offset:         56
        .size:           4
        .value_kind:     hidden_block_count_x
      - .offset:         60
        .size:           4
        .value_kind:     hidden_block_count_y
      - .offset:         64
        .size:           4
        .value_kind:     hidden_block_count_z
      - .offset:         68
        .size:           2
        .value_kind:     hidden_group_size_x
      - .offset:         70
        .size:           2
        .value_kind:     hidden_group_size_y
      - .offset:         72
        .size:           2
        .value_kind:     hidden_group_size_z
      - .offset:         74
        .size:           2
        .value_kind:     hidden_remainder_x
      - .offset:         76
        .size:           2
        .value_kind:     hidden_remainder_y
      - .offset:         78
        .size:           2
        .value_kind:     hidden_remainder_z
      - .offset:         96
        .size:           8
        .value_kind:     hidden_global_offset_x
      - .offset:         104
        .size:           8
        .value_kind:     hidden_global_offset_y
      - .offset:         112
        .size:           8
        .value_kind:     hidden_global_offset_z
      - .offset:         120
        .size:           2
        .value_kind:     hidden_grid_dims
      - .offset:         176
        .size:           4
        .value_kind:     hidden_dynamic_lds_size
    .group_segment_fixed_size: 0
    .kernarg_segment_align: 8
    .kernarg_segment_size: 312
    .language:       OpenCL C
    .language_version:
      - 2
      - 0
    .max_flat_workgroup_size: 512
    .name:           _ZN9rocsolver6v33100L23getf2_npvt_small_kernelILi38EdiiPKPdEEvT1_T3_lS5_lPT2_S5_S5_
    .private_segment_fixed_size: 0
    .sgpr_count:     20
    .sgpr_spill_count: 0
    .symbol:         _ZN9rocsolver6v33100L23getf2_npvt_small_kernelILi38EdiiPKPdEEvT1_T3_lS5_lPT2_S5_S5_.kd
    .uniform_work_group_size: 1
    .uses_dynamic_stack: false
    .vgpr_count:     240
    .vgpr_spill_count: 0
    .wavefront_size: 64
  - .agpr_count:     0
    .args:
      - .offset:         0
        .size:           4
        .value_kind:     by_value
      - .address_space:  global
        .offset:         8
        .size:           8
        .value_kind:     global_buffer
      - .offset:         16
        .size:           8
        .value_kind:     by_value
      - .offset:         24
        .size:           4
        .value_kind:     by_value
      - .offset:         32
        .size:           8
        .value_kind:     by_value
      - .address_space:  global
        .offset:         40
        .size:           8
        .value_kind:     global_buffer
      - .offset:         48
        .size:           8
        .value_kind:     by_value
      - .offset:         56
        .size:           8
        .value_kind:     by_value
      - .address_space:  global
        .offset:         64
        .size:           8
        .value_kind:     global_buffer
      - .offset:         72
        .size:           4
        .value_kind:     by_value
      - .offset:         76
        .size:           4
        .value_kind:     by_value
      - .address_space:  global
        .offset:         80
        .size:           8
        .value_kind:     global_buffer
      - .offset:         88
        .size:           8
        .value_kind:     by_value
      - .offset:         96
        .size:           4
        .value_kind:     hidden_block_count_x
      - .offset:         100
        .size:           4
        .value_kind:     hidden_block_count_y
      - .offset:         104
        .size:           4
        .value_kind:     hidden_block_count_z
      - .offset:         108
        .size:           2
        .value_kind:     hidden_group_size_x
      - .offset:         110
        .size:           2
        .value_kind:     hidden_group_size_y
      - .offset:         112
        .size:           2
        .value_kind:     hidden_group_size_z
      - .offset:         114
        .size:           2
        .value_kind:     hidden_remainder_x
      - .offset:         116
        .size:           2
        .value_kind:     hidden_remainder_y
      - .offset:         118
        .size:           2
        .value_kind:     hidden_remainder_z
      - .offset:         136
        .size:           8
        .value_kind:     hidden_global_offset_x
      - .offset:         144
        .size:           8
        .value_kind:     hidden_global_offset_y
      - .offset:         152
        .size:           8
        .value_kind:     hidden_global_offset_z
      - .offset:         160
        .size:           2
        .value_kind:     hidden_grid_dims
      - .offset:         216
        .size:           4
        .value_kind:     hidden_dynamic_lds_size
    .group_segment_fixed_size: 0
    .kernarg_segment_align: 8
    .kernarg_segment_size: 352
    .language:       OpenCL C
    .language_version:
      - 2
      - 0
    .max_flat_workgroup_size: 512
    .name:           _ZN9rocsolver6v33100L18getf2_small_kernelILi39EdiiPKPdEEvT1_T3_lS5_lPS5_llPT2_S5_S5_S7_l
    .private_segment_fixed_size: 0
    .sgpr_count:     26
    .sgpr_spill_count: 0
    .symbol:         _ZN9rocsolver6v33100L18getf2_small_kernelILi39EdiiPKPdEEvT1_T3_lS5_lPS5_llPT2_S5_S5_S7_l.kd
    .uniform_work_group_size: 1
    .uses_dynamic_stack: false
    .vgpr_count:     134
    .vgpr_spill_count: 0
    .wavefront_size: 64
  - .agpr_count:     0
    .args:
      - .offset:         0
        .size:           4
        .value_kind:     by_value
      - .address_space:  global
        .offset:         8
        .size:           8
        .value_kind:     global_buffer
      - .offset:         16
        .size:           8
        .value_kind:     by_value
      - .offset:         24
        .size:           4
        .value_kind:     by_value
      - .offset:         32
        .size:           8
        .value_kind:     by_value
      - .address_space:  global
        .offset:         40
        .size:           8
        .value_kind:     global_buffer
      - .offset:         48
        .size:           4
        .value_kind:     by_value
      - .offset:         52
        .size:           4
        .value_kind:     by_value
      - .offset:         56
        .size:           4
        .value_kind:     hidden_block_count_x
      - .offset:         60
        .size:           4
        .value_kind:     hidden_block_count_y
      - .offset:         64
        .size:           4
        .value_kind:     hidden_block_count_z
      - .offset:         68
        .size:           2
        .value_kind:     hidden_group_size_x
      - .offset:         70
        .size:           2
        .value_kind:     hidden_group_size_y
      - .offset:         72
        .size:           2
        .value_kind:     hidden_group_size_z
      - .offset:         74
        .size:           2
        .value_kind:     hidden_remainder_x
      - .offset:         76
        .size:           2
        .value_kind:     hidden_remainder_y
      - .offset:         78
        .size:           2
        .value_kind:     hidden_remainder_z
      - .offset:         96
        .size:           8
        .value_kind:     hidden_global_offset_x
      - .offset:         104
        .size:           8
        .value_kind:     hidden_global_offset_y
      - .offset:         112
        .size:           8
        .value_kind:     hidden_global_offset_z
      - .offset:         120
        .size:           2
        .value_kind:     hidden_grid_dims
      - .offset:         176
        .size:           4
        .value_kind:     hidden_dynamic_lds_size
    .group_segment_fixed_size: 0
    .kernarg_segment_align: 8
    .kernarg_segment_size: 312
    .language:       OpenCL C
    .language_version:
      - 2
      - 0
    .max_flat_workgroup_size: 512
    .name:           _ZN9rocsolver6v33100L23getf2_npvt_small_kernelILi39EdiiPKPdEEvT1_T3_lS5_lPT2_S5_S5_
    .private_segment_fixed_size: 0
    .sgpr_count:     20
    .sgpr_spill_count: 0
    .symbol:         _ZN9rocsolver6v33100L23getf2_npvt_small_kernelILi39EdiiPKPdEEvT1_T3_lS5_lPT2_S5_S5_.kd
    .uniform_work_group_size: 1
    .uses_dynamic_stack: false
    .vgpr_count:     246
    .vgpr_spill_count: 0
    .wavefront_size: 64
  - .agpr_count:     0
    .args:
      - .offset:         0
        .size:           4
        .value_kind:     by_value
      - .address_space:  global
        .offset:         8
        .size:           8
        .value_kind:     global_buffer
      - .offset:         16
        .size:           8
        .value_kind:     by_value
      - .offset:         24
        .size:           4
        .value_kind:     by_value
      - .offset:         32
        .size:           8
        .value_kind:     by_value
      - .address_space:  global
        .offset:         40
        .size:           8
        .value_kind:     global_buffer
      - .offset:         48
        .size:           8
        .value_kind:     by_value
      - .offset:         56
        .size:           8
        .value_kind:     by_value
      - .address_space:  global
        .offset:         64
        .size:           8
        .value_kind:     global_buffer
      - .offset:         72
        .size:           4
        .value_kind:     by_value
      - .offset:         76
        .size:           4
        .value_kind:     by_value
      - .address_space:  global
        .offset:         80
        .size:           8
        .value_kind:     global_buffer
      - .offset:         88
        .size:           8
        .value_kind:     by_value
      - .offset:         96
        .size:           4
        .value_kind:     hidden_block_count_x
      - .offset:         100
        .size:           4
        .value_kind:     hidden_block_count_y
      - .offset:         104
        .size:           4
        .value_kind:     hidden_block_count_z
      - .offset:         108
        .size:           2
        .value_kind:     hidden_group_size_x
      - .offset:         110
        .size:           2
        .value_kind:     hidden_group_size_y
      - .offset:         112
        .size:           2
        .value_kind:     hidden_group_size_z
      - .offset:         114
        .size:           2
        .value_kind:     hidden_remainder_x
      - .offset:         116
        .size:           2
        .value_kind:     hidden_remainder_y
      - .offset:         118
        .size:           2
        .value_kind:     hidden_remainder_z
      - .offset:         136
        .size:           8
        .value_kind:     hidden_global_offset_x
      - .offset:         144
        .size:           8
        .value_kind:     hidden_global_offset_y
      - .offset:         152
        .size:           8
        .value_kind:     hidden_global_offset_z
      - .offset:         160
        .size:           2
        .value_kind:     hidden_grid_dims
      - .offset:         216
        .size:           4
        .value_kind:     hidden_dynamic_lds_size
    .group_segment_fixed_size: 0
    .kernarg_segment_align: 8
    .kernarg_segment_size: 352
    .language:       OpenCL C
    .language_version:
      - 2
      - 0
    .max_flat_workgroup_size: 512
    .name:           _ZN9rocsolver6v33100L18getf2_small_kernelILi40EdiiPKPdEEvT1_T3_lS5_lPS5_llPT2_S5_S5_S7_l
    .private_segment_fixed_size: 0
    .sgpr_count:     26
    .sgpr_spill_count: 0
    .symbol:         _ZN9rocsolver6v33100L18getf2_small_kernelILi40EdiiPKPdEEvT1_T3_lS5_lPS5_llPT2_S5_S5_S7_l.kd
    .uniform_work_group_size: 1
    .uses_dynamic_stack: false
    .vgpr_count:     138
    .vgpr_spill_count: 0
    .wavefront_size: 64
  - .agpr_count:     0
    .args:
      - .offset:         0
        .size:           4
        .value_kind:     by_value
      - .address_space:  global
        .offset:         8
        .size:           8
        .value_kind:     global_buffer
      - .offset:         16
        .size:           8
        .value_kind:     by_value
      - .offset:         24
        .size:           4
        .value_kind:     by_value
      - .offset:         32
        .size:           8
        .value_kind:     by_value
      - .address_space:  global
        .offset:         40
        .size:           8
        .value_kind:     global_buffer
      - .offset:         48
        .size:           4
        .value_kind:     by_value
      - .offset:         52
        .size:           4
        .value_kind:     by_value
      - .offset:         56
        .size:           4
        .value_kind:     hidden_block_count_x
      - .offset:         60
        .size:           4
        .value_kind:     hidden_block_count_y
      - .offset:         64
        .size:           4
        .value_kind:     hidden_block_count_z
      - .offset:         68
        .size:           2
        .value_kind:     hidden_group_size_x
      - .offset:         70
        .size:           2
        .value_kind:     hidden_group_size_y
      - .offset:         72
        .size:           2
        .value_kind:     hidden_group_size_z
      - .offset:         74
        .size:           2
        .value_kind:     hidden_remainder_x
      - .offset:         76
        .size:           2
        .value_kind:     hidden_remainder_y
      - .offset:         78
        .size:           2
        .value_kind:     hidden_remainder_z
      - .offset:         96
        .size:           8
        .value_kind:     hidden_global_offset_x
      - .offset:         104
        .size:           8
        .value_kind:     hidden_global_offset_y
      - .offset:         112
        .size:           8
        .value_kind:     hidden_global_offset_z
      - .offset:         120
        .size:           2
        .value_kind:     hidden_grid_dims
      - .offset:         176
        .size:           4
        .value_kind:     hidden_dynamic_lds_size
    .group_segment_fixed_size: 0
    .kernarg_segment_align: 8
    .kernarg_segment_size: 312
    .language:       OpenCL C
    .language_version:
      - 2
      - 0
    .max_flat_workgroup_size: 512
    .name:           _ZN9rocsolver6v33100L23getf2_npvt_small_kernelILi40EdiiPKPdEEvT1_T3_lS5_lPT2_S5_S5_
    .private_segment_fixed_size: 0
    .sgpr_count:     20
    .sgpr_spill_count: 0
    .symbol:         _ZN9rocsolver6v33100L23getf2_npvt_small_kernelILi40EdiiPKPdEEvT1_T3_lS5_lPT2_S5_S5_.kd
    .uniform_work_group_size: 1
    .uses_dynamic_stack: false
    .vgpr_count:     252
    .vgpr_spill_count: 0
    .wavefront_size: 64
  - .agpr_count:     0
    .args:
      - .offset:         0
        .size:           4
        .value_kind:     by_value
      - .address_space:  global
        .offset:         8
        .size:           8
        .value_kind:     global_buffer
      - .offset:         16
        .size:           8
        .value_kind:     by_value
      - .offset:         24
        .size:           4
        .value_kind:     by_value
      - .offset:         32
        .size:           8
        .value_kind:     by_value
      - .address_space:  global
        .offset:         40
        .size:           8
        .value_kind:     global_buffer
      - .offset:         48
        .size:           8
        .value_kind:     by_value
      - .offset:         56
        .size:           8
        .value_kind:     by_value
      - .address_space:  global
        .offset:         64
        .size:           8
        .value_kind:     global_buffer
      - .offset:         72
        .size:           4
        .value_kind:     by_value
      - .offset:         76
        .size:           4
        .value_kind:     by_value
      - .address_space:  global
        .offset:         80
        .size:           8
        .value_kind:     global_buffer
      - .offset:         88
        .size:           8
        .value_kind:     by_value
      - .offset:         96
        .size:           4
        .value_kind:     hidden_block_count_x
      - .offset:         100
        .size:           4
        .value_kind:     hidden_block_count_y
      - .offset:         104
        .size:           4
        .value_kind:     hidden_block_count_z
      - .offset:         108
        .size:           2
        .value_kind:     hidden_group_size_x
      - .offset:         110
        .size:           2
        .value_kind:     hidden_group_size_y
      - .offset:         112
        .size:           2
        .value_kind:     hidden_group_size_z
      - .offset:         114
        .size:           2
        .value_kind:     hidden_remainder_x
      - .offset:         116
        .size:           2
        .value_kind:     hidden_remainder_y
      - .offset:         118
        .size:           2
        .value_kind:     hidden_remainder_z
      - .offset:         136
        .size:           8
        .value_kind:     hidden_global_offset_x
      - .offset:         144
        .size:           8
        .value_kind:     hidden_global_offset_y
      - .offset:         152
        .size:           8
        .value_kind:     hidden_global_offset_z
      - .offset:         160
        .size:           2
        .value_kind:     hidden_grid_dims
      - .offset:         216
        .size:           4
        .value_kind:     hidden_dynamic_lds_size
    .group_segment_fixed_size: 0
    .kernarg_segment_align: 8
    .kernarg_segment_size: 352
    .language:       OpenCL C
    .language_version:
      - 2
      - 0
    .max_flat_workgroup_size: 512
    .name:           _ZN9rocsolver6v33100L18getf2_small_kernelILi41EdiiPKPdEEvT1_T3_lS5_lPS5_llPT2_S5_S5_S7_l
    .private_segment_fixed_size: 0
    .sgpr_count:     26
    .sgpr_spill_count: 0
    .symbol:         _ZN9rocsolver6v33100L18getf2_small_kernelILi41EdiiPKPdEEvT1_T3_lS5_lPS5_llPT2_S5_S5_S7_l.kd
    .uniform_work_group_size: 1
    .uses_dynamic_stack: false
    .vgpr_count:     142
    .vgpr_spill_count: 0
    .wavefront_size: 64
  - .agpr_count:     0
    .args:
      - .offset:         0
        .size:           4
        .value_kind:     by_value
      - .address_space:  global
        .offset:         8
        .size:           8
        .value_kind:     global_buffer
      - .offset:         16
        .size:           8
        .value_kind:     by_value
      - .offset:         24
        .size:           4
        .value_kind:     by_value
      - .offset:         32
        .size:           8
        .value_kind:     by_value
      - .address_space:  global
        .offset:         40
        .size:           8
        .value_kind:     global_buffer
      - .offset:         48
        .size:           4
        .value_kind:     by_value
      - .offset:         52
        .size:           4
        .value_kind:     by_value
      - .offset:         56
        .size:           4
        .value_kind:     hidden_block_count_x
      - .offset:         60
        .size:           4
        .value_kind:     hidden_block_count_y
      - .offset:         64
        .size:           4
        .value_kind:     hidden_block_count_z
      - .offset:         68
        .size:           2
        .value_kind:     hidden_group_size_x
      - .offset:         70
        .size:           2
        .value_kind:     hidden_group_size_y
      - .offset:         72
        .size:           2
        .value_kind:     hidden_group_size_z
      - .offset:         74
        .size:           2
        .value_kind:     hidden_remainder_x
      - .offset:         76
        .size:           2
        .value_kind:     hidden_remainder_y
      - .offset:         78
        .size:           2
        .value_kind:     hidden_remainder_z
      - .offset:         96
        .size:           8
        .value_kind:     hidden_global_offset_x
      - .offset:         104
        .size:           8
        .value_kind:     hidden_global_offset_y
      - .offset:         112
        .size:           8
        .value_kind:     hidden_global_offset_z
      - .offset:         120
        .size:           2
        .value_kind:     hidden_grid_dims
      - .offset:         176
        .size:           4
        .value_kind:     hidden_dynamic_lds_size
    .group_segment_fixed_size: 0
    .kernarg_segment_align: 8
    .kernarg_segment_size: 312
    .language:       OpenCL C
    .language_version:
      - 2
      - 0
    .max_flat_workgroup_size: 512
    .name:           _ZN9rocsolver6v33100L23getf2_npvt_small_kernelILi41EdiiPKPdEEvT1_T3_lS5_lPT2_S5_S5_
    .private_segment_fixed_size: 12
    .sgpr_count:     24
    .sgpr_spill_count: 0
    .symbol:         _ZN9rocsolver6v33100L23getf2_npvt_small_kernelILi41EdiiPKPdEEvT1_T3_lS5_lPT2_S5_S5_.kd
    .uniform_work_group_size: 1
    .uses_dynamic_stack: false
    .vgpr_count:     256
    .vgpr_spill_count: 2
    .wavefront_size: 64
  - .agpr_count:     0
    .args:
      - .offset:         0
        .size:           4
        .value_kind:     by_value
      - .address_space:  global
        .offset:         8
        .size:           8
        .value_kind:     global_buffer
      - .offset:         16
        .size:           8
        .value_kind:     by_value
      - .offset:         24
        .size:           4
        .value_kind:     by_value
      - .offset:         32
        .size:           8
        .value_kind:     by_value
      - .address_space:  global
        .offset:         40
        .size:           8
        .value_kind:     global_buffer
      - .offset:         48
        .size:           8
        .value_kind:     by_value
      - .offset:         56
        .size:           8
        .value_kind:     by_value
      - .address_space:  global
        .offset:         64
        .size:           8
        .value_kind:     global_buffer
      - .offset:         72
        .size:           4
        .value_kind:     by_value
      - .offset:         76
        .size:           4
        .value_kind:     by_value
      - .address_space:  global
        .offset:         80
        .size:           8
        .value_kind:     global_buffer
      - .offset:         88
        .size:           8
        .value_kind:     by_value
      - .offset:         96
        .size:           4
        .value_kind:     hidden_block_count_x
      - .offset:         100
        .size:           4
        .value_kind:     hidden_block_count_y
      - .offset:         104
        .size:           4
        .value_kind:     hidden_block_count_z
      - .offset:         108
        .size:           2
        .value_kind:     hidden_group_size_x
      - .offset:         110
        .size:           2
        .value_kind:     hidden_group_size_y
      - .offset:         112
        .size:           2
        .value_kind:     hidden_group_size_z
      - .offset:         114
        .size:           2
        .value_kind:     hidden_remainder_x
      - .offset:         116
        .size:           2
        .value_kind:     hidden_remainder_y
      - .offset:         118
        .size:           2
        .value_kind:     hidden_remainder_z
      - .offset:         136
        .size:           8
        .value_kind:     hidden_global_offset_x
      - .offset:         144
        .size:           8
        .value_kind:     hidden_global_offset_y
      - .offset:         152
        .size:           8
        .value_kind:     hidden_global_offset_z
      - .offset:         160
        .size:           2
        .value_kind:     hidden_grid_dims
      - .offset:         216
        .size:           4
        .value_kind:     hidden_dynamic_lds_size
    .group_segment_fixed_size: 0
    .kernarg_segment_align: 8
    .kernarg_segment_size: 352
    .language:       OpenCL C
    .language_version:
      - 2
      - 0
    .max_flat_workgroup_size: 512
    .name:           _ZN9rocsolver6v33100L18getf2_small_kernelILi42EdiiPKPdEEvT1_T3_lS5_lPS5_llPT2_S5_S5_S7_l
    .private_segment_fixed_size: 0
    .sgpr_count:     26
    .sgpr_spill_count: 0
    .symbol:         _ZN9rocsolver6v33100L18getf2_small_kernelILi42EdiiPKPdEEvT1_T3_lS5_lPS5_llPT2_S5_S5_S7_l.kd
    .uniform_work_group_size: 1
    .uses_dynamic_stack: false
    .vgpr_count:     146
    .vgpr_spill_count: 0
    .wavefront_size: 64
  - .agpr_count:     0
    .args:
      - .offset:         0
        .size:           4
        .value_kind:     by_value
      - .address_space:  global
        .offset:         8
        .size:           8
        .value_kind:     global_buffer
      - .offset:         16
        .size:           8
        .value_kind:     by_value
      - .offset:         24
        .size:           4
        .value_kind:     by_value
      - .offset:         32
        .size:           8
        .value_kind:     by_value
      - .address_space:  global
        .offset:         40
        .size:           8
        .value_kind:     global_buffer
      - .offset:         48
        .size:           4
        .value_kind:     by_value
      - .offset:         52
        .size:           4
        .value_kind:     by_value
      - .offset:         56
        .size:           4
        .value_kind:     hidden_block_count_x
      - .offset:         60
        .size:           4
        .value_kind:     hidden_block_count_y
      - .offset:         64
        .size:           4
        .value_kind:     hidden_block_count_z
      - .offset:         68
        .size:           2
        .value_kind:     hidden_group_size_x
      - .offset:         70
        .size:           2
        .value_kind:     hidden_group_size_y
      - .offset:         72
        .size:           2
        .value_kind:     hidden_group_size_z
      - .offset:         74
        .size:           2
        .value_kind:     hidden_remainder_x
      - .offset:         76
        .size:           2
        .value_kind:     hidden_remainder_y
      - .offset:         78
        .size:           2
        .value_kind:     hidden_remainder_z
      - .offset:         96
        .size:           8
        .value_kind:     hidden_global_offset_x
      - .offset:         104
        .size:           8
        .value_kind:     hidden_global_offset_y
      - .offset:         112
        .size:           8
        .value_kind:     hidden_global_offset_z
      - .offset:         120
        .size:           2
        .value_kind:     hidden_grid_dims
      - .offset:         176
        .size:           4
        .value_kind:     hidden_dynamic_lds_size
    .group_segment_fixed_size: 0
    .kernarg_segment_align: 8
    .kernarg_segment_size: 312
    .language:       OpenCL C
    .language_version:
      - 2
      - 0
    .max_flat_workgroup_size: 512
    .name:           _ZN9rocsolver6v33100L23getf2_npvt_small_kernelILi42EdiiPKPdEEvT1_T3_lS5_lPT2_S5_S5_
    .private_segment_fixed_size: 36
    .sgpr_count:     24
    .sgpr_spill_count: 0
    .symbol:         _ZN9rocsolver6v33100L23getf2_npvt_small_kernelILi42EdiiPKPdEEvT1_T3_lS5_lPT2_S5_S5_.kd
    .uniform_work_group_size: 1
    .uses_dynamic_stack: false
    .vgpr_count:     255
    .vgpr_spill_count: 8
    .wavefront_size: 64
  - .agpr_count:     0
    .args:
      - .offset:         0
        .size:           4
        .value_kind:     by_value
      - .address_space:  global
        .offset:         8
        .size:           8
        .value_kind:     global_buffer
      - .offset:         16
        .size:           8
        .value_kind:     by_value
      - .offset:         24
        .size:           4
        .value_kind:     by_value
      - .offset:         32
        .size:           8
        .value_kind:     by_value
      - .address_space:  global
        .offset:         40
        .size:           8
        .value_kind:     global_buffer
      - .offset:         48
        .size:           8
        .value_kind:     by_value
      - .offset:         56
        .size:           8
        .value_kind:     by_value
      - .address_space:  global
        .offset:         64
        .size:           8
        .value_kind:     global_buffer
      - .offset:         72
        .size:           4
        .value_kind:     by_value
      - .offset:         76
        .size:           4
        .value_kind:     by_value
      - .address_space:  global
        .offset:         80
        .size:           8
        .value_kind:     global_buffer
      - .offset:         88
        .size:           8
        .value_kind:     by_value
      - .offset:         96
        .size:           4
        .value_kind:     hidden_block_count_x
      - .offset:         100
        .size:           4
        .value_kind:     hidden_block_count_y
      - .offset:         104
        .size:           4
        .value_kind:     hidden_block_count_z
      - .offset:         108
        .size:           2
        .value_kind:     hidden_group_size_x
      - .offset:         110
        .size:           2
        .value_kind:     hidden_group_size_y
      - .offset:         112
        .size:           2
        .value_kind:     hidden_group_size_z
      - .offset:         114
        .size:           2
        .value_kind:     hidden_remainder_x
      - .offset:         116
        .size:           2
        .value_kind:     hidden_remainder_y
      - .offset:         118
        .size:           2
        .value_kind:     hidden_remainder_z
      - .offset:         136
        .size:           8
        .value_kind:     hidden_global_offset_x
      - .offset:         144
        .size:           8
        .value_kind:     hidden_global_offset_y
      - .offset:         152
        .size:           8
        .value_kind:     hidden_global_offset_z
      - .offset:         160
        .size:           2
        .value_kind:     hidden_grid_dims
      - .offset:         216
        .size:           4
        .value_kind:     hidden_dynamic_lds_size
    .group_segment_fixed_size: 0
    .kernarg_segment_align: 8
    .kernarg_segment_size: 352
    .language:       OpenCL C
    .language_version:
      - 2
      - 0
    .max_flat_workgroup_size: 512
    .name:           _ZN9rocsolver6v33100L18getf2_small_kernelILi43EdiiPKPdEEvT1_T3_lS5_lPS5_llPT2_S5_S5_S7_l
    .private_segment_fixed_size: 0
    .sgpr_count:     26
    .sgpr_spill_count: 0
    .symbol:         _ZN9rocsolver6v33100L18getf2_small_kernelILi43EdiiPKPdEEvT1_T3_lS5_lPS5_llPT2_S5_S5_S7_l.kd
    .uniform_work_group_size: 1
    .uses_dynamic_stack: false
    .vgpr_count:     150
    .vgpr_spill_count: 0
    .wavefront_size: 64
  - .agpr_count:     0
    .args:
      - .offset:         0
        .size:           4
        .value_kind:     by_value
      - .address_space:  global
        .offset:         8
        .size:           8
        .value_kind:     global_buffer
      - .offset:         16
        .size:           8
        .value_kind:     by_value
      - .offset:         24
        .size:           4
        .value_kind:     by_value
      - .offset:         32
        .size:           8
        .value_kind:     by_value
      - .address_space:  global
        .offset:         40
        .size:           8
        .value_kind:     global_buffer
      - .offset:         48
        .size:           4
        .value_kind:     by_value
      - .offset:         52
        .size:           4
        .value_kind:     by_value
      - .offset:         56
        .size:           4
        .value_kind:     hidden_block_count_x
      - .offset:         60
        .size:           4
        .value_kind:     hidden_block_count_y
      - .offset:         64
        .size:           4
        .value_kind:     hidden_block_count_z
      - .offset:         68
        .size:           2
        .value_kind:     hidden_group_size_x
      - .offset:         70
        .size:           2
        .value_kind:     hidden_group_size_y
      - .offset:         72
        .size:           2
        .value_kind:     hidden_group_size_z
      - .offset:         74
        .size:           2
        .value_kind:     hidden_remainder_x
      - .offset:         76
        .size:           2
        .value_kind:     hidden_remainder_y
      - .offset:         78
        .size:           2
        .value_kind:     hidden_remainder_z
      - .offset:         96
        .size:           8
        .value_kind:     hidden_global_offset_x
      - .offset:         104
        .size:           8
        .value_kind:     hidden_global_offset_y
      - .offset:         112
        .size:           8
        .value_kind:     hidden_global_offset_z
      - .offset:         120
        .size:           2
        .value_kind:     hidden_grid_dims
      - .offset:         176
        .size:           4
        .value_kind:     hidden_dynamic_lds_size
    .group_segment_fixed_size: 0
    .kernarg_segment_align: 8
    .kernarg_segment_size: 312
    .language:       OpenCL C
    .language_version:
      - 2
      - 0
    .max_flat_workgroup_size: 512
    .name:           _ZN9rocsolver6v33100L23getf2_npvt_small_kernelILi43EdiiPKPdEEvT1_T3_lS5_lPT2_S5_S5_
    .private_segment_fixed_size: 60
    .sgpr_count:     24
    .sgpr_spill_count: 0
    .symbol:         _ZN9rocsolver6v33100L23getf2_npvt_small_kernelILi43EdiiPKPdEEvT1_T3_lS5_lPT2_S5_S5_.kd
    .uniform_work_group_size: 1
    .uses_dynamic_stack: false
    .vgpr_count:     256
    .vgpr_spill_count: 14
    .wavefront_size: 64
  - .agpr_count:     0
    .args:
      - .offset:         0
        .size:           4
        .value_kind:     by_value
      - .address_space:  global
        .offset:         8
        .size:           8
        .value_kind:     global_buffer
      - .offset:         16
        .size:           8
        .value_kind:     by_value
      - .offset:         24
        .size:           4
        .value_kind:     by_value
      - .offset:         32
        .size:           8
        .value_kind:     by_value
      - .address_space:  global
        .offset:         40
        .size:           8
        .value_kind:     global_buffer
      - .offset:         48
        .size:           8
        .value_kind:     by_value
      - .offset:         56
        .size:           8
        .value_kind:     by_value
      - .address_space:  global
        .offset:         64
        .size:           8
        .value_kind:     global_buffer
      - .offset:         72
        .size:           4
        .value_kind:     by_value
      - .offset:         76
        .size:           4
        .value_kind:     by_value
      - .address_space:  global
        .offset:         80
        .size:           8
        .value_kind:     global_buffer
      - .offset:         88
        .size:           8
        .value_kind:     by_value
      - .offset:         96
        .size:           4
        .value_kind:     hidden_block_count_x
      - .offset:         100
        .size:           4
        .value_kind:     hidden_block_count_y
      - .offset:         104
        .size:           4
        .value_kind:     hidden_block_count_z
      - .offset:         108
        .size:           2
        .value_kind:     hidden_group_size_x
      - .offset:         110
        .size:           2
        .value_kind:     hidden_group_size_y
      - .offset:         112
        .size:           2
        .value_kind:     hidden_group_size_z
      - .offset:         114
        .size:           2
        .value_kind:     hidden_remainder_x
      - .offset:         116
        .size:           2
        .value_kind:     hidden_remainder_y
      - .offset:         118
        .size:           2
        .value_kind:     hidden_remainder_z
      - .offset:         136
        .size:           8
        .value_kind:     hidden_global_offset_x
      - .offset:         144
        .size:           8
        .value_kind:     hidden_global_offset_y
      - .offset:         152
        .size:           8
        .value_kind:     hidden_global_offset_z
      - .offset:         160
        .size:           2
        .value_kind:     hidden_grid_dims
      - .offset:         216
        .size:           4
        .value_kind:     hidden_dynamic_lds_size
    .group_segment_fixed_size: 0
    .kernarg_segment_align: 8
    .kernarg_segment_size: 352
    .language:       OpenCL C
    .language_version:
      - 2
      - 0
    .max_flat_workgroup_size: 512
    .name:           _ZN9rocsolver6v33100L18getf2_small_kernelILi44EdiiPKPdEEvT1_T3_lS5_lPS5_llPT2_S5_S5_S7_l
    .private_segment_fixed_size: 0
    .sgpr_count:     26
    .sgpr_spill_count: 0
    .symbol:         _ZN9rocsolver6v33100L18getf2_small_kernelILi44EdiiPKPdEEvT1_T3_lS5_lPS5_llPT2_S5_S5_S7_l.kd
    .uniform_work_group_size: 1
    .uses_dynamic_stack: false
    .vgpr_count:     154
    .vgpr_spill_count: 0
    .wavefront_size: 64
  - .agpr_count:     0
    .args:
      - .offset:         0
        .size:           4
        .value_kind:     by_value
      - .address_space:  global
        .offset:         8
        .size:           8
        .value_kind:     global_buffer
      - .offset:         16
        .size:           8
        .value_kind:     by_value
      - .offset:         24
        .size:           4
        .value_kind:     by_value
      - .offset:         32
        .size:           8
        .value_kind:     by_value
      - .address_space:  global
        .offset:         40
        .size:           8
        .value_kind:     global_buffer
      - .offset:         48
        .size:           4
        .value_kind:     by_value
      - .offset:         52
        .size:           4
        .value_kind:     by_value
      - .offset:         56
        .size:           4
        .value_kind:     hidden_block_count_x
      - .offset:         60
        .size:           4
        .value_kind:     hidden_block_count_y
      - .offset:         64
        .size:           4
        .value_kind:     hidden_block_count_z
      - .offset:         68
        .size:           2
        .value_kind:     hidden_group_size_x
      - .offset:         70
        .size:           2
        .value_kind:     hidden_group_size_y
      - .offset:         72
        .size:           2
        .value_kind:     hidden_group_size_z
      - .offset:         74
        .size:           2
        .value_kind:     hidden_remainder_x
      - .offset:         76
        .size:           2
        .value_kind:     hidden_remainder_y
      - .offset:         78
        .size:           2
        .value_kind:     hidden_remainder_z
      - .offset:         96
        .size:           8
        .value_kind:     hidden_global_offset_x
      - .offset:         104
        .size:           8
        .value_kind:     hidden_global_offset_y
      - .offset:         112
        .size:           8
        .value_kind:     hidden_global_offset_z
      - .offset:         120
        .size:           2
        .value_kind:     hidden_grid_dims
      - .offset:         176
        .size:           4
        .value_kind:     hidden_dynamic_lds_size
    .group_segment_fixed_size: 0
    .kernarg_segment_align: 8
    .kernarg_segment_size: 312
    .language:       OpenCL C
    .language_version:
      - 2
      - 0
    .max_flat_workgroup_size: 512
    .name:           _ZN9rocsolver6v33100L23getf2_npvt_small_kernelILi44EdiiPKPdEEvT1_T3_lS5_lPT2_S5_S5_
    .private_segment_fixed_size: 84
    .sgpr_count:     24
    .sgpr_spill_count: 0
    .symbol:         _ZN9rocsolver6v33100L23getf2_npvt_small_kernelILi44EdiiPKPdEEvT1_T3_lS5_lPT2_S5_S5_.kd
    .uniform_work_group_size: 1
    .uses_dynamic_stack: false
    .vgpr_count:     256
    .vgpr_spill_count: 20
    .wavefront_size: 64
  - .agpr_count:     0
    .args:
      - .offset:         0
        .size:           4
        .value_kind:     by_value
      - .address_space:  global
        .offset:         8
        .size:           8
        .value_kind:     global_buffer
      - .offset:         16
        .size:           8
        .value_kind:     by_value
      - .offset:         24
        .size:           4
        .value_kind:     by_value
      - .offset:         32
        .size:           8
        .value_kind:     by_value
      - .address_space:  global
        .offset:         40
        .size:           8
        .value_kind:     global_buffer
      - .offset:         48
        .size:           8
        .value_kind:     by_value
      - .offset:         56
        .size:           8
        .value_kind:     by_value
      - .address_space:  global
        .offset:         64
        .size:           8
        .value_kind:     global_buffer
      - .offset:         72
        .size:           4
        .value_kind:     by_value
      - .offset:         76
        .size:           4
        .value_kind:     by_value
      - .address_space:  global
        .offset:         80
        .size:           8
        .value_kind:     global_buffer
      - .offset:         88
        .size:           8
        .value_kind:     by_value
      - .offset:         96
        .size:           4
        .value_kind:     hidden_block_count_x
      - .offset:         100
        .size:           4
        .value_kind:     hidden_block_count_y
      - .offset:         104
        .size:           4
        .value_kind:     hidden_block_count_z
      - .offset:         108
        .size:           2
        .value_kind:     hidden_group_size_x
      - .offset:         110
        .size:           2
        .value_kind:     hidden_group_size_y
      - .offset:         112
        .size:           2
        .value_kind:     hidden_group_size_z
      - .offset:         114
        .size:           2
        .value_kind:     hidden_remainder_x
      - .offset:         116
        .size:           2
        .value_kind:     hidden_remainder_y
      - .offset:         118
        .size:           2
        .value_kind:     hidden_remainder_z
      - .offset:         136
        .size:           8
        .value_kind:     hidden_global_offset_x
      - .offset:         144
        .size:           8
        .value_kind:     hidden_global_offset_y
      - .offset:         152
        .size:           8
        .value_kind:     hidden_global_offset_z
      - .offset:         160
        .size:           2
        .value_kind:     hidden_grid_dims
      - .offset:         216
        .size:           4
        .value_kind:     hidden_dynamic_lds_size
    .group_segment_fixed_size: 0
    .kernarg_segment_align: 8
    .kernarg_segment_size: 352
    .language:       OpenCL C
    .language_version:
      - 2
      - 0
    .max_flat_workgroup_size: 512
    .name:           _ZN9rocsolver6v33100L18getf2_small_kernelILi45EdiiPKPdEEvT1_T3_lS5_lPS5_llPT2_S5_S5_S7_l
    .private_segment_fixed_size: 0
    .sgpr_count:     26
    .sgpr_spill_count: 0
    .symbol:         _ZN9rocsolver6v33100L18getf2_small_kernelILi45EdiiPKPdEEvT1_T3_lS5_lPS5_llPT2_S5_S5_S7_l.kd
    .uniform_work_group_size: 1
    .uses_dynamic_stack: false
    .vgpr_count:     154
    .vgpr_spill_count: 0
    .wavefront_size: 64
  - .agpr_count:     0
    .args:
      - .offset:         0
        .size:           4
        .value_kind:     by_value
      - .address_space:  global
        .offset:         8
        .size:           8
        .value_kind:     global_buffer
      - .offset:         16
        .size:           8
        .value_kind:     by_value
      - .offset:         24
        .size:           4
        .value_kind:     by_value
      - .offset:         32
        .size:           8
        .value_kind:     by_value
      - .address_space:  global
        .offset:         40
        .size:           8
        .value_kind:     global_buffer
      - .offset:         48
        .size:           4
        .value_kind:     by_value
      - .offset:         52
        .size:           4
        .value_kind:     by_value
      - .offset:         56
        .size:           4
        .value_kind:     hidden_block_count_x
      - .offset:         60
        .size:           4
        .value_kind:     hidden_block_count_y
      - .offset:         64
        .size:           4
        .value_kind:     hidden_block_count_z
      - .offset:         68
        .size:           2
        .value_kind:     hidden_group_size_x
      - .offset:         70
        .size:           2
        .value_kind:     hidden_group_size_y
      - .offset:         72
        .size:           2
        .value_kind:     hidden_group_size_z
      - .offset:         74
        .size:           2
        .value_kind:     hidden_remainder_x
      - .offset:         76
        .size:           2
        .value_kind:     hidden_remainder_y
      - .offset:         78
        .size:           2
        .value_kind:     hidden_remainder_z
      - .offset:         96
        .size:           8
        .value_kind:     hidden_global_offset_x
      - .offset:         104
        .size:           8
        .value_kind:     hidden_global_offset_y
      - .offset:         112
        .size:           8
        .value_kind:     hidden_global_offset_z
      - .offset:         120
        .size:           2
        .value_kind:     hidden_grid_dims
      - .offset:         176
        .size:           4
        .value_kind:     hidden_dynamic_lds_size
    .group_segment_fixed_size: 0
    .kernarg_segment_align: 8
    .kernarg_segment_size: 312
    .language:       OpenCL C
    .language_version:
      - 2
      - 0
    .max_flat_workgroup_size: 512
    .name:           _ZN9rocsolver6v33100L23getf2_npvt_small_kernelILi45EdiiPKPdEEvT1_T3_lS5_lPT2_S5_S5_
    .private_segment_fixed_size: 112
    .sgpr_count:     24
    .sgpr_spill_count: 0
    .symbol:         _ZN9rocsolver6v33100L23getf2_npvt_small_kernelILi45EdiiPKPdEEvT1_T3_lS5_lPT2_S5_S5_.kd
    .uniform_work_group_size: 1
    .uses_dynamic_stack: false
    .vgpr_count:     256
    .vgpr_spill_count: 61
    .wavefront_size: 64
  - .agpr_count:     0
    .args:
      - .offset:         0
        .size:           4
        .value_kind:     by_value
      - .address_space:  global
        .offset:         8
        .size:           8
        .value_kind:     global_buffer
      - .offset:         16
        .size:           8
        .value_kind:     by_value
      - .offset:         24
        .size:           4
        .value_kind:     by_value
      - .offset:         32
        .size:           8
        .value_kind:     by_value
      - .address_space:  global
        .offset:         40
        .size:           8
        .value_kind:     global_buffer
      - .offset:         48
        .size:           8
        .value_kind:     by_value
      - .offset:         56
        .size:           8
        .value_kind:     by_value
      - .address_space:  global
        .offset:         64
        .size:           8
        .value_kind:     global_buffer
      - .offset:         72
        .size:           4
        .value_kind:     by_value
      - .offset:         76
        .size:           4
        .value_kind:     by_value
      - .address_space:  global
        .offset:         80
        .size:           8
        .value_kind:     global_buffer
      - .offset:         88
        .size:           8
        .value_kind:     by_value
      - .offset:         96
        .size:           4
        .value_kind:     hidden_block_count_x
      - .offset:         100
        .size:           4
        .value_kind:     hidden_block_count_y
      - .offset:         104
        .size:           4
        .value_kind:     hidden_block_count_z
      - .offset:         108
        .size:           2
        .value_kind:     hidden_group_size_x
      - .offset:         110
        .size:           2
        .value_kind:     hidden_group_size_y
      - .offset:         112
        .size:           2
        .value_kind:     hidden_group_size_z
      - .offset:         114
        .size:           2
        .value_kind:     hidden_remainder_x
      - .offset:         116
        .size:           2
        .value_kind:     hidden_remainder_y
      - .offset:         118
        .size:           2
        .value_kind:     hidden_remainder_z
      - .offset:         136
        .size:           8
        .value_kind:     hidden_global_offset_x
      - .offset:         144
        .size:           8
        .value_kind:     hidden_global_offset_y
      - .offset:         152
        .size:           8
        .value_kind:     hidden_global_offset_z
      - .offset:         160
        .size:           2
        .value_kind:     hidden_grid_dims
      - .offset:         216
        .size:           4
        .value_kind:     hidden_dynamic_lds_size
    .group_segment_fixed_size: 0
    .kernarg_segment_align: 8
    .kernarg_segment_size: 352
    .language:       OpenCL C
    .language_version:
      - 2
      - 0
    .max_flat_workgroup_size: 512
    .name:           _ZN9rocsolver6v33100L18getf2_small_kernelILi46EdiiPKPdEEvT1_T3_lS5_lPS5_llPT2_S5_S5_S7_l
    .private_segment_fixed_size: 0
    .sgpr_count:     26
    .sgpr_spill_count: 0
    .symbol:         _ZN9rocsolver6v33100L18getf2_small_kernelILi46EdiiPKPdEEvT1_T3_lS5_lPS5_llPT2_S5_S5_S7_l.kd
    .uniform_work_group_size: 1
    .uses_dynamic_stack: false
    .vgpr_count:     152
    .vgpr_spill_count: 0
    .wavefront_size: 64
  - .agpr_count:     0
    .args:
      - .offset:         0
        .size:           4
        .value_kind:     by_value
      - .address_space:  global
        .offset:         8
        .size:           8
        .value_kind:     global_buffer
      - .offset:         16
        .size:           8
        .value_kind:     by_value
      - .offset:         24
        .size:           4
        .value_kind:     by_value
      - .offset:         32
        .size:           8
        .value_kind:     by_value
      - .address_space:  global
        .offset:         40
        .size:           8
        .value_kind:     global_buffer
      - .offset:         48
        .size:           4
        .value_kind:     by_value
      - .offset:         52
        .size:           4
        .value_kind:     by_value
      - .offset:         56
        .size:           4
        .value_kind:     hidden_block_count_x
      - .offset:         60
        .size:           4
        .value_kind:     hidden_block_count_y
      - .offset:         64
        .size:           4
        .value_kind:     hidden_block_count_z
      - .offset:         68
        .size:           2
        .value_kind:     hidden_group_size_x
      - .offset:         70
        .size:           2
        .value_kind:     hidden_group_size_y
      - .offset:         72
        .size:           2
        .value_kind:     hidden_group_size_z
      - .offset:         74
        .size:           2
        .value_kind:     hidden_remainder_x
      - .offset:         76
        .size:           2
        .value_kind:     hidden_remainder_y
      - .offset:         78
        .size:           2
        .value_kind:     hidden_remainder_z
      - .offset:         96
        .size:           8
        .value_kind:     hidden_global_offset_x
      - .offset:         104
        .size:           8
        .value_kind:     hidden_global_offset_y
      - .offset:         112
        .size:           8
        .value_kind:     hidden_global_offset_z
      - .offset:         120
        .size:           2
        .value_kind:     hidden_grid_dims
      - .offset:         176
        .size:           4
        .value_kind:     hidden_dynamic_lds_size
    .group_segment_fixed_size: 0
    .kernarg_segment_align: 8
    .kernarg_segment_size: 312
    .language:       OpenCL C
    .language_version:
      - 2
      - 0
    .max_flat_workgroup_size: 512
    .name:           _ZN9rocsolver6v33100L23getf2_npvt_small_kernelILi46EdiiPKPdEEvT1_T3_lS5_lPT2_S5_S5_
    .private_segment_fixed_size: 132
    .sgpr_count:     24
    .sgpr_spill_count: 0
    .symbol:         _ZN9rocsolver6v33100L23getf2_npvt_small_kernelILi46EdiiPKPdEEvT1_T3_lS5_lPT2_S5_S5_.kd
    .uniform_work_group_size: 1
    .uses_dynamic_stack: false
    .vgpr_count:     256
    .vgpr_spill_count: 32
    .wavefront_size: 64
  - .agpr_count:     0
    .args:
      - .offset:         0
        .size:           4
        .value_kind:     by_value
      - .address_space:  global
        .offset:         8
        .size:           8
        .value_kind:     global_buffer
      - .offset:         16
        .size:           8
        .value_kind:     by_value
      - .offset:         24
        .size:           4
        .value_kind:     by_value
      - .offset:         32
        .size:           8
        .value_kind:     by_value
      - .address_space:  global
        .offset:         40
        .size:           8
        .value_kind:     global_buffer
      - .offset:         48
        .size:           8
        .value_kind:     by_value
      - .offset:         56
        .size:           8
        .value_kind:     by_value
      - .address_space:  global
        .offset:         64
        .size:           8
        .value_kind:     global_buffer
      - .offset:         72
        .size:           4
        .value_kind:     by_value
      - .offset:         76
        .size:           4
        .value_kind:     by_value
      - .address_space:  global
        .offset:         80
        .size:           8
        .value_kind:     global_buffer
      - .offset:         88
        .size:           8
        .value_kind:     by_value
      - .offset:         96
        .size:           4
        .value_kind:     hidden_block_count_x
      - .offset:         100
        .size:           4
        .value_kind:     hidden_block_count_y
      - .offset:         104
        .size:           4
        .value_kind:     hidden_block_count_z
      - .offset:         108
        .size:           2
        .value_kind:     hidden_group_size_x
      - .offset:         110
        .size:           2
        .value_kind:     hidden_group_size_y
      - .offset:         112
        .size:           2
        .value_kind:     hidden_group_size_z
      - .offset:         114
        .size:           2
        .value_kind:     hidden_remainder_x
      - .offset:         116
        .size:           2
        .value_kind:     hidden_remainder_y
      - .offset:         118
        .size:           2
        .value_kind:     hidden_remainder_z
      - .offset:         136
        .size:           8
        .value_kind:     hidden_global_offset_x
      - .offset:         144
        .size:           8
        .value_kind:     hidden_global_offset_y
      - .offset:         152
        .size:           8
        .value_kind:     hidden_global_offset_z
      - .offset:         160
        .size:           2
        .value_kind:     hidden_grid_dims
      - .offset:         216
        .size:           4
        .value_kind:     hidden_dynamic_lds_size
    .group_segment_fixed_size: 0
    .kernarg_segment_align: 8
    .kernarg_segment_size: 352
    .language:       OpenCL C
    .language_version:
      - 2
      - 0
    .max_flat_workgroup_size: 512
    .name:           _ZN9rocsolver6v33100L18getf2_small_kernelILi47EdiiPKPdEEvT1_T3_lS5_lPS5_llPT2_S5_S5_S7_l
    .private_segment_fixed_size: 0
    .sgpr_count:     26
    .sgpr_spill_count: 0
    .symbol:         _ZN9rocsolver6v33100L18getf2_small_kernelILi47EdiiPKPdEEvT1_T3_lS5_lPS5_llPT2_S5_S5_S7_l.kd
    .uniform_work_group_size: 1
    .uses_dynamic_stack: false
    .vgpr_count:     150
    .vgpr_spill_count: 0
    .wavefront_size: 64
  - .agpr_count:     0
    .args:
      - .offset:         0
        .size:           4
        .value_kind:     by_value
      - .address_space:  global
        .offset:         8
        .size:           8
        .value_kind:     global_buffer
      - .offset:         16
        .size:           8
        .value_kind:     by_value
      - .offset:         24
        .size:           4
        .value_kind:     by_value
      - .offset:         32
        .size:           8
        .value_kind:     by_value
      - .address_space:  global
        .offset:         40
        .size:           8
        .value_kind:     global_buffer
      - .offset:         48
        .size:           4
        .value_kind:     by_value
      - .offset:         52
        .size:           4
        .value_kind:     by_value
      - .offset:         56
        .size:           4
        .value_kind:     hidden_block_count_x
      - .offset:         60
        .size:           4
        .value_kind:     hidden_block_count_y
      - .offset:         64
        .size:           4
        .value_kind:     hidden_block_count_z
      - .offset:         68
        .size:           2
        .value_kind:     hidden_group_size_x
      - .offset:         70
        .size:           2
        .value_kind:     hidden_group_size_y
      - .offset:         72
        .size:           2
        .value_kind:     hidden_group_size_z
      - .offset:         74
        .size:           2
        .value_kind:     hidden_remainder_x
      - .offset:         76
        .size:           2
        .value_kind:     hidden_remainder_y
      - .offset:         78
        .size:           2
        .value_kind:     hidden_remainder_z
      - .offset:         96
        .size:           8
        .value_kind:     hidden_global_offset_x
      - .offset:         104
        .size:           8
        .value_kind:     hidden_global_offset_y
      - .offset:         112
        .size:           8
        .value_kind:     hidden_global_offset_z
      - .offset:         120
        .size:           2
        .value_kind:     hidden_grid_dims
      - .offset:         176
        .size:           4
        .value_kind:     hidden_dynamic_lds_size
    .group_segment_fixed_size: 0
    .kernarg_segment_align: 8
    .kernarg_segment_size: 312
    .language:       OpenCL C
    .language_version:
      - 2
      - 0
    .max_flat_workgroup_size: 512
    .name:           _ZN9rocsolver6v33100L23getf2_npvt_small_kernelILi47EdiiPKPdEEvT1_T3_lS5_lPT2_S5_S5_
    .private_segment_fixed_size: 156
    .sgpr_count:     24
    .sgpr_spill_count: 0
    .symbol:         _ZN9rocsolver6v33100L23getf2_npvt_small_kernelILi47EdiiPKPdEEvT1_T3_lS5_lPT2_S5_S5_.kd
    .uniform_work_group_size: 1
    .uses_dynamic_stack: false
    .vgpr_count:     256
    .vgpr_spill_count: 38
    .wavefront_size: 64
  - .agpr_count:     0
    .args:
      - .offset:         0
        .size:           4
        .value_kind:     by_value
      - .address_space:  global
        .offset:         8
        .size:           8
        .value_kind:     global_buffer
      - .offset:         16
        .size:           8
        .value_kind:     by_value
      - .offset:         24
        .size:           4
        .value_kind:     by_value
      - .offset:         32
        .size:           8
        .value_kind:     by_value
      - .address_space:  global
        .offset:         40
        .size:           8
        .value_kind:     global_buffer
      - .offset:         48
        .size:           8
        .value_kind:     by_value
      - .offset:         56
        .size:           8
        .value_kind:     by_value
      - .address_space:  global
        .offset:         64
        .size:           8
        .value_kind:     global_buffer
      - .offset:         72
        .size:           4
        .value_kind:     by_value
      - .offset:         76
        .size:           4
        .value_kind:     by_value
      - .address_space:  global
        .offset:         80
        .size:           8
        .value_kind:     global_buffer
      - .offset:         88
        .size:           8
        .value_kind:     by_value
      - .offset:         96
        .size:           4
        .value_kind:     hidden_block_count_x
      - .offset:         100
        .size:           4
        .value_kind:     hidden_block_count_y
      - .offset:         104
        .size:           4
        .value_kind:     hidden_block_count_z
      - .offset:         108
        .size:           2
        .value_kind:     hidden_group_size_x
      - .offset:         110
        .size:           2
        .value_kind:     hidden_group_size_y
      - .offset:         112
        .size:           2
        .value_kind:     hidden_group_size_z
      - .offset:         114
        .size:           2
        .value_kind:     hidden_remainder_x
      - .offset:         116
        .size:           2
        .value_kind:     hidden_remainder_y
      - .offset:         118
        .size:           2
        .value_kind:     hidden_remainder_z
      - .offset:         136
        .size:           8
        .value_kind:     hidden_global_offset_x
      - .offset:         144
        .size:           8
        .value_kind:     hidden_global_offset_y
      - .offset:         152
        .size:           8
        .value_kind:     hidden_global_offset_z
      - .offset:         160
        .size:           2
        .value_kind:     hidden_grid_dims
      - .offset:         216
        .size:           4
        .value_kind:     hidden_dynamic_lds_size
    .group_segment_fixed_size: 0
    .kernarg_segment_align: 8
    .kernarg_segment_size: 352
    .language:       OpenCL C
    .language_version:
      - 2
      - 0
    .max_flat_workgroup_size: 512
    .name:           _ZN9rocsolver6v33100L18getf2_small_kernelILi48EdiiPKPdEEvT1_T3_lS5_lPS5_llPT2_S5_S5_S7_l
    .private_segment_fixed_size: 0
    .sgpr_count:     26
    .sgpr_spill_count: 0
    .symbol:         _ZN9rocsolver6v33100L18getf2_small_kernelILi48EdiiPKPdEEvT1_T3_lS5_lPS5_llPT2_S5_S5_S7_l.kd
    .uniform_work_group_size: 1
    .uses_dynamic_stack: false
    .vgpr_count:     156
    .vgpr_spill_count: 0
    .wavefront_size: 64
  - .agpr_count:     0
    .args:
      - .offset:         0
        .size:           4
        .value_kind:     by_value
      - .address_space:  global
        .offset:         8
        .size:           8
        .value_kind:     global_buffer
      - .offset:         16
        .size:           8
        .value_kind:     by_value
      - .offset:         24
        .size:           4
        .value_kind:     by_value
      - .offset:         32
        .size:           8
        .value_kind:     by_value
      - .address_space:  global
        .offset:         40
        .size:           8
        .value_kind:     global_buffer
      - .offset:         48
        .size:           4
        .value_kind:     by_value
      - .offset:         52
        .size:           4
        .value_kind:     by_value
      - .offset:         56
        .size:           4
        .value_kind:     hidden_block_count_x
      - .offset:         60
        .size:           4
        .value_kind:     hidden_block_count_y
      - .offset:         64
        .size:           4
        .value_kind:     hidden_block_count_z
      - .offset:         68
        .size:           2
        .value_kind:     hidden_group_size_x
      - .offset:         70
        .size:           2
        .value_kind:     hidden_group_size_y
      - .offset:         72
        .size:           2
        .value_kind:     hidden_group_size_z
      - .offset:         74
        .size:           2
        .value_kind:     hidden_remainder_x
      - .offset:         76
        .size:           2
        .value_kind:     hidden_remainder_y
      - .offset:         78
        .size:           2
        .value_kind:     hidden_remainder_z
      - .offset:         96
        .size:           8
        .value_kind:     hidden_global_offset_x
      - .offset:         104
        .size:           8
        .value_kind:     hidden_global_offset_y
      - .offset:         112
        .size:           8
        .value_kind:     hidden_global_offset_z
      - .offset:         120
        .size:           2
        .value_kind:     hidden_grid_dims
      - .offset:         176
        .size:           4
        .value_kind:     hidden_dynamic_lds_size
    .group_segment_fixed_size: 0
    .kernarg_segment_align: 8
    .kernarg_segment_size: 312
    .language:       OpenCL C
    .language_version:
      - 2
      - 0
    .max_flat_workgroup_size: 512
    .name:           _ZN9rocsolver6v33100L23getf2_npvt_small_kernelILi48EdiiPKPdEEvT1_T3_lS5_lPT2_S5_S5_
    .private_segment_fixed_size: 180
    .sgpr_count:     24
    .sgpr_spill_count: 0
    .symbol:         _ZN9rocsolver6v33100L23getf2_npvt_small_kernelILi48EdiiPKPdEEvT1_T3_lS5_lPT2_S5_S5_.kd
    .uniform_work_group_size: 1
    .uses_dynamic_stack: false
    .vgpr_count:     256
    .vgpr_spill_count: 44
    .wavefront_size: 64
  - .agpr_count:     0
    .args:
      - .offset:         0
        .size:           4
        .value_kind:     by_value
      - .address_space:  global
        .offset:         8
        .size:           8
        .value_kind:     global_buffer
      - .offset:         16
        .size:           8
        .value_kind:     by_value
      - .offset:         24
        .size:           4
        .value_kind:     by_value
      - .offset:         32
        .size:           8
        .value_kind:     by_value
      - .address_space:  global
        .offset:         40
        .size:           8
        .value_kind:     global_buffer
      - .offset:         48
        .size:           8
        .value_kind:     by_value
      - .offset:         56
        .size:           8
        .value_kind:     by_value
      - .address_space:  global
        .offset:         64
        .size:           8
        .value_kind:     global_buffer
      - .offset:         72
        .size:           4
        .value_kind:     by_value
      - .offset:         76
        .size:           4
        .value_kind:     by_value
      - .address_space:  global
        .offset:         80
        .size:           8
        .value_kind:     global_buffer
      - .offset:         88
        .size:           8
        .value_kind:     by_value
      - .offset:         96
        .size:           4
        .value_kind:     hidden_block_count_x
      - .offset:         100
        .size:           4
        .value_kind:     hidden_block_count_y
      - .offset:         104
        .size:           4
        .value_kind:     hidden_block_count_z
      - .offset:         108
        .size:           2
        .value_kind:     hidden_group_size_x
      - .offset:         110
        .size:           2
        .value_kind:     hidden_group_size_y
      - .offset:         112
        .size:           2
        .value_kind:     hidden_group_size_z
      - .offset:         114
        .size:           2
        .value_kind:     hidden_remainder_x
      - .offset:         116
        .size:           2
        .value_kind:     hidden_remainder_y
      - .offset:         118
        .size:           2
        .value_kind:     hidden_remainder_z
      - .offset:         136
        .size:           8
        .value_kind:     hidden_global_offset_x
      - .offset:         144
        .size:           8
        .value_kind:     hidden_global_offset_y
      - .offset:         152
        .size:           8
        .value_kind:     hidden_global_offset_z
      - .offset:         160
        .size:           2
        .value_kind:     hidden_grid_dims
      - .offset:         216
        .size:           4
        .value_kind:     hidden_dynamic_lds_size
    .group_segment_fixed_size: 0
    .kernarg_segment_align: 8
    .kernarg_segment_size: 352
    .language:       OpenCL C
    .language_version:
      - 2
      - 0
    .max_flat_workgroup_size: 512
    .name:           _ZN9rocsolver6v33100L18getf2_small_kernelILi49EdiiPKPdEEvT1_T3_lS5_lPS5_llPT2_S5_S5_S7_l
    .private_segment_fixed_size: 0
    .sgpr_count:     26
    .sgpr_spill_count: 0
    .symbol:         _ZN9rocsolver6v33100L18getf2_small_kernelILi49EdiiPKPdEEvT1_T3_lS5_lPS5_llPT2_S5_S5_S7_l.kd
    .uniform_work_group_size: 1
    .uses_dynamic_stack: false
    .vgpr_count:     164
    .vgpr_spill_count: 0
    .wavefront_size: 64
  - .agpr_count:     0
    .args:
      - .offset:         0
        .size:           4
        .value_kind:     by_value
      - .address_space:  global
        .offset:         8
        .size:           8
        .value_kind:     global_buffer
      - .offset:         16
        .size:           8
        .value_kind:     by_value
      - .offset:         24
        .size:           4
        .value_kind:     by_value
      - .offset:         32
        .size:           8
        .value_kind:     by_value
      - .address_space:  global
        .offset:         40
        .size:           8
        .value_kind:     global_buffer
      - .offset:         48
        .size:           4
        .value_kind:     by_value
      - .offset:         52
        .size:           4
        .value_kind:     by_value
      - .offset:         56
        .size:           4
        .value_kind:     hidden_block_count_x
      - .offset:         60
        .size:           4
        .value_kind:     hidden_block_count_y
      - .offset:         64
        .size:           4
        .value_kind:     hidden_block_count_z
      - .offset:         68
        .size:           2
        .value_kind:     hidden_group_size_x
      - .offset:         70
        .size:           2
        .value_kind:     hidden_group_size_y
      - .offset:         72
        .size:           2
        .value_kind:     hidden_group_size_z
      - .offset:         74
        .size:           2
        .value_kind:     hidden_remainder_x
      - .offset:         76
        .size:           2
        .value_kind:     hidden_remainder_y
      - .offset:         78
        .size:           2
        .value_kind:     hidden_remainder_z
      - .offset:         96
        .size:           8
        .value_kind:     hidden_global_offset_x
      - .offset:         104
        .size:           8
        .value_kind:     hidden_global_offset_y
      - .offset:         112
        .size:           8
        .value_kind:     hidden_global_offset_z
      - .offset:         120
        .size:           2
        .value_kind:     hidden_grid_dims
      - .offset:         176
        .size:           4
        .value_kind:     hidden_dynamic_lds_size
    .group_segment_fixed_size: 0
    .kernarg_segment_align: 8
    .kernarg_segment_size: 312
    .language:       OpenCL C
    .language_version:
      - 2
      - 0
    .max_flat_workgroup_size: 512
    .name:           _ZN9rocsolver6v33100L23getf2_npvt_small_kernelILi49EdiiPKPdEEvT1_T3_lS5_lPT2_S5_S5_
    .private_segment_fixed_size: 200
    .sgpr_count:     24
    .sgpr_spill_count: 0
    .symbol:         _ZN9rocsolver6v33100L23getf2_npvt_small_kernelILi49EdiiPKPdEEvT1_T3_lS5_lPT2_S5_S5_.kd
    .uniform_work_group_size: 1
    .uses_dynamic_stack: false
    .vgpr_count:     256
    .vgpr_spill_count: 49
    .wavefront_size: 64
  - .agpr_count:     0
    .args:
      - .offset:         0
        .size:           4
        .value_kind:     by_value
      - .address_space:  global
        .offset:         8
        .size:           8
        .value_kind:     global_buffer
      - .offset:         16
        .size:           8
        .value_kind:     by_value
      - .offset:         24
        .size:           4
        .value_kind:     by_value
      - .offset:         32
        .size:           8
        .value_kind:     by_value
      - .address_space:  global
        .offset:         40
        .size:           8
        .value_kind:     global_buffer
      - .offset:         48
        .size:           8
        .value_kind:     by_value
      - .offset:         56
        .size:           8
        .value_kind:     by_value
      - .address_space:  global
        .offset:         64
        .size:           8
        .value_kind:     global_buffer
      - .offset:         72
        .size:           4
        .value_kind:     by_value
      - .offset:         76
        .size:           4
        .value_kind:     by_value
      - .address_space:  global
        .offset:         80
        .size:           8
        .value_kind:     global_buffer
      - .offset:         88
        .size:           8
        .value_kind:     by_value
      - .offset:         96
        .size:           4
        .value_kind:     hidden_block_count_x
      - .offset:         100
        .size:           4
        .value_kind:     hidden_block_count_y
      - .offset:         104
        .size:           4
        .value_kind:     hidden_block_count_z
      - .offset:         108
        .size:           2
        .value_kind:     hidden_group_size_x
      - .offset:         110
        .size:           2
        .value_kind:     hidden_group_size_y
      - .offset:         112
        .size:           2
        .value_kind:     hidden_group_size_z
      - .offset:         114
        .size:           2
        .value_kind:     hidden_remainder_x
      - .offset:         116
        .size:           2
        .value_kind:     hidden_remainder_y
      - .offset:         118
        .size:           2
        .value_kind:     hidden_remainder_z
      - .offset:         136
        .size:           8
        .value_kind:     hidden_global_offset_x
      - .offset:         144
        .size:           8
        .value_kind:     hidden_global_offset_y
      - .offset:         152
        .size:           8
        .value_kind:     hidden_global_offset_z
      - .offset:         160
        .size:           2
        .value_kind:     hidden_grid_dims
      - .offset:         216
        .size:           4
        .value_kind:     hidden_dynamic_lds_size
    .group_segment_fixed_size: 0
    .kernarg_segment_align: 8
    .kernarg_segment_size: 352
    .language:       OpenCL C
    .language_version:
      - 2
      - 0
    .max_flat_workgroup_size: 512
    .name:           _ZN9rocsolver6v33100L18getf2_small_kernelILi50EdiiPKPdEEvT1_T3_lS5_lPS5_llPT2_S5_S5_S7_l
    .private_segment_fixed_size: 0
    .sgpr_count:     26
    .sgpr_spill_count: 0
    .symbol:         _ZN9rocsolver6v33100L18getf2_small_kernelILi50EdiiPKPdEEvT1_T3_lS5_lPS5_llPT2_S5_S5_S7_l.kd
    .uniform_work_group_size: 1
    .uses_dynamic_stack: false
    .vgpr_count:     162
    .vgpr_spill_count: 0
    .wavefront_size: 64
  - .agpr_count:     0
    .args:
      - .offset:         0
        .size:           4
        .value_kind:     by_value
      - .address_space:  global
        .offset:         8
        .size:           8
        .value_kind:     global_buffer
      - .offset:         16
        .size:           8
        .value_kind:     by_value
      - .offset:         24
        .size:           4
        .value_kind:     by_value
      - .offset:         32
        .size:           8
        .value_kind:     by_value
      - .address_space:  global
        .offset:         40
        .size:           8
        .value_kind:     global_buffer
      - .offset:         48
        .size:           4
        .value_kind:     by_value
      - .offset:         52
        .size:           4
        .value_kind:     by_value
      - .offset:         56
        .size:           4
        .value_kind:     hidden_block_count_x
      - .offset:         60
        .size:           4
        .value_kind:     hidden_block_count_y
      - .offset:         64
        .size:           4
        .value_kind:     hidden_block_count_z
      - .offset:         68
        .size:           2
        .value_kind:     hidden_group_size_x
      - .offset:         70
        .size:           2
        .value_kind:     hidden_group_size_y
      - .offset:         72
        .size:           2
        .value_kind:     hidden_group_size_z
      - .offset:         74
        .size:           2
        .value_kind:     hidden_remainder_x
      - .offset:         76
        .size:           2
        .value_kind:     hidden_remainder_y
      - .offset:         78
        .size:           2
        .value_kind:     hidden_remainder_z
      - .offset:         96
        .size:           8
        .value_kind:     hidden_global_offset_x
      - .offset:         104
        .size:           8
        .value_kind:     hidden_global_offset_y
      - .offset:         112
        .size:           8
        .value_kind:     hidden_global_offset_z
      - .offset:         120
        .size:           2
        .value_kind:     hidden_grid_dims
      - .offset:         176
        .size:           4
        .value_kind:     hidden_dynamic_lds_size
    .group_segment_fixed_size: 0
    .kernarg_segment_align: 8
    .kernarg_segment_size: 312
    .language:       OpenCL C
    .language_version:
      - 2
      - 0
    .max_flat_workgroup_size: 512
    .name:           _ZN9rocsolver6v33100L23getf2_npvt_small_kernelILi50EdiiPKPdEEvT1_T3_lS5_lPT2_S5_S5_
    .private_segment_fixed_size: 228
    .sgpr_count:     24
    .sgpr_spill_count: 0
    .symbol:         _ZN9rocsolver6v33100L23getf2_npvt_small_kernelILi50EdiiPKPdEEvT1_T3_lS5_lPT2_S5_S5_.kd
    .uniform_work_group_size: 1
    .uses_dynamic_stack: false
    .vgpr_count:     256
    .vgpr_spill_count: 56
    .wavefront_size: 64
  - .agpr_count:     0
    .args:
      - .offset:         0
        .size:           4
        .value_kind:     by_value
      - .address_space:  global
        .offset:         8
        .size:           8
        .value_kind:     global_buffer
      - .offset:         16
        .size:           8
        .value_kind:     by_value
      - .offset:         24
        .size:           4
        .value_kind:     by_value
      - .offset:         32
        .size:           8
        .value_kind:     by_value
      - .address_space:  global
        .offset:         40
        .size:           8
        .value_kind:     global_buffer
      - .offset:         48
        .size:           8
        .value_kind:     by_value
      - .offset:         56
        .size:           8
        .value_kind:     by_value
      - .address_space:  global
        .offset:         64
        .size:           8
        .value_kind:     global_buffer
      - .offset:         72
        .size:           4
        .value_kind:     by_value
      - .offset:         76
        .size:           4
        .value_kind:     by_value
      - .address_space:  global
        .offset:         80
        .size:           8
        .value_kind:     global_buffer
      - .offset:         88
        .size:           8
        .value_kind:     by_value
      - .offset:         96
        .size:           4
        .value_kind:     hidden_block_count_x
      - .offset:         100
        .size:           4
        .value_kind:     hidden_block_count_y
      - .offset:         104
        .size:           4
        .value_kind:     hidden_block_count_z
      - .offset:         108
        .size:           2
        .value_kind:     hidden_group_size_x
      - .offset:         110
        .size:           2
        .value_kind:     hidden_group_size_y
      - .offset:         112
        .size:           2
        .value_kind:     hidden_group_size_z
      - .offset:         114
        .size:           2
        .value_kind:     hidden_remainder_x
      - .offset:         116
        .size:           2
        .value_kind:     hidden_remainder_y
      - .offset:         118
        .size:           2
        .value_kind:     hidden_remainder_z
      - .offset:         136
        .size:           8
        .value_kind:     hidden_global_offset_x
      - .offset:         144
        .size:           8
        .value_kind:     hidden_global_offset_y
      - .offset:         152
        .size:           8
        .value_kind:     hidden_global_offset_z
      - .offset:         160
        .size:           2
        .value_kind:     hidden_grid_dims
      - .offset:         216
        .size:           4
        .value_kind:     hidden_dynamic_lds_size
    .group_segment_fixed_size: 0
    .kernarg_segment_align: 8
    .kernarg_segment_size: 352
    .language:       OpenCL C
    .language_version:
      - 2
      - 0
    .max_flat_workgroup_size: 512
    .name:           _ZN9rocsolver6v33100L18getf2_small_kernelILi51EdiiPKPdEEvT1_T3_lS5_lPS5_llPT2_S5_S5_S7_l
    .private_segment_fixed_size: 0
    .sgpr_count:     26
    .sgpr_spill_count: 0
    .symbol:         _ZN9rocsolver6v33100L18getf2_small_kernelILi51EdiiPKPdEEvT1_T3_lS5_lPS5_llPT2_S5_S5_S7_l.kd
    .uniform_work_group_size: 1
    .uses_dynamic_stack: false
    .vgpr_count:     164
    .vgpr_spill_count: 0
    .wavefront_size: 64
  - .agpr_count:     0
    .args:
      - .offset:         0
        .size:           4
        .value_kind:     by_value
      - .address_space:  global
        .offset:         8
        .size:           8
        .value_kind:     global_buffer
      - .offset:         16
        .size:           8
        .value_kind:     by_value
      - .offset:         24
        .size:           4
        .value_kind:     by_value
      - .offset:         32
        .size:           8
        .value_kind:     by_value
      - .address_space:  global
        .offset:         40
        .size:           8
        .value_kind:     global_buffer
      - .offset:         48
        .size:           4
        .value_kind:     by_value
      - .offset:         52
        .size:           4
        .value_kind:     by_value
      - .offset:         56
        .size:           4
        .value_kind:     hidden_block_count_x
      - .offset:         60
        .size:           4
        .value_kind:     hidden_block_count_y
      - .offset:         64
        .size:           4
        .value_kind:     hidden_block_count_z
      - .offset:         68
        .size:           2
        .value_kind:     hidden_group_size_x
      - .offset:         70
        .size:           2
        .value_kind:     hidden_group_size_y
      - .offset:         72
        .size:           2
        .value_kind:     hidden_group_size_z
      - .offset:         74
        .size:           2
        .value_kind:     hidden_remainder_x
      - .offset:         76
        .size:           2
        .value_kind:     hidden_remainder_y
      - .offset:         78
        .size:           2
        .value_kind:     hidden_remainder_z
      - .offset:         96
        .size:           8
        .value_kind:     hidden_global_offset_x
      - .offset:         104
        .size:           8
        .value_kind:     hidden_global_offset_y
      - .offset:         112
        .size:           8
        .value_kind:     hidden_global_offset_z
      - .offset:         120
        .size:           2
        .value_kind:     hidden_grid_dims
      - .offset:         176
        .size:           4
        .value_kind:     hidden_dynamic_lds_size
    .group_segment_fixed_size: 0
    .kernarg_segment_align: 8
    .kernarg_segment_size: 312
    .language:       OpenCL C
    .language_version:
      - 2
      - 0
    .max_flat_workgroup_size: 512
    .name:           _ZN9rocsolver6v33100L23getf2_npvt_small_kernelILi51EdiiPKPdEEvT1_T3_lS5_lPT2_S5_S5_
    .private_segment_fixed_size: 252
    .sgpr_count:     24
    .sgpr_spill_count: 0
    .symbol:         _ZN9rocsolver6v33100L23getf2_npvt_small_kernelILi51EdiiPKPdEEvT1_T3_lS5_lPT2_S5_S5_.kd
    .uniform_work_group_size: 1
    .uses_dynamic_stack: false
    .vgpr_count:     256
    .vgpr_spill_count: 62
    .wavefront_size: 64
  - .agpr_count:     0
    .args:
      - .offset:         0
        .size:           4
        .value_kind:     by_value
      - .address_space:  global
        .offset:         8
        .size:           8
        .value_kind:     global_buffer
      - .offset:         16
        .size:           8
        .value_kind:     by_value
      - .offset:         24
        .size:           4
        .value_kind:     by_value
      - .offset:         32
        .size:           8
        .value_kind:     by_value
      - .address_space:  global
        .offset:         40
        .size:           8
        .value_kind:     global_buffer
      - .offset:         48
        .size:           8
        .value_kind:     by_value
      - .offset:         56
        .size:           8
        .value_kind:     by_value
      - .address_space:  global
        .offset:         64
        .size:           8
        .value_kind:     global_buffer
      - .offset:         72
        .size:           4
        .value_kind:     by_value
      - .offset:         76
        .size:           4
        .value_kind:     by_value
      - .address_space:  global
        .offset:         80
        .size:           8
        .value_kind:     global_buffer
      - .offset:         88
        .size:           8
        .value_kind:     by_value
      - .offset:         96
        .size:           4
        .value_kind:     hidden_block_count_x
      - .offset:         100
        .size:           4
        .value_kind:     hidden_block_count_y
      - .offset:         104
        .size:           4
        .value_kind:     hidden_block_count_z
      - .offset:         108
        .size:           2
        .value_kind:     hidden_group_size_x
      - .offset:         110
        .size:           2
        .value_kind:     hidden_group_size_y
      - .offset:         112
        .size:           2
        .value_kind:     hidden_group_size_z
      - .offset:         114
        .size:           2
        .value_kind:     hidden_remainder_x
      - .offset:         116
        .size:           2
        .value_kind:     hidden_remainder_y
      - .offset:         118
        .size:           2
        .value_kind:     hidden_remainder_z
      - .offset:         136
        .size:           8
        .value_kind:     hidden_global_offset_x
      - .offset:         144
        .size:           8
        .value_kind:     hidden_global_offset_y
      - .offset:         152
        .size:           8
        .value_kind:     hidden_global_offset_z
      - .offset:         160
        .size:           2
        .value_kind:     hidden_grid_dims
      - .offset:         216
        .size:           4
        .value_kind:     hidden_dynamic_lds_size
    .group_segment_fixed_size: 0
    .kernarg_segment_align: 8
    .kernarg_segment_size: 352
    .language:       OpenCL C
    .language_version:
      - 2
      - 0
    .max_flat_workgroup_size: 512
    .name:           _ZN9rocsolver6v33100L18getf2_small_kernelILi52EdiiPKPdEEvT1_T3_lS5_lPS5_llPT2_S5_S5_S7_l
    .private_segment_fixed_size: 0
    .sgpr_count:     26
    .sgpr_spill_count: 0
    .symbol:         _ZN9rocsolver6v33100L18getf2_small_kernelILi52EdiiPKPdEEvT1_T3_lS5_lPS5_llPT2_S5_S5_S7_l.kd
    .uniform_work_group_size: 1
    .uses_dynamic_stack: false
    .vgpr_count:     168
    .vgpr_spill_count: 0
    .wavefront_size: 64
  - .agpr_count:     0
    .args:
      - .offset:         0
        .size:           4
        .value_kind:     by_value
      - .address_space:  global
        .offset:         8
        .size:           8
        .value_kind:     global_buffer
      - .offset:         16
        .size:           8
        .value_kind:     by_value
      - .offset:         24
        .size:           4
        .value_kind:     by_value
      - .offset:         32
        .size:           8
        .value_kind:     by_value
      - .address_space:  global
        .offset:         40
        .size:           8
        .value_kind:     global_buffer
      - .offset:         48
        .size:           4
        .value_kind:     by_value
      - .offset:         52
        .size:           4
        .value_kind:     by_value
      - .offset:         56
        .size:           4
        .value_kind:     hidden_block_count_x
      - .offset:         60
        .size:           4
        .value_kind:     hidden_block_count_y
      - .offset:         64
        .size:           4
        .value_kind:     hidden_block_count_z
      - .offset:         68
        .size:           2
        .value_kind:     hidden_group_size_x
      - .offset:         70
        .size:           2
        .value_kind:     hidden_group_size_y
      - .offset:         72
        .size:           2
        .value_kind:     hidden_group_size_z
      - .offset:         74
        .size:           2
        .value_kind:     hidden_remainder_x
      - .offset:         76
        .size:           2
        .value_kind:     hidden_remainder_y
      - .offset:         78
        .size:           2
        .value_kind:     hidden_remainder_z
      - .offset:         96
        .size:           8
        .value_kind:     hidden_global_offset_x
      - .offset:         104
        .size:           8
        .value_kind:     hidden_global_offset_y
      - .offset:         112
        .size:           8
        .value_kind:     hidden_global_offset_z
      - .offset:         120
        .size:           2
        .value_kind:     hidden_grid_dims
      - .offset:         176
        .size:           4
        .value_kind:     hidden_dynamic_lds_size
    .group_segment_fixed_size: 0
    .kernarg_segment_align: 8
    .kernarg_segment_size: 312
    .language:       OpenCL C
    .language_version:
      - 2
      - 0
    .max_flat_workgroup_size: 512
    .name:           _ZN9rocsolver6v33100L23getf2_npvt_small_kernelILi52EdiiPKPdEEvT1_T3_lS5_lPT2_S5_S5_
    .private_segment_fixed_size: 272
    .sgpr_count:     24
    .sgpr_spill_count: 0
    .symbol:         _ZN9rocsolver6v33100L23getf2_npvt_small_kernelILi52EdiiPKPdEEvT1_T3_lS5_lPT2_S5_S5_.kd
    .uniform_work_group_size: 1
    .uses_dynamic_stack: false
    .vgpr_count:     256
    .vgpr_spill_count: 67
    .wavefront_size: 64
  - .agpr_count:     0
    .args:
      - .offset:         0
        .size:           4
        .value_kind:     by_value
      - .address_space:  global
        .offset:         8
        .size:           8
        .value_kind:     global_buffer
      - .offset:         16
        .size:           8
        .value_kind:     by_value
      - .offset:         24
        .size:           4
        .value_kind:     by_value
      - .offset:         32
        .size:           8
        .value_kind:     by_value
      - .address_space:  global
        .offset:         40
        .size:           8
        .value_kind:     global_buffer
      - .offset:         48
        .size:           8
        .value_kind:     by_value
      - .offset:         56
        .size:           8
        .value_kind:     by_value
      - .address_space:  global
        .offset:         64
        .size:           8
        .value_kind:     global_buffer
      - .offset:         72
        .size:           4
        .value_kind:     by_value
      - .offset:         76
        .size:           4
        .value_kind:     by_value
      - .address_space:  global
        .offset:         80
        .size:           8
        .value_kind:     global_buffer
      - .offset:         88
        .size:           8
        .value_kind:     by_value
      - .offset:         96
        .size:           4
        .value_kind:     hidden_block_count_x
      - .offset:         100
        .size:           4
        .value_kind:     hidden_block_count_y
      - .offset:         104
        .size:           4
        .value_kind:     hidden_block_count_z
      - .offset:         108
        .size:           2
        .value_kind:     hidden_group_size_x
      - .offset:         110
        .size:           2
        .value_kind:     hidden_group_size_y
      - .offset:         112
        .size:           2
        .value_kind:     hidden_group_size_z
      - .offset:         114
        .size:           2
        .value_kind:     hidden_remainder_x
      - .offset:         116
        .size:           2
        .value_kind:     hidden_remainder_y
      - .offset:         118
        .size:           2
        .value_kind:     hidden_remainder_z
      - .offset:         136
        .size:           8
        .value_kind:     hidden_global_offset_x
      - .offset:         144
        .size:           8
        .value_kind:     hidden_global_offset_y
      - .offset:         152
        .size:           8
        .value_kind:     hidden_global_offset_z
      - .offset:         160
        .size:           2
        .value_kind:     hidden_grid_dims
      - .offset:         216
        .size:           4
        .value_kind:     hidden_dynamic_lds_size
    .group_segment_fixed_size: 0
    .kernarg_segment_align: 8
    .kernarg_segment_size: 352
    .language:       OpenCL C
    .language_version:
      - 2
      - 0
    .max_flat_workgroup_size: 512
    .name:           _ZN9rocsolver6v33100L18getf2_small_kernelILi53EdiiPKPdEEvT1_T3_lS5_lPS5_llPT2_S5_S5_S7_l
    .private_segment_fixed_size: 0
    .sgpr_count:     26
    .sgpr_spill_count: 0
    .symbol:         _ZN9rocsolver6v33100L18getf2_small_kernelILi53EdiiPKPdEEvT1_T3_lS5_lPS5_llPT2_S5_S5_S7_l.kd
    .uniform_work_group_size: 1
    .uses_dynamic_stack: false
    .vgpr_count:     172
    .vgpr_spill_count: 0
    .wavefront_size: 64
  - .agpr_count:     0
    .args:
      - .offset:         0
        .size:           4
        .value_kind:     by_value
      - .address_space:  global
        .offset:         8
        .size:           8
        .value_kind:     global_buffer
      - .offset:         16
        .size:           8
        .value_kind:     by_value
      - .offset:         24
        .size:           4
        .value_kind:     by_value
      - .offset:         32
        .size:           8
        .value_kind:     by_value
      - .address_space:  global
        .offset:         40
        .size:           8
        .value_kind:     global_buffer
      - .offset:         48
        .size:           4
        .value_kind:     by_value
      - .offset:         52
        .size:           4
        .value_kind:     by_value
      - .offset:         56
        .size:           4
        .value_kind:     hidden_block_count_x
      - .offset:         60
        .size:           4
        .value_kind:     hidden_block_count_y
      - .offset:         64
        .size:           4
        .value_kind:     hidden_block_count_z
      - .offset:         68
        .size:           2
        .value_kind:     hidden_group_size_x
      - .offset:         70
        .size:           2
        .value_kind:     hidden_group_size_y
      - .offset:         72
        .size:           2
        .value_kind:     hidden_group_size_z
      - .offset:         74
        .size:           2
        .value_kind:     hidden_remainder_x
      - .offset:         76
        .size:           2
        .value_kind:     hidden_remainder_y
      - .offset:         78
        .size:           2
        .value_kind:     hidden_remainder_z
      - .offset:         96
        .size:           8
        .value_kind:     hidden_global_offset_x
      - .offset:         104
        .size:           8
        .value_kind:     hidden_global_offset_y
      - .offset:         112
        .size:           8
        .value_kind:     hidden_global_offset_z
      - .offset:         120
        .size:           2
        .value_kind:     hidden_grid_dims
      - .offset:         176
        .size:           4
        .value_kind:     hidden_dynamic_lds_size
    .group_segment_fixed_size: 0
    .kernarg_segment_align: 8
    .kernarg_segment_size: 312
    .language:       OpenCL C
    .language_version:
      - 2
      - 0
    .max_flat_workgroup_size: 512
    .name:           _ZN9rocsolver6v33100L23getf2_npvt_small_kernelILi53EdiiPKPdEEvT1_T3_lS5_lPT2_S5_S5_
    .private_segment_fixed_size: 300
    .sgpr_count:     24
    .sgpr_spill_count: 0
    .symbol:         _ZN9rocsolver6v33100L23getf2_npvt_small_kernelILi53EdiiPKPdEEvT1_T3_lS5_lPT2_S5_S5_.kd
    .uniform_work_group_size: 1
    .uses_dynamic_stack: false
    .vgpr_count:     256
    .vgpr_spill_count: 74
    .wavefront_size: 64
  - .agpr_count:     0
    .args:
      - .offset:         0
        .size:           4
        .value_kind:     by_value
      - .address_space:  global
        .offset:         8
        .size:           8
        .value_kind:     global_buffer
      - .offset:         16
        .size:           8
        .value_kind:     by_value
      - .offset:         24
        .size:           4
        .value_kind:     by_value
      - .offset:         32
        .size:           8
        .value_kind:     by_value
      - .address_space:  global
        .offset:         40
        .size:           8
        .value_kind:     global_buffer
      - .offset:         48
        .size:           8
        .value_kind:     by_value
      - .offset:         56
        .size:           8
        .value_kind:     by_value
      - .address_space:  global
        .offset:         64
        .size:           8
        .value_kind:     global_buffer
      - .offset:         72
        .size:           4
        .value_kind:     by_value
      - .offset:         76
        .size:           4
        .value_kind:     by_value
      - .address_space:  global
        .offset:         80
        .size:           8
        .value_kind:     global_buffer
      - .offset:         88
        .size:           8
        .value_kind:     by_value
      - .offset:         96
        .size:           4
        .value_kind:     hidden_block_count_x
      - .offset:         100
        .size:           4
        .value_kind:     hidden_block_count_y
      - .offset:         104
        .size:           4
        .value_kind:     hidden_block_count_z
      - .offset:         108
        .size:           2
        .value_kind:     hidden_group_size_x
      - .offset:         110
        .size:           2
        .value_kind:     hidden_group_size_y
      - .offset:         112
        .size:           2
        .value_kind:     hidden_group_size_z
      - .offset:         114
        .size:           2
        .value_kind:     hidden_remainder_x
      - .offset:         116
        .size:           2
        .value_kind:     hidden_remainder_y
      - .offset:         118
        .size:           2
        .value_kind:     hidden_remainder_z
      - .offset:         136
        .size:           8
        .value_kind:     hidden_global_offset_x
      - .offset:         144
        .size:           8
        .value_kind:     hidden_global_offset_y
      - .offset:         152
        .size:           8
        .value_kind:     hidden_global_offset_z
      - .offset:         160
        .size:           2
        .value_kind:     hidden_grid_dims
      - .offset:         216
        .size:           4
        .value_kind:     hidden_dynamic_lds_size
    .group_segment_fixed_size: 0
    .kernarg_segment_align: 8
    .kernarg_segment_size: 352
    .language:       OpenCL C
    .language_version:
      - 2
      - 0
    .max_flat_workgroup_size: 512
    .name:           _ZN9rocsolver6v33100L18getf2_small_kernelILi54EdiiPKPdEEvT1_T3_lS5_lPS5_llPT2_S5_S5_S7_l
    .private_segment_fixed_size: 0
    .sgpr_count:     26
    .sgpr_spill_count: 0
    .symbol:         _ZN9rocsolver6v33100L18getf2_small_kernelILi54EdiiPKPdEEvT1_T3_lS5_lPS5_llPT2_S5_S5_S7_l.kd
    .uniform_work_group_size: 1
    .uses_dynamic_stack: false
    .vgpr_count:     174
    .vgpr_spill_count: 0
    .wavefront_size: 64
  - .agpr_count:     0
    .args:
      - .offset:         0
        .size:           4
        .value_kind:     by_value
      - .address_space:  global
        .offset:         8
        .size:           8
        .value_kind:     global_buffer
      - .offset:         16
        .size:           8
        .value_kind:     by_value
      - .offset:         24
        .size:           4
        .value_kind:     by_value
      - .offset:         32
        .size:           8
        .value_kind:     by_value
      - .address_space:  global
        .offset:         40
        .size:           8
        .value_kind:     global_buffer
      - .offset:         48
        .size:           4
        .value_kind:     by_value
      - .offset:         52
        .size:           4
        .value_kind:     by_value
      - .offset:         56
        .size:           4
        .value_kind:     hidden_block_count_x
      - .offset:         60
        .size:           4
        .value_kind:     hidden_block_count_y
      - .offset:         64
        .size:           4
        .value_kind:     hidden_block_count_z
      - .offset:         68
        .size:           2
        .value_kind:     hidden_group_size_x
      - .offset:         70
        .size:           2
        .value_kind:     hidden_group_size_y
      - .offset:         72
        .size:           2
        .value_kind:     hidden_group_size_z
      - .offset:         74
        .size:           2
        .value_kind:     hidden_remainder_x
      - .offset:         76
        .size:           2
        .value_kind:     hidden_remainder_y
      - .offset:         78
        .size:           2
        .value_kind:     hidden_remainder_z
      - .offset:         96
        .size:           8
        .value_kind:     hidden_global_offset_x
      - .offset:         104
        .size:           8
        .value_kind:     hidden_global_offset_y
      - .offset:         112
        .size:           8
        .value_kind:     hidden_global_offset_z
      - .offset:         120
        .size:           2
        .value_kind:     hidden_grid_dims
      - .offset:         176
        .size:           4
        .value_kind:     hidden_dynamic_lds_size
    .group_segment_fixed_size: 0
    .kernarg_segment_align: 8
    .kernarg_segment_size: 312
    .language:       OpenCL C
    .language_version:
      - 2
      - 0
    .max_flat_workgroup_size: 512
    .name:           _ZN9rocsolver6v33100L23getf2_npvt_small_kernelILi54EdiiPKPdEEvT1_T3_lS5_lPT2_S5_S5_
    .private_segment_fixed_size: 320
    .sgpr_count:     24
    .sgpr_spill_count: 0
    .symbol:         _ZN9rocsolver6v33100L23getf2_npvt_small_kernelILi54EdiiPKPdEEvT1_T3_lS5_lPT2_S5_S5_.kd
    .uniform_work_group_size: 1
    .uses_dynamic_stack: false
    .vgpr_count:     256
    .vgpr_spill_count: 79
    .wavefront_size: 64
  - .agpr_count:     0
    .args:
      - .offset:         0
        .size:           4
        .value_kind:     by_value
      - .address_space:  global
        .offset:         8
        .size:           8
        .value_kind:     global_buffer
      - .offset:         16
        .size:           8
        .value_kind:     by_value
      - .offset:         24
        .size:           4
        .value_kind:     by_value
      - .offset:         32
        .size:           8
        .value_kind:     by_value
      - .address_space:  global
        .offset:         40
        .size:           8
        .value_kind:     global_buffer
      - .offset:         48
        .size:           8
        .value_kind:     by_value
      - .offset:         56
        .size:           8
        .value_kind:     by_value
      - .address_space:  global
        .offset:         64
        .size:           8
        .value_kind:     global_buffer
      - .offset:         72
        .size:           4
        .value_kind:     by_value
      - .offset:         76
        .size:           4
        .value_kind:     by_value
      - .address_space:  global
        .offset:         80
        .size:           8
        .value_kind:     global_buffer
      - .offset:         88
        .size:           8
        .value_kind:     by_value
      - .offset:         96
        .size:           4
        .value_kind:     hidden_block_count_x
      - .offset:         100
        .size:           4
        .value_kind:     hidden_block_count_y
      - .offset:         104
        .size:           4
        .value_kind:     hidden_block_count_z
      - .offset:         108
        .size:           2
        .value_kind:     hidden_group_size_x
      - .offset:         110
        .size:           2
        .value_kind:     hidden_group_size_y
      - .offset:         112
        .size:           2
        .value_kind:     hidden_group_size_z
      - .offset:         114
        .size:           2
        .value_kind:     hidden_remainder_x
      - .offset:         116
        .size:           2
        .value_kind:     hidden_remainder_y
      - .offset:         118
        .size:           2
        .value_kind:     hidden_remainder_z
      - .offset:         136
        .size:           8
        .value_kind:     hidden_global_offset_x
      - .offset:         144
        .size:           8
        .value_kind:     hidden_global_offset_y
      - .offset:         152
        .size:           8
        .value_kind:     hidden_global_offset_z
      - .offset:         160
        .size:           2
        .value_kind:     hidden_grid_dims
      - .offset:         216
        .size:           4
        .value_kind:     hidden_dynamic_lds_size
    .group_segment_fixed_size: 0
    .kernarg_segment_align: 8
    .kernarg_segment_size: 352
    .language:       OpenCL C
    .language_version:
      - 2
      - 0
    .max_flat_workgroup_size: 512
    .name:           _ZN9rocsolver6v33100L18getf2_small_kernelILi55EdiiPKPdEEvT1_T3_lS5_lPS5_llPT2_S5_S5_S7_l
    .private_segment_fixed_size: 0
    .sgpr_count:     26
    .sgpr_spill_count: 0
    .symbol:         _ZN9rocsolver6v33100L18getf2_small_kernelILi55EdiiPKPdEEvT1_T3_lS5_lPS5_llPT2_S5_S5_S7_l.kd
    .uniform_work_group_size: 1
    .uses_dynamic_stack: false
    .vgpr_count:     174
    .vgpr_spill_count: 0
    .wavefront_size: 64
  - .agpr_count:     0
    .args:
      - .offset:         0
        .size:           4
        .value_kind:     by_value
      - .address_space:  global
        .offset:         8
        .size:           8
        .value_kind:     global_buffer
      - .offset:         16
        .size:           8
        .value_kind:     by_value
      - .offset:         24
        .size:           4
        .value_kind:     by_value
      - .offset:         32
        .size:           8
        .value_kind:     by_value
      - .address_space:  global
        .offset:         40
        .size:           8
        .value_kind:     global_buffer
      - .offset:         48
        .size:           4
        .value_kind:     by_value
      - .offset:         52
        .size:           4
        .value_kind:     by_value
      - .offset:         56
        .size:           4
        .value_kind:     hidden_block_count_x
      - .offset:         60
        .size:           4
        .value_kind:     hidden_block_count_y
      - .offset:         64
        .size:           4
        .value_kind:     hidden_block_count_z
      - .offset:         68
        .size:           2
        .value_kind:     hidden_group_size_x
      - .offset:         70
        .size:           2
        .value_kind:     hidden_group_size_y
      - .offset:         72
        .size:           2
        .value_kind:     hidden_group_size_z
      - .offset:         74
        .size:           2
        .value_kind:     hidden_remainder_x
      - .offset:         76
        .size:           2
        .value_kind:     hidden_remainder_y
      - .offset:         78
        .size:           2
        .value_kind:     hidden_remainder_z
      - .offset:         96
        .size:           8
        .value_kind:     hidden_global_offset_x
      - .offset:         104
        .size:           8
        .value_kind:     hidden_global_offset_y
      - .offset:         112
        .size:           8
        .value_kind:     hidden_global_offset_z
      - .offset:         120
        .size:           2
        .value_kind:     hidden_grid_dims
      - .offset:         176
        .size:           4
        .value_kind:     hidden_dynamic_lds_size
    .group_segment_fixed_size: 0
    .kernarg_segment_align: 8
    .kernarg_segment_size: 312
    .language:       OpenCL C
    .language_version:
      - 2
      - 0
    .max_flat_workgroup_size: 512
    .name:           _ZN9rocsolver6v33100L23getf2_npvt_small_kernelILi55EdiiPKPdEEvT1_T3_lS5_lPT2_S5_S5_
    .private_segment_fixed_size: 344
    .sgpr_count:     24
    .sgpr_spill_count: 0
    .symbol:         _ZN9rocsolver6v33100L23getf2_npvt_small_kernelILi55EdiiPKPdEEvT1_T3_lS5_lPT2_S5_S5_.kd
    .uniform_work_group_size: 1
    .uses_dynamic_stack: false
    .vgpr_count:     256
    .vgpr_spill_count: 85
    .wavefront_size: 64
  - .agpr_count:     0
    .args:
      - .offset:         0
        .size:           4
        .value_kind:     by_value
      - .address_space:  global
        .offset:         8
        .size:           8
        .value_kind:     global_buffer
      - .offset:         16
        .size:           8
        .value_kind:     by_value
      - .offset:         24
        .size:           4
        .value_kind:     by_value
      - .offset:         32
        .size:           8
        .value_kind:     by_value
      - .address_space:  global
        .offset:         40
        .size:           8
        .value_kind:     global_buffer
      - .offset:         48
        .size:           8
        .value_kind:     by_value
      - .offset:         56
        .size:           8
        .value_kind:     by_value
      - .address_space:  global
        .offset:         64
        .size:           8
        .value_kind:     global_buffer
      - .offset:         72
        .size:           4
        .value_kind:     by_value
      - .offset:         76
        .size:           4
        .value_kind:     by_value
      - .address_space:  global
        .offset:         80
        .size:           8
        .value_kind:     global_buffer
      - .offset:         88
        .size:           8
        .value_kind:     by_value
      - .offset:         96
        .size:           4
        .value_kind:     hidden_block_count_x
      - .offset:         100
        .size:           4
        .value_kind:     hidden_block_count_y
      - .offset:         104
        .size:           4
        .value_kind:     hidden_block_count_z
      - .offset:         108
        .size:           2
        .value_kind:     hidden_group_size_x
      - .offset:         110
        .size:           2
        .value_kind:     hidden_group_size_y
      - .offset:         112
        .size:           2
        .value_kind:     hidden_group_size_z
      - .offset:         114
        .size:           2
        .value_kind:     hidden_remainder_x
      - .offset:         116
        .size:           2
        .value_kind:     hidden_remainder_y
      - .offset:         118
        .size:           2
        .value_kind:     hidden_remainder_z
      - .offset:         136
        .size:           8
        .value_kind:     hidden_global_offset_x
      - .offset:         144
        .size:           8
        .value_kind:     hidden_global_offset_y
      - .offset:         152
        .size:           8
        .value_kind:     hidden_global_offset_z
      - .offset:         160
        .size:           2
        .value_kind:     hidden_grid_dims
      - .offset:         216
        .size:           4
        .value_kind:     hidden_dynamic_lds_size
    .group_segment_fixed_size: 0
    .kernarg_segment_align: 8
    .kernarg_segment_size: 352
    .language:       OpenCL C
    .language_version:
      - 2
      - 0
    .max_flat_workgroup_size: 512
    .name:           _ZN9rocsolver6v33100L18getf2_small_kernelILi56EdiiPKPdEEvT1_T3_lS5_lPS5_llPT2_S5_S5_S7_l
    .private_segment_fixed_size: 0
    .sgpr_count:     26
    .sgpr_spill_count: 0
    .symbol:         _ZN9rocsolver6v33100L18getf2_small_kernelILi56EdiiPKPdEEvT1_T3_lS5_lPS5_llPT2_S5_S5_S7_l.kd
    .uniform_work_group_size: 1
    .uses_dynamic_stack: false
    .vgpr_count:     178
    .vgpr_spill_count: 0
    .wavefront_size: 64
  - .agpr_count:     0
    .args:
      - .offset:         0
        .size:           4
        .value_kind:     by_value
      - .address_space:  global
        .offset:         8
        .size:           8
        .value_kind:     global_buffer
      - .offset:         16
        .size:           8
        .value_kind:     by_value
      - .offset:         24
        .size:           4
        .value_kind:     by_value
      - .offset:         32
        .size:           8
        .value_kind:     by_value
      - .address_space:  global
        .offset:         40
        .size:           8
        .value_kind:     global_buffer
      - .offset:         48
        .size:           4
        .value_kind:     by_value
      - .offset:         52
        .size:           4
        .value_kind:     by_value
      - .offset:         56
        .size:           4
        .value_kind:     hidden_block_count_x
      - .offset:         60
        .size:           4
        .value_kind:     hidden_block_count_y
      - .offset:         64
        .size:           4
        .value_kind:     hidden_block_count_z
      - .offset:         68
        .size:           2
        .value_kind:     hidden_group_size_x
      - .offset:         70
        .size:           2
        .value_kind:     hidden_group_size_y
      - .offset:         72
        .size:           2
        .value_kind:     hidden_group_size_z
      - .offset:         74
        .size:           2
        .value_kind:     hidden_remainder_x
      - .offset:         76
        .size:           2
        .value_kind:     hidden_remainder_y
      - .offset:         78
        .size:           2
        .value_kind:     hidden_remainder_z
      - .offset:         96
        .size:           8
        .value_kind:     hidden_global_offset_x
      - .offset:         104
        .size:           8
        .value_kind:     hidden_global_offset_y
      - .offset:         112
        .size:           8
        .value_kind:     hidden_global_offset_z
      - .offset:         120
        .size:           2
        .value_kind:     hidden_grid_dims
      - .offset:         176
        .size:           4
        .value_kind:     hidden_dynamic_lds_size
    .group_segment_fixed_size: 0
    .kernarg_segment_align: 8
    .kernarg_segment_size: 312
    .language:       OpenCL C
    .language_version:
      - 2
      - 0
    .max_flat_workgroup_size: 512
    .name:           _ZN9rocsolver6v33100L23getf2_npvt_small_kernelILi56EdiiPKPdEEvT1_T3_lS5_lPT2_S5_S5_
    .private_segment_fixed_size: 368
    .sgpr_count:     24
    .sgpr_spill_count: 0
    .symbol:         _ZN9rocsolver6v33100L23getf2_npvt_small_kernelILi56EdiiPKPdEEvT1_T3_lS5_lPT2_S5_S5_.kd
    .uniform_work_group_size: 1
    .uses_dynamic_stack: false
    .vgpr_count:     256
    .vgpr_spill_count: 91
    .wavefront_size: 64
  - .agpr_count:     0
    .args:
      - .offset:         0
        .size:           4
        .value_kind:     by_value
      - .address_space:  global
        .offset:         8
        .size:           8
        .value_kind:     global_buffer
      - .offset:         16
        .size:           8
        .value_kind:     by_value
      - .offset:         24
        .size:           4
        .value_kind:     by_value
      - .offset:         32
        .size:           8
        .value_kind:     by_value
      - .address_space:  global
        .offset:         40
        .size:           8
        .value_kind:     global_buffer
      - .offset:         48
        .size:           8
        .value_kind:     by_value
      - .offset:         56
        .size:           8
        .value_kind:     by_value
      - .address_space:  global
        .offset:         64
        .size:           8
        .value_kind:     global_buffer
      - .offset:         72
        .size:           4
        .value_kind:     by_value
      - .offset:         76
        .size:           4
        .value_kind:     by_value
      - .address_space:  global
        .offset:         80
        .size:           8
        .value_kind:     global_buffer
      - .offset:         88
        .size:           8
        .value_kind:     by_value
      - .offset:         96
        .size:           4
        .value_kind:     hidden_block_count_x
      - .offset:         100
        .size:           4
        .value_kind:     hidden_block_count_y
      - .offset:         104
        .size:           4
        .value_kind:     hidden_block_count_z
      - .offset:         108
        .size:           2
        .value_kind:     hidden_group_size_x
      - .offset:         110
        .size:           2
        .value_kind:     hidden_group_size_y
      - .offset:         112
        .size:           2
        .value_kind:     hidden_group_size_z
      - .offset:         114
        .size:           2
        .value_kind:     hidden_remainder_x
      - .offset:         116
        .size:           2
        .value_kind:     hidden_remainder_y
      - .offset:         118
        .size:           2
        .value_kind:     hidden_remainder_z
      - .offset:         136
        .size:           8
        .value_kind:     hidden_global_offset_x
      - .offset:         144
        .size:           8
        .value_kind:     hidden_global_offset_y
      - .offset:         152
        .size:           8
        .value_kind:     hidden_global_offset_z
      - .offset:         160
        .size:           2
        .value_kind:     hidden_grid_dims
      - .offset:         216
        .size:           4
        .value_kind:     hidden_dynamic_lds_size
    .group_segment_fixed_size: 0
    .kernarg_segment_align: 8
    .kernarg_segment_size: 352
    .language:       OpenCL C
    .language_version:
      - 2
      - 0
    .max_flat_workgroup_size: 512
    .name:           _ZN9rocsolver6v33100L18getf2_small_kernelILi57EdiiPKPdEEvT1_T3_lS5_lPS5_llPT2_S5_S5_S7_l
    .private_segment_fixed_size: 0
    .sgpr_count:     26
    .sgpr_spill_count: 0
    .symbol:         _ZN9rocsolver6v33100L18getf2_small_kernelILi57EdiiPKPdEEvT1_T3_lS5_lPS5_llPT2_S5_S5_S7_l.kd
    .uniform_work_group_size: 1
    .uses_dynamic_stack: false
    .vgpr_count:     180
    .vgpr_spill_count: 0
    .wavefront_size: 64
  - .agpr_count:     0
    .args:
      - .offset:         0
        .size:           4
        .value_kind:     by_value
      - .address_space:  global
        .offset:         8
        .size:           8
        .value_kind:     global_buffer
      - .offset:         16
        .size:           8
        .value_kind:     by_value
      - .offset:         24
        .size:           4
        .value_kind:     by_value
      - .offset:         32
        .size:           8
        .value_kind:     by_value
      - .address_space:  global
        .offset:         40
        .size:           8
        .value_kind:     global_buffer
      - .offset:         48
        .size:           4
        .value_kind:     by_value
      - .offset:         52
        .size:           4
        .value_kind:     by_value
      - .offset:         56
        .size:           4
        .value_kind:     hidden_block_count_x
      - .offset:         60
        .size:           4
        .value_kind:     hidden_block_count_y
      - .offset:         64
        .size:           4
        .value_kind:     hidden_block_count_z
      - .offset:         68
        .size:           2
        .value_kind:     hidden_group_size_x
      - .offset:         70
        .size:           2
        .value_kind:     hidden_group_size_y
      - .offset:         72
        .size:           2
        .value_kind:     hidden_group_size_z
      - .offset:         74
        .size:           2
        .value_kind:     hidden_remainder_x
      - .offset:         76
        .size:           2
        .value_kind:     hidden_remainder_y
      - .offset:         78
        .size:           2
        .value_kind:     hidden_remainder_z
      - .offset:         96
        .size:           8
        .value_kind:     hidden_global_offset_x
      - .offset:         104
        .size:           8
        .value_kind:     hidden_global_offset_y
      - .offset:         112
        .size:           8
        .value_kind:     hidden_global_offset_z
      - .offset:         120
        .size:           2
        .value_kind:     hidden_grid_dims
      - .offset:         176
        .size:           4
        .value_kind:     hidden_dynamic_lds_size
    .group_segment_fixed_size: 0
    .kernarg_segment_align: 8
    .kernarg_segment_size: 312
    .language:       OpenCL C
    .language_version:
      - 2
      - 0
    .max_flat_workgroup_size: 512
    .name:           _ZN9rocsolver6v33100L23getf2_npvt_small_kernelILi57EdiiPKPdEEvT1_T3_lS5_lPT2_S5_S5_
    .private_segment_fixed_size: 396
    .sgpr_count:     24
    .sgpr_spill_count: 0
    .symbol:         _ZN9rocsolver6v33100L23getf2_npvt_small_kernelILi57EdiiPKPdEEvT1_T3_lS5_lPT2_S5_S5_.kd
    .uniform_work_group_size: 1
    .uses_dynamic_stack: false
    .vgpr_count:     256
    .vgpr_spill_count: 98
    .wavefront_size: 64
  - .agpr_count:     0
    .args:
      - .offset:         0
        .size:           4
        .value_kind:     by_value
      - .address_space:  global
        .offset:         8
        .size:           8
        .value_kind:     global_buffer
      - .offset:         16
        .size:           8
        .value_kind:     by_value
      - .offset:         24
        .size:           4
        .value_kind:     by_value
      - .offset:         32
        .size:           8
        .value_kind:     by_value
      - .address_space:  global
        .offset:         40
        .size:           8
        .value_kind:     global_buffer
      - .offset:         48
        .size:           8
        .value_kind:     by_value
      - .offset:         56
        .size:           8
        .value_kind:     by_value
      - .address_space:  global
        .offset:         64
        .size:           8
        .value_kind:     global_buffer
      - .offset:         72
        .size:           4
        .value_kind:     by_value
      - .offset:         76
        .size:           4
        .value_kind:     by_value
      - .address_space:  global
        .offset:         80
        .size:           8
        .value_kind:     global_buffer
      - .offset:         88
        .size:           8
        .value_kind:     by_value
      - .offset:         96
        .size:           4
        .value_kind:     hidden_block_count_x
      - .offset:         100
        .size:           4
        .value_kind:     hidden_block_count_y
      - .offset:         104
        .size:           4
        .value_kind:     hidden_block_count_z
      - .offset:         108
        .size:           2
        .value_kind:     hidden_group_size_x
      - .offset:         110
        .size:           2
        .value_kind:     hidden_group_size_y
      - .offset:         112
        .size:           2
        .value_kind:     hidden_group_size_z
      - .offset:         114
        .size:           2
        .value_kind:     hidden_remainder_x
      - .offset:         116
        .size:           2
        .value_kind:     hidden_remainder_y
      - .offset:         118
        .size:           2
        .value_kind:     hidden_remainder_z
      - .offset:         136
        .size:           8
        .value_kind:     hidden_global_offset_x
      - .offset:         144
        .size:           8
        .value_kind:     hidden_global_offset_y
      - .offset:         152
        .size:           8
        .value_kind:     hidden_global_offset_z
      - .offset:         160
        .size:           2
        .value_kind:     hidden_grid_dims
      - .offset:         216
        .size:           4
        .value_kind:     hidden_dynamic_lds_size
    .group_segment_fixed_size: 0
    .kernarg_segment_align: 8
    .kernarg_segment_size: 352
    .language:       OpenCL C
    .language_version:
      - 2
      - 0
    .max_flat_workgroup_size: 512
    .name:           _ZN9rocsolver6v33100L18getf2_small_kernelILi58EdiiPKPdEEvT1_T3_lS5_lPS5_llPT2_S5_S5_S7_l
    .private_segment_fixed_size: 0
    .sgpr_count:     26
    .sgpr_spill_count: 0
    .symbol:         _ZN9rocsolver6v33100L18getf2_small_kernelILi58EdiiPKPdEEvT1_T3_lS5_lPS5_llPT2_S5_S5_S7_l.kd
    .uniform_work_group_size: 1
    .uses_dynamic_stack: false
    .vgpr_count:     182
    .vgpr_spill_count: 0
    .wavefront_size: 64
  - .agpr_count:     0
    .args:
      - .offset:         0
        .size:           4
        .value_kind:     by_value
      - .address_space:  global
        .offset:         8
        .size:           8
        .value_kind:     global_buffer
      - .offset:         16
        .size:           8
        .value_kind:     by_value
      - .offset:         24
        .size:           4
        .value_kind:     by_value
      - .offset:         32
        .size:           8
        .value_kind:     by_value
      - .address_space:  global
        .offset:         40
        .size:           8
        .value_kind:     global_buffer
      - .offset:         48
        .size:           4
        .value_kind:     by_value
      - .offset:         52
        .size:           4
        .value_kind:     by_value
      - .offset:         56
        .size:           4
        .value_kind:     hidden_block_count_x
      - .offset:         60
        .size:           4
        .value_kind:     hidden_block_count_y
      - .offset:         64
        .size:           4
        .value_kind:     hidden_block_count_z
      - .offset:         68
        .size:           2
        .value_kind:     hidden_group_size_x
      - .offset:         70
        .size:           2
        .value_kind:     hidden_group_size_y
      - .offset:         72
        .size:           2
        .value_kind:     hidden_group_size_z
      - .offset:         74
        .size:           2
        .value_kind:     hidden_remainder_x
      - .offset:         76
        .size:           2
        .value_kind:     hidden_remainder_y
      - .offset:         78
        .size:           2
        .value_kind:     hidden_remainder_z
      - .offset:         96
        .size:           8
        .value_kind:     hidden_global_offset_x
      - .offset:         104
        .size:           8
        .value_kind:     hidden_global_offset_y
      - .offset:         112
        .size:           8
        .value_kind:     hidden_global_offset_z
      - .offset:         120
        .size:           2
        .value_kind:     hidden_grid_dims
      - .offset:         176
        .size:           4
        .value_kind:     hidden_dynamic_lds_size
    .group_segment_fixed_size: 0
    .kernarg_segment_align: 8
    .kernarg_segment_size: 312
    .language:       OpenCL C
    .language_version:
      - 2
      - 0
    .max_flat_workgroup_size: 512
    .name:           _ZN9rocsolver6v33100L23getf2_npvt_small_kernelILi58EdiiPKPdEEvT1_T3_lS5_lPT2_S5_S5_
    .private_segment_fixed_size: 420
    .sgpr_count:     24
    .sgpr_spill_count: 0
    .symbol:         _ZN9rocsolver6v33100L23getf2_npvt_small_kernelILi58EdiiPKPdEEvT1_T3_lS5_lPT2_S5_S5_.kd
    .uniform_work_group_size: 1
    .uses_dynamic_stack: false
    .vgpr_count:     256
    .vgpr_spill_count: 104
    .wavefront_size: 64
  - .agpr_count:     0
    .args:
      - .offset:         0
        .size:           4
        .value_kind:     by_value
      - .address_space:  global
        .offset:         8
        .size:           8
        .value_kind:     global_buffer
      - .offset:         16
        .size:           8
        .value_kind:     by_value
      - .offset:         24
        .size:           4
        .value_kind:     by_value
      - .offset:         32
        .size:           8
        .value_kind:     by_value
      - .address_space:  global
        .offset:         40
        .size:           8
        .value_kind:     global_buffer
      - .offset:         48
        .size:           8
        .value_kind:     by_value
      - .offset:         56
        .size:           8
        .value_kind:     by_value
      - .address_space:  global
        .offset:         64
        .size:           8
        .value_kind:     global_buffer
      - .offset:         72
        .size:           4
        .value_kind:     by_value
      - .offset:         76
        .size:           4
        .value_kind:     by_value
      - .address_space:  global
        .offset:         80
        .size:           8
        .value_kind:     global_buffer
      - .offset:         88
        .size:           8
        .value_kind:     by_value
      - .offset:         96
        .size:           4
        .value_kind:     hidden_block_count_x
      - .offset:         100
        .size:           4
        .value_kind:     hidden_block_count_y
      - .offset:         104
        .size:           4
        .value_kind:     hidden_block_count_z
      - .offset:         108
        .size:           2
        .value_kind:     hidden_group_size_x
      - .offset:         110
        .size:           2
        .value_kind:     hidden_group_size_y
      - .offset:         112
        .size:           2
        .value_kind:     hidden_group_size_z
      - .offset:         114
        .size:           2
        .value_kind:     hidden_remainder_x
      - .offset:         116
        .size:           2
        .value_kind:     hidden_remainder_y
      - .offset:         118
        .size:           2
        .value_kind:     hidden_remainder_z
      - .offset:         136
        .size:           8
        .value_kind:     hidden_global_offset_x
      - .offset:         144
        .size:           8
        .value_kind:     hidden_global_offset_y
      - .offset:         152
        .size:           8
        .value_kind:     hidden_global_offset_z
      - .offset:         160
        .size:           2
        .value_kind:     hidden_grid_dims
      - .offset:         216
        .size:           4
        .value_kind:     hidden_dynamic_lds_size
    .group_segment_fixed_size: 0
    .kernarg_segment_align: 8
    .kernarg_segment_size: 352
    .language:       OpenCL C
    .language_version:
      - 2
      - 0
    .max_flat_workgroup_size: 512
    .name:           _ZN9rocsolver6v33100L18getf2_small_kernelILi59EdiiPKPdEEvT1_T3_lS5_lPS5_llPT2_S5_S5_S7_l
    .private_segment_fixed_size: 0
    .sgpr_count:     26
    .sgpr_spill_count: 0
    .symbol:         _ZN9rocsolver6v33100L18getf2_small_kernelILi59EdiiPKPdEEvT1_T3_lS5_lPS5_llPT2_S5_S5_S7_l.kd
    .uniform_work_group_size: 1
    .uses_dynamic_stack: false
    .vgpr_count:     184
    .vgpr_spill_count: 0
    .wavefront_size: 64
  - .agpr_count:     0
    .args:
      - .offset:         0
        .size:           4
        .value_kind:     by_value
      - .address_space:  global
        .offset:         8
        .size:           8
        .value_kind:     global_buffer
      - .offset:         16
        .size:           8
        .value_kind:     by_value
      - .offset:         24
        .size:           4
        .value_kind:     by_value
      - .offset:         32
        .size:           8
        .value_kind:     by_value
      - .address_space:  global
        .offset:         40
        .size:           8
        .value_kind:     global_buffer
      - .offset:         48
        .size:           4
        .value_kind:     by_value
      - .offset:         52
        .size:           4
        .value_kind:     by_value
      - .offset:         56
        .size:           4
        .value_kind:     hidden_block_count_x
      - .offset:         60
        .size:           4
        .value_kind:     hidden_block_count_y
      - .offset:         64
        .size:           4
        .value_kind:     hidden_block_count_z
      - .offset:         68
        .size:           2
        .value_kind:     hidden_group_size_x
      - .offset:         70
        .size:           2
        .value_kind:     hidden_group_size_y
      - .offset:         72
        .size:           2
        .value_kind:     hidden_group_size_z
      - .offset:         74
        .size:           2
        .value_kind:     hidden_remainder_x
      - .offset:         76
        .size:           2
        .value_kind:     hidden_remainder_y
      - .offset:         78
        .size:           2
        .value_kind:     hidden_remainder_z
      - .offset:         96
        .size:           8
        .value_kind:     hidden_global_offset_x
      - .offset:         104
        .size:           8
        .value_kind:     hidden_global_offset_y
      - .offset:         112
        .size:           8
        .value_kind:     hidden_global_offset_z
      - .offset:         120
        .size:           2
        .value_kind:     hidden_grid_dims
      - .offset:         176
        .size:           4
        .value_kind:     hidden_dynamic_lds_size
    .group_segment_fixed_size: 0
    .kernarg_segment_align: 8
    .kernarg_segment_size: 312
    .language:       OpenCL C
    .language_version:
      - 2
      - 0
    .max_flat_workgroup_size: 512
    .name:           _ZN9rocsolver6v33100L23getf2_npvt_small_kernelILi59EdiiPKPdEEvT1_T3_lS5_lPT2_S5_S5_
    .private_segment_fixed_size: 444
    .sgpr_count:     24
    .sgpr_spill_count: 0
    .symbol:         _ZN9rocsolver6v33100L23getf2_npvt_small_kernelILi59EdiiPKPdEEvT1_T3_lS5_lPT2_S5_S5_.kd
    .uniform_work_group_size: 1
    .uses_dynamic_stack: false
    .vgpr_count:     256
    .vgpr_spill_count: 110
    .wavefront_size: 64
  - .agpr_count:     0
    .args:
      - .offset:         0
        .size:           4
        .value_kind:     by_value
      - .address_space:  global
        .offset:         8
        .size:           8
        .value_kind:     global_buffer
      - .offset:         16
        .size:           8
        .value_kind:     by_value
      - .offset:         24
        .size:           4
        .value_kind:     by_value
      - .offset:         32
        .size:           8
        .value_kind:     by_value
      - .address_space:  global
        .offset:         40
        .size:           8
        .value_kind:     global_buffer
      - .offset:         48
        .size:           8
        .value_kind:     by_value
      - .offset:         56
        .size:           8
        .value_kind:     by_value
      - .address_space:  global
        .offset:         64
        .size:           8
        .value_kind:     global_buffer
      - .offset:         72
        .size:           4
        .value_kind:     by_value
      - .offset:         76
        .size:           4
        .value_kind:     by_value
      - .address_space:  global
        .offset:         80
        .size:           8
        .value_kind:     global_buffer
      - .offset:         88
        .size:           8
        .value_kind:     by_value
      - .offset:         96
        .size:           4
        .value_kind:     hidden_block_count_x
      - .offset:         100
        .size:           4
        .value_kind:     hidden_block_count_y
      - .offset:         104
        .size:           4
        .value_kind:     hidden_block_count_z
      - .offset:         108
        .size:           2
        .value_kind:     hidden_group_size_x
      - .offset:         110
        .size:           2
        .value_kind:     hidden_group_size_y
      - .offset:         112
        .size:           2
        .value_kind:     hidden_group_size_z
      - .offset:         114
        .size:           2
        .value_kind:     hidden_remainder_x
      - .offset:         116
        .size:           2
        .value_kind:     hidden_remainder_y
      - .offset:         118
        .size:           2
        .value_kind:     hidden_remainder_z
      - .offset:         136
        .size:           8
        .value_kind:     hidden_global_offset_x
      - .offset:         144
        .size:           8
        .value_kind:     hidden_global_offset_y
      - .offset:         152
        .size:           8
        .value_kind:     hidden_global_offset_z
      - .offset:         160
        .size:           2
        .value_kind:     hidden_grid_dims
      - .offset:         216
        .size:           4
        .value_kind:     hidden_dynamic_lds_size
    .group_segment_fixed_size: 0
    .kernarg_segment_align: 8
    .kernarg_segment_size: 352
    .language:       OpenCL C
    .language_version:
      - 2
      - 0
    .max_flat_workgroup_size: 512
    .name:           _ZN9rocsolver6v33100L18getf2_small_kernelILi60EdiiPKPdEEvT1_T3_lS5_lPS5_llPT2_S5_S5_S7_l
    .private_segment_fixed_size: 0
    .sgpr_count:     26
    .sgpr_spill_count: 0
    .symbol:         _ZN9rocsolver6v33100L18getf2_small_kernelILi60EdiiPKPdEEvT1_T3_lS5_lPS5_llPT2_S5_S5_S7_l.kd
    .uniform_work_group_size: 1
    .uses_dynamic_stack: false
    .vgpr_count:     188
    .vgpr_spill_count: 0
    .wavefront_size: 64
  - .agpr_count:     0
    .args:
      - .offset:         0
        .size:           4
        .value_kind:     by_value
      - .address_space:  global
        .offset:         8
        .size:           8
        .value_kind:     global_buffer
      - .offset:         16
        .size:           8
        .value_kind:     by_value
      - .offset:         24
        .size:           4
        .value_kind:     by_value
      - .offset:         32
        .size:           8
        .value_kind:     by_value
      - .address_space:  global
        .offset:         40
        .size:           8
        .value_kind:     global_buffer
      - .offset:         48
        .size:           4
        .value_kind:     by_value
      - .offset:         52
        .size:           4
        .value_kind:     by_value
      - .offset:         56
        .size:           4
        .value_kind:     hidden_block_count_x
      - .offset:         60
        .size:           4
        .value_kind:     hidden_block_count_y
      - .offset:         64
        .size:           4
        .value_kind:     hidden_block_count_z
      - .offset:         68
        .size:           2
        .value_kind:     hidden_group_size_x
      - .offset:         70
        .size:           2
        .value_kind:     hidden_group_size_y
      - .offset:         72
        .size:           2
        .value_kind:     hidden_group_size_z
      - .offset:         74
        .size:           2
        .value_kind:     hidden_remainder_x
      - .offset:         76
        .size:           2
        .value_kind:     hidden_remainder_y
      - .offset:         78
        .size:           2
        .value_kind:     hidden_remainder_z
      - .offset:         96
        .size:           8
        .value_kind:     hidden_global_offset_x
      - .offset:         104
        .size:           8
        .value_kind:     hidden_global_offset_y
      - .offset:         112
        .size:           8
        .value_kind:     hidden_global_offset_z
      - .offset:         120
        .size:           2
        .value_kind:     hidden_grid_dims
      - .offset:         176
        .size:           4
        .value_kind:     hidden_dynamic_lds_size
    .group_segment_fixed_size: 0
    .kernarg_segment_align: 8
    .kernarg_segment_size: 312
    .language:       OpenCL C
    .language_version:
      - 2
      - 0
    .max_flat_workgroup_size: 512
    .name:           _ZN9rocsolver6v33100L23getf2_npvt_small_kernelILi60EdiiPKPdEEvT1_T3_lS5_lPT2_S5_S5_
    .private_segment_fixed_size: 468
    .sgpr_count:     24
    .sgpr_spill_count: 0
    .symbol:         _ZN9rocsolver6v33100L23getf2_npvt_small_kernelILi60EdiiPKPdEEvT1_T3_lS5_lPT2_S5_S5_.kd
    .uniform_work_group_size: 1
    .uses_dynamic_stack: false
    .vgpr_count:     256
    .vgpr_spill_count: 116
    .wavefront_size: 64
  - .agpr_count:     0
    .args:
      - .offset:         0
        .size:           4
        .value_kind:     by_value
      - .address_space:  global
        .offset:         8
        .size:           8
        .value_kind:     global_buffer
      - .offset:         16
        .size:           8
        .value_kind:     by_value
      - .offset:         24
        .size:           4
        .value_kind:     by_value
      - .offset:         32
        .size:           8
        .value_kind:     by_value
      - .address_space:  global
        .offset:         40
        .size:           8
        .value_kind:     global_buffer
      - .offset:         48
        .size:           8
        .value_kind:     by_value
      - .offset:         56
        .size:           8
        .value_kind:     by_value
      - .address_space:  global
        .offset:         64
        .size:           8
        .value_kind:     global_buffer
      - .offset:         72
        .size:           4
        .value_kind:     by_value
      - .offset:         76
        .size:           4
        .value_kind:     by_value
      - .address_space:  global
        .offset:         80
        .size:           8
        .value_kind:     global_buffer
      - .offset:         88
        .size:           8
        .value_kind:     by_value
      - .offset:         96
        .size:           4
        .value_kind:     hidden_block_count_x
      - .offset:         100
        .size:           4
        .value_kind:     hidden_block_count_y
      - .offset:         104
        .size:           4
        .value_kind:     hidden_block_count_z
      - .offset:         108
        .size:           2
        .value_kind:     hidden_group_size_x
      - .offset:         110
        .size:           2
        .value_kind:     hidden_group_size_y
      - .offset:         112
        .size:           2
        .value_kind:     hidden_group_size_z
      - .offset:         114
        .size:           2
        .value_kind:     hidden_remainder_x
      - .offset:         116
        .size:           2
        .value_kind:     hidden_remainder_y
      - .offset:         118
        .size:           2
        .value_kind:     hidden_remainder_z
      - .offset:         136
        .size:           8
        .value_kind:     hidden_global_offset_x
      - .offset:         144
        .size:           8
        .value_kind:     hidden_global_offset_y
      - .offset:         152
        .size:           8
        .value_kind:     hidden_global_offset_z
      - .offset:         160
        .size:           2
        .value_kind:     hidden_grid_dims
      - .offset:         216
        .size:           4
        .value_kind:     hidden_dynamic_lds_size
    .group_segment_fixed_size: 0
    .kernarg_segment_align: 8
    .kernarg_segment_size: 352
    .language:       OpenCL C
    .language_version:
      - 2
      - 0
    .max_flat_workgroup_size: 512
    .name:           _ZN9rocsolver6v33100L18getf2_small_kernelILi61EdiiPKPdEEvT1_T3_lS5_lPS5_llPT2_S5_S5_S7_l
    .private_segment_fixed_size: 0
    .sgpr_count:     26
    .sgpr_spill_count: 0
    .symbol:         _ZN9rocsolver6v33100L18getf2_small_kernelILi61EdiiPKPdEEvT1_T3_lS5_lPS5_llPT2_S5_S5_S7_l.kd
    .uniform_work_group_size: 1
    .uses_dynamic_stack: false
    .vgpr_count:     190
    .vgpr_spill_count: 0
    .wavefront_size: 64
  - .agpr_count:     0
    .args:
      - .offset:         0
        .size:           4
        .value_kind:     by_value
      - .address_space:  global
        .offset:         8
        .size:           8
        .value_kind:     global_buffer
      - .offset:         16
        .size:           8
        .value_kind:     by_value
      - .offset:         24
        .size:           4
        .value_kind:     by_value
      - .offset:         32
        .size:           8
        .value_kind:     by_value
      - .address_space:  global
        .offset:         40
        .size:           8
        .value_kind:     global_buffer
      - .offset:         48
        .size:           4
        .value_kind:     by_value
      - .offset:         52
        .size:           4
        .value_kind:     by_value
      - .offset:         56
        .size:           4
        .value_kind:     hidden_block_count_x
      - .offset:         60
        .size:           4
        .value_kind:     hidden_block_count_y
      - .offset:         64
        .size:           4
        .value_kind:     hidden_block_count_z
      - .offset:         68
        .size:           2
        .value_kind:     hidden_group_size_x
      - .offset:         70
        .size:           2
        .value_kind:     hidden_group_size_y
      - .offset:         72
        .size:           2
        .value_kind:     hidden_group_size_z
      - .offset:         74
        .size:           2
        .value_kind:     hidden_remainder_x
      - .offset:         76
        .size:           2
        .value_kind:     hidden_remainder_y
      - .offset:         78
        .size:           2
        .value_kind:     hidden_remainder_z
      - .offset:         96
        .size:           8
        .value_kind:     hidden_global_offset_x
      - .offset:         104
        .size:           8
        .value_kind:     hidden_global_offset_y
      - .offset:         112
        .size:           8
        .value_kind:     hidden_global_offset_z
      - .offset:         120
        .size:           2
        .value_kind:     hidden_grid_dims
      - .offset:         176
        .size:           4
        .value_kind:     hidden_dynamic_lds_size
    .group_segment_fixed_size: 0
    .kernarg_segment_align: 8
    .kernarg_segment_size: 312
    .language:       OpenCL C
    .language_version:
      - 2
      - 0
    .max_flat_workgroup_size: 512
    .name:           _ZN9rocsolver6v33100L23getf2_npvt_small_kernelILi61EdiiPKPdEEvT1_T3_lS5_lPT2_S5_S5_
    .private_segment_fixed_size: 488
    .sgpr_count:     24
    .sgpr_spill_count: 0
    .symbol:         _ZN9rocsolver6v33100L23getf2_npvt_small_kernelILi61EdiiPKPdEEvT1_T3_lS5_lPT2_S5_S5_.kd
    .uniform_work_group_size: 1
    .uses_dynamic_stack: false
    .vgpr_count:     256
    .vgpr_spill_count: 121
    .wavefront_size: 64
  - .agpr_count:     0
    .args:
      - .offset:         0
        .size:           4
        .value_kind:     by_value
      - .address_space:  global
        .offset:         8
        .size:           8
        .value_kind:     global_buffer
      - .offset:         16
        .size:           8
        .value_kind:     by_value
      - .offset:         24
        .size:           4
        .value_kind:     by_value
      - .offset:         32
        .size:           8
        .value_kind:     by_value
      - .address_space:  global
        .offset:         40
        .size:           8
        .value_kind:     global_buffer
      - .offset:         48
        .size:           8
        .value_kind:     by_value
      - .offset:         56
        .size:           8
        .value_kind:     by_value
      - .address_space:  global
        .offset:         64
        .size:           8
        .value_kind:     global_buffer
      - .offset:         72
        .size:           4
        .value_kind:     by_value
      - .offset:         76
        .size:           4
        .value_kind:     by_value
      - .address_space:  global
        .offset:         80
        .size:           8
        .value_kind:     global_buffer
      - .offset:         88
        .size:           8
        .value_kind:     by_value
      - .offset:         96
        .size:           4
        .value_kind:     hidden_block_count_x
      - .offset:         100
        .size:           4
        .value_kind:     hidden_block_count_y
      - .offset:         104
        .size:           4
        .value_kind:     hidden_block_count_z
      - .offset:         108
        .size:           2
        .value_kind:     hidden_group_size_x
      - .offset:         110
        .size:           2
        .value_kind:     hidden_group_size_y
      - .offset:         112
        .size:           2
        .value_kind:     hidden_group_size_z
      - .offset:         114
        .size:           2
        .value_kind:     hidden_remainder_x
      - .offset:         116
        .size:           2
        .value_kind:     hidden_remainder_y
      - .offset:         118
        .size:           2
        .value_kind:     hidden_remainder_z
      - .offset:         136
        .size:           8
        .value_kind:     hidden_global_offset_x
      - .offset:         144
        .size:           8
        .value_kind:     hidden_global_offset_y
      - .offset:         152
        .size:           8
        .value_kind:     hidden_global_offset_z
      - .offset:         160
        .size:           2
        .value_kind:     hidden_grid_dims
      - .offset:         216
        .size:           4
        .value_kind:     hidden_dynamic_lds_size
    .group_segment_fixed_size: 0
    .kernarg_segment_align: 8
    .kernarg_segment_size: 352
    .language:       OpenCL C
    .language_version:
      - 2
      - 0
    .max_flat_workgroup_size: 512
    .name:           _ZN9rocsolver6v33100L18getf2_small_kernelILi62EdiiPKPdEEvT1_T3_lS5_lPS5_llPT2_S5_S5_S7_l
    .private_segment_fixed_size: 0
    .sgpr_count:     26
    .sgpr_spill_count: 0
    .symbol:         _ZN9rocsolver6v33100L18getf2_small_kernelILi62EdiiPKPdEEvT1_T3_lS5_lPS5_llPT2_S5_S5_S7_l.kd
    .uniform_work_group_size: 1
    .uses_dynamic_stack: false
    .vgpr_count:     194
    .vgpr_spill_count: 0
    .wavefront_size: 64
  - .agpr_count:     0
    .args:
      - .offset:         0
        .size:           4
        .value_kind:     by_value
      - .address_space:  global
        .offset:         8
        .size:           8
        .value_kind:     global_buffer
      - .offset:         16
        .size:           8
        .value_kind:     by_value
      - .offset:         24
        .size:           4
        .value_kind:     by_value
      - .offset:         32
        .size:           8
        .value_kind:     by_value
      - .address_space:  global
        .offset:         40
        .size:           8
        .value_kind:     global_buffer
      - .offset:         48
        .size:           4
        .value_kind:     by_value
      - .offset:         52
        .size:           4
        .value_kind:     by_value
      - .offset:         56
        .size:           4
        .value_kind:     hidden_block_count_x
      - .offset:         60
        .size:           4
        .value_kind:     hidden_block_count_y
      - .offset:         64
        .size:           4
        .value_kind:     hidden_block_count_z
      - .offset:         68
        .size:           2
        .value_kind:     hidden_group_size_x
      - .offset:         70
        .size:           2
        .value_kind:     hidden_group_size_y
      - .offset:         72
        .size:           2
        .value_kind:     hidden_group_size_z
      - .offset:         74
        .size:           2
        .value_kind:     hidden_remainder_x
      - .offset:         76
        .size:           2
        .value_kind:     hidden_remainder_y
      - .offset:         78
        .size:           2
        .value_kind:     hidden_remainder_z
      - .offset:         96
        .size:           8
        .value_kind:     hidden_global_offset_x
      - .offset:         104
        .size:           8
        .value_kind:     hidden_global_offset_y
      - .offset:         112
        .size:           8
        .value_kind:     hidden_global_offset_z
      - .offset:         120
        .size:           2
        .value_kind:     hidden_grid_dims
      - .offset:         176
        .size:           4
        .value_kind:     hidden_dynamic_lds_size
    .group_segment_fixed_size: 0
    .kernarg_segment_align: 8
    .kernarg_segment_size: 312
    .language:       OpenCL C
    .language_version:
      - 2
      - 0
    .max_flat_workgroup_size: 512
    .name:           _ZN9rocsolver6v33100L23getf2_npvt_small_kernelILi62EdiiPKPdEEvT1_T3_lS5_lPT2_S5_S5_
    .private_segment_fixed_size: 512
    .sgpr_count:     24
    .sgpr_spill_count: 0
    .symbol:         _ZN9rocsolver6v33100L23getf2_npvt_small_kernelILi62EdiiPKPdEEvT1_T3_lS5_lPT2_S5_S5_.kd
    .uniform_work_group_size: 1
    .uses_dynamic_stack: false
    .vgpr_count:     256
    .vgpr_spill_count: 127
    .wavefront_size: 64
  - .agpr_count:     0
    .args:
      - .offset:         0
        .size:           4
        .value_kind:     by_value
      - .address_space:  global
        .offset:         8
        .size:           8
        .value_kind:     global_buffer
      - .offset:         16
        .size:           8
        .value_kind:     by_value
      - .offset:         24
        .size:           4
        .value_kind:     by_value
      - .offset:         32
        .size:           8
        .value_kind:     by_value
      - .address_space:  global
        .offset:         40
        .size:           8
        .value_kind:     global_buffer
      - .offset:         48
        .size:           8
        .value_kind:     by_value
      - .offset:         56
        .size:           8
        .value_kind:     by_value
      - .address_space:  global
        .offset:         64
        .size:           8
        .value_kind:     global_buffer
      - .offset:         72
        .size:           4
        .value_kind:     by_value
      - .offset:         76
        .size:           4
        .value_kind:     by_value
      - .address_space:  global
        .offset:         80
        .size:           8
        .value_kind:     global_buffer
      - .offset:         88
        .size:           8
        .value_kind:     by_value
      - .offset:         96
        .size:           4
        .value_kind:     hidden_block_count_x
      - .offset:         100
        .size:           4
        .value_kind:     hidden_block_count_y
      - .offset:         104
        .size:           4
        .value_kind:     hidden_block_count_z
      - .offset:         108
        .size:           2
        .value_kind:     hidden_group_size_x
      - .offset:         110
        .size:           2
        .value_kind:     hidden_group_size_y
      - .offset:         112
        .size:           2
        .value_kind:     hidden_group_size_z
      - .offset:         114
        .size:           2
        .value_kind:     hidden_remainder_x
      - .offset:         116
        .size:           2
        .value_kind:     hidden_remainder_y
      - .offset:         118
        .size:           2
        .value_kind:     hidden_remainder_z
      - .offset:         136
        .size:           8
        .value_kind:     hidden_global_offset_x
      - .offset:         144
        .size:           8
        .value_kind:     hidden_global_offset_y
      - .offset:         152
        .size:           8
        .value_kind:     hidden_global_offset_z
      - .offset:         160
        .size:           2
        .value_kind:     hidden_grid_dims
      - .offset:         216
        .size:           4
        .value_kind:     hidden_dynamic_lds_size
    .group_segment_fixed_size: 0
    .kernarg_segment_align: 8
    .kernarg_segment_size: 352
    .language:       OpenCL C
    .language_version:
      - 2
      - 0
    .max_flat_workgroup_size: 512
    .name:           _ZN9rocsolver6v33100L18getf2_small_kernelILi63EdiiPKPdEEvT1_T3_lS5_lPS5_llPT2_S5_S5_S7_l
    .private_segment_fixed_size: 0
    .sgpr_count:     26
    .sgpr_spill_count: 0
    .symbol:         _ZN9rocsolver6v33100L18getf2_small_kernelILi63EdiiPKPdEEvT1_T3_lS5_lPS5_llPT2_S5_S5_S7_l.kd
    .uniform_work_group_size: 1
    .uses_dynamic_stack: false
    .vgpr_count:     196
    .vgpr_spill_count: 0
    .wavefront_size: 64
  - .agpr_count:     0
    .args:
      - .offset:         0
        .size:           4
        .value_kind:     by_value
      - .address_space:  global
        .offset:         8
        .size:           8
        .value_kind:     global_buffer
      - .offset:         16
        .size:           8
        .value_kind:     by_value
      - .offset:         24
        .size:           4
        .value_kind:     by_value
      - .offset:         32
        .size:           8
        .value_kind:     by_value
      - .address_space:  global
        .offset:         40
        .size:           8
        .value_kind:     global_buffer
      - .offset:         48
        .size:           4
        .value_kind:     by_value
      - .offset:         52
        .size:           4
        .value_kind:     by_value
      - .offset:         56
        .size:           4
        .value_kind:     hidden_block_count_x
      - .offset:         60
        .size:           4
        .value_kind:     hidden_block_count_y
      - .offset:         64
        .size:           4
        .value_kind:     hidden_block_count_z
      - .offset:         68
        .size:           2
        .value_kind:     hidden_group_size_x
      - .offset:         70
        .size:           2
        .value_kind:     hidden_group_size_y
      - .offset:         72
        .size:           2
        .value_kind:     hidden_group_size_z
      - .offset:         74
        .size:           2
        .value_kind:     hidden_remainder_x
      - .offset:         76
        .size:           2
        .value_kind:     hidden_remainder_y
      - .offset:         78
        .size:           2
        .value_kind:     hidden_remainder_z
      - .offset:         96
        .size:           8
        .value_kind:     hidden_global_offset_x
      - .offset:         104
        .size:           8
        .value_kind:     hidden_global_offset_y
      - .offset:         112
        .size:           8
        .value_kind:     hidden_global_offset_z
      - .offset:         120
        .size:           2
        .value_kind:     hidden_grid_dims
      - .offset:         176
        .size:           4
        .value_kind:     hidden_dynamic_lds_size
    .group_segment_fixed_size: 0
    .kernarg_segment_align: 8
    .kernarg_segment_size: 312
    .language:       OpenCL C
    .language_version:
      - 2
      - 0
    .max_flat_workgroup_size: 512
    .name:           _ZN9rocsolver6v33100L23getf2_npvt_small_kernelILi63EdiiPKPdEEvT1_T3_lS5_lPT2_S5_S5_
    .private_segment_fixed_size: 540
    .sgpr_count:     24
    .sgpr_spill_count: 0
    .symbol:         _ZN9rocsolver6v33100L23getf2_npvt_small_kernelILi63EdiiPKPdEEvT1_T3_lS5_lPT2_S5_S5_.kd
    .uniform_work_group_size: 1
    .uses_dynamic_stack: false
    .vgpr_count:     256
    .vgpr_spill_count: 134
    .wavefront_size: 64
  - .agpr_count:     0
    .args:
      - .offset:         0
        .size:           4
        .value_kind:     by_value
      - .address_space:  global
        .offset:         8
        .size:           8
        .value_kind:     global_buffer
      - .offset:         16
        .size:           8
        .value_kind:     by_value
      - .offset:         24
        .size:           4
        .value_kind:     by_value
      - .offset:         32
        .size:           8
        .value_kind:     by_value
      - .address_space:  global
        .offset:         40
        .size:           8
        .value_kind:     global_buffer
      - .offset:         48
        .size:           8
        .value_kind:     by_value
      - .offset:         56
        .size:           8
        .value_kind:     by_value
      - .address_space:  global
        .offset:         64
        .size:           8
        .value_kind:     global_buffer
      - .offset:         72
        .size:           4
        .value_kind:     by_value
      - .offset:         76
        .size:           4
        .value_kind:     by_value
      - .address_space:  global
        .offset:         80
        .size:           8
        .value_kind:     global_buffer
      - .offset:         88
        .size:           8
        .value_kind:     by_value
      - .offset:         96
        .size:           4
        .value_kind:     hidden_block_count_x
      - .offset:         100
        .size:           4
        .value_kind:     hidden_block_count_y
      - .offset:         104
        .size:           4
        .value_kind:     hidden_block_count_z
      - .offset:         108
        .size:           2
        .value_kind:     hidden_group_size_x
      - .offset:         110
        .size:           2
        .value_kind:     hidden_group_size_y
      - .offset:         112
        .size:           2
        .value_kind:     hidden_group_size_z
      - .offset:         114
        .size:           2
        .value_kind:     hidden_remainder_x
      - .offset:         116
        .size:           2
        .value_kind:     hidden_remainder_y
      - .offset:         118
        .size:           2
        .value_kind:     hidden_remainder_z
      - .offset:         136
        .size:           8
        .value_kind:     hidden_global_offset_x
      - .offset:         144
        .size:           8
        .value_kind:     hidden_global_offset_y
      - .offset:         152
        .size:           8
        .value_kind:     hidden_global_offset_z
      - .offset:         160
        .size:           2
        .value_kind:     hidden_grid_dims
      - .offset:         216
        .size:           4
        .value_kind:     hidden_dynamic_lds_size
    .group_segment_fixed_size: 0
    .kernarg_segment_align: 8
    .kernarg_segment_size: 352
    .language:       OpenCL C
    .language_version:
      - 2
      - 0
    .max_flat_workgroup_size: 512
    .name:           _ZN9rocsolver6v33100L18getf2_small_kernelILi64EdiiPKPdEEvT1_T3_lS5_lPS5_llPT2_S5_S5_S7_l
    .private_segment_fixed_size: 0
    .sgpr_count:     26
    .sgpr_spill_count: 0
    .symbol:         _ZN9rocsolver6v33100L18getf2_small_kernelILi64EdiiPKPdEEvT1_T3_lS5_lPS5_llPT2_S5_S5_S7_l.kd
    .uniform_work_group_size: 1
    .uses_dynamic_stack: false
    .vgpr_count:     200
    .vgpr_spill_count: 0
    .wavefront_size: 64
  - .agpr_count:     0
    .args:
      - .offset:         0
        .size:           4
        .value_kind:     by_value
      - .address_space:  global
        .offset:         8
        .size:           8
        .value_kind:     global_buffer
      - .offset:         16
        .size:           8
        .value_kind:     by_value
      - .offset:         24
        .size:           4
        .value_kind:     by_value
      - .offset:         32
        .size:           8
        .value_kind:     by_value
      - .address_space:  global
        .offset:         40
        .size:           8
        .value_kind:     global_buffer
      - .offset:         48
        .size:           4
        .value_kind:     by_value
      - .offset:         52
        .size:           4
        .value_kind:     by_value
      - .offset:         56
        .size:           4
        .value_kind:     hidden_block_count_x
      - .offset:         60
        .size:           4
        .value_kind:     hidden_block_count_y
      - .offset:         64
        .size:           4
        .value_kind:     hidden_block_count_z
      - .offset:         68
        .size:           2
        .value_kind:     hidden_group_size_x
      - .offset:         70
        .size:           2
        .value_kind:     hidden_group_size_y
      - .offset:         72
        .size:           2
        .value_kind:     hidden_group_size_z
      - .offset:         74
        .size:           2
        .value_kind:     hidden_remainder_x
      - .offset:         76
        .size:           2
        .value_kind:     hidden_remainder_y
      - .offset:         78
        .size:           2
        .value_kind:     hidden_remainder_z
      - .offset:         96
        .size:           8
        .value_kind:     hidden_global_offset_x
      - .offset:         104
        .size:           8
        .value_kind:     hidden_global_offset_y
      - .offset:         112
        .size:           8
        .value_kind:     hidden_global_offset_z
      - .offset:         120
        .size:           2
        .value_kind:     hidden_grid_dims
      - .offset:         176
        .size:           4
        .value_kind:     hidden_dynamic_lds_size
    .group_segment_fixed_size: 0
    .kernarg_segment_align: 8
    .kernarg_segment_size: 312
    .language:       OpenCL C
    .language_version:
      - 2
      - 0
    .max_flat_workgroup_size: 512
    .name:           _ZN9rocsolver6v33100L23getf2_npvt_small_kernelILi64EdiiPKPdEEvT1_T3_lS5_lPT2_S5_S5_
    .private_segment_fixed_size: 560
    .sgpr_count:     24
    .sgpr_spill_count: 0
    .symbol:         _ZN9rocsolver6v33100L23getf2_npvt_small_kernelILi64EdiiPKPdEEvT1_T3_lS5_lPT2_S5_S5_.kd
    .uniform_work_group_size: 1
    .uses_dynamic_stack: false
    .vgpr_count:     256
    .vgpr_spill_count: 139
    .wavefront_size: 64
amdhsa.target:   amdgcn-amd-amdhsa--gfx90a
amdhsa.version:
  - 1
  - 2
...

	.end_amdgpu_metadata
